;; amdgpu-corpus repo=ROCm/rocThrust kind=compiled arch=gfx950 opt=O3
	.amdgcn_target "amdgcn-amd-amdhsa--gfx950"
	.amdhsa_code_object_version 6
	.text
	.protected	_Z12ReduceKerneliPiS_   ; -- Begin function _Z12ReduceKerneliPiS_
	.globl	_Z12ReduceKerneliPiS_
	.p2align	8
	.type	_Z12ReduceKerneliPiS_,@function
_Z12ReduceKerneliPiS_:                  ; @_Z12ReduceKerneliPiS_
; %bb.0:
	s_mov_b32 s12, 0
	v_cmp_eq_u32_e32 vcc, 0, v0
	s_and_saveexec_b64 s[2:3], vcc
	s_cbranch_execz .LBB0_10
; %bb.1:
	s_load_dword s2, s[0:1], 0x0
	s_load_dwordx4 s[4:7], s[0:1], 0x8
	s_waitcnt lgkmcnt(0)
	s_cmp_eq_u32 s2, 0
	s_cbranch_scc1 .LBB0_9
; %bb.2:
	s_ashr_i32 s3, s2, 31
	s_lshl_b64 s[0:1], s[2:3], 2
	s_add_u32 s2, s0, -4
	s_addc_u32 s3, s1, -1
	v_cmp_lt_u64_e64 s[8:9], s[2:3], 12
	s_and_b64 vcc, exec, s[8:9]
	s_cbranch_vccnz .LBB0_6
; %bb.3:
	s_lshr_b64 s[2:3], s[2:3], 2
	s_add_u32 s2, s2, 1
	s_addc_u32 s3, s3, 0
	s_and_b32 s8, s2, -4
	s_mov_b32 s9, s3
	s_add_u32 s13, s4, 8
	s_addc_u32 s14, s5, 0
	s_mov_b64 s[10:11], s[8:9]
	s_mov_b32 s15, 0
	s_mov_b32 s16, 0
	;; [unrolled: 1-line block ×3, first 2 shown]
.LBB0_4:                                ; =>This Inner Loop Header: Depth=1
	s_add_u32 s18, s13, -8
	s_addc_u32 s19, s14, -1
	s_load_dwordx4 s[20:23], s[18:19], 0x0
	s_waitcnt lgkmcnt(0)
	s_add_i32 s15, s21, s15
	s_add_i32 s12, s20, s12
	;; [unrolled: 1-line block ×4, first 2 shown]
	s_add_u32 s13, s13, 16
	s_addc_u32 s14, s14, 0
	s_add_u32 s10, s10, -4
	s_addc_u32 s11, s11, -1
	s_cmp_lg_u64 s[10:11], 0
	s_cbranch_scc1 .LBB0_4
; %bb.5:
	s_lshl_b64 s[10:11], s[8:9], 2
	s_add_u32 s10, s4, s10
	s_addc_u32 s11, s5, s11
	s_add_i32 s13, s17, s15
	s_add_i32 s12, s16, s12
	;; [unrolled: 1-line block ×3, first 2 shown]
	s_cmp_lg_u64 s[2:3], s[8:9]
	s_cselect_b64 s[2:3], -1, 0
	s_and_b64 vcc, exec, s[2:3]
	s_cbranch_vccnz .LBB0_7
	s_branch .LBB0_9
.LBB0_6:
	s_mov_b64 s[10:11], s[4:5]
	s_cbranch_execz .LBB0_9
.LBB0_7:
	s_add_u32 s0, s4, s0
	s_addc_u32 s1, s5, s1
.LBB0_8:                                ; =>This Inner Loop Header: Depth=1
	s_load_dword s2, s[10:11], 0x0
	s_waitcnt lgkmcnt(0)
	s_add_i32 s12, s2, s12
	s_add_u32 s10, s10, 4
	s_addc_u32 s11, s11, 0
	s_cmp_lg_u64 s[10:11], s[0:1]
	s_cbranch_scc1 .LBB0_8
.LBB0_9:
	v_mov_b32_e32 v0, 0
	v_mov_b32_e32 v1, s12
	global_store_dword v0, v1, s[6:7]
.LBB0_10:
	s_endpgm
	.section	.rodata,"a",@progbits
	.p2align	6, 0x0
	.amdhsa_kernel _Z12ReduceKerneliPiS_
		.amdhsa_group_segment_fixed_size 0
		.amdhsa_private_segment_fixed_size 0
		.amdhsa_kernarg_size 24
		.amdhsa_user_sgpr_count 2
		.amdhsa_user_sgpr_dispatch_ptr 0
		.amdhsa_user_sgpr_queue_ptr 0
		.amdhsa_user_sgpr_kernarg_segment_ptr 1
		.amdhsa_user_sgpr_dispatch_id 0
		.amdhsa_user_sgpr_kernarg_preload_length 0
		.amdhsa_user_sgpr_kernarg_preload_offset 0
		.amdhsa_user_sgpr_private_segment_size 0
		.amdhsa_uses_dynamic_stack 0
		.amdhsa_enable_private_segment 0
		.amdhsa_system_sgpr_workgroup_id_x 1
		.amdhsa_system_sgpr_workgroup_id_y 0
		.amdhsa_system_sgpr_workgroup_id_z 0
		.amdhsa_system_sgpr_workgroup_info 0
		.amdhsa_system_vgpr_workitem_id 0
		.amdhsa_next_free_vgpr 2
		.amdhsa_next_free_sgpr 24
		.amdhsa_accum_offset 4
		.amdhsa_reserve_vcc 1
		.amdhsa_float_round_mode_32 0
		.amdhsa_float_round_mode_16_64 0
		.amdhsa_float_denorm_mode_32 3
		.amdhsa_float_denorm_mode_16_64 3
		.amdhsa_dx10_clamp 1
		.amdhsa_ieee_mode 1
		.amdhsa_fp16_overflow 0
		.amdhsa_tg_split 0
		.amdhsa_exception_fp_ieee_invalid_op 0
		.amdhsa_exception_fp_denorm_src 0
		.amdhsa_exception_fp_ieee_div_zero 0
		.amdhsa_exception_fp_ieee_overflow 0
		.amdhsa_exception_fp_ieee_underflow 0
		.amdhsa_exception_fp_ieee_inexact 0
		.amdhsa_exception_int_div_zero 0
	.end_amdhsa_kernel
	.text
.Lfunc_end0:
	.size	_Z12ReduceKerneliPiS_, .Lfunc_end0-_Z12ReduceKerneliPiS_
                                        ; -- End function
	.set _Z12ReduceKerneliPiS_.num_vgpr, 2
	.set _Z12ReduceKerneliPiS_.num_agpr, 0
	.set _Z12ReduceKerneliPiS_.numbered_sgpr, 24
	.set _Z12ReduceKerneliPiS_.num_named_barrier, 0
	.set _Z12ReduceKerneliPiS_.private_seg_size, 0
	.set _Z12ReduceKerneliPiS_.uses_vcc, 1
	.set _Z12ReduceKerneliPiS_.uses_flat_scratch, 0
	.set _Z12ReduceKerneliPiS_.has_dyn_sized_stack, 0
	.set _Z12ReduceKerneliPiS_.has_recursion, 0
	.set _Z12ReduceKerneliPiS_.has_indirect_call, 0
	.section	.AMDGPU.csdata,"",@progbits
; Kernel info:
; codeLenInByte = 292
; TotalNumSgprs: 30
; NumVgprs: 2
; NumAgprs: 0
; TotalNumVgprs: 2
; ScratchSize: 0
; MemoryBound: 0
; FloatMode: 240
; IeeeMode: 1
; LDSByteSize: 0 bytes/workgroup (compile time only)
; SGPRBlocks: 3
; VGPRBlocks: 0
; NumSGPRsForWavesPerEU: 30
; NumVGPRsForWavesPerEU: 2
; AccumOffset: 4
; Occupancy: 8
; WaveLimiterHint : 0
; COMPUTE_PGM_RSRC2:SCRATCH_EN: 0
; COMPUTE_PGM_RSRC2:USER_SGPR: 2
; COMPUTE_PGM_RSRC2:TRAP_HANDLER: 0
; COMPUTE_PGM_RSRC2:TGID_X_EN: 1
; COMPUTE_PGM_RSRC2:TGID_Y_EN: 0
; COMPUTE_PGM_RSRC2:TGID_Z_EN: 0
; COMPUTE_PGM_RSRC2:TIDIG_COMP_CNT: 0
; COMPUTE_PGM_RSRC3_GFX90A:ACCUM_OFFSET: 0
; COMPUTE_PGM_RSRC3_GFX90A:TG_SPLIT: 0
	.section	.text._ZN6thrust23THRUST_200600_302600_NS11hip_rocprim14__parallel_for6kernelILj256ENS1_20__uninitialized_fill7functorINS0_10device_ptrIdEEdEEmLj1EEEvT0_T1_SA_,"axG",@progbits,_ZN6thrust23THRUST_200600_302600_NS11hip_rocprim14__parallel_for6kernelILj256ENS1_20__uninitialized_fill7functorINS0_10device_ptrIdEEdEEmLj1EEEvT0_T1_SA_,comdat
	.protected	_ZN6thrust23THRUST_200600_302600_NS11hip_rocprim14__parallel_for6kernelILj256ENS1_20__uninitialized_fill7functorINS0_10device_ptrIdEEdEEmLj1EEEvT0_T1_SA_ ; -- Begin function _ZN6thrust23THRUST_200600_302600_NS11hip_rocprim14__parallel_for6kernelILj256ENS1_20__uninitialized_fill7functorINS0_10device_ptrIdEEdEEmLj1EEEvT0_T1_SA_
	.globl	_ZN6thrust23THRUST_200600_302600_NS11hip_rocprim14__parallel_for6kernelILj256ENS1_20__uninitialized_fill7functorINS0_10device_ptrIdEEdEEmLj1EEEvT0_T1_SA_
	.p2align	8
	.type	_ZN6thrust23THRUST_200600_302600_NS11hip_rocprim14__parallel_for6kernelILj256ENS1_20__uninitialized_fill7functorINS0_10device_ptrIdEEdEEmLj1EEEvT0_T1_SA_,@function
_ZN6thrust23THRUST_200600_302600_NS11hip_rocprim14__parallel_for6kernelILj256ENS1_20__uninitialized_fill7functorINS0_10device_ptrIdEEdEEmLj1EEEvT0_T1_SA_: ; @_ZN6thrust23THRUST_200600_302600_NS11hip_rocprim14__parallel_for6kernelILj256ENS1_20__uninitialized_fill7functorINS0_10device_ptrIdEEdEEmLj1EEEvT0_T1_SA_
; %bb.0:
	s_load_dwordx8 s[4:11], s[0:1], 0x0
	s_lshl_b32 s0, s2, 8
	v_mov_b64_e32 v[2:3], 0xff
	s_mov_b64 s[2:3], -1
	s_waitcnt lgkmcnt(0)
	s_add_u32 s0, s10, s0
	s_addc_u32 s1, s11, 0
	s_sub_u32 s8, s8, s0
	s_subb_u32 s9, s9, s1
	v_cmp_gt_u64_e32 vcc, s[8:9], v[2:3]
	s_cbranch_vccz .LBB1_3
; %bb.1:
	s_andn2_b64 vcc, exec, s[2:3]
	s_cbranch_vccz .LBB1_6
.LBB1_2:
	s_endpgm
.LBB1_3:
	v_cmp_gt_u32_e32 vcc, s8, v0
	s_and_saveexec_b64 s[2:3], vcc
	s_cbranch_execz .LBB1_5
; %bb.4:
	s_lshl_b64 s[8:9], s[0:1], 3
	s_add_u32 s8, s4, s8
	s_addc_u32 s9, s5, s9
	v_lshlrev_b32_e32 v2, 3, v0
	v_mov_b32_e32 v3, 0
	v_lshl_add_u64 v[2:3], s[8:9], 0, v[2:3]
	v_mov_b64_e32 v[4:5], s[6:7]
	flat_store_dwordx2 v[2:3], v[4:5]
.LBB1_5:
	s_or_b64 exec, exec, s[2:3]
	s_cbranch_execnz .LBB1_2
.LBB1_6:
	s_lshl_b64 s[0:1], s[0:1], 3
	s_add_u32 s0, s4, s0
	s_addc_u32 s1, s5, s1
	v_lshlrev_b32_e32 v0, 3, v0
	v_mov_b32_e32 v1, 0
	v_lshl_add_u64 v[0:1], s[0:1], 0, v[0:1]
	v_mov_b64_e32 v[2:3], s[6:7]
	flat_store_dwordx2 v[0:1], v[2:3]
	s_endpgm
	.section	.rodata,"a",@progbits
	.p2align	6, 0x0
	.amdhsa_kernel _ZN6thrust23THRUST_200600_302600_NS11hip_rocprim14__parallel_for6kernelILj256ENS1_20__uninitialized_fill7functorINS0_10device_ptrIdEEdEEmLj1EEEvT0_T1_SA_
		.amdhsa_group_segment_fixed_size 0
		.amdhsa_private_segment_fixed_size 0
		.amdhsa_kernarg_size 32
		.amdhsa_user_sgpr_count 2
		.amdhsa_user_sgpr_dispatch_ptr 0
		.amdhsa_user_sgpr_queue_ptr 0
		.amdhsa_user_sgpr_kernarg_segment_ptr 1
		.amdhsa_user_sgpr_dispatch_id 0
		.amdhsa_user_sgpr_kernarg_preload_length 0
		.amdhsa_user_sgpr_kernarg_preload_offset 0
		.amdhsa_user_sgpr_private_segment_size 0
		.amdhsa_uses_dynamic_stack 0
		.amdhsa_enable_private_segment 0
		.amdhsa_system_sgpr_workgroup_id_x 1
		.amdhsa_system_sgpr_workgroup_id_y 0
		.amdhsa_system_sgpr_workgroup_id_z 0
		.amdhsa_system_sgpr_workgroup_info 0
		.amdhsa_system_vgpr_workitem_id 0
		.amdhsa_next_free_vgpr 6
		.amdhsa_next_free_sgpr 12
		.amdhsa_accum_offset 8
		.amdhsa_reserve_vcc 1
		.amdhsa_float_round_mode_32 0
		.amdhsa_float_round_mode_16_64 0
		.amdhsa_float_denorm_mode_32 3
		.amdhsa_float_denorm_mode_16_64 3
		.amdhsa_dx10_clamp 1
		.amdhsa_ieee_mode 1
		.amdhsa_fp16_overflow 0
		.amdhsa_tg_split 0
		.amdhsa_exception_fp_ieee_invalid_op 0
		.amdhsa_exception_fp_denorm_src 0
		.amdhsa_exception_fp_ieee_div_zero 0
		.amdhsa_exception_fp_ieee_overflow 0
		.amdhsa_exception_fp_ieee_underflow 0
		.amdhsa_exception_fp_ieee_inexact 0
		.amdhsa_exception_int_div_zero 0
	.end_amdhsa_kernel
	.section	.text._ZN6thrust23THRUST_200600_302600_NS11hip_rocprim14__parallel_for6kernelILj256ENS1_20__uninitialized_fill7functorINS0_10device_ptrIdEEdEEmLj1EEEvT0_T1_SA_,"axG",@progbits,_ZN6thrust23THRUST_200600_302600_NS11hip_rocprim14__parallel_for6kernelILj256ENS1_20__uninitialized_fill7functorINS0_10device_ptrIdEEdEEmLj1EEEvT0_T1_SA_,comdat
.Lfunc_end1:
	.size	_ZN6thrust23THRUST_200600_302600_NS11hip_rocprim14__parallel_for6kernelILj256ENS1_20__uninitialized_fill7functorINS0_10device_ptrIdEEdEEmLj1EEEvT0_T1_SA_, .Lfunc_end1-_ZN6thrust23THRUST_200600_302600_NS11hip_rocprim14__parallel_for6kernelILj256ENS1_20__uninitialized_fill7functorINS0_10device_ptrIdEEdEEmLj1EEEvT0_T1_SA_
                                        ; -- End function
	.set _ZN6thrust23THRUST_200600_302600_NS11hip_rocprim14__parallel_for6kernelILj256ENS1_20__uninitialized_fill7functorINS0_10device_ptrIdEEdEEmLj1EEEvT0_T1_SA_.num_vgpr, 6
	.set _ZN6thrust23THRUST_200600_302600_NS11hip_rocprim14__parallel_for6kernelILj256ENS1_20__uninitialized_fill7functorINS0_10device_ptrIdEEdEEmLj1EEEvT0_T1_SA_.num_agpr, 0
	.set _ZN6thrust23THRUST_200600_302600_NS11hip_rocprim14__parallel_for6kernelILj256ENS1_20__uninitialized_fill7functorINS0_10device_ptrIdEEdEEmLj1EEEvT0_T1_SA_.numbered_sgpr, 12
	.set _ZN6thrust23THRUST_200600_302600_NS11hip_rocprim14__parallel_for6kernelILj256ENS1_20__uninitialized_fill7functorINS0_10device_ptrIdEEdEEmLj1EEEvT0_T1_SA_.num_named_barrier, 0
	.set _ZN6thrust23THRUST_200600_302600_NS11hip_rocprim14__parallel_for6kernelILj256ENS1_20__uninitialized_fill7functorINS0_10device_ptrIdEEdEEmLj1EEEvT0_T1_SA_.private_seg_size, 0
	.set _ZN6thrust23THRUST_200600_302600_NS11hip_rocprim14__parallel_for6kernelILj256ENS1_20__uninitialized_fill7functorINS0_10device_ptrIdEEdEEmLj1EEEvT0_T1_SA_.uses_vcc, 1
	.set _ZN6thrust23THRUST_200600_302600_NS11hip_rocprim14__parallel_for6kernelILj256ENS1_20__uninitialized_fill7functorINS0_10device_ptrIdEEdEEmLj1EEEvT0_T1_SA_.uses_flat_scratch, 0
	.set _ZN6thrust23THRUST_200600_302600_NS11hip_rocprim14__parallel_for6kernelILj256ENS1_20__uninitialized_fill7functorINS0_10device_ptrIdEEdEEmLj1EEEvT0_T1_SA_.has_dyn_sized_stack, 0
	.set _ZN6thrust23THRUST_200600_302600_NS11hip_rocprim14__parallel_for6kernelILj256ENS1_20__uninitialized_fill7functorINS0_10device_ptrIdEEdEEmLj1EEEvT0_T1_SA_.has_recursion, 0
	.set _ZN6thrust23THRUST_200600_302600_NS11hip_rocprim14__parallel_for6kernelILj256ENS1_20__uninitialized_fill7functorINS0_10device_ptrIdEEdEEmLj1EEEvT0_T1_SA_.has_indirect_call, 0
	.section	.AMDGPU.csdata,"",@progbits
; Kernel info:
; codeLenInByte = 168
; TotalNumSgprs: 18
; NumVgprs: 6
; NumAgprs: 0
; TotalNumVgprs: 6
; ScratchSize: 0
; MemoryBound: 0
; FloatMode: 240
; IeeeMode: 1
; LDSByteSize: 0 bytes/workgroup (compile time only)
; SGPRBlocks: 2
; VGPRBlocks: 0
; NumSGPRsForWavesPerEU: 18
; NumVGPRsForWavesPerEU: 6
; AccumOffset: 8
; Occupancy: 8
; WaveLimiterHint : 0
; COMPUTE_PGM_RSRC2:SCRATCH_EN: 0
; COMPUTE_PGM_RSRC2:USER_SGPR: 2
; COMPUTE_PGM_RSRC2:TRAP_HANDLER: 0
; COMPUTE_PGM_RSRC2:TGID_X_EN: 1
; COMPUTE_PGM_RSRC2:TGID_Y_EN: 0
; COMPUTE_PGM_RSRC2:TGID_Z_EN: 0
; COMPUTE_PGM_RSRC2:TIDIG_COMP_CNT: 0
; COMPUTE_PGM_RSRC3_GFX90A:ACCUM_OFFSET: 1
; COMPUTE_PGM_RSRC3_GFX90A:TG_SPLIT: 0
	.section	.text._ZN7rocprim17ROCPRIM_400000_NS6detail17trampoline_kernelINS0_14default_configENS1_22reduce_config_selectorIdEEZNS1_11reduce_implILb1ES3_PdS7_dN6thrust23THRUST_200600_302600_NS4plusIdEEEE10hipError_tPvRmT1_T2_T3_mT4_P12ihipStream_tbEUlT_E0_NS1_11comp_targetILNS1_3genE0ELNS1_11target_archE4294967295ELNS1_3gpuE0ELNS1_3repE0EEENS1_30default_config_static_selectorELNS0_4arch9wavefront6targetE1EEEvSF_,"axG",@progbits,_ZN7rocprim17ROCPRIM_400000_NS6detail17trampoline_kernelINS0_14default_configENS1_22reduce_config_selectorIdEEZNS1_11reduce_implILb1ES3_PdS7_dN6thrust23THRUST_200600_302600_NS4plusIdEEEE10hipError_tPvRmT1_T2_T3_mT4_P12ihipStream_tbEUlT_E0_NS1_11comp_targetILNS1_3genE0ELNS1_11target_archE4294967295ELNS1_3gpuE0ELNS1_3repE0EEENS1_30default_config_static_selectorELNS0_4arch9wavefront6targetE1EEEvSF_,comdat
	.protected	_ZN7rocprim17ROCPRIM_400000_NS6detail17trampoline_kernelINS0_14default_configENS1_22reduce_config_selectorIdEEZNS1_11reduce_implILb1ES3_PdS7_dN6thrust23THRUST_200600_302600_NS4plusIdEEEE10hipError_tPvRmT1_T2_T3_mT4_P12ihipStream_tbEUlT_E0_NS1_11comp_targetILNS1_3genE0ELNS1_11target_archE4294967295ELNS1_3gpuE0ELNS1_3repE0EEENS1_30default_config_static_selectorELNS0_4arch9wavefront6targetE1EEEvSF_ ; -- Begin function _ZN7rocprim17ROCPRIM_400000_NS6detail17trampoline_kernelINS0_14default_configENS1_22reduce_config_selectorIdEEZNS1_11reduce_implILb1ES3_PdS7_dN6thrust23THRUST_200600_302600_NS4plusIdEEEE10hipError_tPvRmT1_T2_T3_mT4_P12ihipStream_tbEUlT_E0_NS1_11comp_targetILNS1_3genE0ELNS1_11target_archE4294967295ELNS1_3gpuE0ELNS1_3repE0EEENS1_30default_config_static_selectorELNS0_4arch9wavefront6targetE1EEEvSF_
	.globl	_ZN7rocprim17ROCPRIM_400000_NS6detail17trampoline_kernelINS0_14default_configENS1_22reduce_config_selectorIdEEZNS1_11reduce_implILb1ES3_PdS7_dN6thrust23THRUST_200600_302600_NS4plusIdEEEE10hipError_tPvRmT1_T2_T3_mT4_P12ihipStream_tbEUlT_E0_NS1_11comp_targetILNS1_3genE0ELNS1_11target_archE4294967295ELNS1_3gpuE0ELNS1_3repE0EEENS1_30default_config_static_selectorELNS0_4arch9wavefront6targetE1EEEvSF_
	.p2align	8
	.type	_ZN7rocprim17ROCPRIM_400000_NS6detail17trampoline_kernelINS0_14default_configENS1_22reduce_config_selectorIdEEZNS1_11reduce_implILb1ES3_PdS7_dN6thrust23THRUST_200600_302600_NS4plusIdEEEE10hipError_tPvRmT1_T2_T3_mT4_P12ihipStream_tbEUlT_E0_NS1_11comp_targetILNS1_3genE0ELNS1_11target_archE4294967295ELNS1_3gpuE0ELNS1_3repE0EEENS1_30default_config_static_selectorELNS0_4arch9wavefront6targetE1EEEvSF_,@function
_ZN7rocprim17ROCPRIM_400000_NS6detail17trampoline_kernelINS0_14default_configENS1_22reduce_config_selectorIdEEZNS1_11reduce_implILb1ES3_PdS7_dN6thrust23THRUST_200600_302600_NS4plusIdEEEE10hipError_tPvRmT1_T2_T3_mT4_P12ihipStream_tbEUlT_E0_NS1_11comp_targetILNS1_3genE0ELNS1_11target_archE4294967295ELNS1_3gpuE0ELNS1_3repE0EEENS1_30default_config_static_selectorELNS0_4arch9wavefront6targetE1EEEvSF_: ; @_ZN7rocprim17ROCPRIM_400000_NS6detail17trampoline_kernelINS0_14default_configENS1_22reduce_config_selectorIdEEZNS1_11reduce_implILb1ES3_PdS7_dN6thrust23THRUST_200600_302600_NS4plusIdEEEE10hipError_tPvRmT1_T2_T3_mT4_P12ihipStream_tbEUlT_E0_NS1_11comp_targetILNS1_3genE0ELNS1_11target_archE4294967295ELNS1_3gpuE0ELNS1_3repE0EEENS1_30default_config_static_selectorELNS0_4arch9wavefront6targetE1EEEvSF_
; %bb.0:
	s_load_dwordx8 s[36:43], s[0:1], 0x0
	s_load_dwordx4 s[44:47], s[0:1], 0x20
	s_load_dwordx2 s[30:31], s[0:1], 0x30
	v_lshlrev_b32_e32 v34, 3, v0
	v_mbcnt_lo_u32_b32 v1, -1, 0
	s_waitcnt lgkmcnt(0)
	s_lshl_b64 s[0:1], s[38:39], 3
	s_add_u32 s8, s36, s0
	s_addc_u32 s9, s37, s1
	s_lshl_b32 s0, s2, 12
	s_mov_b32 s1, 0
	s_lshr_b64 s[4:5], s[40:41], 12
	s_lshl_b64 s[6:7], s[0:1], 3
	s_add_u32 s34, s8, s6
	s_mov_b32 s3, s1
	s_addc_u32 s35, s9, s7
	s_cmp_lg_u64 s[4:5], s[2:3]
	s_cbranch_scc0 .LBB2_6
; %bb.1:
	v_mov_b32_e32 v35, 0
	v_lshl_add_u64 v[2:3], s[34:35], 0, v[34:35]
	global_load_dwordx2 v[6:7], v34, s[34:35]
	global_load_dwordx2 v[8:9], v34, s[34:35] offset:2048
	v_add_co_u32_e32 v4, vcc, 0x1000, v2
	s_nop 1
	v_addc_co_u32_e32 v5, vcc, 0, v3, vcc
	v_add_co_u32_e32 v10, vcc, 0x2000, v2
	s_nop 1
	v_addc_co_u32_e32 v11, vcc, 0, v3, vcc
	global_load_dwordx2 v[12:13], v[4:5], off
	global_load_dwordx2 v[14:15], v[4:5], off offset:2048
	global_load_dwordx2 v[16:17], v[10:11], off
	global_load_dwordx2 v[18:19], v[10:11], off offset:2048
	v_add_co_u32_e32 v4, vcc, 0x3000, v2
	s_nop 1
	v_addc_co_u32_e32 v5, vcc, 0, v3, vcc
	v_add_co_u32_e32 v10, vcc, 0x4000, v2
	s_nop 1
	v_addc_co_u32_e32 v11, vcc, 0, v3, vcc
	global_load_dwordx2 v[20:21], v[4:5], off
	global_load_dwordx2 v[22:23], v[4:5], off offset:2048
	global_load_dwordx2 v[24:25], v[10:11], off
	global_load_dwordx2 v[26:27], v[10:11], off offset:2048
	;; [unrolled: 10-line block ×3, first 2 shown]
	v_add_co_u32_e32 v2, vcc, 0x7000, v2
	v_mbcnt_hi_u32_b32 v4, -1, v1
	s_nop 0
	v_addc_co_u32_e32 v3, vcc, 0, v3, vcc
	global_load_dwordx2 v[10:11], v[2:3], off
	global_load_dwordx2 v[38:39], v[2:3], off offset:2048
	v_lshlrev_b32_e32 v5, 2, v4
	v_or_b32_e32 v35, 0xfc, v5
	v_cmp_eq_u32_e32 vcc, 0, v4
	s_waitcnt vmcnt(14)
	v_add_f64 v[2:3], v[6:7], v[8:9]
	s_waitcnt vmcnt(13)
	v_add_f64 v[2:3], v[2:3], v[12:13]
	;; [unrolled: 2-line block ×15, first 2 shown]
	s_nop 1
	v_mov_b32_dpp v6, v2 quad_perm:[1,0,3,2] row_mask:0xf bank_mask:0xf bound_ctrl:1
	v_mov_b32_dpp v7, v3 quad_perm:[1,0,3,2] row_mask:0xf bank_mask:0xf bound_ctrl:1
	v_add_f64 v[2:3], v[2:3], v[6:7]
	s_nop 1
	v_mov_b32_dpp v6, v2 quad_perm:[2,3,0,1] row_mask:0xf bank_mask:0xf bound_ctrl:1
	v_mov_b32_dpp v7, v3 quad_perm:[2,3,0,1] row_mask:0xf bank_mask:0xf bound_ctrl:1
	v_add_f64 v[2:3], v[2:3], v[6:7]
	s_nop 1
	v_mov_b32_dpp v6, v2 row_ror:4 row_mask:0xf bank_mask:0xf bound_ctrl:1
	v_mov_b32_dpp v7, v3 row_ror:4 row_mask:0xf bank_mask:0xf bound_ctrl:1
	v_add_f64 v[2:3], v[2:3], v[6:7]
	s_nop 1
	v_mov_b32_dpp v6, v2 row_ror:8 row_mask:0xf bank_mask:0xf bound_ctrl:1
	v_mov_b32_dpp v7, v3 row_ror:8 row_mask:0xf bank_mask:0xf bound_ctrl:1
	v_add_f64 v[2:3], v[2:3], v[6:7]
	s_nop 1
	v_mov_b32_dpp v6, v2 row_bcast:15 row_mask:0xf bank_mask:0xf bound_ctrl:1
	v_mov_b32_dpp v7, v3 row_bcast:15 row_mask:0xf bank_mask:0xf bound_ctrl:1
	v_add_f64 v[2:3], v[2:3], v[6:7]
	s_nop 1
	v_mov_b32_dpp v6, v2 row_bcast:31 row_mask:0xf bank_mask:0xf bound_ctrl:1
	v_mov_b32_dpp v7, v3 row_bcast:31 row_mask:0xf bank_mask:0xf bound_ctrl:1
	v_add_f64 v[2:3], v[2:3], v[6:7]
	ds_bpermute_b32 v2, v35, v2
	ds_bpermute_b32 v3, v35, v3
	s_and_saveexec_b64 s[4:5], vcc
	s_cbranch_execz .LBB2_3
; %bb.2:
	v_lshrrev_b32_e32 v6, 3, v0
	v_and_b32_e32 v6, 24, v6
	s_waitcnt lgkmcnt(0)
	ds_write_b64 v6, v[2:3]
.LBB2_3:
	s_or_b64 exec, exec, s[4:5]
	v_cmp_gt_u32_e32 vcc, 64, v0
	s_waitcnt lgkmcnt(0)
	s_barrier
	s_and_saveexec_b64 s[4:5], vcc
	s_cbranch_execz .LBB2_5
; %bb.4:
	v_and_b32_e32 v6, 3, v4
	v_lshlrev_b32_e32 v2, 3, v6
	ds_read_b64 v[2:3], v2
	v_cmp_ne_u32_e32 vcc, 3, v6
	v_or_b32_e32 v5, 8, v5
	s_nop 0
	v_addc_co_u32_e32 v4, vcc, 0, v4, vcc
	v_lshlrev_b32_e32 v4, 2, v4
	s_waitcnt lgkmcnt(0)
	ds_bpermute_b32 v6, v4, v2
	ds_bpermute_b32 v7, v4, v3
	s_waitcnt lgkmcnt(0)
	v_add_f64 v[2:3], v[2:3], v[6:7]
	ds_bpermute_b32 v4, v5, v2
	ds_bpermute_b32 v5, v5, v3
	s_waitcnt lgkmcnt(0)
	v_add_f64 v[2:3], v[2:3], v[4:5]
.LBB2_5:
	s_or_b64 exec, exec, s[4:5]
	s_branch .LBB2_48
.LBB2_6:
                                        ; implicit-def: $vgpr2_vgpr3
	s_cbranch_execz .LBB2_48
; %bb.7:
	s_sub_i32 s33, s40, s0
	v_mov_b32_e32 v2, 0
	v_cmp_gt_u32_e32 vcc, s33, v0
	v_mov_b32_e32 v3, v2
	v_mov_b32_e32 v4, v2
	;; [unrolled: 1-line block ×31, first 2 shown]
	s_and_saveexec_b64 s[0:1], vcc
	s_cbranch_execz .LBB2_9
; %bb.8:
	global_load_dwordx2 v[36:37], v34, s[34:35]
	v_mov_b32_e32 v38, v2
	v_mov_b32_e32 v39, v2
	;; [unrolled: 1-line block ×30, first 2 shown]
	s_waitcnt vmcnt(0)
	v_mov_b64_e32 v[2:3], v[36:37]
	v_mov_b64_e32 v[4:5], v[38:39]
	;; [unrolled: 1-line block ×16, first 2 shown]
.LBB2_9:
	s_or_b64 exec, exec, s[0:1]
	v_or_b32_e32 v35, 0x100, v0
	v_cmp_gt_u32_e32 vcc, s33, v35
	s_and_saveexec_b64 s[0:1], vcc
	s_cbranch_execz .LBB2_11
; %bb.10:
	global_load_dwordx2 v[4:5], v34, s[34:35] offset:2048
.LBB2_11:
	s_or_b64 exec, exec, s[0:1]
	v_or_b32_e32 v34, 0x200, v0
	v_cmp_gt_u32_e64 s[0:1], s33, v34
	s_and_saveexec_b64 s[4:5], s[0:1]
	s_cbranch_execz .LBB2_13
; %bb.12:
	v_lshlrev_b32_e32 v6, 3, v34
	global_load_dwordx2 v[6:7], v6, s[34:35]
.LBB2_13:
	s_or_b64 exec, exec, s[4:5]
	v_or_b32_e32 v34, 0x300, v0
	v_cmp_gt_u32_e64 s[4:5], s33, v34
	s_and_saveexec_b64 s[6:7], s[4:5]
	s_cbranch_execz .LBB2_15
; %bb.14:
	v_lshlrev_b32_e32 v8, 3, v34
	global_load_dwordx2 v[8:9], v8, s[34:35]
.LBB2_15:
	s_or_b64 exec, exec, s[6:7]
	v_or_b32_e32 v34, 0x400, v0
	v_cmp_gt_u32_e64 s[6:7], s33, v34
	s_and_saveexec_b64 s[8:9], s[6:7]
	s_cbranch_execz .LBB2_17
; %bb.16:
	v_lshlrev_b32_e32 v10, 3, v34
	global_load_dwordx2 v[10:11], v10, s[34:35]
.LBB2_17:
	s_or_b64 exec, exec, s[8:9]
	v_or_b32_e32 v34, 0x500, v0
	v_cmp_gt_u32_e64 s[8:9], s33, v34
	s_and_saveexec_b64 s[10:11], s[8:9]
	s_cbranch_execz .LBB2_19
; %bb.18:
	v_lshlrev_b32_e32 v12, 3, v34
	global_load_dwordx2 v[12:13], v12, s[34:35]
.LBB2_19:
	s_or_b64 exec, exec, s[10:11]
	v_or_b32_e32 v34, 0x600, v0
	v_cmp_gt_u32_e64 s[10:11], s33, v34
	s_and_saveexec_b64 s[12:13], s[10:11]
	s_cbranch_execz .LBB2_21
; %bb.20:
	v_lshlrev_b32_e32 v14, 3, v34
	global_load_dwordx2 v[14:15], v14, s[34:35]
.LBB2_21:
	s_or_b64 exec, exec, s[12:13]
	v_or_b32_e32 v34, 0x700, v0
	v_cmp_gt_u32_e64 s[12:13], s33, v34
	s_and_saveexec_b64 s[14:15], s[12:13]
	s_cbranch_execz .LBB2_23
; %bb.22:
	v_lshlrev_b32_e32 v16, 3, v34
	global_load_dwordx2 v[16:17], v16, s[34:35]
.LBB2_23:
	s_or_b64 exec, exec, s[14:15]
	v_or_b32_e32 v34, 0x800, v0
	v_cmp_gt_u32_e64 s[14:15], s33, v34
	s_and_saveexec_b64 s[16:17], s[14:15]
	s_cbranch_execz .LBB2_25
; %bb.24:
	v_lshlrev_b32_e32 v18, 3, v34
	global_load_dwordx2 v[18:19], v18, s[34:35]
.LBB2_25:
	s_or_b64 exec, exec, s[16:17]
	v_or_b32_e32 v34, 0x900, v0
	v_cmp_gt_u32_e64 s[16:17], s33, v34
	s_and_saveexec_b64 s[18:19], s[16:17]
	s_cbranch_execz .LBB2_27
; %bb.26:
	v_lshlrev_b32_e32 v20, 3, v34
	global_load_dwordx2 v[20:21], v20, s[34:35]
.LBB2_27:
	s_or_b64 exec, exec, s[18:19]
	v_or_b32_e32 v34, 0xa00, v0
	v_cmp_gt_u32_e64 s[18:19], s33, v34
	s_and_saveexec_b64 s[20:21], s[18:19]
	s_cbranch_execz .LBB2_29
; %bb.28:
	v_lshlrev_b32_e32 v22, 3, v34
	global_load_dwordx2 v[22:23], v22, s[34:35]
.LBB2_29:
	s_or_b64 exec, exec, s[20:21]
	v_or_b32_e32 v34, 0xb00, v0
	v_cmp_gt_u32_e64 s[20:21], s33, v34
	s_and_saveexec_b64 s[22:23], s[20:21]
	s_cbranch_execz .LBB2_31
; %bb.30:
	v_lshlrev_b32_e32 v24, 3, v34
	global_load_dwordx2 v[24:25], v24, s[34:35]
.LBB2_31:
	s_or_b64 exec, exec, s[22:23]
	v_or_b32_e32 v34, 0xc00, v0
	v_cmp_gt_u32_e64 s[22:23], s33, v34
	s_and_saveexec_b64 s[24:25], s[22:23]
	s_cbranch_execz .LBB2_33
; %bb.32:
	v_lshlrev_b32_e32 v26, 3, v34
	global_load_dwordx2 v[26:27], v26, s[34:35]
.LBB2_33:
	s_or_b64 exec, exec, s[24:25]
	v_or_b32_e32 v34, 0xd00, v0
	v_cmp_gt_u32_e64 s[24:25], s33, v34
	s_and_saveexec_b64 s[26:27], s[24:25]
	s_cbranch_execz .LBB2_35
; %bb.34:
	v_lshlrev_b32_e32 v28, 3, v34
	global_load_dwordx2 v[28:29], v28, s[34:35]
.LBB2_35:
	s_or_b64 exec, exec, s[26:27]
	v_or_b32_e32 v34, 0xe00, v0
	v_cmp_gt_u32_e64 s[26:27], s33, v34
	s_and_saveexec_b64 s[28:29], s[26:27]
	s_cbranch_execz .LBB2_37
; %bb.36:
	v_lshlrev_b32_e32 v30, 3, v34
	global_load_dwordx2 v[30:31], v30, s[34:35]
.LBB2_37:
	s_or_b64 exec, exec, s[28:29]
	v_or_b32_e32 v34, 0xf00, v0
	v_cmp_gt_u32_e64 s[28:29], s33, v34
	s_and_saveexec_b64 s[36:37], s[28:29]
	s_cbranch_execz .LBB2_39
; %bb.38:
	v_lshlrev_b32_e32 v32, 3, v34
	global_load_dwordx2 v[32:33], v32, s[34:35]
.LBB2_39:
	s_or_b64 exec, exec, s[36:37]
	s_waitcnt vmcnt(0)
	v_add_f64 v[4:5], v[2:3], v[4:5]
	v_cndmask_b32_e32 v3, v3, v5, vcc
	v_cndmask_b32_e32 v2, v2, v4, vcc
	v_add_f64 v[4:5], v[6:7], v[2:3]
	v_cndmask_b32_e64 v3, v3, v5, s[0:1]
	v_cndmask_b32_e64 v2, v2, v4, s[0:1]
	v_add_f64 v[4:5], v[8:9], v[2:3]
	v_cndmask_b32_e64 v3, v3, v5, s[4:5]
	v_cndmask_b32_e64 v2, v2, v4, s[4:5]
	;; [unrolled: 3-line block ×12, first 2 shown]
	v_add_f64 v[4:5], v[30:31], v[2:3]
	v_mbcnt_hi_u32_b32 v1, -1, v1
	v_cndmask_b32_e64 v3, v3, v5, s[26:27]
	v_cndmask_b32_e64 v2, v2, v4, s[26:27]
	v_and_b32_e32 v11, 63, v1
	v_add_f64 v[4:5], v[32:33], v[2:3]
	v_cmp_ne_u32_e32 vcc, 63, v11
	v_cndmask_b32_e64 v2, v2, v4, s[28:29]
	v_cndmask_b32_e64 v3, v3, v5, s[28:29]
	v_addc_co_u32_e32 v4, vcc, 0, v1, vcc
	v_lshlrev_b32_e32 v5, 2, v4
	ds_bpermute_b32 v4, v5, v2
	ds_bpermute_b32 v5, v5, v3
	s_min_u32 s6, s33, 0x100
	v_and_b32_e32 v6, 0xc0, v0
	v_sub_u32_e64 v10, s6, v6 clamp
	v_add_u32_e32 v6, 1, v11
	v_cmp_gt_u32_e32 vcc, 62, v11
	s_waitcnt lgkmcnt(0)
	v_add_f64 v[4:5], v[2:3], v[4:5]
	v_cmp_lt_u32_e64 s[0:1], v6, v10
	v_cndmask_b32_e64 v6, 0, 2, vcc
	v_add_lshl_u32 v7, v6, v1, 2
	v_cndmask_b32_e64 v4, v2, v4, s[0:1]
	v_cndmask_b32_e64 v5, v3, v5, s[0:1]
	ds_bpermute_b32 v6, v7, v4
	ds_bpermute_b32 v7, v7, v5
	v_add_u32_e32 v8, 2, v11
	v_cmp_lt_u32_e32 vcc, v8, v10
	v_add_u32_e32 v8, 4, v11
	v_lshlrev_b32_e32 v12, 2, v1
	s_waitcnt lgkmcnt(0)
	v_add_f64 v[6:7], v[4:5], v[6:7]
	v_cndmask_b32_e32 v4, v4, v6, vcc
	v_cndmask_b32_e32 v5, v5, v7, vcc
	v_cmp_gt_u32_e32 vcc, 60, v11
	v_or_b32_e32 v13, 0x80, v12
	s_nop 0
	v_cndmask_b32_e64 v6, 0, 4, vcc
	v_add_lshl_u32 v7, v6, v1, 2
	ds_bpermute_b32 v6, v7, v4
	ds_bpermute_b32 v7, v7, v5
	v_cmp_lt_u32_e32 vcc, v8, v10
	v_add_u32_e32 v8, 8, v11
	s_waitcnt lgkmcnt(0)
	v_add_f64 v[6:7], v[4:5], v[6:7]
	v_cndmask_b32_e32 v4, v4, v6, vcc
	v_cndmask_b32_e32 v5, v5, v7, vcc
	v_cmp_gt_u32_e32 vcc, 56, v11
	s_nop 1
	v_cndmask_b32_e64 v6, 0, 8, vcc
	v_add_lshl_u32 v7, v6, v1, 2
	ds_bpermute_b32 v6, v7, v4
	ds_bpermute_b32 v7, v7, v5
	v_cmp_lt_u32_e32 vcc, v8, v10
	v_add_u32_e32 v8, 16, v11
	s_waitcnt lgkmcnt(0)
	v_add_f64 v[6:7], v[4:5], v[6:7]
	v_cndmask_b32_e32 v4, v4, v6, vcc
	v_cndmask_b32_e32 v5, v5, v7, vcc
	v_cmp_gt_u32_e32 vcc, 48, v11
	s_nop 1
	v_cndmask_b32_e64 v6, 0, 16, vcc
	v_add_lshl_u32 v7, v6, v1, 2
	ds_bpermute_b32 v6, v7, v4
	ds_bpermute_b32 v7, v7, v5
	v_cmp_lt_u32_e32 vcc, v8, v10
	s_waitcnt lgkmcnt(0)
	v_add_f64 v[6:7], v[4:5], v[6:7]
	v_cndmask_b32_e32 v9, v5, v7, vcc
	v_cndmask_b32_e32 v8, v4, v6, vcc
	ds_bpermute_b32 v8, v13, v8
	ds_bpermute_b32 v9, v13, v9
	s_and_saveexec_b64 s[4:5], s[0:1]
	s_cbranch_execz .LBB2_41
; %bb.40:
	v_add_u32_e32 v11, 32, v11
	v_cndmask_b32_e32 v3, v5, v7, vcc
	v_cndmask_b32_e32 v2, v4, v6, vcc
	s_waitcnt lgkmcnt(0)
	v_add_f64 v[4:5], v[2:3], v[8:9]
	v_cmp_lt_u32_e32 vcc, v11, v10
	s_nop 1
	v_cndmask_b32_e32 v3, v3, v5, vcc
	v_cndmask_b32_e32 v2, v2, v4, vcc
.LBB2_41:
	s_or_b64 exec, exec, s[4:5]
	v_cmp_eq_u32_e32 vcc, 0, v1
	s_and_saveexec_b64 s[0:1], vcc
; %bb.42:
	v_lshrrev_b32_e32 v4, 3, v0
	v_and_b32_e32 v4, 24, v4
	ds_write_b64 v4, v[2:3] offset:32
; %bb.43:
	s_or_b64 exec, exec, s[0:1]
	v_cmp_gt_u32_e32 vcc, 4, v0
	s_waitcnt lgkmcnt(0)
	s_barrier
	s_and_saveexec_b64 s[0:1], vcc
	s_cbranch_execz .LBB2_47
; %bb.44:
	v_lshlrev_b32_e32 v2, 3, v1
	ds_read_b64 v[2:3], v2 offset:32
	v_and_b32_e32 v8, 3, v1
	v_cmp_ne_u32_e32 vcc, 3, v8
	s_add_i32 s6, s6, 63
	s_lshr_b32 s6, s6, 6
	v_addc_co_u32_e32 v1, vcc, 0, v1, vcc
	v_lshlrev_b32_e32 v1, 2, v1
	s_waitcnt lgkmcnt(0)
	ds_bpermute_b32 v4, v1, v2
	ds_bpermute_b32 v5, v1, v3
	v_add_u32_e32 v1, 1, v8
	v_cmp_gt_u32_e32 vcc, s6, v1
	v_or_b32_e32 v7, 8, v12
	s_waitcnt lgkmcnt(0)
	v_add_f64 v[4:5], v[2:3], v[4:5]
	v_cndmask_b32_e32 v1, v3, v5, vcc
	v_cndmask_b32_e32 v6, v2, v4, vcc
	ds_bpermute_b32 v6, v7, v6
	ds_bpermute_b32 v7, v7, v1
	s_and_saveexec_b64 s[4:5], vcc
	s_cbranch_execz .LBB2_46
; %bb.45:
	v_add_u32_e32 v1, 2, v8
	s_waitcnt lgkmcnt(0)
	v_add_f64 v[2:3], v[4:5], v[6:7]
	v_cmp_gt_u32_e32 vcc, s6, v1
	s_nop 1
	v_cndmask_b32_e32 v3, v5, v3, vcc
	v_cndmask_b32_e32 v2, v4, v2, vcc
.LBB2_46:
	s_or_b64 exec, exec, s[4:5]
.LBB2_47:
	s_or_b64 exec, exec, s[0:1]
.LBB2_48:
	v_cmp_eq_u32_e32 vcc, 0, v0
	s_and_saveexec_b64 s[0:1], vcc
	s_cbranch_execnz .LBB2_50
; %bb.49:
	s_endpgm
.LBB2_50:
	s_mul_i32 s0, s46, s45
	s_mul_hi_u32 s1, s46, s44
	s_add_i32 s0, s1, s0
	s_mul_i32 s1, s47, s44
	s_add_i32 s1, s0, s1
	s_mul_i32 s0, s46, s44
	s_lshl_b64 s[0:1], s[0:1], 3
	s_add_u32 s4, s42, s0
	s_addc_u32 s5, s43, s1
	s_cmp_eq_u64 s[40:41], 0
	v_mov_b32_e32 v0, s31
	s_cselect_b64 vcc, -1, 0
	s_lshl_b64 s[0:1], s[2:3], 3
	v_cndmask_b32_e32 v1, v3, v0, vcc
	v_mov_b32_e32 v0, s30
	s_add_u32 s0, s4, s0
	v_cndmask_b32_e32 v0, v2, v0, vcc
	s_addc_u32 s1, s5, s1
	v_mov_b32_e32 v2, 0
	global_store_dwordx2 v2, v[0:1], s[0:1]
	s_endpgm
	.section	.rodata,"a",@progbits
	.p2align	6, 0x0
	.amdhsa_kernel _ZN7rocprim17ROCPRIM_400000_NS6detail17trampoline_kernelINS0_14default_configENS1_22reduce_config_selectorIdEEZNS1_11reduce_implILb1ES3_PdS7_dN6thrust23THRUST_200600_302600_NS4plusIdEEEE10hipError_tPvRmT1_T2_T3_mT4_P12ihipStream_tbEUlT_E0_NS1_11comp_targetILNS1_3genE0ELNS1_11target_archE4294967295ELNS1_3gpuE0ELNS1_3repE0EEENS1_30default_config_static_selectorELNS0_4arch9wavefront6targetE1EEEvSF_
		.amdhsa_group_segment_fixed_size 64
		.amdhsa_private_segment_fixed_size 0
		.amdhsa_kernarg_size 64
		.amdhsa_user_sgpr_count 2
		.amdhsa_user_sgpr_dispatch_ptr 0
		.amdhsa_user_sgpr_queue_ptr 0
		.amdhsa_user_sgpr_kernarg_segment_ptr 1
		.amdhsa_user_sgpr_dispatch_id 0
		.amdhsa_user_sgpr_kernarg_preload_length 0
		.amdhsa_user_sgpr_kernarg_preload_offset 0
		.amdhsa_user_sgpr_private_segment_size 0
		.amdhsa_uses_dynamic_stack 0
		.amdhsa_enable_private_segment 0
		.amdhsa_system_sgpr_workgroup_id_x 1
		.amdhsa_system_sgpr_workgroup_id_y 0
		.amdhsa_system_sgpr_workgroup_id_z 0
		.amdhsa_system_sgpr_workgroup_info 0
		.amdhsa_system_vgpr_workitem_id 0
		.amdhsa_next_free_vgpr 68
		.amdhsa_next_free_sgpr 48
		.amdhsa_accum_offset 68
		.amdhsa_reserve_vcc 1
		.amdhsa_float_round_mode_32 0
		.amdhsa_float_round_mode_16_64 0
		.amdhsa_float_denorm_mode_32 3
		.amdhsa_float_denorm_mode_16_64 3
		.amdhsa_dx10_clamp 1
		.amdhsa_ieee_mode 1
		.amdhsa_fp16_overflow 0
		.amdhsa_tg_split 0
		.amdhsa_exception_fp_ieee_invalid_op 0
		.amdhsa_exception_fp_denorm_src 0
		.amdhsa_exception_fp_ieee_div_zero 0
		.amdhsa_exception_fp_ieee_overflow 0
		.amdhsa_exception_fp_ieee_underflow 0
		.amdhsa_exception_fp_ieee_inexact 0
		.amdhsa_exception_int_div_zero 0
	.end_amdhsa_kernel
	.section	.text._ZN7rocprim17ROCPRIM_400000_NS6detail17trampoline_kernelINS0_14default_configENS1_22reduce_config_selectorIdEEZNS1_11reduce_implILb1ES3_PdS7_dN6thrust23THRUST_200600_302600_NS4plusIdEEEE10hipError_tPvRmT1_T2_T3_mT4_P12ihipStream_tbEUlT_E0_NS1_11comp_targetILNS1_3genE0ELNS1_11target_archE4294967295ELNS1_3gpuE0ELNS1_3repE0EEENS1_30default_config_static_selectorELNS0_4arch9wavefront6targetE1EEEvSF_,"axG",@progbits,_ZN7rocprim17ROCPRIM_400000_NS6detail17trampoline_kernelINS0_14default_configENS1_22reduce_config_selectorIdEEZNS1_11reduce_implILb1ES3_PdS7_dN6thrust23THRUST_200600_302600_NS4plusIdEEEE10hipError_tPvRmT1_T2_T3_mT4_P12ihipStream_tbEUlT_E0_NS1_11comp_targetILNS1_3genE0ELNS1_11target_archE4294967295ELNS1_3gpuE0ELNS1_3repE0EEENS1_30default_config_static_selectorELNS0_4arch9wavefront6targetE1EEEvSF_,comdat
.Lfunc_end2:
	.size	_ZN7rocprim17ROCPRIM_400000_NS6detail17trampoline_kernelINS0_14default_configENS1_22reduce_config_selectorIdEEZNS1_11reduce_implILb1ES3_PdS7_dN6thrust23THRUST_200600_302600_NS4plusIdEEEE10hipError_tPvRmT1_T2_T3_mT4_P12ihipStream_tbEUlT_E0_NS1_11comp_targetILNS1_3genE0ELNS1_11target_archE4294967295ELNS1_3gpuE0ELNS1_3repE0EEENS1_30default_config_static_selectorELNS0_4arch9wavefront6targetE1EEEvSF_, .Lfunc_end2-_ZN7rocprim17ROCPRIM_400000_NS6detail17trampoline_kernelINS0_14default_configENS1_22reduce_config_selectorIdEEZNS1_11reduce_implILb1ES3_PdS7_dN6thrust23THRUST_200600_302600_NS4plusIdEEEE10hipError_tPvRmT1_T2_T3_mT4_P12ihipStream_tbEUlT_E0_NS1_11comp_targetILNS1_3genE0ELNS1_11target_archE4294967295ELNS1_3gpuE0ELNS1_3repE0EEENS1_30default_config_static_selectorELNS0_4arch9wavefront6targetE1EEEvSF_
                                        ; -- End function
	.set _ZN7rocprim17ROCPRIM_400000_NS6detail17trampoline_kernelINS0_14default_configENS1_22reduce_config_selectorIdEEZNS1_11reduce_implILb1ES3_PdS7_dN6thrust23THRUST_200600_302600_NS4plusIdEEEE10hipError_tPvRmT1_T2_T3_mT4_P12ihipStream_tbEUlT_E0_NS1_11comp_targetILNS1_3genE0ELNS1_11target_archE4294967295ELNS1_3gpuE0ELNS1_3repE0EEENS1_30default_config_static_selectorELNS0_4arch9wavefront6targetE1EEEvSF_.num_vgpr, 68
	.set _ZN7rocprim17ROCPRIM_400000_NS6detail17trampoline_kernelINS0_14default_configENS1_22reduce_config_selectorIdEEZNS1_11reduce_implILb1ES3_PdS7_dN6thrust23THRUST_200600_302600_NS4plusIdEEEE10hipError_tPvRmT1_T2_T3_mT4_P12ihipStream_tbEUlT_E0_NS1_11comp_targetILNS1_3genE0ELNS1_11target_archE4294967295ELNS1_3gpuE0ELNS1_3repE0EEENS1_30default_config_static_selectorELNS0_4arch9wavefront6targetE1EEEvSF_.num_agpr, 0
	.set _ZN7rocprim17ROCPRIM_400000_NS6detail17trampoline_kernelINS0_14default_configENS1_22reduce_config_selectorIdEEZNS1_11reduce_implILb1ES3_PdS7_dN6thrust23THRUST_200600_302600_NS4plusIdEEEE10hipError_tPvRmT1_T2_T3_mT4_P12ihipStream_tbEUlT_E0_NS1_11comp_targetILNS1_3genE0ELNS1_11target_archE4294967295ELNS1_3gpuE0ELNS1_3repE0EEENS1_30default_config_static_selectorELNS0_4arch9wavefront6targetE1EEEvSF_.numbered_sgpr, 48
	.set _ZN7rocprim17ROCPRIM_400000_NS6detail17trampoline_kernelINS0_14default_configENS1_22reduce_config_selectorIdEEZNS1_11reduce_implILb1ES3_PdS7_dN6thrust23THRUST_200600_302600_NS4plusIdEEEE10hipError_tPvRmT1_T2_T3_mT4_P12ihipStream_tbEUlT_E0_NS1_11comp_targetILNS1_3genE0ELNS1_11target_archE4294967295ELNS1_3gpuE0ELNS1_3repE0EEENS1_30default_config_static_selectorELNS0_4arch9wavefront6targetE1EEEvSF_.num_named_barrier, 0
	.set _ZN7rocprim17ROCPRIM_400000_NS6detail17trampoline_kernelINS0_14default_configENS1_22reduce_config_selectorIdEEZNS1_11reduce_implILb1ES3_PdS7_dN6thrust23THRUST_200600_302600_NS4plusIdEEEE10hipError_tPvRmT1_T2_T3_mT4_P12ihipStream_tbEUlT_E0_NS1_11comp_targetILNS1_3genE0ELNS1_11target_archE4294967295ELNS1_3gpuE0ELNS1_3repE0EEENS1_30default_config_static_selectorELNS0_4arch9wavefront6targetE1EEEvSF_.private_seg_size, 0
	.set _ZN7rocprim17ROCPRIM_400000_NS6detail17trampoline_kernelINS0_14default_configENS1_22reduce_config_selectorIdEEZNS1_11reduce_implILb1ES3_PdS7_dN6thrust23THRUST_200600_302600_NS4plusIdEEEE10hipError_tPvRmT1_T2_T3_mT4_P12ihipStream_tbEUlT_E0_NS1_11comp_targetILNS1_3genE0ELNS1_11target_archE4294967295ELNS1_3gpuE0ELNS1_3repE0EEENS1_30default_config_static_selectorELNS0_4arch9wavefront6targetE1EEEvSF_.uses_vcc, 1
	.set _ZN7rocprim17ROCPRIM_400000_NS6detail17trampoline_kernelINS0_14default_configENS1_22reduce_config_selectorIdEEZNS1_11reduce_implILb1ES3_PdS7_dN6thrust23THRUST_200600_302600_NS4plusIdEEEE10hipError_tPvRmT1_T2_T3_mT4_P12ihipStream_tbEUlT_E0_NS1_11comp_targetILNS1_3genE0ELNS1_11target_archE4294967295ELNS1_3gpuE0ELNS1_3repE0EEENS1_30default_config_static_selectorELNS0_4arch9wavefront6targetE1EEEvSF_.uses_flat_scratch, 0
	.set _ZN7rocprim17ROCPRIM_400000_NS6detail17trampoline_kernelINS0_14default_configENS1_22reduce_config_selectorIdEEZNS1_11reduce_implILb1ES3_PdS7_dN6thrust23THRUST_200600_302600_NS4plusIdEEEE10hipError_tPvRmT1_T2_T3_mT4_P12ihipStream_tbEUlT_E0_NS1_11comp_targetILNS1_3genE0ELNS1_11target_archE4294967295ELNS1_3gpuE0ELNS1_3repE0EEENS1_30default_config_static_selectorELNS0_4arch9wavefront6targetE1EEEvSF_.has_dyn_sized_stack, 0
	.set _ZN7rocprim17ROCPRIM_400000_NS6detail17trampoline_kernelINS0_14default_configENS1_22reduce_config_selectorIdEEZNS1_11reduce_implILb1ES3_PdS7_dN6thrust23THRUST_200600_302600_NS4plusIdEEEE10hipError_tPvRmT1_T2_T3_mT4_P12ihipStream_tbEUlT_E0_NS1_11comp_targetILNS1_3genE0ELNS1_11target_archE4294967295ELNS1_3gpuE0ELNS1_3repE0EEENS1_30default_config_static_selectorELNS0_4arch9wavefront6targetE1EEEvSF_.has_recursion, 0
	.set _ZN7rocprim17ROCPRIM_400000_NS6detail17trampoline_kernelINS0_14default_configENS1_22reduce_config_selectorIdEEZNS1_11reduce_implILb1ES3_PdS7_dN6thrust23THRUST_200600_302600_NS4plusIdEEEE10hipError_tPvRmT1_T2_T3_mT4_P12ihipStream_tbEUlT_E0_NS1_11comp_targetILNS1_3genE0ELNS1_11target_archE4294967295ELNS1_3gpuE0ELNS1_3repE0EEENS1_30default_config_static_selectorELNS0_4arch9wavefront6targetE1EEEvSF_.has_indirect_call, 0
	.section	.AMDGPU.csdata,"",@progbits
; Kernel info:
; codeLenInByte = 2936
; TotalNumSgprs: 54
; NumVgprs: 68
; NumAgprs: 0
; TotalNumVgprs: 68
; ScratchSize: 0
; MemoryBound: 0
; FloatMode: 240
; IeeeMode: 1
; LDSByteSize: 64 bytes/workgroup (compile time only)
; SGPRBlocks: 6
; VGPRBlocks: 8
; NumSGPRsForWavesPerEU: 54
; NumVGPRsForWavesPerEU: 68
; AccumOffset: 68
; Occupancy: 7
; WaveLimiterHint : 1
; COMPUTE_PGM_RSRC2:SCRATCH_EN: 0
; COMPUTE_PGM_RSRC2:USER_SGPR: 2
; COMPUTE_PGM_RSRC2:TRAP_HANDLER: 0
; COMPUTE_PGM_RSRC2:TGID_X_EN: 1
; COMPUTE_PGM_RSRC2:TGID_Y_EN: 0
; COMPUTE_PGM_RSRC2:TGID_Z_EN: 0
; COMPUTE_PGM_RSRC2:TIDIG_COMP_CNT: 0
; COMPUTE_PGM_RSRC3_GFX90A:ACCUM_OFFSET: 16
; COMPUTE_PGM_RSRC3_GFX90A:TG_SPLIT: 0
	.section	.text._ZN7rocprim17ROCPRIM_400000_NS6detail17trampoline_kernelINS0_14default_configENS1_22reduce_config_selectorIdEEZNS1_11reduce_implILb1ES3_PdS7_dN6thrust23THRUST_200600_302600_NS4plusIdEEEE10hipError_tPvRmT1_T2_T3_mT4_P12ihipStream_tbEUlT_E0_NS1_11comp_targetILNS1_3genE5ELNS1_11target_archE942ELNS1_3gpuE9ELNS1_3repE0EEENS1_30default_config_static_selectorELNS0_4arch9wavefront6targetE1EEEvSF_,"axG",@progbits,_ZN7rocprim17ROCPRIM_400000_NS6detail17trampoline_kernelINS0_14default_configENS1_22reduce_config_selectorIdEEZNS1_11reduce_implILb1ES3_PdS7_dN6thrust23THRUST_200600_302600_NS4plusIdEEEE10hipError_tPvRmT1_T2_T3_mT4_P12ihipStream_tbEUlT_E0_NS1_11comp_targetILNS1_3genE5ELNS1_11target_archE942ELNS1_3gpuE9ELNS1_3repE0EEENS1_30default_config_static_selectorELNS0_4arch9wavefront6targetE1EEEvSF_,comdat
	.protected	_ZN7rocprim17ROCPRIM_400000_NS6detail17trampoline_kernelINS0_14default_configENS1_22reduce_config_selectorIdEEZNS1_11reduce_implILb1ES3_PdS7_dN6thrust23THRUST_200600_302600_NS4plusIdEEEE10hipError_tPvRmT1_T2_T3_mT4_P12ihipStream_tbEUlT_E0_NS1_11comp_targetILNS1_3genE5ELNS1_11target_archE942ELNS1_3gpuE9ELNS1_3repE0EEENS1_30default_config_static_selectorELNS0_4arch9wavefront6targetE1EEEvSF_ ; -- Begin function _ZN7rocprim17ROCPRIM_400000_NS6detail17trampoline_kernelINS0_14default_configENS1_22reduce_config_selectorIdEEZNS1_11reduce_implILb1ES3_PdS7_dN6thrust23THRUST_200600_302600_NS4plusIdEEEE10hipError_tPvRmT1_T2_T3_mT4_P12ihipStream_tbEUlT_E0_NS1_11comp_targetILNS1_3genE5ELNS1_11target_archE942ELNS1_3gpuE9ELNS1_3repE0EEENS1_30default_config_static_selectorELNS0_4arch9wavefront6targetE1EEEvSF_
	.globl	_ZN7rocprim17ROCPRIM_400000_NS6detail17trampoline_kernelINS0_14default_configENS1_22reduce_config_selectorIdEEZNS1_11reduce_implILb1ES3_PdS7_dN6thrust23THRUST_200600_302600_NS4plusIdEEEE10hipError_tPvRmT1_T2_T3_mT4_P12ihipStream_tbEUlT_E0_NS1_11comp_targetILNS1_3genE5ELNS1_11target_archE942ELNS1_3gpuE9ELNS1_3repE0EEENS1_30default_config_static_selectorELNS0_4arch9wavefront6targetE1EEEvSF_
	.p2align	8
	.type	_ZN7rocprim17ROCPRIM_400000_NS6detail17trampoline_kernelINS0_14default_configENS1_22reduce_config_selectorIdEEZNS1_11reduce_implILb1ES3_PdS7_dN6thrust23THRUST_200600_302600_NS4plusIdEEEE10hipError_tPvRmT1_T2_T3_mT4_P12ihipStream_tbEUlT_E0_NS1_11comp_targetILNS1_3genE5ELNS1_11target_archE942ELNS1_3gpuE9ELNS1_3repE0EEENS1_30default_config_static_selectorELNS0_4arch9wavefront6targetE1EEEvSF_,@function
_ZN7rocprim17ROCPRIM_400000_NS6detail17trampoline_kernelINS0_14default_configENS1_22reduce_config_selectorIdEEZNS1_11reduce_implILb1ES3_PdS7_dN6thrust23THRUST_200600_302600_NS4plusIdEEEE10hipError_tPvRmT1_T2_T3_mT4_P12ihipStream_tbEUlT_E0_NS1_11comp_targetILNS1_3genE5ELNS1_11target_archE942ELNS1_3gpuE9ELNS1_3repE0EEENS1_30default_config_static_selectorELNS0_4arch9wavefront6targetE1EEEvSF_: ; @_ZN7rocprim17ROCPRIM_400000_NS6detail17trampoline_kernelINS0_14default_configENS1_22reduce_config_selectorIdEEZNS1_11reduce_implILb1ES3_PdS7_dN6thrust23THRUST_200600_302600_NS4plusIdEEEE10hipError_tPvRmT1_T2_T3_mT4_P12ihipStream_tbEUlT_E0_NS1_11comp_targetILNS1_3genE5ELNS1_11target_archE942ELNS1_3gpuE9ELNS1_3repE0EEENS1_30default_config_static_selectorELNS0_4arch9wavefront6targetE1EEEvSF_
; %bb.0:
	.section	.rodata,"a",@progbits
	.p2align	6, 0x0
	.amdhsa_kernel _ZN7rocprim17ROCPRIM_400000_NS6detail17trampoline_kernelINS0_14default_configENS1_22reduce_config_selectorIdEEZNS1_11reduce_implILb1ES3_PdS7_dN6thrust23THRUST_200600_302600_NS4plusIdEEEE10hipError_tPvRmT1_T2_T3_mT4_P12ihipStream_tbEUlT_E0_NS1_11comp_targetILNS1_3genE5ELNS1_11target_archE942ELNS1_3gpuE9ELNS1_3repE0EEENS1_30default_config_static_selectorELNS0_4arch9wavefront6targetE1EEEvSF_
		.amdhsa_group_segment_fixed_size 0
		.amdhsa_private_segment_fixed_size 0
		.amdhsa_kernarg_size 64
		.amdhsa_user_sgpr_count 2
		.amdhsa_user_sgpr_dispatch_ptr 0
		.amdhsa_user_sgpr_queue_ptr 0
		.amdhsa_user_sgpr_kernarg_segment_ptr 1
		.amdhsa_user_sgpr_dispatch_id 0
		.amdhsa_user_sgpr_kernarg_preload_length 0
		.amdhsa_user_sgpr_kernarg_preload_offset 0
		.amdhsa_user_sgpr_private_segment_size 0
		.amdhsa_uses_dynamic_stack 0
		.amdhsa_enable_private_segment 0
		.amdhsa_system_sgpr_workgroup_id_x 1
		.amdhsa_system_sgpr_workgroup_id_y 0
		.amdhsa_system_sgpr_workgroup_id_z 0
		.amdhsa_system_sgpr_workgroup_info 0
		.amdhsa_system_vgpr_workitem_id 0
		.amdhsa_next_free_vgpr 1
		.amdhsa_next_free_sgpr 0
		.amdhsa_accum_offset 4
		.amdhsa_reserve_vcc 0
		.amdhsa_float_round_mode_32 0
		.amdhsa_float_round_mode_16_64 0
		.amdhsa_float_denorm_mode_32 3
		.amdhsa_float_denorm_mode_16_64 3
		.amdhsa_dx10_clamp 1
		.amdhsa_ieee_mode 1
		.amdhsa_fp16_overflow 0
		.amdhsa_tg_split 0
		.amdhsa_exception_fp_ieee_invalid_op 0
		.amdhsa_exception_fp_denorm_src 0
		.amdhsa_exception_fp_ieee_div_zero 0
		.amdhsa_exception_fp_ieee_overflow 0
		.amdhsa_exception_fp_ieee_underflow 0
		.amdhsa_exception_fp_ieee_inexact 0
		.amdhsa_exception_int_div_zero 0
	.end_amdhsa_kernel
	.section	.text._ZN7rocprim17ROCPRIM_400000_NS6detail17trampoline_kernelINS0_14default_configENS1_22reduce_config_selectorIdEEZNS1_11reduce_implILb1ES3_PdS7_dN6thrust23THRUST_200600_302600_NS4plusIdEEEE10hipError_tPvRmT1_T2_T3_mT4_P12ihipStream_tbEUlT_E0_NS1_11comp_targetILNS1_3genE5ELNS1_11target_archE942ELNS1_3gpuE9ELNS1_3repE0EEENS1_30default_config_static_selectorELNS0_4arch9wavefront6targetE1EEEvSF_,"axG",@progbits,_ZN7rocprim17ROCPRIM_400000_NS6detail17trampoline_kernelINS0_14default_configENS1_22reduce_config_selectorIdEEZNS1_11reduce_implILb1ES3_PdS7_dN6thrust23THRUST_200600_302600_NS4plusIdEEEE10hipError_tPvRmT1_T2_T3_mT4_P12ihipStream_tbEUlT_E0_NS1_11comp_targetILNS1_3genE5ELNS1_11target_archE942ELNS1_3gpuE9ELNS1_3repE0EEENS1_30default_config_static_selectorELNS0_4arch9wavefront6targetE1EEEvSF_,comdat
.Lfunc_end3:
	.size	_ZN7rocprim17ROCPRIM_400000_NS6detail17trampoline_kernelINS0_14default_configENS1_22reduce_config_selectorIdEEZNS1_11reduce_implILb1ES3_PdS7_dN6thrust23THRUST_200600_302600_NS4plusIdEEEE10hipError_tPvRmT1_T2_T3_mT4_P12ihipStream_tbEUlT_E0_NS1_11comp_targetILNS1_3genE5ELNS1_11target_archE942ELNS1_3gpuE9ELNS1_3repE0EEENS1_30default_config_static_selectorELNS0_4arch9wavefront6targetE1EEEvSF_, .Lfunc_end3-_ZN7rocprim17ROCPRIM_400000_NS6detail17trampoline_kernelINS0_14default_configENS1_22reduce_config_selectorIdEEZNS1_11reduce_implILb1ES3_PdS7_dN6thrust23THRUST_200600_302600_NS4plusIdEEEE10hipError_tPvRmT1_T2_T3_mT4_P12ihipStream_tbEUlT_E0_NS1_11comp_targetILNS1_3genE5ELNS1_11target_archE942ELNS1_3gpuE9ELNS1_3repE0EEENS1_30default_config_static_selectorELNS0_4arch9wavefront6targetE1EEEvSF_
                                        ; -- End function
	.set _ZN7rocprim17ROCPRIM_400000_NS6detail17trampoline_kernelINS0_14default_configENS1_22reduce_config_selectorIdEEZNS1_11reduce_implILb1ES3_PdS7_dN6thrust23THRUST_200600_302600_NS4plusIdEEEE10hipError_tPvRmT1_T2_T3_mT4_P12ihipStream_tbEUlT_E0_NS1_11comp_targetILNS1_3genE5ELNS1_11target_archE942ELNS1_3gpuE9ELNS1_3repE0EEENS1_30default_config_static_selectorELNS0_4arch9wavefront6targetE1EEEvSF_.num_vgpr, 0
	.set _ZN7rocprim17ROCPRIM_400000_NS6detail17trampoline_kernelINS0_14default_configENS1_22reduce_config_selectorIdEEZNS1_11reduce_implILb1ES3_PdS7_dN6thrust23THRUST_200600_302600_NS4plusIdEEEE10hipError_tPvRmT1_T2_T3_mT4_P12ihipStream_tbEUlT_E0_NS1_11comp_targetILNS1_3genE5ELNS1_11target_archE942ELNS1_3gpuE9ELNS1_3repE0EEENS1_30default_config_static_selectorELNS0_4arch9wavefront6targetE1EEEvSF_.num_agpr, 0
	.set _ZN7rocprim17ROCPRIM_400000_NS6detail17trampoline_kernelINS0_14default_configENS1_22reduce_config_selectorIdEEZNS1_11reduce_implILb1ES3_PdS7_dN6thrust23THRUST_200600_302600_NS4plusIdEEEE10hipError_tPvRmT1_T2_T3_mT4_P12ihipStream_tbEUlT_E0_NS1_11comp_targetILNS1_3genE5ELNS1_11target_archE942ELNS1_3gpuE9ELNS1_3repE0EEENS1_30default_config_static_selectorELNS0_4arch9wavefront6targetE1EEEvSF_.numbered_sgpr, 0
	.set _ZN7rocprim17ROCPRIM_400000_NS6detail17trampoline_kernelINS0_14default_configENS1_22reduce_config_selectorIdEEZNS1_11reduce_implILb1ES3_PdS7_dN6thrust23THRUST_200600_302600_NS4plusIdEEEE10hipError_tPvRmT1_T2_T3_mT4_P12ihipStream_tbEUlT_E0_NS1_11comp_targetILNS1_3genE5ELNS1_11target_archE942ELNS1_3gpuE9ELNS1_3repE0EEENS1_30default_config_static_selectorELNS0_4arch9wavefront6targetE1EEEvSF_.num_named_barrier, 0
	.set _ZN7rocprim17ROCPRIM_400000_NS6detail17trampoline_kernelINS0_14default_configENS1_22reduce_config_selectorIdEEZNS1_11reduce_implILb1ES3_PdS7_dN6thrust23THRUST_200600_302600_NS4plusIdEEEE10hipError_tPvRmT1_T2_T3_mT4_P12ihipStream_tbEUlT_E0_NS1_11comp_targetILNS1_3genE5ELNS1_11target_archE942ELNS1_3gpuE9ELNS1_3repE0EEENS1_30default_config_static_selectorELNS0_4arch9wavefront6targetE1EEEvSF_.private_seg_size, 0
	.set _ZN7rocprim17ROCPRIM_400000_NS6detail17trampoline_kernelINS0_14default_configENS1_22reduce_config_selectorIdEEZNS1_11reduce_implILb1ES3_PdS7_dN6thrust23THRUST_200600_302600_NS4plusIdEEEE10hipError_tPvRmT1_T2_T3_mT4_P12ihipStream_tbEUlT_E0_NS1_11comp_targetILNS1_3genE5ELNS1_11target_archE942ELNS1_3gpuE9ELNS1_3repE0EEENS1_30default_config_static_selectorELNS0_4arch9wavefront6targetE1EEEvSF_.uses_vcc, 0
	.set _ZN7rocprim17ROCPRIM_400000_NS6detail17trampoline_kernelINS0_14default_configENS1_22reduce_config_selectorIdEEZNS1_11reduce_implILb1ES3_PdS7_dN6thrust23THRUST_200600_302600_NS4plusIdEEEE10hipError_tPvRmT1_T2_T3_mT4_P12ihipStream_tbEUlT_E0_NS1_11comp_targetILNS1_3genE5ELNS1_11target_archE942ELNS1_3gpuE9ELNS1_3repE0EEENS1_30default_config_static_selectorELNS0_4arch9wavefront6targetE1EEEvSF_.uses_flat_scratch, 0
	.set _ZN7rocprim17ROCPRIM_400000_NS6detail17trampoline_kernelINS0_14default_configENS1_22reduce_config_selectorIdEEZNS1_11reduce_implILb1ES3_PdS7_dN6thrust23THRUST_200600_302600_NS4plusIdEEEE10hipError_tPvRmT1_T2_T3_mT4_P12ihipStream_tbEUlT_E0_NS1_11comp_targetILNS1_3genE5ELNS1_11target_archE942ELNS1_3gpuE9ELNS1_3repE0EEENS1_30default_config_static_selectorELNS0_4arch9wavefront6targetE1EEEvSF_.has_dyn_sized_stack, 0
	.set _ZN7rocprim17ROCPRIM_400000_NS6detail17trampoline_kernelINS0_14default_configENS1_22reduce_config_selectorIdEEZNS1_11reduce_implILb1ES3_PdS7_dN6thrust23THRUST_200600_302600_NS4plusIdEEEE10hipError_tPvRmT1_T2_T3_mT4_P12ihipStream_tbEUlT_E0_NS1_11comp_targetILNS1_3genE5ELNS1_11target_archE942ELNS1_3gpuE9ELNS1_3repE0EEENS1_30default_config_static_selectorELNS0_4arch9wavefront6targetE1EEEvSF_.has_recursion, 0
	.set _ZN7rocprim17ROCPRIM_400000_NS6detail17trampoline_kernelINS0_14default_configENS1_22reduce_config_selectorIdEEZNS1_11reduce_implILb1ES3_PdS7_dN6thrust23THRUST_200600_302600_NS4plusIdEEEE10hipError_tPvRmT1_T2_T3_mT4_P12ihipStream_tbEUlT_E0_NS1_11comp_targetILNS1_3genE5ELNS1_11target_archE942ELNS1_3gpuE9ELNS1_3repE0EEENS1_30default_config_static_selectorELNS0_4arch9wavefront6targetE1EEEvSF_.has_indirect_call, 0
	.section	.AMDGPU.csdata,"",@progbits
; Kernel info:
; codeLenInByte = 0
; TotalNumSgprs: 6
; NumVgprs: 0
; NumAgprs: 0
; TotalNumVgprs: 0
; ScratchSize: 0
; MemoryBound: 0
; FloatMode: 240
; IeeeMode: 1
; LDSByteSize: 0 bytes/workgroup (compile time only)
; SGPRBlocks: 0
; VGPRBlocks: 0
; NumSGPRsForWavesPerEU: 6
; NumVGPRsForWavesPerEU: 1
; AccumOffset: 4
; Occupancy: 8
; WaveLimiterHint : 0
; COMPUTE_PGM_RSRC2:SCRATCH_EN: 0
; COMPUTE_PGM_RSRC2:USER_SGPR: 2
; COMPUTE_PGM_RSRC2:TRAP_HANDLER: 0
; COMPUTE_PGM_RSRC2:TGID_X_EN: 1
; COMPUTE_PGM_RSRC2:TGID_Y_EN: 0
; COMPUTE_PGM_RSRC2:TGID_Z_EN: 0
; COMPUTE_PGM_RSRC2:TIDIG_COMP_CNT: 0
; COMPUTE_PGM_RSRC3_GFX90A:ACCUM_OFFSET: 0
; COMPUTE_PGM_RSRC3_GFX90A:TG_SPLIT: 0
	.section	.text._ZN7rocprim17ROCPRIM_400000_NS6detail17trampoline_kernelINS0_14default_configENS1_22reduce_config_selectorIdEEZNS1_11reduce_implILb1ES3_PdS7_dN6thrust23THRUST_200600_302600_NS4plusIdEEEE10hipError_tPvRmT1_T2_T3_mT4_P12ihipStream_tbEUlT_E0_NS1_11comp_targetILNS1_3genE4ELNS1_11target_archE910ELNS1_3gpuE8ELNS1_3repE0EEENS1_30default_config_static_selectorELNS0_4arch9wavefront6targetE1EEEvSF_,"axG",@progbits,_ZN7rocprim17ROCPRIM_400000_NS6detail17trampoline_kernelINS0_14default_configENS1_22reduce_config_selectorIdEEZNS1_11reduce_implILb1ES3_PdS7_dN6thrust23THRUST_200600_302600_NS4plusIdEEEE10hipError_tPvRmT1_T2_T3_mT4_P12ihipStream_tbEUlT_E0_NS1_11comp_targetILNS1_3genE4ELNS1_11target_archE910ELNS1_3gpuE8ELNS1_3repE0EEENS1_30default_config_static_selectorELNS0_4arch9wavefront6targetE1EEEvSF_,comdat
	.protected	_ZN7rocprim17ROCPRIM_400000_NS6detail17trampoline_kernelINS0_14default_configENS1_22reduce_config_selectorIdEEZNS1_11reduce_implILb1ES3_PdS7_dN6thrust23THRUST_200600_302600_NS4plusIdEEEE10hipError_tPvRmT1_T2_T3_mT4_P12ihipStream_tbEUlT_E0_NS1_11comp_targetILNS1_3genE4ELNS1_11target_archE910ELNS1_3gpuE8ELNS1_3repE0EEENS1_30default_config_static_selectorELNS0_4arch9wavefront6targetE1EEEvSF_ ; -- Begin function _ZN7rocprim17ROCPRIM_400000_NS6detail17trampoline_kernelINS0_14default_configENS1_22reduce_config_selectorIdEEZNS1_11reduce_implILb1ES3_PdS7_dN6thrust23THRUST_200600_302600_NS4plusIdEEEE10hipError_tPvRmT1_T2_T3_mT4_P12ihipStream_tbEUlT_E0_NS1_11comp_targetILNS1_3genE4ELNS1_11target_archE910ELNS1_3gpuE8ELNS1_3repE0EEENS1_30default_config_static_selectorELNS0_4arch9wavefront6targetE1EEEvSF_
	.globl	_ZN7rocprim17ROCPRIM_400000_NS6detail17trampoline_kernelINS0_14default_configENS1_22reduce_config_selectorIdEEZNS1_11reduce_implILb1ES3_PdS7_dN6thrust23THRUST_200600_302600_NS4plusIdEEEE10hipError_tPvRmT1_T2_T3_mT4_P12ihipStream_tbEUlT_E0_NS1_11comp_targetILNS1_3genE4ELNS1_11target_archE910ELNS1_3gpuE8ELNS1_3repE0EEENS1_30default_config_static_selectorELNS0_4arch9wavefront6targetE1EEEvSF_
	.p2align	8
	.type	_ZN7rocprim17ROCPRIM_400000_NS6detail17trampoline_kernelINS0_14default_configENS1_22reduce_config_selectorIdEEZNS1_11reduce_implILb1ES3_PdS7_dN6thrust23THRUST_200600_302600_NS4plusIdEEEE10hipError_tPvRmT1_T2_T3_mT4_P12ihipStream_tbEUlT_E0_NS1_11comp_targetILNS1_3genE4ELNS1_11target_archE910ELNS1_3gpuE8ELNS1_3repE0EEENS1_30default_config_static_selectorELNS0_4arch9wavefront6targetE1EEEvSF_,@function
_ZN7rocprim17ROCPRIM_400000_NS6detail17trampoline_kernelINS0_14default_configENS1_22reduce_config_selectorIdEEZNS1_11reduce_implILb1ES3_PdS7_dN6thrust23THRUST_200600_302600_NS4plusIdEEEE10hipError_tPvRmT1_T2_T3_mT4_P12ihipStream_tbEUlT_E0_NS1_11comp_targetILNS1_3genE4ELNS1_11target_archE910ELNS1_3gpuE8ELNS1_3repE0EEENS1_30default_config_static_selectorELNS0_4arch9wavefront6targetE1EEEvSF_: ; @_ZN7rocprim17ROCPRIM_400000_NS6detail17trampoline_kernelINS0_14default_configENS1_22reduce_config_selectorIdEEZNS1_11reduce_implILb1ES3_PdS7_dN6thrust23THRUST_200600_302600_NS4plusIdEEEE10hipError_tPvRmT1_T2_T3_mT4_P12ihipStream_tbEUlT_E0_NS1_11comp_targetILNS1_3genE4ELNS1_11target_archE910ELNS1_3gpuE8ELNS1_3repE0EEENS1_30default_config_static_selectorELNS0_4arch9wavefront6targetE1EEEvSF_
; %bb.0:
	.section	.rodata,"a",@progbits
	.p2align	6, 0x0
	.amdhsa_kernel _ZN7rocprim17ROCPRIM_400000_NS6detail17trampoline_kernelINS0_14default_configENS1_22reduce_config_selectorIdEEZNS1_11reduce_implILb1ES3_PdS7_dN6thrust23THRUST_200600_302600_NS4plusIdEEEE10hipError_tPvRmT1_T2_T3_mT4_P12ihipStream_tbEUlT_E0_NS1_11comp_targetILNS1_3genE4ELNS1_11target_archE910ELNS1_3gpuE8ELNS1_3repE0EEENS1_30default_config_static_selectorELNS0_4arch9wavefront6targetE1EEEvSF_
		.amdhsa_group_segment_fixed_size 0
		.amdhsa_private_segment_fixed_size 0
		.amdhsa_kernarg_size 64
		.amdhsa_user_sgpr_count 2
		.amdhsa_user_sgpr_dispatch_ptr 0
		.amdhsa_user_sgpr_queue_ptr 0
		.amdhsa_user_sgpr_kernarg_segment_ptr 1
		.amdhsa_user_sgpr_dispatch_id 0
		.amdhsa_user_sgpr_kernarg_preload_length 0
		.amdhsa_user_sgpr_kernarg_preload_offset 0
		.amdhsa_user_sgpr_private_segment_size 0
		.amdhsa_uses_dynamic_stack 0
		.amdhsa_enable_private_segment 0
		.amdhsa_system_sgpr_workgroup_id_x 1
		.amdhsa_system_sgpr_workgroup_id_y 0
		.amdhsa_system_sgpr_workgroup_id_z 0
		.amdhsa_system_sgpr_workgroup_info 0
		.amdhsa_system_vgpr_workitem_id 0
		.amdhsa_next_free_vgpr 1
		.amdhsa_next_free_sgpr 0
		.amdhsa_accum_offset 4
		.amdhsa_reserve_vcc 0
		.amdhsa_float_round_mode_32 0
		.amdhsa_float_round_mode_16_64 0
		.amdhsa_float_denorm_mode_32 3
		.amdhsa_float_denorm_mode_16_64 3
		.amdhsa_dx10_clamp 1
		.amdhsa_ieee_mode 1
		.amdhsa_fp16_overflow 0
		.amdhsa_tg_split 0
		.amdhsa_exception_fp_ieee_invalid_op 0
		.amdhsa_exception_fp_denorm_src 0
		.amdhsa_exception_fp_ieee_div_zero 0
		.amdhsa_exception_fp_ieee_overflow 0
		.amdhsa_exception_fp_ieee_underflow 0
		.amdhsa_exception_fp_ieee_inexact 0
		.amdhsa_exception_int_div_zero 0
	.end_amdhsa_kernel
	.section	.text._ZN7rocprim17ROCPRIM_400000_NS6detail17trampoline_kernelINS0_14default_configENS1_22reduce_config_selectorIdEEZNS1_11reduce_implILb1ES3_PdS7_dN6thrust23THRUST_200600_302600_NS4plusIdEEEE10hipError_tPvRmT1_T2_T3_mT4_P12ihipStream_tbEUlT_E0_NS1_11comp_targetILNS1_3genE4ELNS1_11target_archE910ELNS1_3gpuE8ELNS1_3repE0EEENS1_30default_config_static_selectorELNS0_4arch9wavefront6targetE1EEEvSF_,"axG",@progbits,_ZN7rocprim17ROCPRIM_400000_NS6detail17trampoline_kernelINS0_14default_configENS1_22reduce_config_selectorIdEEZNS1_11reduce_implILb1ES3_PdS7_dN6thrust23THRUST_200600_302600_NS4plusIdEEEE10hipError_tPvRmT1_T2_T3_mT4_P12ihipStream_tbEUlT_E0_NS1_11comp_targetILNS1_3genE4ELNS1_11target_archE910ELNS1_3gpuE8ELNS1_3repE0EEENS1_30default_config_static_selectorELNS0_4arch9wavefront6targetE1EEEvSF_,comdat
.Lfunc_end4:
	.size	_ZN7rocprim17ROCPRIM_400000_NS6detail17trampoline_kernelINS0_14default_configENS1_22reduce_config_selectorIdEEZNS1_11reduce_implILb1ES3_PdS7_dN6thrust23THRUST_200600_302600_NS4plusIdEEEE10hipError_tPvRmT1_T2_T3_mT4_P12ihipStream_tbEUlT_E0_NS1_11comp_targetILNS1_3genE4ELNS1_11target_archE910ELNS1_3gpuE8ELNS1_3repE0EEENS1_30default_config_static_selectorELNS0_4arch9wavefront6targetE1EEEvSF_, .Lfunc_end4-_ZN7rocprim17ROCPRIM_400000_NS6detail17trampoline_kernelINS0_14default_configENS1_22reduce_config_selectorIdEEZNS1_11reduce_implILb1ES3_PdS7_dN6thrust23THRUST_200600_302600_NS4plusIdEEEE10hipError_tPvRmT1_T2_T3_mT4_P12ihipStream_tbEUlT_E0_NS1_11comp_targetILNS1_3genE4ELNS1_11target_archE910ELNS1_3gpuE8ELNS1_3repE0EEENS1_30default_config_static_selectorELNS0_4arch9wavefront6targetE1EEEvSF_
                                        ; -- End function
	.set _ZN7rocprim17ROCPRIM_400000_NS6detail17trampoline_kernelINS0_14default_configENS1_22reduce_config_selectorIdEEZNS1_11reduce_implILb1ES3_PdS7_dN6thrust23THRUST_200600_302600_NS4plusIdEEEE10hipError_tPvRmT1_T2_T3_mT4_P12ihipStream_tbEUlT_E0_NS1_11comp_targetILNS1_3genE4ELNS1_11target_archE910ELNS1_3gpuE8ELNS1_3repE0EEENS1_30default_config_static_selectorELNS0_4arch9wavefront6targetE1EEEvSF_.num_vgpr, 0
	.set _ZN7rocprim17ROCPRIM_400000_NS6detail17trampoline_kernelINS0_14default_configENS1_22reduce_config_selectorIdEEZNS1_11reduce_implILb1ES3_PdS7_dN6thrust23THRUST_200600_302600_NS4plusIdEEEE10hipError_tPvRmT1_T2_T3_mT4_P12ihipStream_tbEUlT_E0_NS1_11comp_targetILNS1_3genE4ELNS1_11target_archE910ELNS1_3gpuE8ELNS1_3repE0EEENS1_30default_config_static_selectorELNS0_4arch9wavefront6targetE1EEEvSF_.num_agpr, 0
	.set _ZN7rocprim17ROCPRIM_400000_NS6detail17trampoline_kernelINS0_14default_configENS1_22reduce_config_selectorIdEEZNS1_11reduce_implILb1ES3_PdS7_dN6thrust23THRUST_200600_302600_NS4plusIdEEEE10hipError_tPvRmT1_T2_T3_mT4_P12ihipStream_tbEUlT_E0_NS1_11comp_targetILNS1_3genE4ELNS1_11target_archE910ELNS1_3gpuE8ELNS1_3repE0EEENS1_30default_config_static_selectorELNS0_4arch9wavefront6targetE1EEEvSF_.numbered_sgpr, 0
	.set _ZN7rocprim17ROCPRIM_400000_NS6detail17trampoline_kernelINS0_14default_configENS1_22reduce_config_selectorIdEEZNS1_11reduce_implILb1ES3_PdS7_dN6thrust23THRUST_200600_302600_NS4plusIdEEEE10hipError_tPvRmT1_T2_T3_mT4_P12ihipStream_tbEUlT_E0_NS1_11comp_targetILNS1_3genE4ELNS1_11target_archE910ELNS1_3gpuE8ELNS1_3repE0EEENS1_30default_config_static_selectorELNS0_4arch9wavefront6targetE1EEEvSF_.num_named_barrier, 0
	.set _ZN7rocprim17ROCPRIM_400000_NS6detail17trampoline_kernelINS0_14default_configENS1_22reduce_config_selectorIdEEZNS1_11reduce_implILb1ES3_PdS7_dN6thrust23THRUST_200600_302600_NS4plusIdEEEE10hipError_tPvRmT1_T2_T3_mT4_P12ihipStream_tbEUlT_E0_NS1_11comp_targetILNS1_3genE4ELNS1_11target_archE910ELNS1_3gpuE8ELNS1_3repE0EEENS1_30default_config_static_selectorELNS0_4arch9wavefront6targetE1EEEvSF_.private_seg_size, 0
	.set _ZN7rocprim17ROCPRIM_400000_NS6detail17trampoline_kernelINS0_14default_configENS1_22reduce_config_selectorIdEEZNS1_11reduce_implILb1ES3_PdS7_dN6thrust23THRUST_200600_302600_NS4plusIdEEEE10hipError_tPvRmT1_T2_T3_mT4_P12ihipStream_tbEUlT_E0_NS1_11comp_targetILNS1_3genE4ELNS1_11target_archE910ELNS1_3gpuE8ELNS1_3repE0EEENS1_30default_config_static_selectorELNS0_4arch9wavefront6targetE1EEEvSF_.uses_vcc, 0
	.set _ZN7rocprim17ROCPRIM_400000_NS6detail17trampoline_kernelINS0_14default_configENS1_22reduce_config_selectorIdEEZNS1_11reduce_implILb1ES3_PdS7_dN6thrust23THRUST_200600_302600_NS4plusIdEEEE10hipError_tPvRmT1_T2_T3_mT4_P12ihipStream_tbEUlT_E0_NS1_11comp_targetILNS1_3genE4ELNS1_11target_archE910ELNS1_3gpuE8ELNS1_3repE0EEENS1_30default_config_static_selectorELNS0_4arch9wavefront6targetE1EEEvSF_.uses_flat_scratch, 0
	.set _ZN7rocprim17ROCPRIM_400000_NS6detail17trampoline_kernelINS0_14default_configENS1_22reduce_config_selectorIdEEZNS1_11reduce_implILb1ES3_PdS7_dN6thrust23THRUST_200600_302600_NS4plusIdEEEE10hipError_tPvRmT1_T2_T3_mT4_P12ihipStream_tbEUlT_E0_NS1_11comp_targetILNS1_3genE4ELNS1_11target_archE910ELNS1_3gpuE8ELNS1_3repE0EEENS1_30default_config_static_selectorELNS0_4arch9wavefront6targetE1EEEvSF_.has_dyn_sized_stack, 0
	.set _ZN7rocprim17ROCPRIM_400000_NS6detail17trampoline_kernelINS0_14default_configENS1_22reduce_config_selectorIdEEZNS1_11reduce_implILb1ES3_PdS7_dN6thrust23THRUST_200600_302600_NS4plusIdEEEE10hipError_tPvRmT1_T2_T3_mT4_P12ihipStream_tbEUlT_E0_NS1_11comp_targetILNS1_3genE4ELNS1_11target_archE910ELNS1_3gpuE8ELNS1_3repE0EEENS1_30default_config_static_selectorELNS0_4arch9wavefront6targetE1EEEvSF_.has_recursion, 0
	.set _ZN7rocprim17ROCPRIM_400000_NS6detail17trampoline_kernelINS0_14default_configENS1_22reduce_config_selectorIdEEZNS1_11reduce_implILb1ES3_PdS7_dN6thrust23THRUST_200600_302600_NS4plusIdEEEE10hipError_tPvRmT1_T2_T3_mT4_P12ihipStream_tbEUlT_E0_NS1_11comp_targetILNS1_3genE4ELNS1_11target_archE910ELNS1_3gpuE8ELNS1_3repE0EEENS1_30default_config_static_selectorELNS0_4arch9wavefront6targetE1EEEvSF_.has_indirect_call, 0
	.section	.AMDGPU.csdata,"",@progbits
; Kernel info:
; codeLenInByte = 0
; TotalNumSgprs: 6
; NumVgprs: 0
; NumAgprs: 0
; TotalNumVgprs: 0
; ScratchSize: 0
; MemoryBound: 0
; FloatMode: 240
; IeeeMode: 1
; LDSByteSize: 0 bytes/workgroup (compile time only)
; SGPRBlocks: 0
; VGPRBlocks: 0
; NumSGPRsForWavesPerEU: 6
; NumVGPRsForWavesPerEU: 1
; AccumOffset: 4
; Occupancy: 8
; WaveLimiterHint : 0
; COMPUTE_PGM_RSRC2:SCRATCH_EN: 0
; COMPUTE_PGM_RSRC2:USER_SGPR: 2
; COMPUTE_PGM_RSRC2:TRAP_HANDLER: 0
; COMPUTE_PGM_RSRC2:TGID_X_EN: 1
; COMPUTE_PGM_RSRC2:TGID_Y_EN: 0
; COMPUTE_PGM_RSRC2:TGID_Z_EN: 0
; COMPUTE_PGM_RSRC2:TIDIG_COMP_CNT: 0
; COMPUTE_PGM_RSRC3_GFX90A:ACCUM_OFFSET: 0
; COMPUTE_PGM_RSRC3_GFX90A:TG_SPLIT: 0
	.section	.text._ZN7rocprim17ROCPRIM_400000_NS6detail17trampoline_kernelINS0_14default_configENS1_22reduce_config_selectorIdEEZNS1_11reduce_implILb1ES3_PdS7_dN6thrust23THRUST_200600_302600_NS4plusIdEEEE10hipError_tPvRmT1_T2_T3_mT4_P12ihipStream_tbEUlT_E0_NS1_11comp_targetILNS1_3genE3ELNS1_11target_archE908ELNS1_3gpuE7ELNS1_3repE0EEENS1_30default_config_static_selectorELNS0_4arch9wavefront6targetE1EEEvSF_,"axG",@progbits,_ZN7rocprim17ROCPRIM_400000_NS6detail17trampoline_kernelINS0_14default_configENS1_22reduce_config_selectorIdEEZNS1_11reduce_implILb1ES3_PdS7_dN6thrust23THRUST_200600_302600_NS4plusIdEEEE10hipError_tPvRmT1_T2_T3_mT4_P12ihipStream_tbEUlT_E0_NS1_11comp_targetILNS1_3genE3ELNS1_11target_archE908ELNS1_3gpuE7ELNS1_3repE0EEENS1_30default_config_static_selectorELNS0_4arch9wavefront6targetE1EEEvSF_,comdat
	.protected	_ZN7rocprim17ROCPRIM_400000_NS6detail17trampoline_kernelINS0_14default_configENS1_22reduce_config_selectorIdEEZNS1_11reduce_implILb1ES3_PdS7_dN6thrust23THRUST_200600_302600_NS4plusIdEEEE10hipError_tPvRmT1_T2_T3_mT4_P12ihipStream_tbEUlT_E0_NS1_11comp_targetILNS1_3genE3ELNS1_11target_archE908ELNS1_3gpuE7ELNS1_3repE0EEENS1_30default_config_static_selectorELNS0_4arch9wavefront6targetE1EEEvSF_ ; -- Begin function _ZN7rocprim17ROCPRIM_400000_NS6detail17trampoline_kernelINS0_14default_configENS1_22reduce_config_selectorIdEEZNS1_11reduce_implILb1ES3_PdS7_dN6thrust23THRUST_200600_302600_NS4plusIdEEEE10hipError_tPvRmT1_T2_T3_mT4_P12ihipStream_tbEUlT_E0_NS1_11comp_targetILNS1_3genE3ELNS1_11target_archE908ELNS1_3gpuE7ELNS1_3repE0EEENS1_30default_config_static_selectorELNS0_4arch9wavefront6targetE1EEEvSF_
	.globl	_ZN7rocprim17ROCPRIM_400000_NS6detail17trampoline_kernelINS0_14default_configENS1_22reduce_config_selectorIdEEZNS1_11reduce_implILb1ES3_PdS7_dN6thrust23THRUST_200600_302600_NS4plusIdEEEE10hipError_tPvRmT1_T2_T3_mT4_P12ihipStream_tbEUlT_E0_NS1_11comp_targetILNS1_3genE3ELNS1_11target_archE908ELNS1_3gpuE7ELNS1_3repE0EEENS1_30default_config_static_selectorELNS0_4arch9wavefront6targetE1EEEvSF_
	.p2align	8
	.type	_ZN7rocprim17ROCPRIM_400000_NS6detail17trampoline_kernelINS0_14default_configENS1_22reduce_config_selectorIdEEZNS1_11reduce_implILb1ES3_PdS7_dN6thrust23THRUST_200600_302600_NS4plusIdEEEE10hipError_tPvRmT1_T2_T3_mT4_P12ihipStream_tbEUlT_E0_NS1_11comp_targetILNS1_3genE3ELNS1_11target_archE908ELNS1_3gpuE7ELNS1_3repE0EEENS1_30default_config_static_selectorELNS0_4arch9wavefront6targetE1EEEvSF_,@function
_ZN7rocprim17ROCPRIM_400000_NS6detail17trampoline_kernelINS0_14default_configENS1_22reduce_config_selectorIdEEZNS1_11reduce_implILb1ES3_PdS7_dN6thrust23THRUST_200600_302600_NS4plusIdEEEE10hipError_tPvRmT1_T2_T3_mT4_P12ihipStream_tbEUlT_E0_NS1_11comp_targetILNS1_3genE3ELNS1_11target_archE908ELNS1_3gpuE7ELNS1_3repE0EEENS1_30default_config_static_selectorELNS0_4arch9wavefront6targetE1EEEvSF_: ; @_ZN7rocprim17ROCPRIM_400000_NS6detail17trampoline_kernelINS0_14default_configENS1_22reduce_config_selectorIdEEZNS1_11reduce_implILb1ES3_PdS7_dN6thrust23THRUST_200600_302600_NS4plusIdEEEE10hipError_tPvRmT1_T2_T3_mT4_P12ihipStream_tbEUlT_E0_NS1_11comp_targetILNS1_3genE3ELNS1_11target_archE908ELNS1_3gpuE7ELNS1_3repE0EEENS1_30default_config_static_selectorELNS0_4arch9wavefront6targetE1EEEvSF_
; %bb.0:
	.section	.rodata,"a",@progbits
	.p2align	6, 0x0
	.amdhsa_kernel _ZN7rocprim17ROCPRIM_400000_NS6detail17trampoline_kernelINS0_14default_configENS1_22reduce_config_selectorIdEEZNS1_11reduce_implILb1ES3_PdS7_dN6thrust23THRUST_200600_302600_NS4plusIdEEEE10hipError_tPvRmT1_T2_T3_mT4_P12ihipStream_tbEUlT_E0_NS1_11comp_targetILNS1_3genE3ELNS1_11target_archE908ELNS1_3gpuE7ELNS1_3repE0EEENS1_30default_config_static_selectorELNS0_4arch9wavefront6targetE1EEEvSF_
		.amdhsa_group_segment_fixed_size 0
		.amdhsa_private_segment_fixed_size 0
		.amdhsa_kernarg_size 64
		.amdhsa_user_sgpr_count 2
		.amdhsa_user_sgpr_dispatch_ptr 0
		.amdhsa_user_sgpr_queue_ptr 0
		.amdhsa_user_sgpr_kernarg_segment_ptr 1
		.amdhsa_user_sgpr_dispatch_id 0
		.amdhsa_user_sgpr_kernarg_preload_length 0
		.amdhsa_user_sgpr_kernarg_preload_offset 0
		.amdhsa_user_sgpr_private_segment_size 0
		.amdhsa_uses_dynamic_stack 0
		.amdhsa_enable_private_segment 0
		.amdhsa_system_sgpr_workgroup_id_x 1
		.amdhsa_system_sgpr_workgroup_id_y 0
		.amdhsa_system_sgpr_workgroup_id_z 0
		.amdhsa_system_sgpr_workgroup_info 0
		.amdhsa_system_vgpr_workitem_id 0
		.amdhsa_next_free_vgpr 1
		.amdhsa_next_free_sgpr 0
		.amdhsa_accum_offset 4
		.amdhsa_reserve_vcc 0
		.amdhsa_float_round_mode_32 0
		.amdhsa_float_round_mode_16_64 0
		.amdhsa_float_denorm_mode_32 3
		.amdhsa_float_denorm_mode_16_64 3
		.amdhsa_dx10_clamp 1
		.amdhsa_ieee_mode 1
		.amdhsa_fp16_overflow 0
		.amdhsa_tg_split 0
		.amdhsa_exception_fp_ieee_invalid_op 0
		.amdhsa_exception_fp_denorm_src 0
		.amdhsa_exception_fp_ieee_div_zero 0
		.amdhsa_exception_fp_ieee_overflow 0
		.amdhsa_exception_fp_ieee_underflow 0
		.amdhsa_exception_fp_ieee_inexact 0
		.amdhsa_exception_int_div_zero 0
	.end_amdhsa_kernel
	.section	.text._ZN7rocprim17ROCPRIM_400000_NS6detail17trampoline_kernelINS0_14default_configENS1_22reduce_config_selectorIdEEZNS1_11reduce_implILb1ES3_PdS7_dN6thrust23THRUST_200600_302600_NS4plusIdEEEE10hipError_tPvRmT1_T2_T3_mT4_P12ihipStream_tbEUlT_E0_NS1_11comp_targetILNS1_3genE3ELNS1_11target_archE908ELNS1_3gpuE7ELNS1_3repE0EEENS1_30default_config_static_selectorELNS0_4arch9wavefront6targetE1EEEvSF_,"axG",@progbits,_ZN7rocprim17ROCPRIM_400000_NS6detail17trampoline_kernelINS0_14default_configENS1_22reduce_config_selectorIdEEZNS1_11reduce_implILb1ES3_PdS7_dN6thrust23THRUST_200600_302600_NS4plusIdEEEE10hipError_tPvRmT1_T2_T3_mT4_P12ihipStream_tbEUlT_E0_NS1_11comp_targetILNS1_3genE3ELNS1_11target_archE908ELNS1_3gpuE7ELNS1_3repE0EEENS1_30default_config_static_selectorELNS0_4arch9wavefront6targetE1EEEvSF_,comdat
.Lfunc_end5:
	.size	_ZN7rocprim17ROCPRIM_400000_NS6detail17trampoline_kernelINS0_14default_configENS1_22reduce_config_selectorIdEEZNS1_11reduce_implILb1ES3_PdS7_dN6thrust23THRUST_200600_302600_NS4plusIdEEEE10hipError_tPvRmT1_T2_T3_mT4_P12ihipStream_tbEUlT_E0_NS1_11comp_targetILNS1_3genE3ELNS1_11target_archE908ELNS1_3gpuE7ELNS1_3repE0EEENS1_30default_config_static_selectorELNS0_4arch9wavefront6targetE1EEEvSF_, .Lfunc_end5-_ZN7rocprim17ROCPRIM_400000_NS6detail17trampoline_kernelINS0_14default_configENS1_22reduce_config_selectorIdEEZNS1_11reduce_implILb1ES3_PdS7_dN6thrust23THRUST_200600_302600_NS4plusIdEEEE10hipError_tPvRmT1_T2_T3_mT4_P12ihipStream_tbEUlT_E0_NS1_11comp_targetILNS1_3genE3ELNS1_11target_archE908ELNS1_3gpuE7ELNS1_3repE0EEENS1_30default_config_static_selectorELNS0_4arch9wavefront6targetE1EEEvSF_
                                        ; -- End function
	.set _ZN7rocprim17ROCPRIM_400000_NS6detail17trampoline_kernelINS0_14default_configENS1_22reduce_config_selectorIdEEZNS1_11reduce_implILb1ES3_PdS7_dN6thrust23THRUST_200600_302600_NS4plusIdEEEE10hipError_tPvRmT1_T2_T3_mT4_P12ihipStream_tbEUlT_E0_NS1_11comp_targetILNS1_3genE3ELNS1_11target_archE908ELNS1_3gpuE7ELNS1_3repE0EEENS1_30default_config_static_selectorELNS0_4arch9wavefront6targetE1EEEvSF_.num_vgpr, 0
	.set _ZN7rocprim17ROCPRIM_400000_NS6detail17trampoline_kernelINS0_14default_configENS1_22reduce_config_selectorIdEEZNS1_11reduce_implILb1ES3_PdS7_dN6thrust23THRUST_200600_302600_NS4plusIdEEEE10hipError_tPvRmT1_T2_T3_mT4_P12ihipStream_tbEUlT_E0_NS1_11comp_targetILNS1_3genE3ELNS1_11target_archE908ELNS1_3gpuE7ELNS1_3repE0EEENS1_30default_config_static_selectorELNS0_4arch9wavefront6targetE1EEEvSF_.num_agpr, 0
	.set _ZN7rocprim17ROCPRIM_400000_NS6detail17trampoline_kernelINS0_14default_configENS1_22reduce_config_selectorIdEEZNS1_11reduce_implILb1ES3_PdS7_dN6thrust23THRUST_200600_302600_NS4plusIdEEEE10hipError_tPvRmT1_T2_T3_mT4_P12ihipStream_tbEUlT_E0_NS1_11comp_targetILNS1_3genE3ELNS1_11target_archE908ELNS1_3gpuE7ELNS1_3repE0EEENS1_30default_config_static_selectorELNS0_4arch9wavefront6targetE1EEEvSF_.numbered_sgpr, 0
	.set _ZN7rocprim17ROCPRIM_400000_NS6detail17trampoline_kernelINS0_14default_configENS1_22reduce_config_selectorIdEEZNS1_11reduce_implILb1ES3_PdS7_dN6thrust23THRUST_200600_302600_NS4plusIdEEEE10hipError_tPvRmT1_T2_T3_mT4_P12ihipStream_tbEUlT_E0_NS1_11comp_targetILNS1_3genE3ELNS1_11target_archE908ELNS1_3gpuE7ELNS1_3repE0EEENS1_30default_config_static_selectorELNS0_4arch9wavefront6targetE1EEEvSF_.num_named_barrier, 0
	.set _ZN7rocprim17ROCPRIM_400000_NS6detail17trampoline_kernelINS0_14default_configENS1_22reduce_config_selectorIdEEZNS1_11reduce_implILb1ES3_PdS7_dN6thrust23THRUST_200600_302600_NS4plusIdEEEE10hipError_tPvRmT1_T2_T3_mT4_P12ihipStream_tbEUlT_E0_NS1_11comp_targetILNS1_3genE3ELNS1_11target_archE908ELNS1_3gpuE7ELNS1_3repE0EEENS1_30default_config_static_selectorELNS0_4arch9wavefront6targetE1EEEvSF_.private_seg_size, 0
	.set _ZN7rocprim17ROCPRIM_400000_NS6detail17trampoline_kernelINS0_14default_configENS1_22reduce_config_selectorIdEEZNS1_11reduce_implILb1ES3_PdS7_dN6thrust23THRUST_200600_302600_NS4plusIdEEEE10hipError_tPvRmT1_T2_T3_mT4_P12ihipStream_tbEUlT_E0_NS1_11comp_targetILNS1_3genE3ELNS1_11target_archE908ELNS1_3gpuE7ELNS1_3repE0EEENS1_30default_config_static_selectorELNS0_4arch9wavefront6targetE1EEEvSF_.uses_vcc, 0
	.set _ZN7rocprim17ROCPRIM_400000_NS6detail17trampoline_kernelINS0_14default_configENS1_22reduce_config_selectorIdEEZNS1_11reduce_implILb1ES3_PdS7_dN6thrust23THRUST_200600_302600_NS4plusIdEEEE10hipError_tPvRmT1_T2_T3_mT4_P12ihipStream_tbEUlT_E0_NS1_11comp_targetILNS1_3genE3ELNS1_11target_archE908ELNS1_3gpuE7ELNS1_3repE0EEENS1_30default_config_static_selectorELNS0_4arch9wavefront6targetE1EEEvSF_.uses_flat_scratch, 0
	.set _ZN7rocprim17ROCPRIM_400000_NS6detail17trampoline_kernelINS0_14default_configENS1_22reduce_config_selectorIdEEZNS1_11reduce_implILb1ES3_PdS7_dN6thrust23THRUST_200600_302600_NS4plusIdEEEE10hipError_tPvRmT1_T2_T3_mT4_P12ihipStream_tbEUlT_E0_NS1_11comp_targetILNS1_3genE3ELNS1_11target_archE908ELNS1_3gpuE7ELNS1_3repE0EEENS1_30default_config_static_selectorELNS0_4arch9wavefront6targetE1EEEvSF_.has_dyn_sized_stack, 0
	.set _ZN7rocprim17ROCPRIM_400000_NS6detail17trampoline_kernelINS0_14default_configENS1_22reduce_config_selectorIdEEZNS1_11reduce_implILb1ES3_PdS7_dN6thrust23THRUST_200600_302600_NS4plusIdEEEE10hipError_tPvRmT1_T2_T3_mT4_P12ihipStream_tbEUlT_E0_NS1_11comp_targetILNS1_3genE3ELNS1_11target_archE908ELNS1_3gpuE7ELNS1_3repE0EEENS1_30default_config_static_selectorELNS0_4arch9wavefront6targetE1EEEvSF_.has_recursion, 0
	.set _ZN7rocprim17ROCPRIM_400000_NS6detail17trampoline_kernelINS0_14default_configENS1_22reduce_config_selectorIdEEZNS1_11reduce_implILb1ES3_PdS7_dN6thrust23THRUST_200600_302600_NS4plusIdEEEE10hipError_tPvRmT1_T2_T3_mT4_P12ihipStream_tbEUlT_E0_NS1_11comp_targetILNS1_3genE3ELNS1_11target_archE908ELNS1_3gpuE7ELNS1_3repE0EEENS1_30default_config_static_selectorELNS0_4arch9wavefront6targetE1EEEvSF_.has_indirect_call, 0
	.section	.AMDGPU.csdata,"",@progbits
; Kernel info:
; codeLenInByte = 0
; TotalNumSgprs: 6
; NumVgprs: 0
; NumAgprs: 0
; TotalNumVgprs: 0
; ScratchSize: 0
; MemoryBound: 0
; FloatMode: 240
; IeeeMode: 1
; LDSByteSize: 0 bytes/workgroup (compile time only)
; SGPRBlocks: 0
; VGPRBlocks: 0
; NumSGPRsForWavesPerEU: 6
; NumVGPRsForWavesPerEU: 1
; AccumOffset: 4
; Occupancy: 8
; WaveLimiterHint : 0
; COMPUTE_PGM_RSRC2:SCRATCH_EN: 0
; COMPUTE_PGM_RSRC2:USER_SGPR: 2
; COMPUTE_PGM_RSRC2:TRAP_HANDLER: 0
; COMPUTE_PGM_RSRC2:TGID_X_EN: 1
; COMPUTE_PGM_RSRC2:TGID_Y_EN: 0
; COMPUTE_PGM_RSRC2:TGID_Z_EN: 0
; COMPUTE_PGM_RSRC2:TIDIG_COMP_CNT: 0
; COMPUTE_PGM_RSRC3_GFX90A:ACCUM_OFFSET: 0
; COMPUTE_PGM_RSRC3_GFX90A:TG_SPLIT: 0
	.section	.text._ZN7rocprim17ROCPRIM_400000_NS6detail17trampoline_kernelINS0_14default_configENS1_22reduce_config_selectorIdEEZNS1_11reduce_implILb1ES3_PdS7_dN6thrust23THRUST_200600_302600_NS4plusIdEEEE10hipError_tPvRmT1_T2_T3_mT4_P12ihipStream_tbEUlT_E0_NS1_11comp_targetILNS1_3genE2ELNS1_11target_archE906ELNS1_3gpuE6ELNS1_3repE0EEENS1_30default_config_static_selectorELNS0_4arch9wavefront6targetE1EEEvSF_,"axG",@progbits,_ZN7rocprim17ROCPRIM_400000_NS6detail17trampoline_kernelINS0_14default_configENS1_22reduce_config_selectorIdEEZNS1_11reduce_implILb1ES3_PdS7_dN6thrust23THRUST_200600_302600_NS4plusIdEEEE10hipError_tPvRmT1_T2_T3_mT4_P12ihipStream_tbEUlT_E0_NS1_11comp_targetILNS1_3genE2ELNS1_11target_archE906ELNS1_3gpuE6ELNS1_3repE0EEENS1_30default_config_static_selectorELNS0_4arch9wavefront6targetE1EEEvSF_,comdat
	.protected	_ZN7rocprim17ROCPRIM_400000_NS6detail17trampoline_kernelINS0_14default_configENS1_22reduce_config_selectorIdEEZNS1_11reduce_implILb1ES3_PdS7_dN6thrust23THRUST_200600_302600_NS4plusIdEEEE10hipError_tPvRmT1_T2_T3_mT4_P12ihipStream_tbEUlT_E0_NS1_11comp_targetILNS1_3genE2ELNS1_11target_archE906ELNS1_3gpuE6ELNS1_3repE0EEENS1_30default_config_static_selectorELNS0_4arch9wavefront6targetE1EEEvSF_ ; -- Begin function _ZN7rocprim17ROCPRIM_400000_NS6detail17trampoline_kernelINS0_14default_configENS1_22reduce_config_selectorIdEEZNS1_11reduce_implILb1ES3_PdS7_dN6thrust23THRUST_200600_302600_NS4plusIdEEEE10hipError_tPvRmT1_T2_T3_mT4_P12ihipStream_tbEUlT_E0_NS1_11comp_targetILNS1_3genE2ELNS1_11target_archE906ELNS1_3gpuE6ELNS1_3repE0EEENS1_30default_config_static_selectorELNS0_4arch9wavefront6targetE1EEEvSF_
	.globl	_ZN7rocprim17ROCPRIM_400000_NS6detail17trampoline_kernelINS0_14default_configENS1_22reduce_config_selectorIdEEZNS1_11reduce_implILb1ES3_PdS7_dN6thrust23THRUST_200600_302600_NS4plusIdEEEE10hipError_tPvRmT1_T2_T3_mT4_P12ihipStream_tbEUlT_E0_NS1_11comp_targetILNS1_3genE2ELNS1_11target_archE906ELNS1_3gpuE6ELNS1_3repE0EEENS1_30default_config_static_selectorELNS0_4arch9wavefront6targetE1EEEvSF_
	.p2align	8
	.type	_ZN7rocprim17ROCPRIM_400000_NS6detail17trampoline_kernelINS0_14default_configENS1_22reduce_config_selectorIdEEZNS1_11reduce_implILb1ES3_PdS7_dN6thrust23THRUST_200600_302600_NS4plusIdEEEE10hipError_tPvRmT1_T2_T3_mT4_P12ihipStream_tbEUlT_E0_NS1_11comp_targetILNS1_3genE2ELNS1_11target_archE906ELNS1_3gpuE6ELNS1_3repE0EEENS1_30default_config_static_selectorELNS0_4arch9wavefront6targetE1EEEvSF_,@function
_ZN7rocprim17ROCPRIM_400000_NS6detail17trampoline_kernelINS0_14default_configENS1_22reduce_config_selectorIdEEZNS1_11reduce_implILb1ES3_PdS7_dN6thrust23THRUST_200600_302600_NS4plusIdEEEE10hipError_tPvRmT1_T2_T3_mT4_P12ihipStream_tbEUlT_E0_NS1_11comp_targetILNS1_3genE2ELNS1_11target_archE906ELNS1_3gpuE6ELNS1_3repE0EEENS1_30default_config_static_selectorELNS0_4arch9wavefront6targetE1EEEvSF_: ; @_ZN7rocprim17ROCPRIM_400000_NS6detail17trampoline_kernelINS0_14default_configENS1_22reduce_config_selectorIdEEZNS1_11reduce_implILb1ES3_PdS7_dN6thrust23THRUST_200600_302600_NS4plusIdEEEE10hipError_tPvRmT1_T2_T3_mT4_P12ihipStream_tbEUlT_E0_NS1_11comp_targetILNS1_3genE2ELNS1_11target_archE906ELNS1_3gpuE6ELNS1_3repE0EEENS1_30default_config_static_selectorELNS0_4arch9wavefront6targetE1EEEvSF_
; %bb.0:
	.section	.rodata,"a",@progbits
	.p2align	6, 0x0
	.amdhsa_kernel _ZN7rocprim17ROCPRIM_400000_NS6detail17trampoline_kernelINS0_14default_configENS1_22reduce_config_selectorIdEEZNS1_11reduce_implILb1ES3_PdS7_dN6thrust23THRUST_200600_302600_NS4plusIdEEEE10hipError_tPvRmT1_T2_T3_mT4_P12ihipStream_tbEUlT_E0_NS1_11comp_targetILNS1_3genE2ELNS1_11target_archE906ELNS1_3gpuE6ELNS1_3repE0EEENS1_30default_config_static_selectorELNS0_4arch9wavefront6targetE1EEEvSF_
		.amdhsa_group_segment_fixed_size 0
		.amdhsa_private_segment_fixed_size 0
		.amdhsa_kernarg_size 64
		.amdhsa_user_sgpr_count 2
		.amdhsa_user_sgpr_dispatch_ptr 0
		.amdhsa_user_sgpr_queue_ptr 0
		.amdhsa_user_sgpr_kernarg_segment_ptr 1
		.amdhsa_user_sgpr_dispatch_id 0
		.amdhsa_user_sgpr_kernarg_preload_length 0
		.amdhsa_user_sgpr_kernarg_preload_offset 0
		.amdhsa_user_sgpr_private_segment_size 0
		.amdhsa_uses_dynamic_stack 0
		.amdhsa_enable_private_segment 0
		.amdhsa_system_sgpr_workgroup_id_x 1
		.amdhsa_system_sgpr_workgroup_id_y 0
		.amdhsa_system_sgpr_workgroup_id_z 0
		.amdhsa_system_sgpr_workgroup_info 0
		.amdhsa_system_vgpr_workitem_id 0
		.amdhsa_next_free_vgpr 1
		.amdhsa_next_free_sgpr 0
		.amdhsa_accum_offset 4
		.amdhsa_reserve_vcc 0
		.amdhsa_float_round_mode_32 0
		.amdhsa_float_round_mode_16_64 0
		.amdhsa_float_denorm_mode_32 3
		.amdhsa_float_denorm_mode_16_64 3
		.amdhsa_dx10_clamp 1
		.amdhsa_ieee_mode 1
		.amdhsa_fp16_overflow 0
		.amdhsa_tg_split 0
		.amdhsa_exception_fp_ieee_invalid_op 0
		.amdhsa_exception_fp_denorm_src 0
		.amdhsa_exception_fp_ieee_div_zero 0
		.amdhsa_exception_fp_ieee_overflow 0
		.amdhsa_exception_fp_ieee_underflow 0
		.amdhsa_exception_fp_ieee_inexact 0
		.amdhsa_exception_int_div_zero 0
	.end_amdhsa_kernel
	.section	.text._ZN7rocprim17ROCPRIM_400000_NS6detail17trampoline_kernelINS0_14default_configENS1_22reduce_config_selectorIdEEZNS1_11reduce_implILb1ES3_PdS7_dN6thrust23THRUST_200600_302600_NS4plusIdEEEE10hipError_tPvRmT1_T2_T3_mT4_P12ihipStream_tbEUlT_E0_NS1_11comp_targetILNS1_3genE2ELNS1_11target_archE906ELNS1_3gpuE6ELNS1_3repE0EEENS1_30default_config_static_selectorELNS0_4arch9wavefront6targetE1EEEvSF_,"axG",@progbits,_ZN7rocprim17ROCPRIM_400000_NS6detail17trampoline_kernelINS0_14default_configENS1_22reduce_config_selectorIdEEZNS1_11reduce_implILb1ES3_PdS7_dN6thrust23THRUST_200600_302600_NS4plusIdEEEE10hipError_tPvRmT1_T2_T3_mT4_P12ihipStream_tbEUlT_E0_NS1_11comp_targetILNS1_3genE2ELNS1_11target_archE906ELNS1_3gpuE6ELNS1_3repE0EEENS1_30default_config_static_selectorELNS0_4arch9wavefront6targetE1EEEvSF_,comdat
.Lfunc_end6:
	.size	_ZN7rocprim17ROCPRIM_400000_NS6detail17trampoline_kernelINS0_14default_configENS1_22reduce_config_selectorIdEEZNS1_11reduce_implILb1ES3_PdS7_dN6thrust23THRUST_200600_302600_NS4plusIdEEEE10hipError_tPvRmT1_T2_T3_mT4_P12ihipStream_tbEUlT_E0_NS1_11comp_targetILNS1_3genE2ELNS1_11target_archE906ELNS1_3gpuE6ELNS1_3repE0EEENS1_30default_config_static_selectorELNS0_4arch9wavefront6targetE1EEEvSF_, .Lfunc_end6-_ZN7rocprim17ROCPRIM_400000_NS6detail17trampoline_kernelINS0_14default_configENS1_22reduce_config_selectorIdEEZNS1_11reduce_implILb1ES3_PdS7_dN6thrust23THRUST_200600_302600_NS4plusIdEEEE10hipError_tPvRmT1_T2_T3_mT4_P12ihipStream_tbEUlT_E0_NS1_11comp_targetILNS1_3genE2ELNS1_11target_archE906ELNS1_3gpuE6ELNS1_3repE0EEENS1_30default_config_static_selectorELNS0_4arch9wavefront6targetE1EEEvSF_
                                        ; -- End function
	.set _ZN7rocprim17ROCPRIM_400000_NS6detail17trampoline_kernelINS0_14default_configENS1_22reduce_config_selectorIdEEZNS1_11reduce_implILb1ES3_PdS7_dN6thrust23THRUST_200600_302600_NS4plusIdEEEE10hipError_tPvRmT1_T2_T3_mT4_P12ihipStream_tbEUlT_E0_NS1_11comp_targetILNS1_3genE2ELNS1_11target_archE906ELNS1_3gpuE6ELNS1_3repE0EEENS1_30default_config_static_selectorELNS0_4arch9wavefront6targetE1EEEvSF_.num_vgpr, 0
	.set _ZN7rocprim17ROCPRIM_400000_NS6detail17trampoline_kernelINS0_14default_configENS1_22reduce_config_selectorIdEEZNS1_11reduce_implILb1ES3_PdS7_dN6thrust23THRUST_200600_302600_NS4plusIdEEEE10hipError_tPvRmT1_T2_T3_mT4_P12ihipStream_tbEUlT_E0_NS1_11comp_targetILNS1_3genE2ELNS1_11target_archE906ELNS1_3gpuE6ELNS1_3repE0EEENS1_30default_config_static_selectorELNS0_4arch9wavefront6targetE1EEEvSF_.num_agpr, 0
	.set _ZN7rocprim17ROCPRIM_400000_NS6detail17trampoline_kernelINS0_14default_configENS1_22reduce_config_selectorIdEEZNS1_11reduce_implILb1ES3_PdS7_dN6thrust23THRUST_200600_302600_NS4plusIdEEEE10hipError_tPvRmT1_T2_T3_mT4_P12ihipStream_tbEUlT_E0_NS1_11comp_targetILNS1_3genE2ELNS1_11target_archE906ELNS1_3gpuE6ELNS1_3repE0EEENS1_30default_config_static_selectorELNS0_4arch9wavefront6targetE1EEEvSF_.numbered_sgpr, 0
	.set _ZN7rocprim17ROCPRIM_400000_NS6detail17trampoline_kernelINS0_14default_configENS1_22reduce_config_selectorIdEEZNS1_11reduce_implILb1ES3_PdS7_dN6thrust23THRUST_200600_302600_NS4plusIdEEEE10hipError_tPvRmT1_T2_T3_mT4_P12ihipStream_tbEUlT_E0_NS1_11comp_targetILNS1_3genE2ELNS1_11target_archE906ELNS1_3gpuE6ELNS1_3repE0EEENS1_30default_config_static_selectorELNS0_4arch9wavefront6targetE1EEEvSF_.num_named_barrier, 0
	.set _ZN7rocprim17ROCPRIM_400000_NS6detail17trampoline_kernelINS0_14default_configENS1_22reduce_config_selectorIdEEZNS1_11reduce_implILb1ES3_PdS7_dN6thrust23THRUST_200600_302600_NS4plusIdEEEE10hipError_tPvRmT1_T2_T3_mT4_P12ihipStream_tbEUlT_E0_NS1_11comp_targetILNS1_3genE2ELNS1_11target_archE906ELNS1_3gpuE6ELNS1_3repE0EEENS1_30default_config_static_selectorELNS0_4arch9wavefront6targetE1EEEvSF_.private_seg_size, 0
	.set _ZN7rocprim17ROCPRIM_400000_NS6detail17trampoline_kernelINS0_14default_configENS1_22reduce_config_selectorIdEEZNS1_11reduce_implILb1ES3_PdS7_dN6thrust23THRUST_200600_302600_NS4plusIdEEEE10hipError_tPvRmT1_T2_T3_mT4_P12ihipStream_tbEUlT_E0_NS1_11comp_targetILNS1_3genE2ELNS1_11target_archE906ELNS1_3gpuE6ELNS1_3repE0EEENS1_30default_config_static_selectorELNS0_4arch9wavefront6targetE1EEEvSF_.uses_vcc, 0
	.set _ZN7rocprim17ROCPRIM_400000_NS6detail17trampoline_kernelINS0_14default_configENS1_22reduce_config_selectorIdEEZNS1_11reduce_implILb1ES3_PdS7_dN6thrust23THRUST_200600_302600_NS4plusIdEEEE10hipError_tPvRmT1_T2_T3_mT4_P12ihipStream_tbEUlT_E0_NS1_11comp_targetILNS1_3genE2ELNS1_11target_archE906ELNS1_3gpuE6ELNS1_3repE0EEENS1_30default_config_static_selectorELNS0_4arch9wavefront6targetE1EEEvSF_.uses_flat_scratch, 0
	.set _ZN7rocprim17ROCPRIM_400000_NS6detail17trampoline_kernelINS0_14default_configENS1_22reduce_config_selectorIdEEZNS1_11reduce_implILb1ES3_PdS7_dN6thrust23THRUST_200600_302600_NS4plusIdEEEE10hipError_tPvRmT1_T2_T3_mT4_P12ihipStream_tbEUlT_E0_NS1_11comp_targetILNS1_3genE2ELNS1_11target_archE906ELNS1_3gpuE6ELNS1_3repE0EEENS1_30default_config_static_selectorELNS0_4arch9wavefront6targetE1EEEvSF_.has_dyn_sized_stack, 0
	.set _ZN7rocprim17ROCPRIM_400000_NS6detail17trampoline_kernelINS0_14default_configENS1_22reduce_config_selectorIdEEZNS1_11reduce_implILb1ES3_PdS7_dN6thrust23THRUST_200600_302600_NS4plusIdEEEE10hipError_tPvRmT1_T2_T3_mT4_P12ihipStream_tbEUlT_E0_NS1_11comp_targetILNS1_3genE2ELNS1_11target_archE906ELNS1_3gpuE6ELNS1_3repE0EEENS1_30default_config_static_selectorELNS0_4arch9wavefront6targetE1EEEvSF_.has_recursion, 0
	.set _ZN7rocprim17ROCPRIM_400000_NS6detail17trampoline_kernelINS0_14default_configENS1_22reduce_config_selectorIdEEZNS1_11reduce_implILb1ES3_PdS7_dN6thrust23THRUST_200600_302600_NS4plusIdEEEE10hipError_tPvRmT1_T2_T3_mT4_P12ihipStream_tbEUlT_E0_NS1_11comp_targetILNS1_3genE2ELNS1_11target_archE906ELNS1_3gpuE6ELNS1_3repE0EEENS1_30default_config_static_selectorELNS0_4arch9wavefront6targetE1EEEvSF_.has_indirect_call, 0
	.section	.AMDGPU.csdata,"",@progbits
; Kernel info:
; codeLenInByte = 0
; TotalNumSgprs: 6
; NumVgprs: 0
; NumAgprs: 0
; TotalNumVgprs: 0
; ScratchSize: 0
; MemoryBound: 0
; FloatMode: 240
; IeeeMode: 1
; LDSByteSize: 0 bytes/workgroup (compile time only)
; SGPRBlocks: 0
; VGPRBlocks: 0
; NumSGPRsForWavesPerEU: 6
; NumVGPRsForWavesPerEU: 1
; AccumOffset: 4
; Occupancy: 8
; WaveLimiterHint : 0
; COMPUTE_PGM_RSRC2:SCRATCH_EN: 0
; COMPUTE_PGM_RSRC2:USER_SGPR: 2
; COMPUTE_PGM_RSRC2:TRAP_HANDLER: 0
; COMPUTE_PGM_RSRC2:TGID_X_EN: 1
; COMPUTE_PGM_RSRC2:TGID_Y_EN: 0
; COMPUTE_PGM_RSRC2:TGID_Z_EN: 0
; COMPUTE_PGM_RSRC2:TIDIG_COMP_CNT: 0
; COMPUTE_PGM_RSRC3_GFX90A:ACCUM_OFFSET: 0
; COMPUTE_PGM_RSRC3_GFX90A:TG_SPLIT: 0
	.section	.text._ZN7rocprim17ROCPRIM_400000_NS6detail17trampoline_kernelINS0_14default_configENS1_22reduce_config_selectorIdEEZNS1_11reduce_implILb1ES3_PdS7_dN6thrust23THRUST_200600_302600_NS4plusIdEEEE10hipError_tPvRmT1_T2_T3_mT4_P12ihipStream_tbEUlT_E0_NS1_11comp_targetILNS1_3genE10ELNS1_11target_archE1201ELNS1_3gpuE5ELNS1_3repE0EEENS1_30default_config_static_selectorELNS0_4arch9wavefront6targetE1EEEvSF_,"axG",@progbits,_ZN7rocprim17ROCPRIM_400000_NS6detail17trampoline_kernelINS0_14default_configENS1_22reduce_config_selectorIdEEZNS1_11reduce_implILb1ES3_PdS7_dN6thrust23THRUST_200600_302600_NS4plusIdEEEE10hipError_tPvRmT1_T2_T3_mT4_P12ihipStream_tbEUlT_E0_NS1_11comp_targetILNS1_3genE10ELNS1_11target_archE1201ELNS1_3gpuE5ELNS1_3repE0EEENS1_30default_config_static_selectorELNS0_4arch9wavefront6targetE1EEEvSF_,comdat
	.protected	_ZN7rocprim17ROCPRIM_400000_NS6detail17trampoline_kernelINS0_14default_configENS1_22reduce_config_selectorIdEEZNS1_11reduce_implILb1ES3_PdS7_dN6thrust23THRUST_200600_302600_NS4plusIdEEEE10hipError_tPvRmT1_T2_T3_mT4_P12ihipStream_tbEUlT_E0_NS1_11comp_targetILNS1_3genE10ELNS1_11target_archE1201ELNS1_3gpuE5ELNS1_3repE0EEENS1_30default_config_static_selectorELNS0_4arch9wavefront6targetE1EEEvSF_ ; -- Begin function _ZN7rocprim17ROCPRIM_400000_NS6detail17trampoline_kernelINS0_14default_configENS1_22reduce_config_selectorIdEEZNS1_11reduce_implILb1ES3_PdS7_dN6thrust23THRUST_200600_302600_NS4plusIdEEEE10hipError_tPvRmT1_T2_T3_mT4_P12ihipStream_tbEUlT_E0_NS1_11comp_targetILNS1_3genE10ELNS1_11target_archE1201ELNS1_3gpuE5ELNS1_3repE0EEENS1_30default_config_static_selectorELNS0_4arch9wavefront6targetE1EEEvSF_
	.globl	_ZN7rocprim17ROCPRIM_400000_NS6detail17trampoline_kernelINS0_14default_configENS1_22reduce_config_selectorIdEEZNS1_11reduce_implILb1ES3_PdS7_dN6thrust23THRUST_200600_302600_NS4plusIdEEEE10hipError_tPvRmT1_T2_T3_mT4_P12ihipStream_tbEUlT_E0_NS1_11comp_targetILNS1_3genE10ELNS1_11target_archE1201ELNS1_3gpuE5ELNS1_3repE0EEENS1_30default_config_static_selectorELNS0_4arch9wavefront6targetE1EEEvSF_
	.p2align	8
	.type	_ZN7rocprim17ROCPRIM_400000_NS6detail17trampoline_kernelINS0_14default_configENS1_22reduce_config_selectorIdEEZNS1_11reduce_implILb1ES3_PdS7_dN6thrust23THRUST_200600_302600_NS4plusIdEEEE10hipError_tPvRmT1_T2_T3_mT4_P12ihipStream_tbEUlT_E0_NS1_11comp_targetILNS1_3genE10ELNS1_11target_archE1201ELNS1_3gpuE5ELNS1_3repE0EEENS1_30default_config_static_selectorELNS0_4arch9wavefront6targetE1EEEvSF_,@function
_ZN7rocprim17ROCPRIM_400000_NS6detail17trampoline_kernelINS0_14default_configENS1_22reduce_config_selectorIdEEZNS1_11reduce_implILb1ES3_PdS7_dN6thrust23THRUST_200600_302600_NS4plusIdEEEE10hipError_tPvRmT1_T2_T3_mT4_P12ihipStream_tbEUlT_E0_NS1_11comp_targetILNS1_3genE10ELNS1_11target_archE1201ELNS1_3gpuE5ELNS1_3repE0EEENS1_30default_config_static_selectorELNS0_4arch9wavefront6targetE1EEEvSF_: ; @_ZN7rocprim17ROCPRIM_400000_NS6detail17trampoline_kernelINS0_14default_configENS1_22reduce_config_selectorIdEEZNS1_11reduce_implILb1ES3_PdS7_dN6thrust23THRUST_200600_302600_NS4plusIdEEEE10hipError_tPvRmT1_T2_T3_mT4_P12ihipStream_tbEUlT_E0_NS1_11comp_targetILNS1_3genE10ELNS1_11target_archE1201ELNS1_3gpuE5ELNS1_3repE0EEENS1_30default_config_static_selectorELNS0_4arch9wavefront6targetE1EEEvSF_
; %bb.0:
	.section	.rodata,"a",@progbits
	.p2align	6, 0x0
	.amdhsa_kernel _ZN7rocprim17ROCPRIM_400000_NS6detail17trampoline_kernelINS0_14default_configENS1_22reduce_config_selectorIdEEZNS1_11reduce_implILb1ES3_PdS7_dN6thrust23THRUST_200600_302600_NS4plusIdEEEE10hipError_tPvRmT1_T2_T3_mT4_P12ihipStream_tbEUlT_E0_NS1_11comp_targetILNS1_3genE10ELNS1_11target_archE1201ELNS1_3gpuE5ELNS1_3repE0EEENS1_30default_config_static_selectorELNS0_4arch9wavefront6targetE1EEEvSF_
		.amdhsa_group_segment_fixed_size 0
		.amdhsa_private_segment_fixed_size 0
		.amdhsa_kernarg_size 64
		.amdhsa_user_sgpr_count 2
		.amdhsa_user_sgpr_dispatch_ptr 0
		.amdhsa_user_sgpr_queue_ptr 0
		.amdhsa_user_sgpr_kernarg_segment_ptr 1
		.amdhsa_user_sgpr_dispatch_id 0
		.amdhsa_user_sgpr_kernarg_preload_length 0
		.amdhsa_user_sgpr_kernarg_preload_offset 0
		.amdhsa_user_sgpr_private_segment_size 0
		.amdhsa_uses_dynamic_stack 0
		.amdhsa_enable_private_segment 0
		.amdhsa_system_sgpr_workgroup_id_x 1
		.amdhsa_system_sgpr_workgroup_id_y 0
		.amdhsa_system_sgpr_workgroup_id_z 0
		.amdhsa_system_sgpr_workgroup_info 0
		.amdhsa_system_vgpr_workitem_id 0
		.amdhsa_next_free_vgpr 1
		.amdhsa_next_free_sgpr 0
		.amdhsa_accum_offset 4
		.amdhsa_reserve_vcc 0
		.amdhsa_float_round_mode_32 0
		.amdhsa_float_round_mode_16_64 0
		.amdhsa_float_denorm_mode_32 3
		.amdhsa_float_denorm_mode_16_64 3
		.amdhsa_dx10_clamp 1
		.amdhsa_ieee_mode 1
		.amdhsa_fp16_overflow 0
		.amdhsa_tg_split 0
		.amdhsa_exception_fp_ieee_invalid_op 0
		.amdhsa_exception_fp_denorm_src 0
		.amdhsa_exception_fp_ieee_div_zero 0
		.amdhsa_exception_fp_ieee_overflow 0
		.amdhsa_exception_fp_ieee_underflow 0
		.amdhsa_exception_fp_ieee_inexact 0
		.amdhsa_exception_int_div_zero 0
	.end_amdhsa_kernel
	.section	.text._ZN7rocprim17ROCPRIM_400000_NS6detail17trampoline_kernelINS0_14default_configENS1_22reduce_config_selectorIdEEZNS1_11reduce_implILb1ES3_PdS7_dN6thrust23THRUST_200600_302600_NS4plusIdEEEE10hipError_tPvRmT1_T2_T3_mT4_P12ihipStream_tbEUlT_E0_NS1_11comp_targetILNS1_3genE10ELNS1_11target_archE1201ELNS1_3gpuE5ELNS1_3repE0EEENS1_30default_config_static_selectorELNS0_4arch9wavefront6targetE1EEEvSF_,"axG",@progbits,_ZN7rocprim17ROCPRIM_400000_NS6detail17trampoline_kernelINS0_14default_configENS1_22reduce_config_selectorIdEEZNS1_11reduce_implILb1ES3_PdS7_dN6thrust23THRUST_200600_302600_NS4plusIdEEEE10hipError_tPvRmT1_T2_T3_mT4_P12ihipStream_tbEUlT_E0_NS1_11comp_targetILNS1_3genE10ELNS1_11target_archE1201ELNS1_3gpuE5ELNS1_3repE0EEENS1_30default_config_static_selectorELNS0_4arch9wavefront6targetE1EEEvSF_,comdat
.Lfunc_end7:
	.size	_ZN7rocprim17ROCPRIM_400000_NS6detail17trampoline_kernelINS0_14default_configENS1_22reduce_config_selectorIdEEZNS1_11reduce_implILb1ES3_PdS7_dN6thrust23THRUST_200600_302600_NS4plusIdEEEE10hipError_tPvRmT1_T2_T3_mT4_P12ihipStream_tbEUlT_E0_NS1_11comp_targetILNS1_3genE10ELNS1_11target_archE1201ELNS1_3gpuE5ELNS1_3repE0EEENS1_30default_config_static_selectorELNS0_4arch9wavefront6targetE1EEEvSF_, .Lfunc_end7-_ZN7rocprim17ROCPRIM_400000_NS6detail17trampoline_kernelINS0_14default_configENS1_22reduce_config_selectorIdEEZNS1_11reduce_implILb1ES3_PdS7_dN6thrust23THRUST_200600_302600_NS4plusIdEEEE10hipError_tPvRmT1_T2_T3_mT4_P12ihipStream_tbEUlT_E0_NS1_11comp_targetILNS1_3genE10ELNS1_11target_archE1201ELNS1_3gpuE5ELNS1_3repE0EEENS1_30default_config_static_selectorELNS0_4arch9wavefront6targetE1EEEvSF_
                                        ; -- End function
	.set _ZN7rocprim17ROCPRIM_400000_NS6detail17trampoline_kernelINS0_14default_configENS1_22reduce_config_selectorIdEEZNS1_11reduce_implILb1ES3_PdS7_dN6thrust23THRUST_200600_302600_NS4plusIdEEEE10hipError_tPvRmT1_T2_T3_mT4_P12ihipStream_tbEUlT_E0_NS1_11comp_targetILNS1_3genE10ELNS1_11target_archE1201ELNS1_3gpuE5ELNS1_3repE0EEENS1_30default_config_static_selectorELNS0_4arch9wavefront6targetE1EEEvSF_.num_vgpr, 0
	.set _ZN7rocprim17ROCPRIM_400000_NS6detail17trampoline_kernelINS0_14default_configENS1_22reduce_config_selectorIdEEZNS1_11reduce_implILb1ES3_PdS7_dN6thrust23THRUST_200600_302600_NS4plusIdEEEE10hipError_tPvRmT1_T2_T3_mT4_P12ihipStream_tbEUlT_E0_NS1_11comp_targetILNS1_3genE10ELNS1_11target_archE1201ELNS1_3gpuE5ELNS1_3repE0EEENS1_30default_config_static_selectorELNS0_4arch9wavefront6targetE1EEEvSF_.num_agpr, 0
	.set _ZN7rocprim17ROCPRIM_400000_NS6detail17trampoline_kernelINS0_14default_configENS1_22reduce_config_selectorIdEEZNS1_11reduce_implILb1ES3_PdS7_dN6thrust23THRUST_200600_302600_NS4plusIdEEEE10hipError_tPvRmT1_T2_T3_mT4_P12ihipStream_tbEUlT_E0_NS1_11comp_targetILNS1_3genE10ELNS1_11target_archE1201ELNS1_3gpuE5ELNS1_3repE0EEENS1_30default_config_static_selectorELNS0_4arch9wavefront6targetE1EEEvSF_.numbered_sgpr, 0
	.set _ZN7rocprim17ROCPRIM_400000_NS6detail17trampoline_kernelINS0_14default_configENS1_22reduce_config_selectorIdEEZNS1_11reduce_implILb1ES3_PdS7_dN6thrust23THRUST_200600_302600_NS4plusIdEEEE10hipError_tPvRmT1_T2_T3_mT4_P12ihipStream_tbEUlT_E0_NS1_11comp_targetILNS1_3genE10ELNS1_11target_archE1201ELNS1_3gpuE5ELNS1_3repE0EEENS1_30default_config_static_selectorELNS0_4arch9wavefront6targetE1EEEvSF_.num_named_barrier, 0
	.set _ZN7rocprim17ROCPRIM_400000_NS6detail17trampoline_kernelINS0_14default_configENS1_22reduce_config_selectorIdEEZNS1_11reduce_implILb1ES3_PdS7_dN6thrust23THRUST_200600_302600_NS4plusIdEEEE10hipError_tPvRmT1_T2_T3_mT4_P12ihipStream_tbEUlT_E0_NS1_11comp_targetILNS1_3genE10ELNS1_11target_archE1201ELNS1_3gpuE5ELNS1_3repE0EEENS1_30default_config_static_selectorELNS0_4arch9wavefront6targetE1EEEvSF_.private_seg_size, 0
	.set _ZN7rocprim17ROCPRIM_400000_NS6detail17trampoline_kernelINS0_14default_configENS1_22reduce_config_selectorIdEEZNS1_11reduce_implILb1ES3_PdS7_dN6thrust23THRUST_200600_302600_NS4plusIdEEEE10hipError_tPvRmT1_T2_T3_mT4_P12ihipStream_tbEUlT_E0_NS1_11comp_targetILNS1_3genE10ELNS1_11target_archE1201ELNS1_3gpuE5ELNS1_3repE0EEENS1_30default_config_static_selectorELNS0_4arch9wavefront6targetE1EEEvSF_.uses_vcc, 0
	.set _ZN7rocprim17ROCPRIM_400000_NS6detail17trampoline_kernelINS0_14default_configENS1_22reduce_config_selectorIdEEZNS1_11reduce_implILb1ES3_PdS7_dN6thrust23THRUST_200600_302600_NS4plusIdEEEE10hipError_tPvRmT1_T2_T3_mT4_P12ihipStream_tbEUlT_E0_NS1_11comp_targetILNS1_3genE10ELNS1_11target_archE1201ELNS1_3gpuE5ELNS1_3repE0EEENS1_30default_config_static_selectorELNS0_4arch9wavefront6targetE1EEEvSF_.uses_flat_scratch, 0
	.set _ZN7rocprim17ROCPRIM_400000_NS6detail17trampoline_kernelINS0_14default_configENS1_22reduce_config_selectorIdEEZNS1_11reduce_implILb1ES3_PdS7_dN6thrust23THRUST_200600_302600_NS4plusIdEEEE10hipError_tPvRmT1_T2_T3_mT4_P12ihipStream_tbEUlT_E0_NS1_11comp_targetILNS1_3genE10ELNS1_11target_archE1201ELNS1_3gpuE5ELNS1_3repE0EEENS1_30default_config_static_selectorELNS0_4arch9wavefront6targetE1EEEvSF_.has_dyn_sized_stack, 0
	.set _ZN7rocprim17ROCPRIM_400000_NS6detail17trampoline_kernelINS0_14default_configENS1_22reduce_config_selectorIdEEZNS1_11reduce_implILb1ES3_PdS7_dN6thrust23THRUST_200600_302600_NS4plusIdEEEE10hipError_tPvRmT1_T2_T3_mT4_P12ihipStream_tbEUlT_E0_NS1_11comp_targetILNS1_3genE10ELNS1_11target_archE1201ELNS1_3gpuE5ELNS1_3repE0EEENS1_30default_config_static_selectorELNS0_4arch9wavefront6targetE1EEEvSF_.has_recursion, 0
	.set _ZN7rocprim17ROCPRIM_400000_NS6detail17trampoline_kernelINS0_14default_configENS1_22reduce_config_selectorIdEEZNS1_11reduce_implILb1ES3_PdS7_dN6thrust23THRUST_200600_302600_NS4plusIdEEEE10hipError_tPvRmT1_T2_T3_mT4_P12ihipStream_tbEUlT_E0_NS1_11comp_targetILNS1_3genE10ELNS1_11target_archE1201ELNS1_3gpuE5ELNS1_3repE0EEENS1_30default_config_static_selectorELNS0_4arch9wavefront6targetE1EEEvSF_.has_indirect_call, 0
	.section	.AMDGPU.csdata,"",@progbits
; Kernel info:
; codeLenInByte = 0
; TotalNumSgprs: 6
; NumVgprs: 0
; NumAgprs: 0
; TotalNumVgprs: 0
; ScratchSize: 0
; MemoryBound: 0
; FloatMode: 240
; IeeeMode: 1
; LDSByteSize: 0 bytes/workgroup (compile time only)
; SGPRBlocks: 0
; VGPRBlocks: 0
; NumSGPRsForWavesPerEU: 6
; NumVGPRsForWavesPerEU: 1
; AccumOffset: 4
; Occupancy: 8
; WaveLimiterHint : 0
; COMPUTE_PGM_RSRC2:SCRATCH_EN: 0
; COMPUTE_PGM_RSRC2:USER_SGPR: 2
; COMPUTE_PGM_RSRC2:TRAP_HANDLER: 0
; COMPUTE_PGM_RSRC2:TGID_X_EN: 1
; COMPUTE_PGM_RSRC2:TGID_Y_EN: 0
; COMPUTE_PGM_RSRC2:TGID_Z_EN: 0
; COMPUTE_PGM_RSRC2:TIDIG_COMP_CNT: 0
; COMPUTE_PGM_RSRC3_GFX90A:ACCUM_OFFSET: 0
; COMPUTE_PGM_RSRC3_GFX90A:TG_SPLIT: 0
	.section	.text._ZN7rocprim17ROCPRIM_400000_NS6detail17trampoline_kernelINS0_14default_configENS1_22reduce_config_selectorIdEEZNS1_11reduce_implILb1ES3_PdS7_dN6thrust23THRUST_200600_302600_NS4plusIdEEEE10hipError_tPvRmT1_T2_T3_mT4_P12ihipStream_tbEUlT_E0_NS1_11comp_targetILNS1_3genE10ELNS1_11target_archE1200ELNS1_3gpuE4ELNS1_3repE0EEENS1_30default_config_static_selectorELNS0_4arch9wavefront6targetE1EEEvSF_,"axG",@progbits,_ZN7rocprim17ROCPRIM_400000_NS6detail17trampoline_kernelINS0_14default_configENS1_22reduce_config_selectorIdEEZNS1_11reduce_implILb1ES3_PdS7_dN6thrust23THRUST_200600_302600_NS4plusIdEEEE10hipError_tPvRmT1_T2_T3_mT4_P12ihipStream_tbEUlT_E0_NS1_11comp_targetILNS1_3genE10ELNS1_11target_archE1200ELNS1_3gpuE4ELNS1_3repE0EEENS1_30default_config_static_selectorELNS0_4arch9wavefront6targetE1EEEvSF_,comdat
	.protected	_ZN7rocprim17ROCPRIM_400000_NS6detail17trampoline_kernelINS0_14default_configENS1_22reduce_config_selectorIdEEZNS1_11reduce_implILb1ES3_PdS7_dN6thrust23THRUST_200600_302600_NS4plusIdEEEE10hipError_tPvRmT1_T2_T3_mT4_P12ihipStream_tbEUlT_E0_NS1_11comp_targetILNS1_3genE10ELNS1_11target_archE1200ELNS1_3gpuE4ELNS1_3repE0EEENS1_30default_config_static_selectorELNS0_4arch9wavefront6targetE1EEEvSF_ ; -- Begin function _ZN7rocprim17ROCPRIM_400000_NS6detail17trampoline_kernelINS0_14default_configENS1_22reduce_config_selectorIdEEZNS1_11reduce_implILb1ES3_PdS7_dN6thrust23THRUST_200600_302600_NS4plusIdEEEE10hipError_tPvRmT1_T2_T3_mT4_P12ihipStream_tbEUlT_E0_NS1_11comp_targetILNS1_3genE10ELNS1_11target_archE1200ELNS1_3gpuE4ELNS1_3repE0EEENS1_30default_config_static_selectorELNS0_4arch9wavefront6targetE1EEEvSF_
	.globl	_ZN7rocprim17ROCPRIM_400000_NS6detail17trampoline_kernelINS0_14default_configENS1_22reduce_config_selectorIdEEZNS1_11reduce_implILb1ES3_PdS7_dN6thrust23THRUST_200600_302600_NS4plusIdEEEE10hipError_tPvRmT1_T2_T3_mT4_P12ihipStream_tbEUlT_E0_NS1_11comp_targetILNS1_3genE10ELNS1_11target_archE1200ELNS1_3gpuE4ELNS1_3repE0EEENS1_30default_config_static_selectorELNS0_4arch9wavefront6targetE1EEEvSF_
	.p2align	8
	.type	_ZN7rocprim17ROCPRIM_400000_NS6detail17trampoline_kernelINS0_14default_configENS1_22reduce_config_selectorIdEEZNS1_11reduce_implILb1ES3_PdS7_dN6thrust23THRUST_200600_302600_NS4plusIdEEEE10hipError_tPvRmT1_T2_T3_mT4_P12ihipStream_tbEUlT_E0_NS1_11comp_targetILNS1_3genE10ELNS1_11target_archE1200ELNS1_3gpuE4ELNS1_3repE0EEENS1_30default_config_static_selectorELNS0_4arch9wavefront6targetE1EEEvSF_,@function
_ZN7rocprim17ROCPRIM_400000_NS6detail17trampoline_kernelINS0_14default_configENS1_22reduce_config_selectorIdEEZNS1_11reduce_implILb1ES3_PdS7_dN6thrust23THRUST_200600_302600_NS4plusIdEEEE10hipError_tPvRmT1_T2_T3_mT4_P12ihipStream_tbEUlT_E0_NS1_11comp_targetILNS1_3genE10ELNS1_11target_archE1200ELNS1_3gpuE4ELNS1_3repE0EEENS1_30default_config_static_selectorELNS0_4arch9wavefront6targetE1EEEvSF_: ; @_ZN7rocprim17ROCPRIM_400000_NS6detail17trampoline_kernelINS0_14default_configENS1_22reduce_config_selectorIdEEZNS1_11reduce_implILb1ES3_PdS7_dN6thrust23THRUST_200600_302600_NS4plusIdEEEE10hipError_tPvRmT1_T2_T3_mT4_P12ihipStream_tbEUlT_E0_NS1_11comp_targetILNS1_3genE10ELNS1_11target_archE1200ELNS1_3gpuE4ELNS1_3repE0EEENS1_30default_config_static_selectorELNS0_4arch9wavefront6targetE1EEEvSF_
; %bb.0:
	.section	.rodata,"a",@progbits
	.p2align	6, 0x0
	.amdhsa_kernel _ZN7rocprim17ROCPRIM_400000_NS6detail17trampoline_kernelINS0_14default_configENS1_22reduce_config_selectorIdEEZNS1_11reduce_implILb1ES3_PdS7_dN6thrust23THRUST_200600_302600_NS4plusIdEEEE10hipError_tPvRmT1_T2_T3_mT4_P12ihipStream_tbEUlT_E0_NS1_11comp_targetILNS1_3genE10ELNS1_11target_archE1200ELNS1_3gpuE4ELNS1_3repE0EEENS1_30default_config_static_selectorELNS0_4arch9wavefront6targetE1EEEvSF_
		.amdhsa_group_segment_fixed_size 0
		.amdhsa_private_segment_fixed_size 0
		.amdhsa_kernarg_size 64
		.amdhsa_user_sgpr_count 2
		.amdhsa_user_sgpr_dispatch_ptr 0
		.amdhsa_user_sgpr_queue_ptr 0
		.amdhsa_user_sgpr_kernarg_segment_ptr 1
		.amdhsa_user_sgpr_dispatch_id 0
		.amdhsa_user_sgpr_kernarg_preload_length 0
		.amdhsa_user_sgpr_kernarg_preload_offset 0
		.amdhsa_user_sgpr_private_segment_size 0
		.amdhsa_uses_dynamic_stack 0
		.amdhsa_enable_private_segment 0
		.amdhsa_system_sgpr_workgroup_id_x 1
		.amdhsa_system_sgpr_workgroup_id_y 0
		.amdhsa_system_sgpr_workgroup_id_z 0
		.amdhsa_system_sgpr_workgroup_info 0
		.amdhsa_system_vgpr_workitem_id 0
		.amdhsa_next_free_vgpr 1
		.amdhsa_next_free_sgpr 0
		.amdhsa_accum_offset 4
		.amdhsa_reserve_vcc 0
		.amdhsa_float_round_mode_32 0
		.amdhsa_float_round_mode_16_64 0
		.amdhsa_float_denorm_mode_32 3
		.amdhsa_float_denorm_mode_16_64 3
		.amdhsa_dx10_clamp 1
		.amdhsa_ieee_mode 1
		.amdhsa_fp16_overflow 0
		.amdhsa_tg_split 0
		.amdhsa_exception_fp_ieee_invalid_op 0
		.amdhsa_exception_fp_denorm_src 0
		.amdhsa_exception_fp_ieee_div_zero 0
		.amdhsa_exception_fp_ieee_overflow 0
		.amdhsa_exception_fp_ieee_underflow 0
		.amdhsa_exception_fp_ieee_inexact 0
		.amdhsa_exception_int_div_zero 0
	.end_amdhsa_kernel
	.section	.text._ZN7rocprim17ROCPRIM_400000_NS6detail17trampoline_kernelINS0_14default_configENS1_22reduce_config_selectorIdEEZNS1_11reduce_implILb1ES3_PdS7_dN6thrust23THRUST_200600_302600_NS4plusIdEEEE10hipError_tPvRmT1_T2_T3_mT4_P12ihipStream_tbEUlT_E0_NS1_11comp_targetILNS1_3genE10ELNS1_11target_archE1200ELNS1_3gpuE4ELNS1_3repE0EEENS1_30default_config_static_selectorELNS0_4arch9wavefront6targetE1EEEvSF_,"axG",@progbits,_ZN7rocprim17ROCPRIM_400000_NS6detail17trampoline_kernelINS0_14default_configENS1_22reduce_config_selectorIdEEZNS1_11reduce_implILb1ES3_PdS7_dN6thrust23THRUST_200600_302600_NS4plusIdEEEE10hipError_tPvRmT1_T2_T3_mT4_P12ihipStream_tbEUlT_E0_NS1_11comp_targetILNS1_3genE10ELNS1_11target_archE1200ELNS1_3gpuE4ELNS1_3repE0EEENS1_30default_config_static_selectorELNS0_4arch9wavefront6targetE1EEEvSF_,comdat
.Lfunc_end8:
	.size	_ZN7rocprim17ROCPRIM_400000_NS6detail17trampoline_kernelINS0_14default_configENS1_22reduce_config_selectorIdEEZNS1_11reduce_implILb1ES3_PdS7_dN6thrust23THRUST_200600_302600_NS4plusIdEEEE10hipError_tPvRmT1_T2_T3_mT4_P12ihipStream_tbEUlT_E0_NS1_11comp_targetILNS1_3genE10ELNS1_11target_archE1200ELNS1_3gpuE4ELNS1_3repE0EEENS1_30default_config_static_selectorELNS0_4arch9wavefront6targetE1EEEvSF_, .Lfunc_end8-_ZN7rocprim17ROCPRIM_400000_NS6detail17trampoline_kernelINS0_14default_configENS1_22reduce_config_selectorIdEEZNS1_11reduce_implILb1ES3_PdS7_dN6thrust23THRUST_200600_302600_NS4plusIdEEEE10hipError_tPvRmT1_T2_T3_mT4_P12ihipStream_tbEUlT_E0_NS1_11comp_targetILNS1_3genE10ELNS1_11target_archE1200ELNS1_3gpuE4ELNS1_3repE0EEENS1_30default_config_static_selectorELNS0_4arch9wavefront6targetE1EEEvSF_
                                        ; -- End function
	.set _ZN7rocprim17ROCPRIM_400000_NS6detail17trampoline_kernelINS0_14default_configENS1_22reduce_config_selectorIdEEZNS1_11reduce_implILb1ES3_PdS7_dN6thrust23THRUST_200600_302600_NS4plusIdEEEE10hipError_tPvRmT1_T2_T3_mT4_P12ihipStream_tbEUlT_E0_NS1_11comp_targetILNS1_3genE10ELNS1_11target_archE1200ELNS1_3gpuE4ELNS1_3repE0EEENS1_30default_config_static_selectorELNS0_4arch9wavefront6targetE1EEEvSF_.num_vgpr, 0
	.set _ZN7rocprim17ROCPRIM_400000_NS6detail17trampoline_kernelINS0_14default_configENS1_22reduce_config_selectorIdEEZNS1_11reduce_implILb1ES3_PdS7_dN6thrust23THRUST_200600_302600_NS4plusIdEEEE10hipError_tPvRmT1_T2_T3_mT4_P12ihipStream_tbEUlT_E0_NS1_11comp_targetILNS1_3genE10ELNS1_11target_archE1200ELNS1_3gpuE4ELNS1_3repE0EEENS1_30default_config_static_selectorELNS0_4arch9wavefront6targetE1EEEvSF_.num_agpr, 0
	.set _ZN7rocprim17ROCPRIM_400000_NS6detail17trampoline_kernelINS0_14default_configENS1_22reduce_config_selectorIdEEZNS1_11reduce_implILb1ES3_PdS7_dN6thrust23THRUST_200600_302600_NS4plusIdEEEE10hipError_tPvRmT1_T2_T3_mT4_P12ihipStream_tbEUlT_E0_NS1_11comp_targetILNS1_3genE10ELNS1_11target_archE1200ELNS1_3gpuE4ELNS1_3repE0EEENS1_30default_config_static_selectorELNS0_4arch9wavefront6targetE1EEEvSF_.numbered_sgpr, 0
	.set _ZN7rocprim17ROCPRIM_400000_NS6detail17trampoline_kernelINS0_14default_configENS1_22reduce_config_selectorIdEEZNS1_11reduce_implILb1ES3_PdS7_dN6thrust23THRUST_200600_302600_NS4plusIdEEEE10hipError_tPvRmT1_T2_T3_mT4_P12ihipStream_tbEUlT_E0_NS1_11comp_targetILNS1_3genE10ELNS1_11target_archE1200ELNS1_3gpuE4ELNS1_3repE0EEENS1_30default_config_static_selectorELNS0_4arch9wavefront6targetE1EEEvSF_.num_named_barrier, 0
	.set _ZN7rocprim17ROCPRIM_400000_NS6detail17trampoline_kernelINS0_14default_configENS1_22reduce_config_selectorIdEEZNS1_11reduce_implILb1ES3_PdS7_dN6thrust23THRUST_200600_302600_NS4plusIdEEEE10hipError_tPvRmT1_T2_T3_mT4_P12ihipStream_tbEUlT_E0_NS1_11comp_targetILNS1_3genE10ELNS1_11target_archE1200ELNS1_3gpuE4ELNS1_3repE0EEENS1_30default_config_static_selectorELNS0_4arch9wavefront6targetE1EEEvSF_.private_seg_size, 0
	.set _ZN7rocprim17ROCPRIM_400000_NS6detail17trampoline_kernelINS0_14default_configENS1_22reduce_config_selectorIdEEZNS1_11reduce_implILb1ES3_PdS7_dN6thrust23THRUST_200600_302600_NS4plusIdEEEE10hipError_tPvRmT1_T2_T3_mT4_P12ihipStream_tbEUlT_E0_NS1_11comp_targetILNS1_3genE10ELNS1_11target_archE1200ELNS1_3gpuE4ELNS1_3repE0EEENS1_30default_config_static_selectorELNS0_4arch9wavefront6targetE1EEEvSF_.uses_vcc, 0
	.set _ZN7rocprim17ROCPRIM_400000_NS6detail17trampoline_kernelINS0_14default_configENS1_22reduce_config_selectorIdEEZNS1_11reduce_implILb1ES3_PdS7_dN6thrust23THRUST_200600_302600_NS4plusIdEEEE10hipError_tPvRmT1_T2_T3_mT4_P12ihipStream_tbEUlT_E0_NS1_11comp_targetILNS1_3genE10ELNS1_11target_archE1200ELNS1_3gpuE4ELNS1_3repE0EEENS1_30default_config_static_selectorELNS0_4arch9wavefront6targetE1EEEvSF_.uses_flat_scratch, 0
	.set _ZN7rocprim17ROCPRIM_400000_NS6detail17trampoline_kernelINS0_14default_configENS1_22reduce_config_selectorIdEEZNS1_11reduce_implILb1ES3_PdS7_dN6thrust23THRUST_200600_302600_NS4plusIdEEEE10hipError_tPvRmT1_T2_T3_mT4_P12ihipStream_tbEUlT_E0_NS1_11comp_targetILNS1_3genE10ELNS1_11target_archE1200ELNS1_3gpuE4ELNS1_3repE0EEENS1_30default_config_static_selectorELNS0_4arch9wavefront6targetE1EEEvSF_.has_dyn_sized_stack, 0
	.set _ZN7rocprim17ROCPRIM_400000_NS6detail17trampoline_kernelINS0_14default_configENS1_22reduce_config_selectorIdEEZNS1_11reduce_implILb1ES3_PdS7_dN6thrust23THRUST_200600_302600_NS4plusIdEEEE10hipError_tPvRmT1_T2_T3_mT4_P12ihipStream_tbEUlT_E0_NS1_11comp_targetILNS1_3genE10ELNS1_11target_archE1200ELNS1_3gpuE4ELNS1_3repE0EEENS1_30default_config_static_selectorELNS0_4arch9wavefront6targetE1EEEvSF_.has_recursion, 0
	.set _ZN7rocprim17ROCPRIM_400000_NS6detail17trampoline_kernelINS0_14default_configENS1_22reduce_config_selectorIdEEZNS1_11reduce_implILb1ES3_PdS7_dN6thrust23THRUST_200600_302600_NS4plusIdEEEE10hipError_tPvRmT1_T2_T3_mT4_P12ihipStream_tbEUlT_E0_NS1_11comp_targetILNS1_3genE10ELNS1_11target_archE1200ELNS1_3gpuE4ELNS1_3repE0EEENS1_30default_config_static_selectorELNS0_4arch9wavefront6targetE1EEEvSF_.has_indirect_call, 0
	.section	.AMDGPU.csdata,"",@progbits
; Kernel info:
; codeLenInByte = 0
; TotalNumSgprs: 6
; NumVgprs: 0
; NumAgprs: 0
; TotalNumVgprs: 0
; ScratchSize: 0
; MemoryBound: 0
; FloatMode: 240
; IeeeMode: 1
; LDSByteSize: 0 bytes/workgroup (compile time only)
; SGPRBlocks: 0
; VGPRBlocks: 0
; NumSGPRsForWavesPerEU: 6
; NumVGPRsForWavesPerEU: 1
; AccumOffset: 4
; Occupancy: 8
; WaveLimiterHint : 0
; COMPUTE_PGM_RSRC2:SCRATCH_EN: 0
; COMPUTE_PGM_RSRC2:USER_SGPR: 2
; COMPUTE_PGM_RSRC2:TRAP_HANDLER: 0
; COMPUTE_PGM_RSRC2:TGID_X_EN: 1
; COMPUTE_PGM_RSRC2:TGID_Y_EN: 0
; COMPUTE_PGM_RSRC2:TGID_Z_EN: 0
; COMPUTE_PGM_RSRC2:TIDIG_COMP_CNT: 0
; COMPUTE_PGM_RSRC3_GFX90A:ACCUM_OFFSET: 0
; COMPUTE_PGM_RSRC3_GFX90A:TG_SPLIT: 0
	.section	.text._ZN7rocprim17ROCPRIM_400000_NS6detail17trampoline_kernelINS0_14default_configENS1_22reduce_config_selectorIdEEZNS1_11reduce_implILb1ES3_PdS7_dN6thrust23THRUST_200600_302600_NS4plusIdEEEE10hipError_tPvRmT1_T2_T3_mT4_P12ihipStream_tbEUlT_E0_NS1_11comp_targetILNS1_3genE9ELNS1_11target_archE1100ELNS1_3gpuE3ELNS1_3repE0EEENS1_30default_config_static_selectorELNS0_4arch9wavefront6targetE1EEEvSF_,"axG",@progbits,_ZN7rocprim17ROCPRIM_400000_NS6detail17trampoline_kernelINS0_14default_configENS1_22reduce_config_selectorIdEEZNS1_11reduce_implILb1ES3_PdS7_dN6thrust23THRUST_200600_302600_NS4plusIdEEEE10hipError_tPvRmT1_T2_T3_mT4_P12ihipStream_tbEUlT_E0_NS1_11comp_targetILNS1_3genE9ELNS1_11target_archE1100ELNS1_3gpuE3ELNS1_3repE0EEENS1_30default_config_static_selectorELNS0_4arch9wavefront6targetE1EEEvSF_,comdat
	.protected	_ZN7rocprim17ROCPRIM_400000_NS6detail17trampoline_kernelINS0_14default_configENS1_22reduce_config_selectorIdEEZNS1_11reduce_implILb1ES3_PdS7_dN6thrust23THRUST_200600_302600_NS4plusIdEEEE10hipError_tPvRmT1_T2_T3_mT4_P12ihipStream_tbEUlT_E0_NS1_11comp_targetILNS1_3genE9ELNS1_11target_archE1100ELNS1_3gpuE3ELNS1_3repE0EEENS1_30default_config_static_selectorELNS0_4arch9wavefront6targetE1EEEvSF_ ; -- Begin function _ZN7rocprim17ROCPRIM_400000_NS6detail17trampoline_kernelINS0_14default_configENS1_22reduce_config_selectorIdEEZNS1_11reduce_implILb1ES3_PdS7_dN6thrust23THRUST_200600_302600_NS4plusIdEEEE10hipError_tPvRmT1_T2_T3_mT4_P12ihipStream_tbEUlT_E0_NS1_11comp_targetILNS1_3genE9ELNS1_11target_archE1100ELNS1_3gpuE3ELNS1_3repE0EEENS1_30default_config_static_selectorELNS0_4arch9wavefront6targetE1EEEvSF_
	.globl	_ZN7rocprim17ROCPRIM_400000_NS6detail17trampoline_kernelINS0_14default_configENS1_22reduce_config_selectorIdEEZNS1_11reduce_implILb1ES3_PdS7_dN6thrust23THRUST_200600_302600_NS4plusIdEEEE10hipError_tPvRmT1_T2_T3_mT4_P12ihipStream_tbEUlT_E0_NS1_11comp_targetILNS1_3genE9ELNS1_11target_archE1100ELNS1_3gpuE3ELNS1_3repE0EEENS1_30default_config_static_selectorELNS0_4arch9wavefront6targetE1EEEvSF_
	.p2align	8
	.type	_ZN7rocprim17ROCPRIM_400000_NS6detail17trampoline_kernelINS0_14default_configENS1_22reduce_config_selectorIdEEZNS1_11reduce_implILb1ES3_PdS7_dN6thrust23THRUST_200600_302600_NS4plusIdEEEE10hipError_tPvRmT1_T2_T3_mT4_P12ihipStream_tbEUlT_E0_NS1_11comp_targetILNS1_3genE9ELNS1_11target_archE1100ELNS1_3gpuE3ELNS1_3repE0EEENS1_30default_config_static_selectorELNS0_4arch9wavefront6targetE1EEEvSF_,@function
_ZN7rocprim17ROCPRIM_400000_NS6detail17trampoline_kernelINS0_14default_configENS1_22reduce_config_selectorIdEEZNS1_11reduce_implILb1ES3_PdS7_dN6thrust23THRUST_200600_302600_NS4plusIdEEEE10hipError_tPvRmT1_T2_T3_mT4_P12ihipStream_tbEUlT_E0_NS1_11comp_targetILNS1_3genE9ELNS1_11target_archE1100ELNS1_3gpuE3ELNS1_3repE0EEENS1_30default_config_static_selectorELNS0_4arch9wavefront6targetE1EEEvSF_: ; @_ZN7rocprim17ROCPRIM_400000_NS6detail17trampoline_kernelINS0_14default_configENS1_22reduce_config_selectorIdEEZNS1_11reduce_implILb1ES3_PdS7_dN6thrust23THRUST_200600_302600_NS4plusIdEEEE10hipError_tPvRmT1_T2_T3_mT4_P12ihipStream_tbEUlT_E0_NS1_11comp_targetILNS1_3genE9ELNS1_11target_archE1100ELNS1_3gpuE3ELNS1_3repE0EEENS1_30default_config_static_selectorELNS0_4arch9wavefront6targetE1EEEvSF_
; %bb.0:
	.section	.rodata,"a",@progbits
	.p2align	6, 0x0
	.amdhsa_kernel _ZN7rocprim17ROCPRIM_400000_NS6detail17trampoline_kernelINS0_14default_configENS1_22reduce_config_selectorIdEEZNS1_11reduce_implILb1ES3_PdS7_dN6thrust23THRUST_200600_302600_NS4plusIdEEEE10hipError_tPvRmT1_T2_T3_mT4_P12ihipStream_tbEUlT_E0_NS1_11comp_targetILNS1_3genE9ELNS1_11target_archE1100ELNS1_3gpuE3ELNS1_3repE0EEENS1_30default_config_static_selectorELNS0_4arch9wavefront6targetE1EEEvSF_
		.amdhsa_group_segment_fixed_size 0
		.amdhsa_private_segment_fixed_size 0
		.amdhsa_kernarg_size 64
		.amdhsa_user_sgpr_count 2
		.amdhsa_user_sgpr_dispatch_ptr 0
		.amdhsa_user_sgpr_queue_ptr 0
		.amdhsa_user_sgpr_kernarg_segment_ptr 1
		.amdhsa_user_sgpr_dispatch_id 0
		.amdhsa_user_sgpr_kernarg_preload_length 0
		.amdhsa_user_sgpr_kernarg_preload_offset 0
		.amdhsa_user_sgpr_private_segment_size 0
		.amdhsa_uses_dynamic_stack 0
		.amdhsa_enable_private_segment 0
		.amdhsa_system_sgpr_workgroup_id_x 1
		.amdhsa_system_sgpr_workgroup_id_y 0
		.amdhsa_system_sgpr_workgroup_id_z 0
		.amdhsa_system_sgpr_workgroup_info 0
		.amdhsa_system_vgpr_workitem_id 0
		.amdhsa_next_free_vgpr 1
		.amdhsa_next_free_sgpr 0
		.amdhsa_accum_offset 4
		.amdhsa_reserve_vcc 0
		.amdhsa_float_round_mode_32 0
		.amdhsa_float_round_mode_16_64 0
		.amdhsa_float_denorm_mode_32 3
		.amdhsa_float_denorm_mode_16_64 3
		.amdhsa_dx10_clamp 1
		.amdhsa_ieee_mode 1
		.amdhsa_fp16_overflow 0
		.amdhsa_tg_split 0
		.amdhsa_exception_fp_ieee_invalid_op 0
		.amdhsa_exception_fp_denorm_src 0
		.amdhsa_exception_fp_ieee_div_zero 0
		.amdhsa_exception_fp_ieee_overflow 0
		.amdhsa_exception_fp_ieee_underflow 0
		.amdhsa_exception_fp_ieee_inexact 0
		.amdhsa_exception_int_div_zero 0
	.end_amdhsa_kernel
	.section	.text._ZN7rocprim17ROCPRIM_400000_NS6detail17trampoline_kernelINS0_14default_configENS1_22reduce_config_selectorIdEEZNS1_11reduce_implILb1ES3_PdS7_dN6thrust23THRUST_200600_302600_NS4plusIdEEEE10hipError_tPvRmT1_T2_T3_mT4_P12ihipStream_tbEUlT_E0_NS1_11comp_targetILNS1_3genE9ELNS1_11target_archE1100ELNS1_3gpuE3ELNS1_3repE0EEENS1_30default_config_static_selectorELNS0_4arch9wavefront6targetE1EEEvSF_,"axG",@progbits,_ZN7rocprim17ROCPRIM_400000_NS6detail17trampoline_kernelINS0_14default_configENS1_22reduce_config_selectorIdEEZNS1_11reduce_implILb1ES3_PdS7_dN6thrust23THRUST_200600_302600_NS4plusIdEEEE10hipError_tPvRmT1_T2_T3_mT4_P12ihipStream_tbEUlT_E0_NS1_11comp_targetILNS1_3genE9ELNS1_11target_archE1100ELNS1_3gpuE3ELNS1_3repE0EEENS1_30default_config_static_selectorELNS0_4arch9wavefront6targetE1EEEvSF_,comdat
.Lfunc_end9:
	.size	_ZN7rocprim17ROCPRIM_400000_NS6detail17trampoline_kernelINS0_14default_configENS1_22reduce_config_selectorIdEEZNS1_11reduce_implILb1ES3_PdS7_dN6thrust23THRUST_200600_302600_NS4plusIdEEEE10hipError_tPvRmT1_T2_T3_mT4_P12ihipStream_tbEUlT_E0_NS1_11comp_targetILNS1_3genE9ELNS1_11target_archE1100ELNS1_3gpuE3ELNS1_3repE0EEENS1_30default_config_static_selectorELNS0_4arch9wavefront6targetE1EEEvSF_, .Lfunc_end9-_ZN7rocprim17ROCPRIM_400000_NS6detail17trampoline_kernelINS0_14default_configENS1_22reduce_config_selectorIdEEZNS1_11reduce_implILb1ES3_PdS7_dN6thrust23THRUST_200600_302600_NS4plusIdEEEE10hipError_tPvRmT1_T2_T3_mT4_P12ihipStream_tbEUlT_E0_NS1_11comp_targetILNS1_3genE9ELNS1_11target_archE1100ELNS1_3gpuE3ELNS1_3repE0EEENS1_30default_config_static_selectorELNS0_4arch9wavefront6targetE1EEEvSF_
                                        ; -- End function
	.set _ZN7rocprim17ROCPRIM_400000_NS6detail17trampoline_kernelINS0_14default_configENS1_22reduce_config_selectorIdEEZNS1_11reduce_implILb1ES3_PdS7_dN6thrust23THRUST_200600_302600_NS4plusIdEEEE10hipError_tPvRmT1_T2_T3_mT4_P12ihipStream_tbEUlT_E0_NS1_11comp_targetILNS1_3genE9ELNS1_11target_archE1100ELNS1_3gpuE3ELNS1_3repE0EEENS1_30default_config_static_selectorELNS0_4arch9wavefront6targetE1EEEvSF_.num_vgpr, 0
	.set _ZN7rocprim17ROCPRIM_400000_NS6detail17trampoline_kernelINS0_14default_configENS1_22reduce_config_selectorIdEEZNS1_11reduce_implILb1ES3_PdS7_dN6thrust23THRUST_200600_302600_NS4plusIdEEEE10hipError_tPvRmT1_T2_T3_mT4_P12ihipStream_tbEUlT_E0_NS1_11comp_targetILNS1_3genE9ELNS1_11target_archE1100ELNS1_3gpuE3ELNS1_3repE0EEENS1_30default_config_static_selectorELNS0_4arch9wavefront6targetE1EEEvSF_.num_agpr, 0
	.set _ZN7rocprim17ROCPRIM_400000_NS6detail17trampoline_kernelINS0_14default_configENS1_22reduce_config_selectorIdEEZNS1_11reduce_implILb1ES3_PdS7_dN6thrust23THRUST_200600_302600_NS4plusIdEEEE10hipError_tPvRmT1_T2_T3_mT4_P12ihipStream_tbEUlT_E0_NS1_11comp_targetILNS1_3genE9ELNS1_11target_archE1100ELNS1_3gpuE3ELNS1_3repE0EEENS1_30default_config_static_selectorELNS0_4arch9wavefront6targetE1EEEvSF_.numbered_sgpr, 0
	.set _ZN7rocprim17ROCPRIM_400000_NS6detail17trampoline_kernelINS0_14default_configENS1_22reduce_config_selectorIdEEZNS1_11reduce_implILb1ES3_PdS7_dN6thrust23THRUST_200600_302600_NS4plusIdEEEE10hipError_tPvRmT1_T2_T3_mT4_P12ihipStream_tbEUlT_E0_NS1_11comp_targetILNS1_3genE9ELNS1_11target_archE1100ELNS1_3gpuE3ELNS1_3repE0EEENS1_30default_config_static_selectorELNS0_4arch9wavefront6targetE1EEEvSF_.num_named_barrier, 0
	.set _ZN7rocprim17ROCPRIM_400000_NS6detail17trampoline_kernelINS0_14default_configENS1_22reduce_config_selectorIdEEZNS1_11reduce_implILb1ES3_PdS7_dN6thrust23THRUST_200600_302600_NS4plusIdEEEE10hipError_tPvRmT1_T2_T3_mT4_P12ihipStream_tbEUlT_E0_NS1_11comp_targetILNS1_3genE9ELNS1_11target_archE1100ELNS1_3gpuE3ELNS1_3repE0EEENS1_30default_config_static_selectorELNS0_4arch9wavefront6targetE1EEEvSF_.private_seg_size, 0
	.set _ZN7rocprim17ROCPRIM_400000_NS6detail17trampoline_kernelINS0_14default_configENS1_22reduce_config_selectorIdEEZNS1_11reduce_implILb1ES3_PdS7_dN6thrust23THRUST_200600_302600_NS4plusIdEEEE10hipError_tPvRmT1_T2_T3_mT4_P12ihipStream_tbEUlT_E0_NS1_11comp_targetILNS1_3genE9ELNS1_11target_archE1100ELNS1_3gpuE3ELNS1_3repE0EEENS1_30default_config_static_selectorELNS0_4arch9wavefront6targetE1EEEvSF_.uses_vcc, 0
	.set _ZN7rocprim17ROCPRIM_400000_NS6detail17trampoline_kernelINS0_14default_configENS1_22reduce_config_selectorIdEEZNS1_11reduce_implILb1ES3_PdS7_dN6thrust23THRUST_200600_302600_NS4plusIdEEEE10hipError_tPvRmT1_T2_T3_mT4_P12ihipStream_tbEUlT_E0_NS1_11comp_targetILNS1_3genE9ELNS1_11target_archE1100ELNS1_3gpuE3ELNS1_3repE0EEENS1_30default_config_static_selectorELNS0_4arch9wavefront6targetE1EEEvSF_.uses_flat_scratch, 0
	.set _ZN7rocprim17ROCPRIM_400000_NS6detail17trampoline_kernelINS0_14default_configENS1_22reduce_config_selectorIdEEZNS1_11reduce_implILb1ES3_PdS7_dN6thrust23THRUST_200600_302600_NS4plusIdEEEE10hipError_tPvRmT1_T2_T3_mT4_P12ihipStream_tbEUlT_E0_NS1_11comp_targetILNS1_3genE9ELNS1_11target_archE1100ELNS1_3gpuE3ELNS1_3repE0EEENS1_30default_config_static_selectorELNS0_4arch9wavefront6targetE1EEEvSF_.has_dyn_sized_stack, 0
	.set _ZN7rocprim17ROCPRIM_400000_NS6detail17trampoline_kernelINS0_14default_configENS1_22reduce_config_selectorIdEEZNS1_11reduce_implILb1ES3_PdS7_dN6thrust23THRUST_200600_302600_NS4plusIdEEEE10hipError_tPvRmT1_T2_T3_mT4_P12ihipStream_tbEUlT_E0_NS1_11comp_targetILNS1_3genE9ELNS1_11target_archE1100ELNS1_3gpuE3ELNS1_3repE0EEENS1_30default_config_static_selectorELNS0_4arch9wavefront6targetE1EEEvSF_.has_recursion, 0
	.set _ZN7rocprim17ROCPRIM_400000_NS6detail17trampoline_kernelINS0_14default_configENS1_22reduce_config_selectorIdEEZNS1_11reduce_implILb1ES3_PdS7_dN6thrust23THRUST_200600_302600_NS4plusIdEEEE10hipError_tPvRmT1_T2_T3_mT4_P12ihipStream_tbEUlT_E0_NS1_11comp_targetILNS1_3genE9ELNS1_11target_archE1100ELNS1_3gpuE3ELNS1_3repE0EEENS1_30default_config_static_selectorELNS0_4arch9wavefront6targetE1EEEvSF_.has_indirect_call, 0
	.section	.AMDGPU.csdata,"",@progbits
; Kernel info:
; codeLenInByte = 0
; TotalNumSgprs: 6
; NumVgprs: 0
; NumAgprs: 0
; TotalNumVgprs: 0
; ScratchSize: 0
; MemoryBound: 0
; FloatMode: 240
; IeeeMode: 1
; LDSByteSize: 0 bytes/workgroup (compile time only)
; SGPRBlocks: 0
; VGPRBlocks: 0
; NumSGPRsForWavesPerEU: 6
; NumVGPRsForWavesPerEU: 1
; AccumOffset: 4
; Occupancy: 8
; WaveLimiterHint : 0
; COMPUTE_PGM_RSRC2:SCRATCH_EN: 0
; COMPUTE_PGM_RSRC2:USER_SGPR: 2
; COMPUTE_PGM_RSRC2:TRAP_HANDLER: 0
; COMPUTE_PGM_RSRC2:TGID_X_EN: 1
; COMPUTE_PGM_RSRC2:TGID_Y_EN: 0
; COMPUTE_PGM_RSRC2:TGID_Z_EN: 0
; COMPUTE_PGM_RSRC2:TIDIG_COMP_CNT: 0
; COMPUTE_PGM_RSRC3_GFX90A:ACCUM_OFFSET: 0
; COMPUTE_PGM_RSRC3_GFX90A:TG_SPLIT: 0
	.section	.text._ZN7rocprim17ROCPRIM_400000_NS6detail17trampoline_kernelINS0_14default_configENS1_22reduce_config_selectorIdEEZNS1_11reduce_implILb1ES3_PdS7_dN6thrust23THRUST_200600_302600_NS4plusIdEEEE10hipError_tPvRmT1_T2_T3_mT4_P12ihipStream_tbEUlT_E0_NS1_11comp_targetILNS1_3genE8ELNS1_11target_archE1030ELNS1_3gpuE2ELNS1_3repE0EEENS1_30default_config_static_selectorELNS0_4arch9wavefront6targetE1EEEvSF_,"axG",@progbits,_ZN7rocprim17ROCPRIM_400000_NS6detail17trampoline_kernelINS0_14default_configENS1_22reduce_config_selectorIdEEZNS1_11reduce_implILb1ES3_PdS7_dN6thrust23THRUST_200600_302600_NS4plusIdEEEE10hipError_tPvRmT1_T2_T3_mT4_P12ihipStream_tbEUlT_E0_NS1_11comp_targetILNS1_3genE8ELNS1_11target_archE1030ELNS1_3gpuE2ELNS1_3repE0EEENS1_30default_config_static_selectorELNS0_4arch9wavefront6targetE1EEEvSF_,comdat
	.protected	_ZN7rocprim17ROCPRIM_400000_NS6detail17trampoline_kernelINS0_14default_configENS1_22reduce_config_selectorIdEEZNS1_11reduce_implILb1ES3_PdS7_dN6thrust23THRUST_200600_302600_NS4plusIdEEEE10hipError_tPvRmT1_T2_T3_mT4_P12ihipStream_tbEUlT_E0_NS1_11comp_targetILNS1_3genE8ELNS1_11target_archE1030ELNS1_3gpuE2ELNS1_3repE0EEENS1_30default_config_static_selectorELNS0_4arch9wavefront6targetE1EEEvSF_ ; -- Begin function _ZN7rocprim17ROCPRIM_400000_NS6detail17trampoline_kernelINS0_14default_configENS1_22reduce_config_selectorIdEEZNS1_11reduce_implILb1ES3_PdS7_dN6thrust23THRUST_200600_302600_NS4plusIdEEEE10hipError_tPvRmT1_T2_T3_mT4_P12ihipStream_tbEUlT_E0_NS1_11comp_targetILNS1_3genE8ELNS1_11target_archE1030ELNS1_3gpuE2ELNS1_3repE0EEENS1_30default_config_static_selectorELNS0_4arch9wavefront6targetE1EEEvSF_
	.globl	_ZN7rocprim17ROCPRIM_400000_NS6detail17trampoline_kernelINS0_14default_configENS1_22reduce_config_selectorIdEEZNS1_11reduce_implILb1ES3_PdS7_dN6thrust23THRUST_200600_302600_NS4plusIdEEEE10hipError_tPvRmT1_T2_T3_mT4_P12ihipStream_tbEUlT_E0_NS1_11comp_targetILNS1_3genE8ELNS1_11target_archE1030ELNS1_3gpuE2ELNS1_3repE0EEENS1_30default_config_static_selectorELNS0_4arch9wavefront6targetE1EEEvSF_
	.p2align	8
	.type	_ZN7rocprim17ROCPRIM_400000_NS6detail17trampoline_kernelINS0_14default_configENS1_22reduce_config_selectorIdEEZNS1_11reduce_implILb1ES3_PdS7_dN6thrust23THRUST_200600_302600_NS4plusIdEEEE10hipError_tPvRmT1_T2_T3_mT4_P12ihipStream_tbEUlT_E0_NS1_11comp_targetILNS1_3genE8ELNS1_11target_archE1030ELNS1_3gpuE2ELNS1_3repE0EEENS1_30default_config_static_selectorELNS0_4arch9wavefront6targetE1EEEvSF_,@function
_ZN7rocprim17ROCPRIM_400000_NS6detail17trampoline_kernelINS0_14default_configENS1_22reduce_config_selectorIdEEZNS1_11reduce_implILb1ES3_PdS7_dN6thrust23THRUST_200600_302600_NS4plusIdEEEE10hipError_tPvRmT1_T2_T3_mT4_P12ihipStream_tbEUlT_E0_NS1_11comp_targetILNS1_3genE8ELNS1_11target_archE1030ELNS1_3gpuE2ELNS1_3repE0EEENS1_30default_config_static_selectorELNS0_4arch9wavefront6targetE1EEEvSF_: ; @_ZN7rocprim17ROCPRIM_400000_NS6detail17trampoline_kernelINS0_14default_configENS1_22reduce_config_selectorIdEEZNS1_11reduce_implILb1ES3_PdS7_dN6thrust23THRUST_200600_302600_NS4plusIdEEEE10hipError_tPvRmT1_T2_T3_mT4_P12ihipStream_tbEUlT_E0_NS1_11comp_targetILNS1_3genE8ELNS1_11target_archE1030ELNS1_3gpuE2ELNS1_3repE0EEENS1_30default_config_static_selectorELNS0_4arch9wavefront6targetE1EEEvSF_
; %bb.0:
	.section	.rodata,"a",@progbits
	.p2align	6, 0x0
	.amdhsa_kernel _ZN7rocprim17ROCPRIM_400000_NS6detail17trampoline_kernelINS0_14default_configENS1_22reduce_config_selectorIdEEZNS1_11reduce_implILb1ES3_PdS7_dN6thrust23THRUST_200600_302600_NS4plusIdEEEE10hipError_tPvRmT1_T2_T3_mT4_P12ihipStream_tbEUlT_E0_NS1_11comp_targetILNS1_3genE8ELNS1_11target_archE1030ELNS1_3gpuE2ELNS1_3repE0EEENS1_30default_config_static_selectorELNS0_4arch9wavefront6targetE1EEEvSF_
		.amdhsa_group_segment_fixed_size 0
		.amdhsa_private_segment_fixed_size 0
		.amdhsa_kernarg_size 64
		.amdhsa_user_sgpr_count 2
		.amdhsa_user_sgpr_dispatch_ptr 0
		.amdhsa_user_sgpr_queue_ptr 0
		.amdhsa_user_sgpr_kernarg_segment_ptr 1
		.amdhsa_user_sgpr_dispatch_id 0
		.amdhsa_user_sgpr_kernarg_preload_length 0
		.amdhsa_user_sgpr_kernarg_preload_offset 0
		.amdhsa_user_sgpr_private_segment_size 0
		.amdhsa_uses_dynamic_stack 0
		.amdhsa_enable_private_segment 0
		.amdhsa_system_sgpr_workgroup_id_x 1
		.amdhsa_system_sgpr_workgroup_id_y 0
		.amdhsa_system_sgpr_workgroup_id_z 0
		.amdhsa_system_sgpr_workgroup_info 0
		.amdhsa_system_vgpr_workitem_id 0
		.amdhsa_next_free_vgpr 1
		.amdhsa_next_free_sgpr 0
		.amdhsa_accum_offset 4
		.amdhsa_reserve_vcc 0
		.amdhsa_float_round_mode_32 0
		.amdhsa_float_round_mode_16_64 0
		.amdhsa_float_denorm_mode_32 3
		.amdhsa_float_denorm_mode_16_64 3
		.amdhsa_dx10_clamp 1
		.amdhsa_ieee_mode 1
		.amdhsa_fp16_overflow 0
		.amdhsa_tg_split 0
		.amdhsa_exception_fp_ieee_invalid_op 0
		.amdhsa_exception_fp_denorm_src 0
		.amdhsa_exception_fp_ieee_div_zero 0
		.amdhsa_exception_fp_ieee_overflow 0
		.amdhsa_exception_fp_ieee_underflow 0
		.amdhsa_exception_fp_ieee_inexact 0
		.amdhsa_exception_int_div_zero 0
	.end_amdhsa_kernel
	.section	.text._ZN7rocprim17ROCPRIM_400000_NS6detail17trampoline_kernelINS0_14default_configENS1_22reduce_config_selectorIdEEZNS1_11reduce_implILb1ES3_PdS7_dN6thrust23THRUST_200600_302600_NS4plusIdEEEE10hipError_tPvRmT1_T2_T3_mT4_P12ihipStream_tbEUlT_E0_NS1_11comp_targetILNS1_3genE8ELNS1_11target_archE1030ELNS1_3gpuE2ELNS1_3repE0EEENS1_30default_config_static_selectorELNS0_4arch9wavefront6targetE1EEEvSF_,"axG",@progbits,_ZN7rocprim17ROCPRIM_400000_NS6detail17trampoline_kernelINS0_14default_configENS1_22reduce_config_selectorIdEEZNS1_11reduce_implILb1ES3_PdS7_dN6thrust23THRUST_200600_302600_NS4plusIdEEEE10hipError_tPvRmT1_T2_T3_mT4_P12ihipStream_tbEUlT_E0_NS1_11comp_targetILNS1_3genE8ELNS1_11target_archE1030ELNS1_3gpuE2ELNS1_3repE0EEENS1_30default_config_static_selectorELNS0_4arch9wavefront6targetE1EEEvSF_,comdat
.Lfunc_end10:
	.size	_ZN7rocprim17ROCPRIM_400000_NS6detail17trampoline_kernelINS0_14default_configENS1_22reduce_config_selectorIdEEZNS1_11reduce_implILb1ES3_PdS7_dN6thrust23THRUST_200600_302600_NS4plusIdEEEE10hipError_tPvRmT1_T2_T3_mT4_P12ihipStream_tbEUlT_E0_NS1_11comp_targetILNS1_3genE8ELNS1_11target_archE1030ELNS1_3gpuE2ELNS1_3repE0EEENS1_30default_config_static_selectorELNS0_4arch9wavefront6targetE1EEEvSF_, .Lfunc_end10-_ZN7rocprim17ROCPRIM_400000_NS6detail17trampoline_kernelINS0_14default_configENS1_22reduce_config_selectorIdEEZNS1_11reduce_implILb1ES3_PdS7_dN6thrust23THRUST_200600_302600_NS4plusIdEEEE10hipError_tPvRmT1_T2_T3_mT4_P12ihipStream_tbEUlT_E0_NS1_11comp_targetILNS1_3genE8ELNS1_11target_archE1030ELNS1_3gpuE2ELNS1_3repE0EEENS1_30default_config_static_selectorELNS0_4arch9wavefront6targetE1EEEvSF_
                                        ; -- End function
	.set _ZN7rocprim17ROCPRIM_400000_NS6detail17trampoline_kernelINS0_14default_configENS1_22reduce_config_selectorIdEEZNS1_11reduce_implILb1ES3_PdS7_dN6thrust23THRUST_200600_302600_NS4plusIdEEEE10hipError_tPvRmT1_T2_T3_mT4_P12ihipStream_tbEUlT_E0_NS1_11comp_targetILNS1_3genE8ELNS1_11target_archE1030ELNS1_3gpuE2ELNS1_3repE0EEENS1_30default_config_static_selectorELNS0_4arch9wavefront6targetE1EEEvSF_.num_vgpr, 0
	.set _ZN7rocprim17ROCPRIM_400000_NS6detail17trampoline_kernelINS0_14default_configENS1_22reduce_config_selectorIdEEZNS1_11reduce_implILb1ES3_PdS7_dN6thrust23THRUST_200600_302600_NS4plusIdEEEE10hipError_tPvRmT1_T2_T3_mT4_P12ihipStream_tbEUlT_E0_NS1_11comp_targetILNS1_3genE8ELNS1_11target_archE1030ELNS1_3gpuE2ELNS1_3repE0EEENS1_30default_config_static_selectorELNS0_4arch9wavefront6targetE1EEEvSF_.num_agpr, 0
	.set _ZN7rocprim17ROCPRIM_400000_NS6detail17trampoline_kernelINS0_14default_configENS1_22reduce_config_selectorIdEEZNS1_11reduce_implILb1ES3_PdS7_dN6thrust23THRUST_200600_302600_NS4plusIdEEEE10hipError_tPvRmT1_T2_T3_mT4_P12ihipStream_tbEUlT_E0_NS1_11comp_targetILNS1_3genE8ELNS1_11target_archE1030ELNS1_3gpuE2ELNS1_3repE0EEENS1_30default_config_static_selectorELNS0_4arch9wavefront6targetE1EEEvSF_.numbered_sgpr, 0
	.set _ZN7rocprim17ROCPRIM_400000_NS6detail17trampoline_kernelINS0_14default_configENS1_22reduce_config_selectorIdEEZNS1_11reduce_implILb1ES3_PdS7_dN6thrust23THRUST_200600_302600_NS4plusIdEEEE10hipError_tPvRmT1_T2_T3_mT4_P12ihipStream_tbEUlT_E0_NS1_11comp_targetILNS1_3genE8ELNS1_11target_archE1030ELNS1_3gpuE2ELNS1_3repE0EEENS1_30default_config_static_selectorELNS0_4arch9wavefront6targetE1EEEvSF_.num_named_barrier, 0
	.set _ZN7rocprim17ROCPRIM_400000_NS6detail17trampoline_kernelINS0_14default_configENS1_22reduce_config_selectorIdEEZNS1_11reduce_implILb1ES3_PdS7_dN6thrust23THRUST_200600_302600_NS4plusIdEEEE10hipError_tPvRmT1_T2_T3_mT4_P12ihipStream_tbEUlT_E0_NS1_11comp_targetILNS1_3genE8ELNS1_11target_archE1030ELNS1_3gpuE2ELNS1_3repE0EEENS1_30default_config_static_selectorELNS0_4arch9wavefront6targetE1EEEvSF_.private_seg_size, 0
	.set _ZN7rocprim17ROCPRIM_400000_NS6detail17trampoline_kernelINS0_14default_configENS1_22reduce_config_selectorIdEEZNS1_11reduce_implILb1ES3_PdS7_dN6thrust23THRUST_200600_302600_NS4plusIdEEEE10hipError_tPvRmT1_T2_T3_mT4_P12ihipStream_tbEUlT_E0_NS1_11comp_targetILNS1_3genE8ELNS1_11target_archE1030ELNS1_3gpuE2ELNS1_3repE0EEENS1_30default_config_static_selectorELNS0_4arch9wavefront6targetE1EEEvSF_.uses_vcc, 0
	.set _ZN7rocprim17ROCPRIM_400000_NS6detail17trampoline_kernelINS0_14default_configENS1_22reduce_config_selectorIdEEZNS1_11reduce_implILb1ES3_PdS7_dN6thrust23THRUST_200600_302600_NS4plusIdEEEE10hipError_tPvRmT1_T2_T3_mT4_P12ihipStream_tbEUlT_E0_NS1_11comp_targetILNS1_3genE8ELNS1_11target_archE1030ELNS1_3gpuE2ELNS1_3repE0EEENS1_30default_config_static_selectorELNS0_4arch9wavefront6targetE1EEEvSF_.uses_flat_scratch, 0
	.set _ZN7rocprim17ROCPRIM_400000_NS6detail17trampoline_kernelINS0_14default_configENS1_22reduce_config_selectorIdEEZNS1_11reduce_implILb1ES3_PdS7_dN6thrust23THRUST_200600_302600_NS4plusIdEEEE10hipError_tPvRmT1_T2_T3_mT4_P12ihipStream_tbEUlT_E0_NS1_11comp_targetILNS1_3genE8ELNS1_11target_archE1030ELNS1_3gpuE2ELNS1_3repE0EEENS1_30default_config_static_selectorELNS0_4arch9wavefront6targetE1EEEvSF_.has_dyn_sized_stack, 0
	.set _ZN7rocprim17ROCPRIM_400000_NS6detail17trampoline_kernelINS0_14default_configENS1_22reduce_config_selectorIdEEZNS1_11reduce_implILb1ES3_PdS7_dN6thrust23THRUST_200600_302600_NS4plusIdEEEE10hipError_tPvRmT1_T2_T3_mT4_P12ihipStream_tbEUlT_E0_NS1_11comp_targetILNS1_3genE8ELNS1_11target_archE1030ELNS1_3gpuE2ELNS1_3repE0EEENS1_30default_config_static_selectorELNS0_4arch9wavefront6targetE1EEEvSF_.has_recursion, 0
	.set _ZN7rocprim17ROCPRIM_400000_NS6detail17trampoline_kernelINS0_14default_configENS1_22reduce_config_selectorIdEEZNS1_11reduce_implILb1ES3_PdS7_dN6thrust23THRUST_200600_302600_NS4plusIdEEEE10hipError_tPvRmT1_T2_T3_mT4_P12ihipStream_tbEUlT_E0_NS1_11comp_targetILNS1_3genE8ELNS1_11target_archE1030ELNS1_3gpuE2ELNS1_3repE0EEENS1_30default_config_static_selectorELNS0_4arch9wavefront6targetE1EEEvSF_.has_indirect_call, 0
	.section	.AMDGPU.csdata,"",@progbits
; Kernel info:
; codeLenInByte = 0
; TotalNumSgprs: 6
; NumVgprs: 0
; NumAgprs: 0
; TotalNumVgprs: 0
; ScratchSize: 0
; MemoryBound: 0
; FloatMode: 240
; IeeeMode: 1
; LDSByteSize: 0 bytes/workgroup (compile time only)
; SGPRBlocks: 0
; VGPRBlocks: 0
; NumSGPRsForWavesPerEU: 6
; NumVGPRsForWavesPerEU: 1
; AccumOffset: 4
; Occupancy: 8
; WaveLimiterHint : 0
; COMPUTE_PGM_RSRC2:SCRATCH_EN: 0
; COMPUTE_PGM_RSRC2:USER_SGPR: 2
; COMPUTE_PGM_RSRC2:TRAP_HANDLER: 0
; COMPUTE_PGM_RSRC2:TGID_X_EN: 1
; COMPUTE_PGM_RSRC2:TGID_Y_EN: 0
; COMPUTE_PGM_RSRC2:TGID_Z_EN: 0
; COMPUTE_PGM_RSRC2:TIDIG_COMP_CNT: 0
; COMPUTE_PGM_RSRC3_GFX90A:ACCUM_OFFSET: 0
; COMPUTE_PGM_RSRC3_GFX90A:TG_SPLIT: 0
	.section	.text._ZN7rocprim17ROCPRIM_400000_NS6detail17trampoline_kernelINS0_14default_configENS1_22reduce_config_selectorIdEEZNS1_11reduce_implILb1ES3_PdS7_dN6thrust23THRUST_200600_302600_NS4plusIdEEEE10hipError_tPvRmT1_T2_T3_mT4_P12ihipStream_tbEUlT_E1_NS1_11comp_targetILNS1_3genE0ELNS1_11target_archE4294967295ELNS1_3gpuE0ELNS1_3repE0EEENS1_30default_config_static_selectorELNS0_4arch9wavefront6targetE1EEEvSF_,"axG",@progbits,_ZN7rocprim17ROCPRIM_400000_NS6detail17trampoline_kernelINS0_14default_configENS1_22reduce_config_selectorIdEEZNS1_11reduce_implILb1ES3_PdS7_dN6thrust23THRUST_200600_302600_NS4plusIdEEEE10hipError_tPvRmT1_T2_T3_mT4_P12ihipStream_tbEUlT_E1_NS1_11comp_targetILNS1_3genE0ELNS1_11target_archE4294967295ELNS1_3gpuE0ELNS1_3repE0EEENS1_30default_config_static_selectorELNS0_4arch9wavefront6targetE1EEEvSF_,comdat
	.protected	_ZN7rocprim17ROCPRIM_400000_NS6detail17trampoline_kernelINS0_14default_configENS1_22reduce_config_selectorIdEEZNS1_11reduce_implILb1ES3_PdS7_dN6thrust23THRUST_200600_302600_NS4plusIdEEEE10hipError_tPvRmT1_T2_T3_mT4_P12ihipStream_tbEUlT_E1_NS1_11comp_targetILNS1_3genE0ELNS1_11target_archE4294967295ELNS1_3gpuE0ELNS1_3repE0EEENS1_30default_config_static_selectorELNS0_4arch9wavefront6targetE1EEEvSF_ ; -- Begin function _ZN7rocprim17ROCPRIM_400000_NS6detail17trampoline_kernelINS0_14default_configENS1_22reduce_config_selectorIdEEZNS1_11reduce_implILb1ES3_PdS7_dN6thrust23THRUST_200600_302600_NS4plusIdEEEE10hipError_tPvRmT1_T2_T3_mT4_P12ihipStream_tbEUlT_E1_NS1_11comp_targetILNS1_3genE0ELNS1_11target_archE4294967295ELNS1_3gpuE0ELNS1_3repE0EEENS1_30default_config_static_selectorELNS0_4arch9wavefront6targetE1EEEvSF_
	.globl	_ZN7rocprim17ROCPRIM_400000_NS6detail17trampoline_kernelINS0_14default_configENS1_22reduce_config_selectorIdEEZNS1_11reduce_implILb1ES3_PdS7_dN6thrust23THRUST_200600_302600_NS4plusIdEEEE10hipError_tPvRmT1_T2_T3_mT4_P12ihipStream_tbEUlT_E1_NS1_11comp_targetILNS1_3genE0ELNS1_11target_archE4294967295ELNS1_3gpuE0ELNS1_3repE0EEENS1_30default_config_static_selectorELNS0_4arch9wavefront6targetE1EEEvSF_
	.p2align	8
	.type	_ZN7rocprim17ROCPRIM_400000_NS6detail17trampoline_kernelINS0_14default_configENS1_22reduce_config_selectorIdEEZNS1_11reduce_implILb1ES3_PdS7_dN6thrust23THRUST_200600_302600_NS4plusIdEEEE10hipError_tPvRmT1_T2_T3_mT4_P12ihipStream_tbEUlT_E1_NS1_11comp_targetILNS1_3genE0ELNS1_11target_archE4294967295ELNS1_3gpuE0ELNS1_3repE0EEENS1_30default_config_static_selectorELNS0_4arch9wavefront6targetE1EEEvSF_,@function
_ZN7rocprim17ROCPRIM_400000_NS6detail17trampoline_kernelINS0_14default_configENS1_22reduce_config_selectorIdEEZNS1_11reduce_implILb1ES3_PdS7_dN6thrust23THRUST_200600_302600_NS4plusIdEEEE10hipError_tPvRmT1_T2_T3_mT4_P12ihipStream_tbEUlT_E1_NS1_11comp_targetILNS1_3genE0ELNS1_11target_archE4294967295ELNS1_3gpuE0ELNS1_3repE0EEENS1_30default_config_static_selectorELNS0_4arch9wavefront6targetE1EEEvSF_: ; @_ZN7rocprim17ROCPRIM_400000_NS6detail17trampoline_kernelINS0_14default_configENS1_22reduce_config_selectorIdEEZNS1_11reduce_implILb1ES3_PdS7_dN6thrust23THRUST_200600_302600_NS4plusIdEEEE10hipError_tPvRmT1_T2_T3_mT4_P12ihipStream_tbEUlT_E1_NS1_11comp_targetILNS1_3genE0ELNS1_11target_archE4294967295ELNS1_3gpuE0ELNS1_3repE0EEENS1_30default_config_static_selectorELNS0_4arch9wavefront6targetE1EEEvSF_
; %bb.0:
	s_load_dword s33, s[0:1], 0x4
	s_load_dwordx8 s[36:43], s[0:1], 0x8
	s_waitcnt lgkmcnt(0)
	s_cmp_lt_i32 s33, 4
	s_cbranch_scc1 .LBB11_11
; %bb.1:
	s_cmp_gt_i32 s33, 7
	s_cbranch_scc0 .LBB11_12
; %bb.2:
	s_cmp_gt_i32 s33, 15
	s_cbranch_scc0 .LBB11_13
; %bb.3:
	s_cmp_eq_u32 s33, 16
	s_mov_b64 s[30:31], 0
	s_cbranch_scc0 .LBB11_14
; %bb.4:
	s_mov_b32 s3, 0
	s_lshl_b32 s0, s2, 12
	s_mov_b32 s1, s3
	s_lshr_b64 s[4:5], s[38:39], 12
	s_lshl_b64 s[6:7], s[0:1], 3
	s_add_u32 s34, s36, s6
	s_addc_u32 s35, s37, s7
	s_cmp_lg_u64 s[4:5], s[2:3]
	s_cbranch_scc0 .LBB11_23
; %bb.5:
	v_lshlrev_b32_e32 v2, 3, v0
	v_mov_b32_e32 v3, 0
	v_lshl_add_u64 v[4:5], s[34:35], 0, v[2:3]
	global_load_dwordx2 v[6:7], v2, s[34:35]
	global_load_dwordx2 v[8:9], v2, s[34:35] offset:2048
	v_add_co_u32_e32 v2, vcc, 0x1000, v4
	v_mbcnt_lo_u32_b32 v1, -1, 0
	s_nop 0
	v_addc_co_u32_e32 v3, vcc, 0, v5, vcc
	v_add_co_u32_e32 v10, vcc, 0x2000, v4
	v_mbcnt_hi_u32_b32 v1, -1, v1
	s_nop 0
	v_addc_co_u32_e32 v11, vcc, 0, v5, vcc
	global_load_dwordx2 v[12:13], v[2:3], off
	global_load_dwordx2 v[14:15], v[2:3], off offset:2048
	global_load_dwordx2 v[16:17], v[10:11], off
	global_load_dwordx2 v[18:19], v[10:11], off offset:2048
	v_add_co_u32_e32 v2, vcc, 0x3000, v4
	s_nop 1
	v_addc_co_u32_e32 v3, vcc, 0, v5, vcc
	v_add_co_u32_e32 v10, vcc, 0x4000, v4
	s_nop 1
	v_addc_co_u32_e32 v11, vcc, 0, v5, vcc
	global_load_dwordx2 v[20:21], v[2:3], off
	global_load_dwordx2 v[22:23], v[2:3], off offset:2048
	global_load_dwordx2 v[24:25], v[10:11], off
	global_load_dwordx2 v[26:27], v[10:11], off offset:2048
	v_add_co_u32_e32 v2, vcc, 0x5000, v4
	s_nop 1
	v_addc_co_u32_e32 v3, vcc, 0, v5, vcc
	v_add_co_u32_e32 v10, vcc, 0x6000, v4
	s_nop 1
	v_addc_co_u32_e32 v11, vcc, 0, v5, vcc
	global_load_dwordx2 v[28:29], v[2:3], off
	global_load_dwordx2 v[30:31], v[2:3], off offset:2048
	global_load_dwordx2 v[32:33], v[10:11], off
	global_load_dwordx2 v[34:35], v[10:11], off offset:2048
	v_add_co_u32_e32 v2, vcc, 0x7000, v4
	v_lshlrev_b32_e32 v4, 2, v1
	s_nop 0
	v_addc_co_u32_e32 v3, vcc, 0, v5, vcc
	global_load_dwordx2 v[10:11], v[2:3], off
	global_load_dwordx2 v[36:37], v[2:3], off offset:2048
	v_or_b32_e32 v5, 0xfc, v4
	v_cmp_eq_u32_e32 vcc, 0, v1
	s_waitcnt vmcnt(14)
	v_add_f64 v[2:3], v[6:7], v[8:9]
	s_waitcnt vmcnt(13)
	v_add_f64 v[2:3], v[2:3], v[12:13]
	;; [unrolled: 2-line block ×15, first 2 shown]
	s_nop 1
	v_mov_b32_dpp v6, v2 quad_perm:[1,0,3,2] row_mask:0xf bank_mask:0xf bound_ctrl:1
	v_mov_b32_dpp v7, v3 quad_perm:[1,0,3,2] row_mask:0xf bank_mask:0xf bound_ctrl:1
	v_add_f64 v[2:3], v[2:3], v[6:7]
	s_nop 1
	v_mov_b32_dpp v6, v2 quad_perm:[2,3,0,1] row_mask:0xf bank_mask:0xf bound_ctrl:1
	v_mov_b32_dpp v7, v3 quad_perm:[2,3,0,1] row_mask:0xf bank_mask:0xf bound_ctrl:1
	v_add_f64 v[2:3], v[2:3], v[6:7]
	s_nop 1
	v_mov_b32_dpp v6, v2 row_ror:4 row_mask:0xf bank_mask:0xf bound_ctrl:1
	v_mov_b32_dpp v7, v3 row_ror:4 row_mask:0xf bank_mask:0xf bound_ctrl:1
	v_add_f64 v[2:3], v[2:3], v[6:7]
	s_nop 1
	v_mov_b32_dpp v6, v2 row_ror:8 row_mask:0xf bank_mask:0xf bound_ctrl:1
	v_mov_b32_dpp v7, v3 row_ror:8 row_mask:0xf bank_mask:0xf bound_ctrl:1
	v_add_f64 v[2:3], v[2:3], v[6:7]
	s_nop 1
	v_mov_b32_dpp v6, v2 row_bcast:15 row_mask:0xf bank_mask:0xf bound_ctrl:1
	v_mov_b32_dpp v7, v3 row_bcast:15 row_mask:0xf bank_mask:0xf bound_ctrl:1
	v_add_f64 v[2:3], v[2:3], v[6:7]
	s_nop 1
	v_mov_b32_dpp v6, v2 row_bcast:31 row_mask:0xf bank_mask:0xf bound_ctrl:1
	v_mov_b32_dpp v7, v3 row_bcast:31 row_mask:0xf bank_mask:0xf bound_ctrl:1
	v_add_f64 v[2:3], v[2:3], v[6:7]
	ds_bpermute_b32 v2, v5, v2
	ds_bpermute_b32 v3, v5, v3
	s_and_saveexec_b64 s[4:5], vcc
	s_cbranch_execz .LBB11_7
; %bb.6:
	v_lshrrev_b32_e32 v5, 3, v0
	v_and_b32_e32 v5, 24, v5
	s_waitcnt lgkmcnt(0)
	ds_write_b64 v5, v[2:3]
.LBB11_7:
	s_or_b64 exec, exec, s[4:5]
	v_cmp_gt_u32_e32 vcc, 64, v0
	s_waitcnt lgkmcnt(0)
	s_barrier
	s_and_saveexec_b64 s[4:5], vcc
	s_cbranch_execz .LBB11_9
; %bb.8:
	v_and_b32_e32 v5, 3, v1
	v_lshlrev_b32_e32 v2, 3, v5
	ds_read_b64 v[2:3], v2
	v_cmp_ne_u32_e32 vcc, 3, v5
	s_nop 1
	v_addc_co_u32_e32 v1, vcc, 0, v1, vcc
	v_lshlrev_b32_e32 v1, 2, v1
	s_waitcnt lgkmcnt(0)
	ds_bpermute_b32 v6, v1, v2
	ds_bpermute_b32 v7, v1, v3
	v_or_b32_e32 v1, 8, v4
	s_waitcnt lgkmcnt(0)
	v_add_f64 v[2:3], v[2:3], v[6:7]
	ds_bpermute_b32 v4, v1, v2
	ds_bpermute_b32 v5, v1, v3
	s_waitcnt lgkmcnt(0)
	v_add_f64 v[2:3], v[2:3], v[4:5]
.LBB11_9:
	s_or_b64 exec, exec, s[4:5]
.LBB11_10:
	v_cmp_eq_u32_e64 s[0:1], 0, v0
	s_and_b64 vcc, exec, s[30:31]
	s_cbranch_vccnz .LBB11_15
	s_branch .LBB11_65
.LBB11_11:
	s_mov_b64 s[0:1], 0
                                        ; implicit-def: $vgpr2_vgpr3
	s_cbranch_execnz .LBB11_122
	s_branch .LBB11_156
.LBB11_12:
	s_mov_b64 s[0:1], 0
                                        ; implicit-def: $vgpr2_vgpr3
	s_cbranch_execnz .LBB11_94
	s_branch .LBB11_102
.LBB11_13:
	s_mov_b64 s[30:31], -1
.LBB11_14:
	s_mov_b64 s[0:1], 0
                                        ; implicit-def: $vgpr2_vgpr3
	s_and_b64 vcc, exec, s[30:31]
	s_cbranch_vccz .LBB11_65
.LBB11_15:
	s_cmp_eq_u32 s33, 8
	s_cbranch_scc0 .LBB11_22
; %bb.16:
	s_mov_b32 s3, 0
	s_lshl_b32 s0, s2, 11
	s_mov_b32 s1, s3
	s_lshr_b64 s[4:5], s[38:39], 11
	s_lshl_b64 s[6:7], s[0:1], 3
	s_add_u32 s14, s36, s6
	s_addc_u32 s15, s37, s7
	s_cmp_lg_u64 s[4:5], s[2:3]
	s_cbranch_scc0 .LBB11_66
; %bb.17:
	v_lshlrev_b32_e32 v2, 3, v0
	v_mov_b32_e32 v3, 0
	v_lshl_add_u64 v[4:5], s[14:15], 0, v[2:3]
	s_waitcnt lgkmcnt(0)
	global_load_dwordx2 v[6:7], v2, s[14:15]
	global_load_dwordx2 v[8:9], v2, s[14:15] offset:2048
	v_add_co_u32_e32 v2, vcc, 0x1000, v4
	v_mbcnt_lo_u32_b32 v1, -1, 0
	s_nop 0
	v_addc_co_u32_e32 v3, vcc, 0, v5, vcc
	v_add_co_u32_e32 v10, vcc, 0x2000, v4
	v_mbcnt_hi_u32_b32 v1, -1, v1
	s_nop 0
	v_addc_co_u32_e32 v11, vcc, 0, v5, vcc
	global_load_dwordx2 v[12:13], v[2:3], off
	global_load_dwordx2 v[14:15], v[2:3], off offset:2048
	global_load_dwordx2 v[16:17], v[10:11], off
	global_load_dwordx2 v[18:19], v[10:11], off offset:2048
	v_add_co_u32_e32 v2, vcc, 0x3000, v4
	v_lshlrev_b32_e32 v4, 2, v1
	s_nop 0
	v_addc_co_u32_e32 v3, vcc, 0, v5, vcc
	global_load_dwordx2 v[10:11], v[2:3], off
	global_load_dwordx2 v[20:21], v[2:3], off offset:2048
	v_or_b32_e32 v5, 0xfc, v4
	v_cmp_eq_u32_e32 vcc, 0, v1
	s_waitcnt vmcnt(6)
	v_add_f64 v[2:3], v[6:7], v[8:9]
	s_waitcnt vmcnt(5)
	v_add_f64 v[2:3], v[2:3], v[12:13]
	;; [unrolled: 2-line block ×7, first 2 shown]
	s_nop 1
	v_mov_b32_dpp v6, v2 quad_perm:[1,0,3,2] row_mask:0xf bank_mask:0xf bound_ctrl:1
	v_mov_b32_dpp v7, v3 quad_perm:[1,0,3,2] row_mask:0xf bank_mask:0xf bound_ctrl:1
	v_add_f64 v[2:3], v[2:3], v[6:7]
	s_nop 1
	v_mov_b32_dpp v6, v2 quad_perm:[2,3,0,1] row_mask:0xf bank_mask:0xf bound_ctrl:1
	v_mov_b32_dpp v7, v3 quad_perm:[2,3,0,1] row_mask:0xf bank_mask:0xf bound_ctrl:1
	v_add_f64 v[2:3], v[2:3], v[6:7]
	s_nop 1
	v_mov_b32_dpp v6, v2 row_ror:4 row_mask:0xf bank_mask:0xf bound_ctrl:1
	v_mov_b32_dpp v7, v3 row_ror:4 row_mask:0xf bank_mask:0xf bound_ctrl:1
	v_add_f64 v[2:3], v[2:3], v[6:7]
	s_nop 1
	v_mov_b32_dpp v6, v2 row_ror:8 row_mask:0xf bank_mask:0xf bound_ctrl:1
	v_mov_b32_dpp v7, v3 row_ror:8 row_mask:0xf bank_mask:0xf bound_ctrl:1
	v_add_f64 v[2:3], v[2:3], v[6:7]
	s_nop 1
	v_mov_b32_dpp v6, v2 row_bcast:15 row_mask:0xf bank_mask:0xf bound_ctrl:1
	v_mov_b32_dpp v7, v3 row_bcast:15 row_mask:0xf bank_mask:0xf bound_ctrl:1
	v_add_f64 v[2:3], v[2:3], v[6:7]
	s_nop 1
	v_mov_b32_dpp v6, v2 row_bcast:31 row_mask:0xf bank_mask:0xf bound_ctrl:1
	v_mov_b32_dpp v7, v3 row_bcast:31 row_mask:0xf bank_mask:0xf bound_ctrl:1
	v_add_f64 v[2:3], v[2:3], v[6:7]
	ds_bpermute_b32 v2, v5, v2
	ds_bpermute_b32 v3, v5, v3
	s_and_saveexec_b64 s[4:5], vcc
	s_cbranch_execz .LBB11_19
; %bb.18:
	v_lshrrev_b32_e32 v5, 3, v0
	v_and_b32_e32 v5, 24, v5
	s_waitcnt lgkmcnt(0)
	ds_write_b64 v5, v[2:3] offset:128
.LBB11_19:
	s_or_b64 exec, exec, s[4:5]
	v_cmp_gt_u32_e32 vcc, 64, v0
	s_waitcnt lgkmcnt(0)
	s_barrier
	s_and_saveexec_b64 s[4:5], vcc
	s_cbranch_execz .LBB11_21
; %bb.20:
	v_and_b32_e32 v5, 3, v1
	v_lshlrev_b32_e32 v2, 3, v5
	ds_read_b64 v[2:3], v2 offset:128
	v_cmp_ne_u32_e32 vcc, 3, v5
	s_nop 1
	v_addc_co_u32_e32 v1, vcc, 0, v1, vcc
	v_lshlrev_b32_e32 v1, 2, v1
	s_waitcnt lgkmcnt(0)
	ds_bpermute_b32 v6, v1, v2
	ds_bpermute_b32 v7, v1, v3
	v_or_b32_e32 v1, 8, v4
	s_waitcnt lgkmcnt(0)
	v_add_f64 v[2:3], v[2:3], v[6:7]
	ds_bpermute_b32 v4, v1, v2
	ds_bpermute_b32 v5, v1, v3
	s_waitcnt lgkmcnt(0)
	v_add_f64 v[2:3], v[2:3], v[4:5]
.LBB11_21:
	s_or_b64 exec, exec, s[4:5]
	s_mov_b64 s[4:5], 0
	s_branch .LBB11_67
.LBB11_22:
                                        ; implicit-def: $vgpr2_vgpr3
	s_branch .LBB11_102
.LBB11_23:
                                        ; implicit-def: $vgpr2_vgpr3
	s_cbranch_execz .LBB11_10
; %bb.24:
	s_sub_i32 s46, s38, s0
	v_mov_b32_e32 v2, 0
	v_cmp_gt_u32_e32 vcc, s46, v0
	v_mov_b32_e32 v3, v2
	v_mov_b32_e32 v4, v2
	;; [unrolled: 1-line block ×31, first 2 shown]
	s_and_saveexec_b64 s[0:1], vcc
	s_cbranch_execz .LBB11_26
; %bb.25:
	v_lshlrev_b32_e32 v1, 3, v0
	global_load_dwordx2 v[4:5], v1, s[34:35]
	v_mov_b32_e32 v6, v2
	v_mov_b32_e32 v7, v2
	v_mov_b32_e32 v8, v2
	v_mov_b32_e32 v9, v2
	v_mov_b32_e32 v10, v2
	v_mov_b32_e32 v11, v2
	v_mov_b32_e32 v12, v2
	v_mov_b32_e32 v13, v2
	v_mov_b32_e32 v14, v2
	v_mov_b32_e32 v15, v2
	v_mov_b32_e32 v16, v2
	v_mov_b32_e32 v17, v2
	v_mov_b32_e32 v18, v2
	v_mov_b32_e32 v19, v2
	v_mov_b32_e32 v20, v2
	v_mov_b32_e32 v21, v2
	v_mov_b32_e32 v22, v2
	v_mov_b32_e32 v23, v2
	v_mov_b32_e32 v24, v2
	v_mov_b32_e32 v25, v2
	v_mov_b32_e32 v26, v2
	v_mov_b32_e32 v27, v2
	v_mov_b32_e32 v28, v2
	v_mov_b32_e32 v29, v2
	v_mov_b32_e32 v30, v2
	v_mov_b32_e32 v31, v2
	v_mov_b32_e32 v32, v2
	v_mov_b32_e32 v33, v2
	v_mov_b32_e32 v34, v2
	v_mov_b32_e32 v35, v2
	s_waitcnt vmcnt(0)
	v_mov_b64_e32 v[2:3], v[4:5]
	v_mov_b64_e32 v[4:5], v[6:7]
	;; [unrolled: 1-line block ×16, first 2 shown]
.LBB11_26:
	s_or_b64 exec, exec, s[0:1]
	v_or_b32_e32 v1, 0x100, v0
	v_cmp_gt_u32_e32 vcc, s46, v1
	s_and_saveexec_b64 s[0:1], vcc
	s_cbranch_execz .LBB11_28
; %bb.27:
	v_lshlrev_b32_e32 v1, 3, v0
	global_load_dwordx2 v[4:5], v1, s[34:35] offset:2048
.LBB11_28:
	s_or_b64 exec, exec, s[0:1]
	v_or_b32_e32 v1, 0x200, v0
	v_cmp_gt_u32_e64 s[0:1], s46, v1
	s_and_saveexec_b64 s[4:5], s[0:1]
	s_cbranch_execz .LBB11_30
; %bb.29:
	v_lshlrev_b32_e32 v1, 3, v1
	global_load_dwordx2 v[6:7], v1, s[34:35]
.LBB11_30:
	s_or_b64 exec, exec, s[4:5]
	v_or_b32_e32 v1, 0x300, v0
	v_cmp_gt_u32_e64 s[4:5], s46, v1
	s_and_saveexec_b64 s[6:7], s[4:5]
	s_cbranch_execz .LBB11_32
; %bb.31:
	v_lshlrev_b32_e32 v1, 3, v1
	global_load_dwordx2 v[8:9], v1, s[34:35]
.LBB11_32:
	;; [unrolled: 9-line block ×14, first 2 shown]
	s_or_b64 exec, exec, s[44:45]
	s_waitcnt vmcnt(0)
	v_add_f64 v[4:5], v[2:3], v[4:5]
	v_cndmask_b32_e32 v3, v3, v5, vcc
	v_cndmask_b32_e32 v2, v2, v4, vcc
	v_add_f64 v[4:5], v[6:7], v[2:3]
	v_cndmask_b32_e64 v3, v3, v5, s[0:1]
	v_cndmask_b32_e64 v2, v2, v4, s[0:1]
	v_add_f64 v[4:5], v[8:9], v[2:3]
	v_cndmask_b32_e64 v3, v3, v5, s[4:5]
	v_cndmask_b32_e64 v2, v2, v4, s[4:5]
	;; [unrolled: 3-line block ×12, first 2 shown]
	v_mbcnt_lo_u32_b32 v1, -1, 0
	v_add_f64 v[4:5], v[30:31], v[2:3]
	v_mbcnt_hi_u32_b32 v1, -1, v1
	v_cndmask_b32_e64 v3, v3, v5, s[26:27]
	v_cndmask_b32_e64 v2, v2, v4, s[26:27]
	v_and_b32_e32 v11, 63, v1
	v_add_f64 v[4:5], v[32:33], v[2:3]
	v_cmp_ne_u32_e32 vcc, 63, v11
	v_cndmask_b32_e64 v2, v2, v4, s[28:29]
	v_cndmask_b32_e64 v3, v3, v5, s[28:29]
	v_addc_co_u32_e32 v4, vcc, 0, v1, vcc
	v_lshlrev_b32_e32 v5, 2, v4
	ds_bpermute_b32 v4, v5, v2
	ds_bpermute_b32 v5, v5, v3
	s_min_u32 s6, s46, 0x100
	v_and_b32_e32 v6, 0xc0, v0
	v_sub_u32_e64 v10, s6, v6 clamp
	v_add_u32_e32 v6, 1, v11
	v_cmp_gt_u32_e32 vcc, 62, v11
	s_waitcnt lgkmcnt(0)
	v_add_f64 v[4:5], v[2:3], v[4:5]
	v_cmp_lt_u32_e64 s[0:1], v6, v10
	v_cndmask_b32_e64 v6, 0, 2, vcc
	v_add_lshl_u32 v7, v6, v1, 2
	v_cndmask_b32_e64 v4, v2, v4, s[0:1]
	v_cndmask_b32_e64 v5, v3, v5, s[0:1]
	ds_bpermute_b32 v6, v7, v4
	ds_bpermute_b32 v7, v7, v5
	v_add_u32_e32 v8, 2, v11
	v_cmp_lt_u32_e32 vcc, v8, v10
	v_add_u32_e32 v8, 4, v11
	v_lshlrev_b32_e32 v12, 2, v1
	s_waitcnt lgkmcnt(0)
	v_add_f64 v[6:7], v[4:5], v[6:7]
	v_cndmask_b32_e32 v4, v4, v6, vcc
	v_cndmask_b32_e32 v5, v5, v7, vcc
	v_cmp_gt_u32_e32 vcc, 60, v11
	v_or_b32_e32 v13, 0x80, v12
	s_nop 0
	v_cndmask_b32_e64 v6, 0, 4, vcc
	v_add_lshl_u32 v7, v6, v1, 2
	ds_bpermute_b32 v6, v7, v4
	ds_bpermute_b32 v7, v7, v5
	v_cmp_lt_u32_e32 vcc, v8, v10
	v_add_u32_e32 v8, 8, v11
	s_waitcnt lgkmcnt(0)
	v_add_f64 v[6:7], v[4:5], v[6:7]
	v_cndmask_b32_e32 v4, v4, v6, vcc
	v_cndmask_b32_e32 v5, v5, v7, vcc
	v_cmp_gt_u32_e32 vcc, 56, v11
	s_nop 1
	v_cndmask_b32_e64 v6, 0, 8, vcc
	v_add_lshl_u32 v7, v6, v1, 2
	ds_bpermute_b32 v6, v7, v4
	ds_bpermute_b32 v7, v7, v5
	v_cmp_lt_u32_e32 vcc, v8, v10
	v_add_u32_e32 v8, 16, v11
	s_waitcnt lgkmcnt(0)
	v_add_f64 v[6:7], v[4:5], v[6:7]
	v_cndmask_b32_e32 v4, v4, v6, vcc
	v_cndmask_b32_e32 v5, v5, v7, vcc
	v_cmp_gt_u32_e32 vcc, 48, v11
	s_nop 1
	v_cndmask_b32_e64 v6, 0, 16, vcc
	v_add_lshl_u32 v7, v6, v1, 2
	ds_bpermute_b32 v6, v7, v4
	ds_bpermute_b32 v7, v7, v5
	v_cmp_lt_u32_e32 vcc, v8, v10
	s_waitcnt lgkmcnt(0)
	v_add_f64 v[6:7], v[4:5], v[6:7]
	v_cndmask_b32_e32 v9, v5, v7, vcc
	v_cndmask_b32_e32 v8, v4, v6, vcc
	ds_bpermute_b32 v8, v13, v8
	ds_bpermute_b32 v9, v13, v9
	s_and_saveexec_b64 s[4:5], s[0:1]
	s_cbranch_execz .LBB11_58
; %bb.57:
	v_add_u32_e32 v11, 32, v11
	v_cndmask_b32_e32 v3, v5, v7, vcc
	v_cndmask_b32_e32 v2, v4, v6, vcc
	s_waitcnt lgkmcnt(0)
	v_add_f64 v[4:5], v[2:3], v[8:9]
	v_cmp_lt_u32_e32 vcc, v11, v10
	s_nop 1
	v_cndmask_b32_e32 v3, v3, v5, vcc
	v_cndmask_b32_e32 v2, v2, v4, vcc
.LBB11_58:
	s_or_b64 exec, exec, s[4:5]
	v_cmp_eq_u32_e32 vcc, 0, v1
	s_and_saveexec_b64 s[0:1], vcc
; %bb.59:
	v_lshrrev_b32_e32 v4, 3, v0
	v_and_b32_e32 v4, 24, v4
	ds_write_b64 v4, v[2:3] offset:160
; %bb.60:
	s_or_b64 exec, exec, s[0:1]
	v_cmp_gt_u32_e32 vcc, 4, v0
	s_waitcnt lgkmcnt(0)
	s_barrier
	s_and_saveexec_b64 s[0:1], vcc
	s_cbranch_execz .LBB11_64
; %bb.61:
	v_lshlrev_b32_e32 v2, 3, v1
	ds_read_b64 v[2:3], v2 offset:160
	v_and_b32_e32 v8, 3, v1
	v_cmp_ne_u32_e32 vcc, 3, v8
	s_add_i32 s6, s6, 63
	s_lshr_b32 s6, s6, 6
	v_addc_co_u32_e32 v1, vcc, 0, v1, vcc
	v_lshlrev_b32_e32 v1, 2, v1
	s_waitcnt lgkmcnt(0)
	ds_bpermute_b32 v4, v1, v2
	ds_bpermute_b32 v5, v1, v3
	v_add_u32_e32 v1, 1, v8
	v_cmp_gt_u32_e32 vcc, s6, v1
	v_or_b32_e32 v7, 8, v12
	s_waitcnt lgkmcnt(0)
	v_add_f64 v[4:5], v[2:3], v[4:5]
	v_cndmask_b32_e32 v1, v3, v5, vcc
	v_cndmask_b32_e32 v6, v2, v4, vcc
	ds_bpermute_b32 v6, v7, v6
	ds_bpermute_b32 v7, v7, v1
	s_and_saveexec_b64 s[4:5], vcc
	s_cbranch_execz .LBB11_63
; %bb.62:
	v_add_u32_e32 v1, 2, v8
	s_waitcnt lgkmcnt(0)
	v_add_f64 v[2:3], v[4:5], v[6:7]
	v_cmp_gt_u32_e32 vcc, s6, v1
	s_nop 1
	v_cndmask_b32_e32 v3, v5, v3, vcc
	v_cndmask_b32_e32 v2, v4, v2, vcc
.LBB11_63:
	s_or_b64 exec, exec, s[4:5]
.LBB11_64:
	s_or_b64 exec, exec, s[0:1]
	v_cmp_eq_u32_e64 s[0:1], 0, v0
	s_and_b64 vcc, exec, s[30:31]
	s_cbranch_vccnz .LBB11_15
.LBB11_65:
	s_branch .LBB11_102
.LBB11_66:
	s_mov_b64 s[4:5], -1
                                        ; implicit-def: $vgpr2_vgpr3
.LBB11_67:
	s_and_b64 vcc, exec, s[4:5]
	s_cbranch_vccz .LBB11_93
; %bb.68:
	s_sub_i32 s18, s38, s0
	v_mov_b32_e32 v2, 0
	v_cmp_gt_u32_e32 vcc, s18, v0
	v_mov_b32_e32 v3, v2
	v_mov_b32_e32 v4, v2
	;; [unrolled: 1-line block ×3, first 2 shown]
	s_waitcnt lgkmcnt(1)
	v_mov_b32_e32 v6, v2
	s_waitcnt lgkmcnt(0)
	v_mov_b32_e32 v7, v2
	v_mov_b32_e32 v8, v2
	;; [unrolled: 1-line block ×11, first 2 shown]
	s_and_saveexec_b64 s[0:1], vcc
	s_cbranch_execz .LBB11_70
; %bb.69:
	v_lshlrev_b32_e32 v1, 3, v0
	global_load_dwordx2 v[4:5], v1, s[14:15]
	v_mov_b32_e32 v6, v2
	v_mov_b32_e32 v7, v2
	v_mov_b32_e32 v8, v2
	v_mov_b32_e32 v9, v2
	v_mov_b32_e32 v10, v2
	v_mov_b32_e32 v11, v2
	v_mov_b32_e32 v12, v2
	v_mov_b32_e32 v13, v2
	v_mov_b32_e32 v14, v2
	v_mov_b32_e32 v15, v2
	v_mov_b32_e32 v16, v2
	v_mov_b32_e32 v17, v2
	v_mov_b32_e32 v18, v2
	v_mov_b32_e32 v19, v2
	s_waitcnt vmcnt(0)
	v_mov_b64_e32 v[2:3], v[4:5]
	v_mov_b64_e32 v[4:5], v[6:7]
	;; [unrolled: 1-line block ×8, first 2 shown]
.LBB11_70:
	s_or_b64 exec, exec, s[0:1]
	v_or_b32_e32 v1, 0x100, v0
	v_cmp_gt_u32_e32 vcc, s18, v1
	s_and_saveexec_b64 s[0:1], vcc
	s_cbranch_execz .LBB11_72
; %bb.71:
	v_lshlrev_b32_e32 v1, 3, v0
	global_load_dwordx2 v[4:5], v1, s[14:15] offset:2048
.LBB11_72:
	s_or_b64 exec, exec, s[0:1]
	v_or_b32_e32 v1, 0x200, v0
	v_cmp_gt_u32_e64 s[0:1], s18, v1
	s_and_saveexec_b64 s[4:5], s[0:1]
	s_cbranch_execz .LBB11_74
; %bb.73:
	v_lshlrev_b32_e32 v1, 3, v1
	global_load_dwordx2 v[6:7], v1, s[14:15]
.LBB11_74:
	s_or_b64 exec, exec, s[4:5]
	v_or_b32_e32 v1, 0x300, v0
	v_cmp_gt_u32_e64 s[4:5], s18, v1
	s_and_saveexec_b64 s[6:7], s[4:5]
	s_cbranch_execz .LBB11_76
; %bb.75:
	v_lshlrev_b32_e32 v1, 3, v1
	global_load_dwordx2 v[8:9], v1, s[14:15]
.LBB11_76:
	;; [unrolled: 9-line block ×6, first 2 shown]
	s_or_b64 exec, exec, s[16:17]
	s_waitcnt vmcnt(0)
	v_add_f64 v[4:5], v[2:3], v[4:5]
	v_cndmask_b32_e32 v3, v3, v5, vcc
	v_cndmask_b32_e32 v2, v2, v4, vcc
	v_add_f64 v[4:5], v[6:7], v[2:3]
	v_cndmask_b32_e64 v3, v3, v5, s[0:1]
	v_cndmask_b32_e64 v2, v2, v4, s[0:1]
	v_add_f64 v[4:5], v[8:9], v[2:3]
	v_cndmask_b32_e64 v3, v3, v5, s[4:5]
	v_cndmask_b32_e64 v2, v2, v4, s[4:5]
	;; [unrolled: 3-line block ×4, first 2 shown]
	v_mbcnt_lo_u32_b32 v1, -1, 0
	v_add_f64 v[4:5], v[14:15], v[2:3]
	v_mbcnt_hi_u32_b32 v1, -1, v1
	v_cndmask_b32_e64 v3, v3, v5, s[10:11]
	v_cndmask_b32_e64 v2, v2, v4, s[10:11]
	v_and_b32_e32 v11, 63, v1
	v_add_f64 v[4:5], v[16:17], v[2:3]
	v_cmp_ne_u32_e32 vcc, 63, v11
	v_cndmask_b32_e64 v2, v2, v4, s[12:13]
	v_cndmask_b32_e64 v3, v3, v5, s[12:13]
	v_addc_co_u32_e32 v4, vcc, 0, v1, vcc
	v_lshlrev_b32_e32 v5, 2, v4
	ds_bpermute_b32 v4, v5, v2
	ds_bpermute_b32 v5, v5, v3
	s_min_u32 s6, s18, 0x100
	v_and_b32_e32 v6, 0xc0, v0
	v_sub_u32_e64 v10, s6, v6 clamp
	v_add_u32_e32 v6, 1, v11
	v_cmp_gt_u32_e32 vcc, 62, v11
	s_waitcnt lgkmcnt(0)
	v_add_f64 v[4:5], v[2:3], v[4:5]
	v_cmp_lt_u32_e64 s[0:1], v6, v10
	v_cndmask_b32_e64 v6, 0, 2, vcc
	v_add_lshl_u32 v7, v6, v1, 2
	v_cndmask_b32_e64 v4, v2, v4, s[0:1]
	v_cndmask_b32_e64 v5, v3, v5, s[0:1]
	ds_bpermute_b32 v6, v7, v4
	ds_bpermute_b32 v7, v7, v5
	v_add_u32_e32 v8, 2, v11
	v_cmp_lt_u32_e32 vcc, v8, v10
	v_add_u32_e32 v8, 4, v11
	v_lshlrev_b32_e32 v12, 2, v1
	s_waitcnt lgkmcnt(0)
	v_add_f64 v[6:7], v[4:5], v[6:7]
	v_cndmask_b32_e32 v4, v4, v6, vcc
	v_cndmask_b32_e32 v5, v5, v7, vcc
	v_cmp_gt_u32_e32 vcc, 60, v11
	v_or_b32_e32 v13, 0x80, v12
	s_nop 0
	v_cndmask_b32_e64 v6, 0, 4, vcc
	v_add_lshl_u32 v7, v6, v1, 2
	ds_bpermute_b32 v6, v7, v4
	ds_bpermute_b32 v7, v7, v5
	v_cmp_lt_u32_e32 vcc, v8, v10
	v_add_u32_e32 v8, 8, v11
	s_waitcnt lgkmcnt(0)
	v_add_f64 v[6:7], v[4:5], v[6:7]
	v_cndmask_b32_e32 v4, v4, v6, vcc
	v_cndmask_b32_e32 v5, v5, v7, vcc
	v_cmp_gt_u32_e32 vcc, 56, v11
	s_nop 1
	v_cndmask_b32_e64 v6, 0, 8, vcc
	v_add_lshl_u32 v7, v6, v1, 2
	ds_bpermute_b32 v6, v7, v4
	ds_bpermute_b32 v7, v7, v5
	v_cmp_lt_u32_e32 vcc, v8, v10
	v_add_u32_e32 v8, 16, v11
	s_waitcnt lgkmcnt(0)
	v_add_f64 v[6:7], v[4:5], v[6:7]
	v_cndmask_b32_e32 v4, v4, v6, vcc
	v_cndmask_b32_e32 v5, v5, v7, vcc
	v_cmp_gt_u32_e32 vcc, 48, v11
	s_nop 1
	v_cndmask_b32_e64 v6, 0, 16, vcc
	v_add_lshl_u32 v7, v6, v1, 2
	ds_bpermute_b32 v6, v7, v4
	ds_bpermute_b32 v7, v7, v5
	v_cmp_lt_u32_e32 vcc, v8, v10
	s_waitcnt lgkmcnt(0)
	v_add_f64 v[6:7], v[4:5], v[6:7]
	v_cndmask_b32_e32 v9, v5, v7, vcc
	v_cndmask_b32_e32 v8, v4, v6, vcc
	ds_bpermute_b32 v8, v13, v8
	ds_bpermute_b32 v9, v13, v9
	s_and_saveexec_b64 s[4:5], s[0:1]
	s_cbranch_execz .LBB11_86
; %bb.85:
	v_add_u32_e32 v11, 32, v11
	v_cndmask_b32_e32 v3, v5, v7, vcc
	v_cndmask_b32_e32 v2, v4, v6, vcc
	s_waitcnt lgkmcnt(0)
	v_add_f64 v[4:5], v[2:3], v[8:9]
	v_cmp_lt_u32_e32 vcc, v11, v10
	s_nop 1
	v_cndmask_b32_e32 v3, v3, v5, vcc
	v_cndmask_b32_e32 v2, v2, v4, vcc
.LBB11_86:
	s_or_b64 exec, exec, s[4:5]
	v_cmp_eq_u32_e32 vcc, 0, v1
	s_and_saveexec_b64 s[0:1], vcc
; %bb.87:
	v_lshrrev_b32_e32 v4, 3, v0
	v_and_b32_e32 v4, 24, v4
	ds_write_b64 v4, v[2:3] offset:160
; %bb.88:
	s_or_b64 exec, exec, s[0:1]
	v_cmp_gt_u32_e32 vcc, 4, v0
	s_waitcnt lgkmcnt(0)
	s_barrier
	s_and_saveexec_b64 s[0:1], vcc
	s_cbranch_execz .LBB11_92
; %bb.89:
	v_lshlrev_b32_e32 v2, 3, v1
	ds_read_b64 v[2:3], v2 offset:160
	v_and_b32_e32 v8, 3, v1
	v_cmp_ne_u32_e32 vcc, 3, v8
	s_add_i32 s6, s6, 63
	s_lshr_b32 s6, s6, 6
	v_addc_co_u32_e32 v1, vcc, 0, v1, vcc
	v_lshlrev_b32_e32 v1, 2, v1
	s_waitcnt lgkmcnt(0)
	ds_bpermute_b32 v4, v1, v2
	ds_bpermute_b32 v5, v1, v3
	v_add_u32_e32 v1, 1, v8
	v_cmp_gt_u32_e32 vcc, s6, v1
	v_or_b32_e32 v7, 8, v12
	s_waitcnt lgkmcnt(0)
	v_add_f64 v[4:5], v[2:3], v[4:5]
	v_cndmask_b32_e32 v1, v3, v5, vcc
	v_cndmask_b32_e32 v6, v2, v4, vcc
	ds_bpermute_b32 v6, v7, v6
	ds_bpermute_b32 v7, v7, v1
	s_and_saveexec_b64 s[4:5], vcc
	s_cbranch_execz .LBB11_91
; %bb.90:
	v_add_u32_e32 v1, 2, v8
	s_waitcnt lgkmcnt(0)
	v_add_f64 v[2:3], v[4:5], v[6:7]
	v_cmp_gt_u32_e32 vcc, s6, v1
	s_nop 1
	v_cndmask_b32_e32 v3, v5, v3, vcc
	v_cndmask_b32_e32 v2, v4, v2, vcc
.LBB11_91:
	s_or_b64 exec, exec, s[4:5]
.LBB11_92:
	s_or_b64 exec, exec, s[0:1]
.LBB11_93:
	v_cmp_eq_u32_e64 s[0:1], 0, v0
	s_branch .LBB11_102
.LBB11_94:
	s_cmp_eq_u32 s33, 4
	s_cbranch_scc0 .LBB11_101
; %bb.95:
	s_mov_b32 s3, 0
	s_lshl_b32 s0, s2, 10
	s_mov_b32 s1, s3
	s_lshr_b64 s[4:5], s[38:39], 10
	s_lshl_b64 s[6:7], s[0:1], 3
	s_add_u32 s6, s36, s6
	s_addc_u32 s7, s37, s7
	s_cmp_lg_u64 s[4:5], s[2:3]
	s_cbranch_scc0 .LBB11_103
; %bb.96:
	v_lshlrev_b32_e32 v2, 3, v0
	v_mov_b32_e32 v3, 0
	v_lshl_add_u64 v[4:5], s[6:7], 0, v[2:3]
	v_add_co_u32_e32 v4, vcc, 0x1000, v4
	v_mbcnt_lo_u32_b32 v1, -1, 0
	s_nop 0
	v_addc_co_u32_e32 v5, vcc, 0, v5, vcc
	s_waitcnt lgkmcnt(0)
	global_load_dwordx2 v[6:7], v2, s[6:7]
	global_load_dwordx2 v[8:9], v2, s[6:7] offset:2048
	global_load_dwordx2 v[10:11], v[4:5], off
	global_load_dwordx2 v[12:13], v[4:5], off offset:2048
	v_mbcnt_hi_u32_b32 v1, -1, v1
	v_lshlrev_b32_e32 v4, 2, v1
	v_or_b32_e32 v5, 0xfc, v4
	v_cmp_eq_u32_e32 vcc, 0, v1
	s_waitcnt vmcnt(2)
	v_add_f64 v[2:3], v[6:7], v[8:9]
	s_waitcnt vmcnt(1)
	v_add_f64 v[2:3], v[2:3], v[10:11]
	;; [unrolled: 2-line block ×3, first 2 shown]
	s_nop 1
	v_mov_b32_dpp v6, v2 quad_perm:[1,0,3,2] row_mask:0xf bank_mask:0xf bound_ctrl:1
	v_mov_b32_dpp v7, v3 quad_perm:[1,0,3,2] row_mask:0xf bank_mask:0xf bound_ctrl:1
	v_add_f64 v[2:3], v[2:3], v[6:7]
	s_nop 1
	v_mov_b32_dpp v6, v2 quad_perm:[2,3,0,1] row_mask:0xf bank_mask:0xf bound_ctrl:1
	v_mov_b32_dpp v7, v3 quad_perm:[2,3,0,1] row_mask:0xf bank_mask:0xf bound_ctrl:1
	v_add_f64 v[2:3], v[2:3], v[6:7]
	s_nop 1
	v_mov_b32_dpp v6, v2 row_ror:4 row_mask:0xf bank_mask:0xf bound_ctrl:1
	v_mov_b32_dpp v7, v3 row_ror:4 row_mask:0xf bank_mask:0xf bound_ctrl:1
	v_add_f64 v[2:3], v[2:3], v[6:7]
	s_nop 1
	v_mov_b32_dpp v6, v2 row_ror:8 row_mask:0xf bank_mask:0xf bound_ctrl:1
	v_mov_b32_dpp v7, v3 row_ror:8 row_mask:0xf bank_mask:0xf bound_ctrl:1
	v_add_f64 v[2:3], v[2:3], v[6:7]
	s_nop 1
	v_mov_b32_dpp v6, v2 row_bcast:15 row_mask:0xf bank_mask:0xf bound_ctrl:1
	v_mov_b32_dpp v7, v3 row_bcast:15 row_mask:0xf bank_mask:0xf bound_ctrl:1
	v_add_f64 v[2:3], v[2:3], v[6:7]
	s_nop 1
	v_mov_b32_dpp v6, v2 row_bcast:31 row_mask:0xf bank_mask:0xf bound_ctrl:1
	v_mov_b32_dpp v7, v3 row_bcast:31 row_mask:0xf bank_mask:0xf bound_ctrl:1
	v_add_f64 v[2:3], v[2:3], v[6:7]
	ds_bpermute_b32 v2, v5, v2
	ds_bpermute_b32 v3, v5, v3
	s_and_saveexec_b64 s[4:5], vcc
	s_cbranch_execz .LBB11_98
; %bb.97:
	v_lshrrev_b32_e32 v5, 3, v0
	v_and_b32_e32 v5, 24, v5
	s_waitcnt lgkmcnt(0)
	ds_write_b64 v5, v[2:3] offset:96
.LBB11_98:
	s_or_b64 exec, exec, s[4:5]
	v_cmp_gt_u32_e32 vcc, 64, v0
	s_waitcnt lgkmcnt(0)
	s_barrier
	s_and_saveexec_b64 s[4:5], vcc
	s_cbranch_execz .LBB11_100
; %bb.99:
	v_and_b32_e32 v5, 3, v1
	v_lshlrev_b32_e32 v2, 3, v5
	ds_read_b64 v[2:3], v2 offset:96
	v_cmp_ne_u32_e32 vcc, 3, v5
	s_nop 1
	v_addc_co_u32_e32 v1, vcc, 0, v1, vcc
	v_lshlrev_b32_e32 v1, 2, v1
	s_waitcnt lgkmcnt(0)
	ds_bpermute_b32 v6, v1, v2
	ds_bpermute_b32 v7, v1, v3
	v_or_b32_e32 v1, 8, v4
	s_waitcnt lgkmcnt(0)
	v_add_f64 v[2:3], v[2:3], v[6:7]
	ds_bpermute_b32 v4, v1, v2
	ds_bpermute_b32 v5, v1, v3
	s_waitcnt lgkmcnt(0)
	v_add_f64 v[2:3], v[2:3], v[4:5]
.LBB11_100:
	s_or_b64 exec, exec, s[4:5]
	s_branch .LBB11_121
.LBB11_101:
                                        ; implicit-def: $vgpr2_vgpr3
.LBB11_102:
	s_branch .LBB11_156
.LBB11_103:
                                        ; implicit-def: $vgpr2_vgpr3
	s_cbranch_execz .LBB11_121
; %bb.104:
	s_sub_i32 s10, s38, s0
	v_mov_b32_e32 v2, 0
	v_cmp_gt_u32_e32 vcc, s10, v0
	v_mov_b32_e32 v3, v2
	v_mov_b32_e32 v4, v2
	;; [unrolled: 1-line block ×3, first 2 shown]
	s_waitcnt lgkmcnt(1)
	v_mov_b32_e32 v6, v2
	s_waitcnt lgkmcnt(0)
	v_mov_b32_e32 v7, v2
	v_mov_b32_e32 v8, v2
	;; [unrolled: 1-line block ×3, first 2 shown]
	s_and_saveexec_b64 s[0:1], vcc
	s_cbranch_execz .LBB11_106
; %bb.105:
	v_lshlrev_b32_e32 v1, 3, v0
	global_load_dwordx2 v[4:5], v1, s[6:7]
	v_mov_b32_e32 v6, v2
	v_mov_b32_e32 v7, v2
	;; [unrolled: 1-line block ×6, first 2 shown]
	s_waitcnt vmcnt(0)
	v_mov_b64_e32 v[2:3], v[4:5]
	v_mov_b64_e32 v[4:5], v[6:7]
	v_mov_b64_e32 v[6:7], v[8:9]
	v_mov_b64_e32 v[8:9], v[10:11]
.LBB11_106:
	s_or_b64 exec, exec, s[0:1]
	v_or_b32_e32 v1, 0x100, v0
	v_cmp_gt_u32_e32 vcc, s10, v1
	s_and_saveexec_b64 s[0:1], vcc
	s_cbranch_execz .LBB11_108
; %bb.107:
	v_lshlrev_b32_e32 v1, 3, v0
	global_load_dwordx2 v[4:5], v1, s[6:7] offset:2048
.LBB11_108:
	s_or_b64 exec, exec, s[0:1]
	v_or_b32_e32 v1, 0x200, v0
	v_cmp_gt_u32_e64 s[0:1], s10, v1
	s_and_saveexec_b64 s[4:5], s[0:1]
	s_cbranch_execz .LBB11_110
; %bb.109:
	v_lshlrev_b32_e32 v1, 3, v1
	global_load_dwordx2 v[6:7], v1, s[6:7]
.LBB11_110:
	s_or_b64 exec, exec, s[4:5]
	v_or_b32_e32 v1, 0x300, v0
	v_cmp_gt_u32_e64 s[4:5], s10, v1
	s_and_saveexec_b64 s[8:9], s[4:5]
	s_cbranch_execz .LBB11_112
; %bb.111:
	v_lshlrev_b32_e32 v1, 3, v1
	global_load_dwordx2 v[8:9], v1, s[6:7]
.LBB11_112:
	s_or_b64 exec, exec, s[8:9]
	s_waitcnt vmcnt(0)
	v_add_f64 v[4:5], v[2:3], v[4:5]
	v_cndmask_b32_e32 v3, v3, v5, vcc
	v_cndmask_b32_e32 v2, v2, v4, vcc
	v_mbcnt_lo_u32_b32 v1, -1, 0
	v_add_f64 v[4:5], v[6:7], v[2:3]
	v_mbcnt_hi_u32_b32 v1, -1, v1
	v_cndmask_b32_e64 v3, v3, v5, s[0:1]
	v_cndmask_b32_e64 v2, v2, v4, s[0:1]
	v_and_b32_e32 v11, 63, v1
	v_add_f64 v[4:5], v[8:9], v[2:3]
	v_cmp_ne_u32_e32 vcc, 63, v11
	v_cndmask_b32_e64 v2, v2, v4, s[4:5]
	v_cndmask_b32_e64 v3, v3, v5, s[4:5]
	v_addc_co_u32_e32 v4, vcc, 0, v1, vcc
	v_lshlrev_b32_e32 v5, 2, v4
	ds_bpermute_b32 v4, v5, v2
	ds_bpermute_b32 v5, v5, v3
	s_min_u32 s6, s10, 0x100
	v_and_b32_e32 v6, 0xc0, v0
	v_sub_u32_e64 v10, s6, v6 clamp
	v_add_u32_e32 v6, 1, v11
	v_cmp_gt_u32_e32 vcc, 62, v11
	s_waitcnt lgkmcnt(0)
	v_add_f64 v[4:5], v[2:3], v[4:5]
	v_cmp_lt_u32_e64 s[0:1], v6, v10
	v_cndmask_b32_e64 v6, 0, 2, vcc
	v_add_lshl_u32 v7, v6, v1, 2
	v_cndmask_b32_e64 v4, v2, v4, s[0:1]
	v_cndmask_b32_e64 v5, v3, v5, s[0:1]
	ds_bpermute_b32 v6, v7, v4
	ds_bpermute_b32 v7, v7, v5
	v_add_u32_e32 v8, 2, v11
	v_cmp_lt_u32_e32 vcc, v8, v10
	v_add_u32_e32 v8, 4, v11
	v_lshlrev_b32_e32 v12, 2, v1
	s_waitcnt lgkmcnt(0)
	v_add_f64 v[6:7], v[4:5], v[6:7]
	v_cndmask_b32_e32 v4, v4, v6, vcc
	v_cndmask_b32_e32 v5, v5, v7, vcc
	v_cmp_gt_u32_e32 vcc, 60, v11
	v_or_b32_e32 v13, 0x80, v12
	s_nop 0
	v_cndmask_b32_e64 v6, 0, 4, vcc
	v_add_lshl_u32 v7, v6, v1, 2
	ds_bpermute_b32 v6, v7, v4
	ds_bpermute_b32 v7, v7, v5
	v_cmp_lt_u32_e32 vcc, v8, v10
	v_add_u32_e32 v8, 8, v11
	s_waitcnt lgkmcnt(0)
	v_add_f64 v[6:7], v[4:5], v[6:7]
	v_cndmask_b32_e32 v4, v4, v6, vcc
	v_cndmask_b32_e32 v5, v5, v7, vcc
	v_cmp_gt_u32_e32 vcc, 56, v11
	s_nop 1
	v_cndmask_b32_e64 v6, 0, 8, vcc
	v_add_lshl_u32 v7, v6, v1, 2
	ds_bpermute_b32 v6, v7, v4
	ds_bpermute_b32 v7, v7, v5
	v_cmp_lt_u32_e32 vcc, v8, v10
	v_add_u32_e32 v8, 16, v11
	s_waitcnt lgkmcnt(0)
	v_add_f64 v[6:7], v[4:5], v[6:7]
	v_cndmask_b32_e32 v4, v4, v6, vcc
	v_cndmask_b32_e32 v5, v5, v7, vcc
	v_cmp_gt_u32_e32 vcc, 48, v11
	s_nop 1
	v_cndmask_b32_e64 v6, 0, 16, vcc
	v_add_lshl_u32 v7, v6, v1, 2
	ds_bpermute_b32 v6, v7, v4
	ds_bpermute_b32 v7, v7, v5
	v_cmp_lt_u32_e32 vcc, v8, v10
	s_waitcnt lgkmcnt(0)
	v_add_f64 v[6:7], v[4:5], v[6:7]
	v_cndmask_b32_e32 v9, v5, v7, vcc
	v_cndmask_b32_e32 v8, v4, v6, vcc
	ds_bpermute_b32 v8, v13, v8
	ds_bpermute_b32 v9, v13, v9
	s_and_saveexec_b64 s[4:5], s[0:1]
	s_cbranch_execz .LBB11_114
; %bb.113:
	v_add_u32_e32 v11, 32, v11
	v_cndmask_b32_e32 v3, v5, v7, vcc
	v_cndmask_b32_e32 v2, v4, v6, vcc
	s_waitcnt lgkmcnt(0)
	v_add_f64 v[4:5], v[2:3], v[8:9]
	v_cmp_lt_u32_e32 vcc, v11, v10
	s_nop 1
	v_cndmask_b32_e32 v3, v3, v5, vcc
	v_cndmask_b32_e32 v2, v2, v4, vcc
.LBB11_114:
	s_or_b64 exec, exec, s[4:5]
	v_cmp_eq_u32_e32 vcc, 0, v1
	s_and_saveexec_b64 s[0:1], vcc
; %bb.115:
	v_lshrrev_b32_e32 v4, 3, v0
	v_and_b32_e32 v4, 24, v4
	ds_write_b64 v4, v[2:3] offset:160
; %bb.116:
	s_or_b64 exec, exec, s[0:1]
	v_cmp_gt_u32_e32 vcc, 4, v0
	s_waitcnt lgkmcnt(0)
	s_barrier
	s_and_saveexec_b64 s[0:1], vcc
	s_cbranch_execz .LBB11_120
; %bb.117:
	v_lshlrev_b32_e32 v2, 3, v1
	ds_read_b64 v[2:3], v2 offset:160
	v_and_b32_e32 v8, 3, v1
	v_cmp_ne_u32_e32 vcc, 3, v8
	s_add_i32 s6, s6, 63
	s_lshr_b32 s6, s6, 6
	v_addc_co_u32_e32 v1, vcc, 0, v1, vcc
	v_lshlrev_b32_e32 v1, 2, v1
	s_waitcnt lgkmcnt(0)
	ds_bpermute_b32 v4, v1, v2
	ds_bpermute_b32 v5, v1, v3
	v_add_u32_e32 v1, 1, v8
	v_cmp_gt_u32_e32 vcc, s6, v1
	v_or_b32_e32 v7, 8, v12
	s_waitcnt lgkmcnt(0)
	v_add_f64 v[4:5], v[2:3], v[4:5]
	v_cndmask_b32_e32 v1, v3, v5, vcc
	v_cndmask_b32_e32 v6, v2, v4, vcc
	ds_bpermute_b32 v6, v7, v6
	ds_bpermute_b32 v7, v7, v1
	s_and_saveexec_b64 s[4:5], vcc
	s_cbranch_execz .LBB11_119
; %bb.118:
	v_add_u32_e32 v1, 2, v8
	s_waitcnt lgkmcnt(0)
	v_add_f64 v[2:3], v[4:5], v[6:7]
	v_cmp_gt_u32_e32 vcc, s6, v1
	s_nop 1
	v_cndmask_b32_e32 v3, v5, v3, vcc
	v_cndmask_b32_e32 v2, v4, v2, vcc
.LBB11_119:
	s_or_b64 exec, exec, s[4:5]
.LBB11_120:
	s_or_b64 exec, exec, s[0:1]
.LBB11_121:
	v_cmp_eq_u32_e64 s[0:1], 0, v0
	s_branch .LBB11_156
.LBB11_122:
	s_cmp_gt_i32 s33, 1
	s_cbranch_scc0 .LBB11_130
; %bb.123:
	s_cmp_eq_u32 s33, 2
	s_cbranch_scc0 .LBB11_131
; %bb.124:
	s_mov_b32 s3, 0
	s_lshl_b32 s4, s2, 9
	s_mov_b32 s5, s3
	s_lshr_b64 s[6:7], s[38:39], 9
	s_lshl_b64 s[0:1], s[4:5], 3
	s_add_u32 s0, s36, s0
	s_addc_u32 s1, s37, s1
	s_cmp_lg_u64 s[6:7], s[2:3]
	s_cbranch_scc0 .LBB11_132
; %bb.125:
	v_lshlrev_b32_e32 v1, 3, v0
	global_load_dwordx2 v[2:3], v1, s[0:1]
	s_waitcnt lgkmcnt(0)
	global_load_dwordx2 v[6:7], v1, s[0:1] offset:2048
	v_mbcnt_lo_u32_b32 v1, -1, 0
	v_mbcnt_hi_u32_b32 v1, -1, v1
	v_lshlrev_b32_e32 v4, 2, v1
	v_or_b32_e32 v5, 0xfc, v4
	v_cmp_eq_u32_e32 vcc, 0, v1
	s_waitcnt vmcnt(0)
	v_add_f64 v[2:3], v[2:3], v[6:7]
	s_nop 1
	v_mov_b32_dpp v6, v2 quad_perm:[1,0,3,2] row_mask:0xf bank_mask:0xf bound_ctrl:1
	v_mov_b32_dpp v7, v3 quad_perm:[1,0,3,2] row_mask:0xf bank_mask:0xf bound_ctrl:1
	v_add_f64 v[2:3], v[2:3], v[6:7]
	s_nop 1
	v_mov_b32_dpp v6, v2 quad_perm:[2,3,0,1] row_mask:0xf bank_mask:0xf bound_ctrl:1
	v_mov_b32_dpp v7, v3 quad_perm:[2,3,0,1] row_mask:0xf bank_mask:0xf bound_ctrl:1
	v_add_f64 v[2:3], v[2:3], v[6:7]
	s_nop 1
	v_mov_b32_dpp v6, v2 row_ror:4 row_mask:0xf bank_mask:0xf bound_ctrl:1
	v_mov_b32_dpp v7, v3 row_ror:4 row_mask:0xf bank_mask:0xf bound_ctrl:1
	v_add_f64 v[2:3], v[2:3], v[6:7]
	s_nop 1
	v_mov_b32_dpp v6, v2 row_ror:8 row_mask:0xf bank_mask:0xf bound_ctrl:1
	v_mov_b32_dpp v7, v3 row_ror:8 row_mask:0xf bank_mask:0xf bound_ctrl:1
	v_add_f64 v[2:3], v[2:3], v[6:7]
	s_nop 1
	v_mov_b32_dpp v6, v2 row_bcast:15 row_mask:0xf bank_mask:0xf bound_ctrl:1
	v_mov_b32_dpp v7, v3 row_bcast:15 row_mask:0xf bank_mask:0xf bound_ctrl:1
	v_add_f64 v[2:3], v[2:3], v[6:7]
	s_nop 1
	v_mov_b32_dpp v6, v2 row_bcast:31 row_mask:0xf bank_mask:0xf bound_ctrl:1
	v_mov_b32_dpp v7, v3 row_bcast:31 row_mask:0xf bank_mask:0xf bound_ctrl:1
	v_add_f64 v[2:3], v[2:3], v[6:7]
	ds_bpermute_b32 v2, v5, v2
	ds_bpermute_b32 v3, v5, v3
	s_and_saveexec_b64 s[6:7], vcc
	s_cbranch_execz .LBB11_127
; %bb.126:
	v_lshrrev_b32_e32 v5, 3, v0
	v_and_b32_e32 v5, 24, v5
	s_waitcnt lgkmcnt(0)
	ds_write_b64 v5, v[2:3] offset:64
.LBB11_127:
	s_or_b64 exec, exec, s[6:7]
	v_cmp_gt_u32_e32 vcc, 64, v0
	s_waitcnt lgkmcnt(0)
	s_barrier
	s_and_saveexec_b64 s[6:7], vcc
	s_cbranch_execz .LBB11_129
; %bb.128:
	v_and_b32_e32 v5, 3, v1
	v_lshlrev_b32_e32 v2, 3, v5
	ds_read_b64 v[2:3], v2 offset:64
	v_cmp_ne_u32_e32 vcc, 3, v5
	s_nop 1
	v_addc_co_u32_e32 v1, vcc, 0, v1, vcc
	v_lshlrev_b32_e32 v1, 2, v1
	s_waitcnt lgkmcnt(0)
	ds_bpermute_b32 v6, v1, v2
	ds_bpermute_b32 v7, v1, v3
	v_or_b32_e32 v1, 8, v4
	s_waitcnt lgkmcnt(0)
	v_add_f64 v[2:3], v[2:3], v[6:7]
	ds_bpermute_b32 v4, v1, v2
	ds_bpermute_b32 v5, v1, v3
	s_waitcnt lgkmcnt(0)
	v_add_f64 v[2:3], v[2:3], v[4:5]
.LBB11_129:
	s_or_b64 exec, exec, s[6:7]
	s_branch .LBB11_146
.LBB11_130:
                                        ; implicit-def: $vgpr2_vgpr3
	s_cbranch_execnz .LBB11_147
	s_branch .LBB11_156
.LBB11_131:
                                        ; implicit-def: $vgpr2_vgpr3
	s_branch .LBB11_156
.LBB11_132:
                                        ; implicit-def: $vgpr2_vgpr3
	s_cbranch_execz .LBB11_146
; %bb.133:
	s_sub_i32 s6, s38, s4
	v_mov_b32_e32 v2, 0
	v_cmp_gt_u32_e32 vcc, s6, v0
	v_mov_b32_e32 v3, v2
	v_mov_b32_e32 v4, v2
	;; [unrolled: 1-line block ×3, first 2 shown]
	s_and_saveexec_b64 s[4:5], vcc
	s_cbranch_execz .LBB11_135
; %bb.134:
	v_lshlrev_b32_e32 v1, 3, v0
	global_load_dwordx2 v[4:5], v1, s[0:1]
	s_waitcnt lgkmcnt(1)
	v_mov_b32_e32 v6, v2
	s_waitcnt lgkmcnt(0)
	v_mov_b32_e32 v7, v2
	s_waitcnt vmcnt(0)
	v_mov_b64_e32 v[2:3], v[4:5]
	v_mov_b64_e32 v[4:5], v[6:7]
.LBB11_135:
	s_or_b64 exec, exec, s[4:5]
	v_or_b32_e32 v1, 0x100, v0
	v_cmp_gt_u32_e32 vcc, s6, v1
	s_and_saveexec_b64 s[4:5], vcc
	s_cbranch_execz .LBB11_137
; %bb.136:
	v_lshlrev_b32_e32 v1, 3, v0
	global_load_dwordx2 v[4:5], v1, s[0:1] offset:2048
.LBB11_137:
	s_or_b64 exec, exec, s[4:5]
	v_mbcnt_lo_u32_b32 v1, -1, 0
	v_mbcnt_hi_u32_b32 v1, -1, v1
	s_waitcnt vmcnt(0)
	v_add_f64 v[4:5], v[4:5], v[2:3]
	v_and_b32_e32 v11, 63, v1
	v_cndmask_b32_e32 v3, v3, v5, vcc
	v_cndmask_b32_e32 v2, v2, v4, vcc
	v_cmp_ne_u32_e32 vcc, 63, v11
	s_min_u32 s6, s6, 0x100
	s_waitcnt lgkmcnt(1)
	v_and_b32_e32 v6, 0xc0, v0
	v_addc_co_u32_e32 v4, vcc, 0, v1, vcc
	v_lshlrev_b32_e32 v5, 2, v4
	ds_bpermute_b32 v4, v5, v2
	ds_bpermute_b32 v5, v5, v3
	v_sub_u32_e64 v10, s6, v6 clamp
	v_add_u32_e32 v6, 1, v11
	v_cmp_gt_u32_e32 vcc, 62, v11
	v_cmp_lt_u32_e64 s[0:1], v6, v10
	s_waitcnt lgkmcnt(0)
	v_add_f64 v[4:5], v[2:3], v[4:5]
	v_cndmask_b32_e64 v6, 0, 2, vcc
	v_cndmask_b32_e64 v4, v2, v4, s[0:1]
	v_cndmask_b32_e64 v5, v3, v5, s[0:1]
	v_add_lshl_u32 v7, v6, v1, 2
	ds_bpermute_b32 v6, v7, v4
	ds_bpermute_b32 v7, v7, v5
	v_add_u32_e32 v8, 2, v11
	v_cmp_lt_u32_e32 vcc, v8, v10
	v_add_u32_e32 v8, 4, v11
	v_lshlrev_b32_e32 v12, 2, v1
	s_waitcnt lgkmcnt(0)
	v_add_f64 v[6:7], v[4:5], v[6:7]
	v_cndmask_b32_e32 v4, v4, v6, vcc
	v_cndmask_b32_e32 v5, v5, v7, vcc
	v_cmp_gt_u32_e32 vcc, 60, v11
	v_or_b32_e32 v13, 0x80, v12
	s_nop 0
	v_cndmask_b32_e64 v6, 0, 4, vcc
	v_add_lshl_u32 v7, v6, v1, 2
	ds_bpermute_b32 v6, v7, v4
	ds_bpermute_b32 v7, v7, v5
	v_cmp_lt_u32_e32 vcc, v8, v10
	v_add_u32_e32 v8, 8, v11
	s_waitcnt lgkmcnt(0)
	v_add_f64 v[6:7], v[4:5], v[6:7]
	v_cndmask_b32_e32 v4, v4, v6, vcc
	v_cndmask_b32_e32 v5, v5, v7, vcc
	v_cmp_gt_u32_e32 vcc, 56, v11
	s_nop 1
	v_cndmask_b32_e64 v6, 0, 8, vcc
	v_add_lshl_u32 v7, v6, v1, 2
	ds_bpermute_b32 v6, v7, v4
	ds_bpermute_b32 v7, v7, v5
	v_cmp_lt_u32_e32 vcc, v8, v10
	v_add_u32_e32 v8, 16, v11
	s_waitcnt lgkmcnt(0)
	v_add_f64 v[6:7], v[4:5], v[6:7]
	v_cndmask_b32_e32 v4, v4, v6, vcc
	v_cndmask_b32_e32 v5, v5, v7, vcc
	v_cmp_gt_u32_e32 vcc, 48, v11
	s_nop 1
	v_cndmask_b32_e64 v6, 0, 16, vcc
	v_add_lshl_u32 v7, v6, v1, 2
	ds_bpermute_b32 v6, v7, v4
	ds_bpermute_b32 v7, v7, v5
	v_cmp_lt_u32_e32 vcc, v8, v10
	s_waitcnt lgkmcnt(0)
	v_add_f64 v[6:7], v[4:5], v[6:7]
	v_cndmask_b32_e32 v9, v5, v7, vcc
	v_cndmask_b32_e32 v8, v4, v6, vcc
	ds_bpermute_b32 v8, v13, v8
	ds_bpermute_b32 v9, v13, v9
	s_and_saveexec_b64 s[4:5], s[0:1]
	s_cbranch_execz .LBB11_139
; %bb.138:
	v_add_u32_e32 v11, 32, v11
	v_cndmask_b32_e32 v3, v5, v7, vcc
	v_cndmask_b32_e32 v2, v4, v6, vcc
	s_waitcnt lgkmcnt(0)
	v_add_f64 v[4:5], v[2:3], v[8:9]
	v_cmp_lt_u32_e32 vcc, v11, v10
	s_nop 1
	v_cndmask_b32_e32 v3, v3, v5, vcc
	v_cndmask_b32_e32 v2, v2, v4, vcc
.LBB11_139:
	s_or_b64 exec, exec, s[4:5]
	v_cmp_eq_u32_e32 vcc, 0, v1
	s_and_saveexec_b64 s[0:1], vcc
; %bb.140:
	v_lshrrev_b32_e32 v4, 3, v0
	v_and_b32_e32 v4, 24, v4
	ds_write_b64 v4, v[2:3] offset:160
; %bb.141:
	s_or_b64 exec, exec, s[0:1]
	v_cmp_gt_u32_e32 vcc, 4, v0
	s_waitcnt lgkmcnt(0)
	s_barrier
	s_and_saveexec_b64 s[0:1], vcc
	s_cbranch_execz .LBB11_145
; %bb.142:
	v_lshlrev_b32_e32 v2, 3, v1
	ds_read_b64 v[2:3], v2 offset:160
	v_and_b32_e32 v8, 3, v1
	v_cmp_ne_u32_e32 vcc, 3, v8
	s_add_i32 s6, s6, 63
	s_lshr_b32 s6, s6, 6
	v_addc_co_u32_e32 v1, vcc, 0, v1, vcc
	v_lshlrev_b32_e32 v1, 2, v1
	s_waitcnt lgkmcnt(0)
	ds_bpermute_b32 v4, v1, v2
	ds_bpermute_b32 v5, v1, v3
	v_add_u32_e32 v1, 1, v8
	v_cmp_gt_u32_e32 vcc, s6, v1
	v_or_b32_e32 v7, 8, v12
	s_waitcnt lgkmcnt(0)
	v_add_f64 v[4:5], v[2:3], v[4:5]
	v_cndmask_b32_e32 v1, v3, v5, vcc
	v_cndmask_b32_e32 v6, v2, v4, vcc
	ds_bpermute_b32 v6, v7, v6
	ds_bpermute_b32 v7, v7, v1
	s_and_saveexec_b64 s[4:5], vcc
	s_cbranch_execz .LBB11_144
; %bb.143:
	v_add_u32_e32 v1, 2, v8
	s_waitcnt lgkmcnt(0)
	v_add_f64 v[2:3], v[4:5], v[6:7]
	v_cmp_gt_u32_e32 vcc, s6, v1
	s_nop 1
	v_cndmask_b32_e32 v3, v5, v3, vcc
	v_cndmask_b32_e32 v2, v4, v2, vcc
.LBB11_144:
	s_or_b64 exec, exec, s[4:5]
.LBB11_145:
	s_or_b64 exec, exec, s[0:1]
.LBB11_146:
	v_cmp_eq_u32_e64 s[0:1], 0, v0
	s_branch .LBB11_156
.LBB11_147:
	s_cmp_eq_u32 s33, 1
	s_cbranch_scc0 .LBB11_155
; %bb.148:
	s_mov_b32 s1, 0
	s_lshl_b32 s0, s2, 8
	s_mov_b32 s3, s1
	s_lshr_b64 s[4:5], s[38:39], 8
	s_cmp_lg_u64 s[4:5], s[2:3]
	v_mbcnt_lo_u32_b32 v1, -1, 0
	s_cbranch_scc0 .LBB11_159
; %bb.149:
	s_lshl_b64 s[4:5], s[0:1], 3
	s_add_u32 s4, s36, s4
	s_addc_u32 s5, s37, s5
	v_lshlrev_b32_e32 v2, 3, v0
	global_load_dwordx2 v[2:3], v2, s[4:5]
	v_mbcnt_hi_u32_b32 v4, -1, v1
	v_lshlrev_b32_e32 v5, 2, v4
	v_or_b32_e32 v8, 0xfc, v5
	v_cmp_eq_u32_e32 vcc, 0, v4
	s_waitcnt vmcnt(0) lgkmcnt(1)
	v_mov_b32_dpp v6, v2 quad_perm:[1,0,3,2] row_mask:0xf bank_mask:0xf bound_ctrl:1
	s_waitcnt lgkmcnt(0)
	v_mov_b32_dpp v7, v3 quad_perm:[1,0,3,2] row_mask:0xf bank_mask:0xf bound_ctrl:1
	v_add_f64 v[2:3], v[2:3], v[6:7]
	s_nop 1
	v_mov_b32_dpp v6, v2 quad_perm:[2,3,0,1] row_mask:0xf bank_mask:0xf bound_ctrl:1
	v_mov_b32_dpp v7, v3 quad_perm:[2,3,0,1] row_mask:0xf bank_mask:0xf bound_ctrl:1
	v_add_f64 v[2:3], v[2:3], v[6:7]
	s_nop 1
	v_mov_b32_dpp v6, v2 row_ror:4 row_mask:0xf bank_mask:0xf bound_ctrl:1
	v_mov_b32_dpp v7, v3 row_ror:4 row_mask:0xf bank_mask:0xf bound_ctrl:1
	v_add_f64 v[2:3], v[2:3], v[6:7]
	s_nop 1
	v_mov_b32_dpp v6, v2 row_ror:8 row_mask:0xf bank_mask:0xf bound_ctrl:1
	v_mov_b32_dpp v7, v3 row_ror:8 row_mask:0xf bank_mask:0xf bound_ctrl:1
	v_add_f64 v[2:3], v[2:3], v[6:7]
	s_nop 1
	v_mov_b32_dpp v6, v2 row_bcast:15 row_mask:0xf bank_mask:0xf bound_ctrl:1
	v_mov_b32_dpp v7, v3 row_bcast:15 row_mask:0xf bank_mask:0xf bound_ctrl:1
	v_add_f64 v[2:3], v[2:3], v[6:7]
	s_nop 1
	v_mov_b32_dpp v6, v2 row_bcast:31 row_mask:0xf bank_mask:0xf bound_ctrl:1
	v_mov_b32_dpp v7, v3 row_bcast:31 row_mask:0xf bank_mask:0xf bound_ctrl:1
	v_add_f64 v[2:3], v[2:3], v[6:7]
	ds_bpermute_b32 v2, v8, v2
	ds_bpermute_b32 v3, v8, v3
	s_and_saveexec_b64 s[4:5], vcc
	s_cbranch_execz .LBB11_151
; %bb.150:
	v_lshrrev_b32_e32 v6, 3, v0
	v_and_b32_e32 v6, 24, v6
	s_waitcnt lgkmcnt(0)
	ds_write_b64 v6, v[2:3] offset:32
.LBB11_151:
	s_or_b64 exec, exec, s[4:5]
	v_cmp_gt_u32_e32 vcc, 64, v0
	s_waitcnt lgkmcnt(0)
	s_barrier
	s_and_saveexec_b64 s[4:5], vcc
	s_cbranch_execz .LBB11_153
; %bb.152:
	v_and_b32_e32 v6, 3, v4
	v_lshlrev_b32_e32 v2, 3, v6
	ds_read_b64 v[2:3], v2 offset:32
	v_cmp_ne_u32_e32 vcc, 3, v6
	v_or_b32_e32 v5, 8, v5
	s_nop 0
	v_addc_co_u32_e32 v4, vcc, 0, v4, vcc
	v_lshlrev_b32_e32 v4, 2, v4
	s_waitcnt lgkmcnt(0)
	ds_bpermute_b32 v6, v4, v2
	ds_bpermute_b32 v7, v4, v3
	s_waitcnt lgkmcnt(0)
	v_add_f64 v[2:3], v[2:3], v[6:7]
	ds_bpermute_b32 v4, v5, v2
	ds_bpermute_b32 v5, v5, v3
	s_waitcnt lgkmcnt(0)
	v_add_f64 v[2:3], v[2:3], v[4:5]
.LBB11_153:
	s_or_b64 exec, exec, s[4:5]
.LBB11_154:
	v_cmp_eq_u32_e64 s[0:1], 0, v0
	s_and_saveexec_b64 s[4:5], s[0:1]
	s_cbranch_execnz .LBB11_157
	s_branch .LBB11_158
.LBB11_155:
                                        ; implicit-def: $vgpr2_vgpr3
                                        ; implicit-def: $sgpr2_sgpr3
.LBB11_156:
	s_and_saveexec_b64 s[4:5], s[0:1]
	s_cbranch_execz .LBB11_158
.LBB11_157:
	s_lshl_b64 s[0:1], s[2:3], 3
	s_add_u32 s0, s40, s0
	s_addc_u32 s1, s41, s1
	s_cmp_eq_u64 s[38:39], 0
	v_add_f64 v[0:1], s[42:43], v[2:3]
	v_mov_b32_e32 v2, s43
	s_cselect_b64 vcc, -1, 0
	v_cndmask_b32_e32 v1, v1, v2, vcc
	v_mov_b32_e32 v2, s42
	v_mov_b32_e32 v4, 0
	v_cndmask_b32_e32 v0, v0, v2, vcc
	global_store_dwordx2 v4, v[0:1], s[0:1]
.LBB11_158:
	s_endpgm
.LBB11_159:
                                        ; implicit-def: $vgpr2_vgpr3
	s_cbranch_execz .LBB11_154
; %bb.160:
	s_sub_i32 s6, s38, s0
	v_cmp_gt_u32_e32 vcc, s6, v0
                                        ; implicit-def: $vgpr2_vgpr3
	s_and_saveexec_b64 s[4:5], vcc
	s_cbranch_execz .LBB11_162
; %bb.161:
	s_lshl_b64 s[0:1], s[0:1], 3
	s_add_u32 s0, s36, s0
	s_addc_u32 s1, s37, s1
	v_lshlrev_b32_e32 v2, 3, v0
	global_load_dwordx2 v[2:3], v2, s[0:1]
.LBB11_162:
	s_or_b64 exec, exec, s[4:5]
	v_mbcnt_hi_u32_b32 v1, -1, v1
	v_and_b32_e32 v11, 63, v1
	v_cmp_ne_u32_e32 vcc, 63, v11
	s_min_u32 s6, s6, 0x100
	s_waitcnt lgkmcnt(1)
	v_and_b32_e32 v6, 0xc0, v0
	v_addc_co_u32_e32 v4, vcc, 0, v1, vcc
	v_lshlrev_b32_e32 v5, 2, v4
	s_waitcnt vmcnt(0)
	ds_bpermute_b32 v4, v5, v2
	ds_bpermute_b32 v5, v5, v3
	v_sub_u32_e64 v10, s6, v6 clamp
	v_add_u32_e32 v6, 1, v11
	v_cmp_gt_u32_e32 vcc, 62, v11
	v_cmp_lt_u32_e64 s[0:1], v6, v10
	s_waitcnt lgkmcnt(0)
	v_add_f64 v[4:5], v[2:3], v[4:5]
	v_cndmask_b32_e64 v6, 0, 2, vcc
	v_cndmask_b32_e64 v4, v2, v4, s[0:1]
	v_cndmask_b32_e64 v5, v3, v5, s[0:1]
	v_add_lshl_u32 v7, v6, v1, 2
	ds_bpermute_b32 v6, v7, v4
	ds_bpermute_b32 v7, v7, v5
	v_add_u32_e32 v8, 2, v11
	v_cmp_lt_u32_e32 vcc, v8, v10
	v_add_u32_e32 v8, 4, v11
	v_lshlrev_b32_e32 v12, 2, v1
	s_waitcnt lgkmcnt(0)
	v_add_f64 v[6:7], v[4:5], v[6:7]
	v_cndmask_b32_e32 v4, v4, v6, vcc
	v_cndmask_b32_e32 v5, v5, v7, vcc
	v_cmp_gt_u32_e32 vcc, 60, v11
	v_or_b32_e32 v13, 0x80, v12
	s_nop 0
	v_cndmask_b32_e64 v6, 0, 4, vcc
	v_add_lshl_u32 v7, v6, v1, 2
	ds_bpermute_b32 v6, v7, v4
	ds_bpermute_b32 v7, v7, v5
	v_cmp_lt_u32_e32 vcc, v8, v10
	v_add_u32_e32 v8, 8, v11
	s_waitcnt lgkmcnt(0)
	v_add_f64 v[6:7], v[4:5], v[6:7]
	v_cndmask_b32_e32 v4, v4, v6, vcc
	v_cndmask_b32_e32 v5, v5, v7, vcc
	v_cmp_gt_u32_e32 vcc, 56, v11
	s_nop 1
	v_cndmask_b32_e64 v6, 0, 8, vcc
	v_add_lshl_u32 v7, v6, v1, 2
	ds_bpermute_b32 v6, v7, v4
	ds_bpermute_b32 v7, v7, v5
	v_cmp_lt_u32_e32 vcc, v8, v10
	v_add_u32_e32 v8, 16, v11
	s_waitcnt lgkmcnt(0)
	v_add_f64 v[6:7], v[4:5], v[6:7]
	v_cndmask_b32_e32 v4, v4, v6, vcc
	v_cndmask_b32_e32 v5, v5, v7, vcc
	v_cmp_gt_u32_e32 vcc, 48, v11
	s_nop 1
	v_cndmask_b32_e64 v6, 0, 16, vcc
	v_add_lshl_u32 v7, v6, v1, 2
	ds_bpermute_b32 v6, v7, v4
	ds_bpermute_b32 v7, v7, v5
	v_cmp_lt_u32_e32 vcc, v8, v10
	s_waitcnt lgkmcnt(0)
	v_add_f64 v[6:7], v[4:5], v[6:7]
	v_cndmask_b32_e32 v9, v5, v7, vcc
	v_cndmask_b32_e32 v8, v4, v6, vcc
	ds_bpermute_b32 v8, v13, v8
	ds_bpermute_b32 v9, v13, v9
	s_and_saveexec_b64 s[4:5], s[0:1]
	s_cbranch_execz .LBB11_164
; %bb.163:
	v_add_u32_e32 v11, 32, v11
	v_cndmask_b32_e32 v3, v5, v7, vcc
	v_cndmask_b32_e32 v2, v4, v6, vcc
	s_waitcnt lgkmcnt(0)
	v_add_f64 v[4:5], v[2:3], v[8:9]
	v_cmp_lt_u32_e32 vcc, v11, v10
	s_nop 1
	v_cndmask_b32_e32 v3, v3, v5, vcc
	v_cndmask_b32_e32 v2, v2, v4, vcc
.LBB11_164:
	s_or_b64 exec, exec, s[4:5]
	v_cmp_eq_u32_e32 vcc, 0, v1
	s_and_saveexec_b64 s[0:1], vcc
; %bb.165:
	v_lshrrev_b32_e32 v4, 3, v0
	v_and_b32_e32 v4, 24, v4
	ds_write_b64 v4, v[2:3] offset:160
; %bb.166:
	s_or_b64 exec, exec, s[0:1]
	v_cmp_gt_u32_e32 vcc, 4, v0
	s_waitcnt lgkmcnt(0)
	s_barrier
	s_and_saveexec_b64 s[0:1], vcc
	s_cbranch_execz .LBB11_170
; %bb.167:
	v_lshlrev_b32_e32 v2, 3, v1
	ds_read_b64 v[2:3], v2 offset:160
	v_and_b32_e32 v8, 3, v1
	v_cmp_ne_u32_e32 vcc, 3, v8
	s_add_i32 s6, s6, 63
	s_lshr_b32 s6, s6, 6
	v_addc_co_u32_e32 v1, vcc, 0, v1, vcc
	v_lshlrev_b32_e32 v1, 2, v1
	s_waitcnt lgkmcnt(0)
	ds_bpermute_b32 v4, v1, v2
	ds_bpermute_b32 v5, v1, v3
	v_add_u32_e32 v1, 1, v8
	v_cmp_gt_u32_e32 vcc, s6, v1
	v_or_b32_e32 v7, 8, v12
	s_waitcnt lgkmcnt(0)
	v_add_f64 v[4:5], v[2:3], v[4:5]
	v_cndmask_b32_e32 v1, v3, v5, vcc
	v_cndmask_b32_e32 v6, v2, v4, vcc
	ds_bpermute_b32 v6, v7, v6
	ds_bpermute_b32 v7, v7, v1
	s_and_saveexec_b64 s[4:5], vcc
	s_cbranch_execz .LBB11_169
; %bb.168:
	v_add_u32_e32 v1, 2, v8
	s_waitcnt lgkmcnt(0)
	v_add_f64 v[2:3], v[4:5], v[6:7]
	v_cmp_gt_u32_e32 vcc, s6, v1
	s_nop 1
	v_cndmask_b32_e32 v3, v5, v3, vcc
	v_cndmask_b32_e32 v2, v4, v2, vcc
.LBB11_169:
	s_or_b64 exec, exec, s[4:5]
.LBB11_170:
	s_or_b64 exec, exec, s[0:1]
	v_cmp_eq_u32_e64 s[0:1], 0, v0
	s_and_saveexec_b64 s[4:5], s[0:1]
	s_cbranch_execnz .LBB11_157
	s_branch .LBB11_158
	.section	.rodata,"a",@progbits
	.p2align	6, 0x0
	.amdhsa_kernel _ZN7rocprim17ROCPRIM_400000_NS6detail17trampoline_kernelINS0_14default_configENS1_22reduce_config_selectorIdEEZNS1_11reduce_implILb1ES3_PdS7_dN6thrust23THRUST_200600_302600_NS4plusIdEEEE10hipError_tPvRmT1_T2_T3_mT4_P12ihipStream_tbEUlT_E1_NS1_11comp_targetILNS1_3genE0ELNS1_11target_archE4294967295ELNS1_3gpuE0ELNS1_3repE0EEENS1_30default_config_static_selectorELNS0_4arch9wavefront6targetE1EEEvSF_
		.amdhsa_group_segment_fixed_size 192
		.amdhsa_private_segment_fixed_size 0
		.amdhsa_kernarg_size 48
		.amdhsa_user_sgpr_count 2
		.amdhsa_user_sgpr_dispatch_ptr 0
		.amdhsa_user_sgpr_queue_ptr 0
		.amdhsa_user_sgpr_kernarg_segment_ptr 1
		.amdhsa_user_sgpr_dispatch_id 0
		.amdhsa_user_sgpr_kernarg_preload_length 0
		.amdhsa_user_sgpr_kernarg_preload_offset 0
		.amdhsa_user_sgpr_private_segment_size 0
		.amdhsa_uses_dynamic_stack 0
		.amdhsa_enable_private_segment 0
		.amdhsa_system_sgpr_workgroup_id_x 1
		.amdhsa_system_sgpr_workgroup_id_y 0
		.amdhsa_system_sgpr_workgroup_id_z 0
		.amdhsa_system_sgpr_workgroup_info 0
		.amdhsa_system_vgpr_workitem_id 0
		.amdhsa_next_free_vgpr 38
		.amdhsa_next_free_sgpr 47
		.amdhsa_accum_offset 40
		.amdhsa_reserve_vcc 1
		.amdhsa_float_round_mode_32 0
		.amdhsa_float_round_mode_16_64 0
		.amdhsa_float_denorm_mode_32 3
		.amdhsa_float_denorm_mode_16_64 3
		.amdhsa_dx10_clamp 1
		.amdhsa_ieee_mode 1
		.amdhsa_fp16_overflow 0
		.amdhsa_tg_split 0
		.amdhsa_exception_fp_ieee_invalid_op 0
		.amdhsa_exception_fp_denorm_src 0
		.amdhsa_exception_fp_ieee_div_zero 0
		.amdhsa_exception_fp_ieee_overflow 0
		.amdhsa_exception_fp_ieee_underflow 0
		.amdhsa_exception_fp_ieee_inexact 0
		.amdhsa_exception_int_div_zero 0
	.end_amdhsa_kernel
	.section	.text._ZN7rocprim17ROCPRIM_400000_NS6detail17trampoline_kernelINS0_14default_configENS1_22reduce_config_selectorIdEEZNS1_11reduce_implILb1ES3_PdS7_dN6thrust23THRUST_200600_302600_NS4plusIdEEEE10hipError_tPvRmT1_T2_T3_mT4_P12ihipStream_tbEUlT_E1_NS1_11comp_targetILNS1_3genE0ELNS1_11target_archE4294967295ELNS1_3gpuE0ELNS1_3repE0EEENS1_30default_config_static_selectorELNS0_4arch9wavefront6targetE1EEEvSF_,"axG",@progbits,_ZN7rocprim17ROCPRIM_400000_NS6detail17trampoline_kernelINS0_14default_configENS1_22reduce_config_selectorIdEEZNS1_11reduce_implILb1ES3_PdS7_dN6thrust23THRUST_200600_302600_NS4plusIdEEEE10hipError_tPvRmT1_T2_T3_mT4_P12ihipStream_tbEUlT_E1_NS1_11comp_targetILNS1_3genE0ELNS1_11target_archE4294967295ELNS1_3gpuE0ELNS1_3repE0EEENS1_30default_config_static_selectorELNS0_4arch9wavefront6targetE1EEEvSF_,comdat
.Lfunc_end11:
	.size	_ZN7rocprim17ROCPRIM_400000_NS6detail17trampoline_kernelINS0_14default_configENS1_22reduce_config_selectorIdEEZNS1_11reduce_implILb1ES3_PdS7_dN6thrust23THRUST_200600_302600_NS4plusIdEEEE10hipError_tPvRmT1_T2_T3_mT4_P12ihipStream_tbEUlT_E1_NS1_11comp_targetILNS1_3genE0ELNS1_11target_archE4294967295ELNS1_3gpuE0ELNS1_3repE0EEENS1_30default_config_static_selectorELNS0_4arch9wavefront6targetE1EEEvSF_, .Lfunc_end11-_ZN7rocprim17ROCPRIM_400000_NS6detail17trampoline_kernelINS0_14default_configENS1_22reduce_config_selectorIdEEZNS1_11reduce_implILb1ES3_PdS7_dN6thrust23THRUST_200600_302600_NS4plusIdEEEE10hipError_tPvRmT1_T2_T3_mT4_P12ihipStream_tbEUlT_E1_NS1_11comp_targetILNS1_3genE0ELNS1_11target_archE4294967295ELNS1_3gpuE0ELNS1_3repE0EEENS1_30default_config_static_selectorELNS0_4arch9wavefront6targetE1EEEvSF_
                                        ; -- End function
	.set _ZN7rocprim17ROCPRIM_400000_NS6detail17trampoline_kernelINS0_14default_configENS1_22reduce_config_selectorIdEEZNS1_11reduce_implILb1ES3_PdS7_dN6thrust23THRUST_200600_302600_NS4plusIdEEEE10hipError_tPvRmT1_T2_T3_mT4_P12ihipStream_tbEUlT_E1_NS1_11comp_targetILNS1_3genE0ELNS1_11target_archE4294967295ELNS1_3gpuE0ELNS1_3repE0EEENS1_30default_config_static_selectorELNS0_4arch9wavefront6targetE1EEEvSF_.num_vgpr, 38
	.set _ZN7rocprim17ROCPRIM_400000_NS6detail17trampoline_kernelINS0_14default_configENS1_22reduce_config_selectorIdEEZNS1_11reduce_implILb1ES3_PdS7_dN6thrust23THRUST_200600_302600_NS4plusIdEEEE10hipError_tPvRmT1_T2_T3_mT4_P12ihipStream_tbEUlT_E1_NS1_11comp_targetILNS1_3genE0ELNS1_11target_archE4294967295ELNS1_3gpuE0ELNS1_3repE0EEENS1_30default_config_static_selectorELNS0_4arch9wavefront6targetE1EEEvSF_.num_agpr, 0
	.set _ZN7rocprim17ROCPRIM_400000_NS6detail17trampoline_kernelINS0_14default_configENS1_22reduce_config_selectorIdEEZNS1_11reduce_implILb1ES3_PdS7_dN6thrust23THRUST_200600_302600_NS4plusIdEEEE10hipError_tPvRmT1_T2_T3_mT4_P12ihipStream_tbEUlT_E1_NS1_11comp_targetILNS1_3genE0ELNS1_11target_archE4294967295ELNS1_3gpuE0ELNS1_3repE0EEENS1_30default_config_static_selectorELNS0_4arch9wavefront6targetE1EEEvSF_.numbered_sgpr, 47
	.set _ZN7rocprim17ROCPRIM_400000_NS6detail17trampoline_kernelINS0_14default_configENS1_22reduce_config_selectorIdEEZNS1_11reduce_implILb1ES3_PdS7_dN6thrust23THRUST_200600_302600_NS4plusIdEEEE10hipError_tPvRmT1_T2_T3_mT4_P12ihipStream_tbEUlT_E1_NS1_11comp_targetILNS1_3genE0ELNS1_11target_archE4294967295ELNS1_3gpuE0ELNS1_3repE0EEENS1_30default_config_static_selectorELNS0_4arch9wavefront6targetE1EEEvSF_.num_named_barrier, 0
	.set _ZN7rocprim17ROCPRIM_400000_NS6detail17trampoline_kernelINS0_14default_configENS1_22reduce_config_selectorIdEEZNS1_11reduce_implILb1ES3_PdS7_dN6thrust23THRUST_200600_302600_NS4plusIdEEEE10hipError_tPvRmT1_T2_T3_mT4_P12ihipStream_tbEUlT_E1_NS1_11comp_targetILNS1_3genE0ELNS1_11target_archE4294967295ELNS1_3gpuE0ELNS1_3repE0EEENS1_30default_config_static_selectorELNS0_4arch9wavefront6targetE1EEEvSF_.private_seg_size, 0
	.set _ZN7rocprim17ROCPRIM_400000_NS6detail17trampoline_kernelINS0_14default_configENS1_22reduce_config_selectorIdEEZNS1_11reduce_implILb1ES3_PdS7_dN6thrust23THRUST_200600_302600_NS4plusIdEEEE10hipError_tPvRmT1_T2_T3_mT4_P12ihipStream_tbEUlT_E1_NS1_11comp_targetILNS1_3genE0ELNS1_11target_archE4294967295ELNS1_3gpuE0ELNS1_3repE0EEENS1_30default_config_static_selectorELNS0_4arch9wavefront6targetE1EEEvSF_.uses_vcc, 1
	.set _ZN7rocprim17ROCPRIM_400000_NS6detail17trampoline_kernelINS0_14default_configENS1_22reduce_config_selectorIdEEZNS1_11reduce_implILb1ES3_PdS7_dN6thrust23THRUST_200600_302600_NS4plusIdEEEE10hipError_tPvRmT1_T2_T3_mT4_P12ihipStream_tbEUlT_E1_NS1_11comp_targetILNS1_3genE0ELNS1_11target_archE4294967295ELNS1_3gpuE0ELNS1_3repE0EEENS1_30default_config_static_selectorELNS0_4arch9wavefront6targetE1EEEvSF_.uses_flat_scratch, 0
	.set _ZN7rocprim17ROCPRIM_400000_NS6detail17trampoline_kernelINS0_14default_configENS1_22reduce_config_selectorIdEEZNS1_11reduce_implILb1ES3_PdS7_dN6thrust23THRUST_200600_302600_NS4plusIdEEEE10hipError_tPvRmT1_T2_T3_mT4_P12ihipStream_tbEUlT_E1_NS1_11comp_targetILNS1_3genE0ELNS1_11target_archE4294967295ELNS1_3gpuE0ELNS1_3repE0EEENS1_30default_config_static_selectorELNS0_4arch9wavefront6targetE1EEEvSF_.has_dyn_sized_stack, 0
	.set _ZN7rocprim17ROCPRIM_400000_NS6detail17trampoline_kernelINS0_14default_configENS1_22reduce_config_selectorIdEEZNS1_11reduce_implILb1ES3_PdS7_dN6thrust23THRUST_200600_302600_NS4plusIdEEEE10hipError_tPvRmT1_T2_T3_mT4_P12ihipStream_tbEUlT_E1_NS1_11comp_targetILNS1_3genE0ELNS1_11target_archE4294967295ELNS1_3gpuE0ELNS1_3repE0EEENS1_30default_config_static_selectorELNS0_4arch9wavefront6targetE1EEEvSF_.has_recursion, 0
	.set _ZN7rocprim17ROCPRIM_400000_NS6detail17trampoline_kernelINS0_14default_configENS1_22reduce_config_selectorIdEEZNS1_11reduce_implILb1ES3_PdS7_dN6thrust23THRUST_200600_302600_NS4plusIdEEEE10hipError_tPvRmT1_T2_T3_mT4_P12ihipStream_tbEUlT_E1_NS1_11comp_targetILNS1_3genE0ELNS1_11target_archE4294967295ELNS1_3gpuE0ELNS1_3repE0EEENS1_30default_config_static_selectorELNS0_4arch9wavefront6targetE1EEEvSF_.has_indirect_call, 0
	.section	.AMDGPU.csdata,"",@progbits
; Kernel info:
; codeLenInByte = 8928
; TotalNumSgprs: 53
; NumVgprs: 38
; NumAgprs: 0
; TotalNumVgprs: 38
; ScratchSize: 0
; MemoryBound: 0
; FloatMode: 240
; IeeeMode: 1
; LDSByteSize: 192 bytes/workgroup (compile time only)
; SGPRBlocks: 6
; VGPRBlocks: 4
; NumSGPRsForWavesPerEU: 53
; NumVGPRsForWavesPerEU: 38
; AccumOffset: 40
; Occupancy: 8
; WaveLimiterHint : 1
; COMPUTE_PGM_RSRC2:SCRATCH_EN: 0
; COMPUTE_PGM_RSRC2:USER_SGPR: 2
; COMPUTE_PGM_RSRC2:TRAP_HANDLER: 0
; COMPUTE_PGM_RSRC2:TGID_X_EN: 1
; COMPUTE_PGM_RSRC2:TGID_Y_EN: 0
; COMPUTE_PGM_RSRC2:TGID_Z_EN: 0
; COMPUTE_PGM_RSRC2:TIDIG_COMP_CNT: 0
; COMPUTE_PGM_RSRC3_GFX90A:ACCUM_OFFSET: 9
; COMPUTE_PGM_RSRC3_GFX90A:TG_SPLIT: 0
	.section	.text._ZN7rocprim17ROCPRIM_400000_NS6detail17trampoline_kernelINS0_14default_configENS1_22reduce_config_selectorIdEEZNS1_11reduce_implILb1ES3_PdS7_dN6thrust23THRUST_200600_302600_NS4plusIdEEEE10hipError_tPvRmT1_T2_T3_mT4_P12ihipStream_tbEUlT_E1_NS1_11comp_targetILNS1_3genE5ELNS1_11target_archE942ELNS1_3gpuE9ELNS1_3repE0EEENS1_30default_config_static_selectorELNS0_4arch9wavefront6targetE1EEEvSF_,"axG",@progbits,_ZN7rocprim17ROCPRIM_400000_NS6detail17trampoline_kernelINS0_14default_configENS1_22reduce_config_selectorIdEEZNS1_11reduce_implILb1ES3_PdS7_dN6thrust23THRUST_200600_302600_NS4plusIdEEEE10hipError_tPvRmT1_T2_T3_mT4_P12ihipStream_tbEUlT_E1_NS1_11comp_targetILNS1_3genE5ELNS1_11target_archE942ELNS1_3gpuE9ELNS1_3repE0EEENS1_30default_config_static_selectorELNS0_4arch9wavefront6targetE1EEEvSF_,comdat
	.protected	_ZN7rocprim17ROCPRIM_400000_NS6detail17trampoline_kernelINS0_14default_configENS1_22reduce_config_selectorIdEEZNS1_11reduce_implILb1ES3_PdS7_dN6thrust23THRUST_200600_302600_NS4plusIdEEEE10hipError_tPvRmT1_T2_T3_mT4_P12ihipStream_tbEUlT_E1_NS1_11comp_targetILNS1_3genE5ELNS1_11target_archE942ELNS1_3gpuE9ELNS1_3repE0EEENS1_30default_config_static_selectorELNS0_4arch9wavefront6targetE1EEEvSF_ ; -- Begin function _ZN7rocprim17ROCPRIM_400000_NS6detail17trampoline_kernelINS0_14default_configENS1_22reduce_config_selectorIdEEZNS1_11reduce_implILb1ES3_PdS7_dN6thrust23THRUST_200600_302600_NS4plusIdEEEE10hipError_tPvRmT1_T2_T3_mT4_P12ihipStream_tbEUlT_E1_NS1_11comp_targetILNS1_3genE5ELNS1_11target_archE942ELNS1_3gpuE9ELNS1_3repE0EEENS1_30default_config_static_selectorELNS0_4arch9wavefront6targetE1EEEvSF_
	.globl	_ZN7rocprim17ROCPRIM_400000_NS6detail17trampoline_kernelINS0_14default_configENS1_22reduce_config_selectorIdEEZNS1_11reduce_implILb1ES3_PdS7_dN6thrust23THRUST_200600_302600_NS4plusIdEEEE10hipError_tPvRmT1_T2_T3_mT4_P12ihipStream_tbEUlT_E1_NS1_11comp_targetILNS1_3genE5ELNS1_11target_archE942ELNS1_3gpuE9ELNS1_3repE0EEENS1_30default_config_static_selectorELNS0_4arch9wavefront6targetE1EEEvSF_
	.p2align	8
	.type	_ZN7rocprim17ROCPRIM_400000_NS6detail17trampoline_kernelINS0_14default_configENS1_22reduce_config_selectorIdEEZNS1_11reduce_implILb1ES3_PdS7_dN6thrust23THRUST_200600_302600_NS4plusIdEEEE10hipError_tPvRmT1_T2_T3_mT4_P12ihipStream_tbEUlT_E1_NS1_11comp_targetILNS1_3genE5ELNS1_11target_archE942ELNS1_3gpuE9ELNS1_3repE0EEENS1_30default_config_static_selectorELNS0_4arch9wavefront6targetE1EEEvSF_,@function
_ZN7rocprim17ROCPRIM_400000_NS6detail17trampoline_kernelINS0_14default_configENS1_22reduce_config_selectorIdEEZNS1_11reduce_implILb1ES3_PdS7_dN6thrust23THRUST_200600_302600_NS4plusIdEEEE10hipError_tPvRmT1_T2_T3_mT4_P12ihipStream_tbEUlT_E1_NS1_11comp_targetILNS1_3genE5ELNS1_11target_archE942ELNS1_3gpuE9ELNS1_3repE0EEENS1_30default_config_static_selectorELNS0_4arch9wavefront6targetE1EEEvSF_: ; @_ZN7rocprim17ROCPRIM_400000_NS6detail17trampoline_kernelINS0_14default_configENS1_22reduce_config_selectorIdEEZNS1_11reduce_implILb1ES3_PdS7_dN6thrust23THRUST_200600_302600_NS4plusIdEEEE10hipError_tPvRmT1_T2_T3_mT4_P12ihipStream_tbEUlT_E1_NS1_11comp_targetILNS1_3genE5ELNS1_11target_archE942ELNS1_3gpuE9ELNS1_3repE0EEENS1_30default_config_static_selectorELNS0_4arch9wavefront6targetE1EEEvSF_
; %bb.0:
	.section	.rodata,"a",@progbits
	.p2align	6, 0x0
	.amdhsa_kernel _ZN7rocprim17ROCPRIM_400000_NS6detail17trampoline_kernelINS0_14default_configENS1_22reduce_config_selectorIdEEZNS1_11reduce_implILb1ES3_PdS7_dN6thrust23THRUST_200600_302600_NS4plusIdEEEE10hipError_tPvRmT1_T2_T3_mT4_P12ihipStream_tbEUlT_E1_NS1_11comp_targetILNS1_3genE5ELNS1_11target_archE942ELNS1_3gpuE9ELNS1_3repE0EEENS1_30default_config_static_selectorELNS0_4arch9wavefront6targetE1EEEvSF_
		.amdhsa_group_segment_fixed_size 0
		.amdhsa_private_segment_fixed_size 0
		.amdhsa_kernarg_size 48
		.amdhsa_user_sgpr_count 2
		.amdhsa_user_sgpr_dispatch_ptr 0
		.amdhsa_user_sgpr_queue_ptr 0
		.amdhsa_user_sgpr_kernarg_segment_ptr 1
		.amdhsa_user_sgpr_dispatch_id 0
		.amdhsa_user_sgpr_kernarg_preload_length 0
		.amdhsa_user_sgpr_kernarg_preload_offset 0
		.amdhsa_user_sgpr_private_segment_size 0
		.amdhsa_uses_dynamic_stack 0
		.amdhsa_enable_private_segment 0
		.amdhsa_system_sgpr_workgroup_id_x 1
		.amdhsa_system_sgpr_workgroup_id_y 0
		.amdhsa_system_sgpr_workgroup_id_z 0
		.amdhsa_system_sgpr_workgroup_info 0
		.amdhsa_system_vgpr_workitem_id 0
		.amdhsa_next_free_vgpr 1
		.amdhsa_next_free_sgpr 0
		.amdhsa_accum_offset 4
		.amdhsa_reserve_vcc 0
		.amdhsa_float_round_mode_32 0
		.amdhsa_float_round_mode_16_64 0
		.amdhsa_float_denorm_mode_32 3
		.amdhsa_float_denorm_mode_16_64 3
		.amdhsa_dx10_clamp 1
		.amdhsa_ieee_mode 1
		.amdhsa_fp16_overflow 0
		.amdhsa_tg_split 0
		.amdhsa_exception_fp_ieee_invalid_op 0
		.amdhsa_exception_fp_denorm_src 0
		.amdhsa_exception_fp_ieee_div_zero 0
		.amdhsa_exception_fp_ieee_overflow 0
		.amdhsa_exception_fp_ieee_underflow 0
		.amdhsa_exception_fp_ieee_inexact 0
		.amdhsa_exception_int_div_zero 0
	.end_amdhsa_kernel
	.section	.text._ZN7rocprim17ROCPRIM_400000_NS6detail17trampoline_kernelINS0_14default_configENS1_22reduce_config_selectorIdEEZNS1_11reduce_implILb1ES3_PdS7_dN6thrust23THRUST_200600_302600_NS4plusIdEEEE10hipError_tPvRmT1_T2_T3_mT4_P12ihipStream_tbEUlT_E1_NS1_11comp_targetILNS1_3genE5ELNS1_11target_archE942ELNS1_3gpuE9ELNS1_3repE0EEENS1_30default_config_static_selectorELNS0_4arch9wavefront6targetE1EEEvSF_,"axG",@progbits,_ZN7rocprim17ROCPRIM_400000_NS6detail17trampoline_kernelINS0_14default_configENS1_22reduce_config_selectorIdEEZNS1_11reduce_implILb1ES3_PdS7_dN6thrust23THRUST_200600_302600_NS4plusIdEEEE10hipError_tPvRmT1_T2_T3_mT4_P12ihipStream_tbEUlT_E1_NS1_11comp_targetILNS1_3genE5ELNS1_11target_archE942ELNS1_3gpuE9ELNS1_3repE0EEENS1_30default_config_static_selectorELNS0_4arch9wavefront6targetE1EEEvSF_,comdat
.Lfunc_end12:
	.size	_ZN7rocprim17ROCPRIM_400000_NS6detail17trampoline_kernelINS0_14default_configENS1_22reduce_config_selectorIdEEZNS1_11reduce_implILb1ES3_PdS7_dN6thrust23THRUST_200600_302600_NS4plusIdEEEE10hipError_tPvRmT1_T2_T3_mT4_P12ihipStream_tbEUlT_E1_NS1_11comp_targetILNS1_3genE5ELNS1_11target_archE942ELNS1_3gpuE9ELNS1_3repE0EEENS1_30default_config_static_selectorELNS0_4arch9wavefront6targetE1EEEvSF_, .Lfunc_end12-_ZN7rocprim17ROCPRIM_400000_NS6detail17trampoline_kernelINS0_14default_configENS1_22reduce_config_selectorIdEEZNS1_11reduce_implILb1ES3_PdS7_dN6thrust23THRUST_200600_302600_NS4plusIdEEEE10hipError_tPvRmT1_T2_T3_mT4_P12ihipStream_tbEUlT_E1_NS1_11comp_targetILNS1_3genE5ELNS1_11target_archE942ELNS1_3gpuE9ELNS1_3repE0EEENS1_30default_config_static_selectorELNS0_4arch9wavefront6targetE1EEEvSF_
                                        ; -- End function
	.set _ZN7rocprim17ROCPRIM_400000_NS6detail17trampoline_kernelINS0_14default_configENS1_22reduce_config_selectorIdEEZNS1_11reduce_implILb1ES3_PdS7_dN6thrust23THRUST_200600_302600_NS4plusIdEEEE10hipError_tPvRmT1_T2_T3_mT4_P12ihipStream_tbEUlT_E1_NS1_11comp_targetILNS1_3genE5ELNS1_11target_archE942ELNS1_3gpuE9ELNS1_3repE0EEENS1_30default_config_static_selectorELNS0_4arch9wavefront6targetE1EEEvSF_.num_vgpr, 0
	.set _ZN7rocprim17ROCPRIM_400000_NS6detail17trampoline_kernelINS0_14default_configENS1_22reduce_config_selectorIdEEZNS1_11reduce_implILb1ES3_PdS7_dN6thrust23THRUST_200600_302600_NS4plusIdEEEE10hipError_tPvRmT1_T2_T3_mT4_P12ihipStream_tbEUlT_E1_NS1_11comp_targetILNS1_3genE5ELNS1_11target_archE942ELNS1_3gpuE9ELNS1_3repE0EEENS1_30default_config_static_selectorELNS0_4arch9wavefront6targetE1EEEvSF_.num_agpr, 0
	.set _ZN7rocprim17ROCPRIM_400000_NS6detail17trampoline_kernelINS0_14default_configENS1_22reduce_config_selectorIdEEZNS1_11reduce_implILb1ES3_PdS7_dN6thrust23THRUST_200600_302600_NS4plusIdEEEE10hipError_tPvRmT1_T2_T3_mT4_P12ihipStream_tbEUlT_E1_NS1_11comp_targetILNS1_3genE5ELNS1_11target_archE942ELNS1_3gpuE9ELNS1_3repE0EEENS1_30default_config_static_selectorELNS0_4arch9wavefront6targetE1EEEvSF_.numbered_sgpr, 0
	.set _ZN7rocprim17ROCPRIM_400000_NS6detail17trampoline_kernelINS0_14default_configENS1_22reduce_config_selectorIdEEZNS1_11reduce_implILb1ES3_PdS7_dN6thrust23THRUST_200600_302600_NS4plusIdEEEE10hipError_tPvRmT1_T2_T3_mT4_P12ihipStream_tbEUlT_E1_NS1_11comp_targetILNS1_3genE5ELNS1_11target_archE942ELNS1_3gpuE9ELNS1_3repE0EEENS1_30default_config_static_selectorELNS0_4arch9wavefront6targetE1EEEvSF_.num_named_barrier, 0
	.set _ZN7rocprim17ROCPRIM_400000_NS6detail17trampoline_kernelINS0_14default_configENS1_22reduce_config_selectorIdEEZNS1_11reduce_implILb1ES3_PdS7_dN6thrust23THRUST_200600_302600_NS4plusIdEEEE10hipError_tPvRmT1_T2_T3_mT4_P12ihipStream_tbEUlT_E1_NS1_11comp_targetILNS1_3genE5ELNS1_11target_archE942ELNS1_3gpuE9ELNS1_3repE0EEENS1_30default_config_static_selectorELNS0_4arch9wavefront6targetE1EEEvSF_.private_seg_size, 0
	.set _ZN7rocprim17ROCPRIM_400000_NS6detail17trampoline_kernelINS0_14default_configENS1_22reduce_config_selectorIdEEZNS1_11reduce_implILb1ES3_PdS7_dN6thrust23THRUST_200600_302600_NS4plusIdEEEE10hipError_tPvRmT1_T2_T3_mT4_P12ihipStream_tbEUlT_E1_NS1_11comp_targetILNS1_3genE5ELNS1_11target_archE942ELNS1_3gpuE9ELNS1_3repE0EEENS1_30default_config_static_selectorELNS0_4arch9wavefront6targetE1EEEvSF_.uses_vcc, 0
	.set _ZN7rocprim17ROCPRIM_400000_NS6detail17trampoline_kernelINS0_14default_configENS1_22reduce_config_selectorIdEEZNS1_11reduce_implILb1ES3_PdS7_dN6thrust23THRUST_200600_302600_NS4plusIdEEEE10hipError_tPvRmT1_T2_T3_mT4_P12ihipStream_tbEUlT_E1_NS1_11comp_targetILNS1_3genE5ELNS1_11target_archE942ELNS1_3gpuE9ELNS1_3repE0EEENS1_30default_config_static_selectorELNS0_4arch9wavefront6targetE1EEEvSF_.uses_flat_scratch, 0
	.set _ZN7rocprim17ROCPRIM_400000_NS6detail17trampoline_kernelINS0_14default_configENS1_22reduce_config_selectorIdEEZNS1_11reduce_implILb1ES3_PdS7_dN6thrust23THRUST_200600_302600_NS4plusIdEEEE10hipError_tPvRmT1_T2_T3_mT4_P12ihipStream_tbEUlT_E1_NS1_11comp_targetILNS1_3genE5ELNS1_11target_archE942ELNS1_3gpuE9ELNS1_3repE0EEENS1_30default_config_static_selectorELNS0_4arch9wavefront6targetE1EEEvSF_.has_dyn_sized_stack, 0
	.set _ZN7rocprim17ROCPRIM_400000_NS6detail17trampoline_kernelINS0_14default_configENS1_22reduce_config_selectorIdEEZNS1_11reduce_implILb1ES3_PdS7_dN6thrust23THRUST_200600_302600_NS4plusIdEEEE10hipError_tPvRmT1_T2_T3_mT4_P12ihipStream_tbEUlT_E1_NS1_11comp_targetILNS1_3genE5ELNS1_11target_archE942ELNS1_3gpuE9ELNS1_3repE0EEENS1_30default_config_static_selectorELNS0_4arch9wavefront6targetE1EEEvSF_.has_recursion, 0
	.set _ZN7rocprim17ROCPRIM_400000_NS6detail17trampoline_kernelINS0_14default_configENS1_22reduce_config_selectorIdEEZNS1_11reduce_implILb1ES3_PdS7_dN6thrust23THRUST_200600_302600_NS4plusIdEEEE10hipError_tPvRmT1_T2_T3_mT4_P12ihipStream_tbEUlT_E1_NS1_11comp_targetILNS1_3genE5ELNS1_11target_archE942ELNS1_3gpuE9ELNS1_3repE0EEENS1_30default_config_static_selectorELNS0_4arch9wavefront6targetE1EEEvSF_.has_indirect_call, 0
	.section	.AMDGPU.csdata,"",@progbits
; Kernel info:
; codeLenInByte = 0
; TotalNumSgprs: 6
; NumVgprs: 0
; NumAgprs: 0
; TotalNumVgprs: 0
; ScratchSize: 0
; MemoryBound: 0
; FloatMode: 240
; IeeeMode: 1
; LDSByteSize: 0 bytes/workgroup (compile time only)
; SGPRBlocks: 0
; VGPRBlocks: 0
; NumSGPRsForWavesPerEU: 6
; NumVGPRsForWavesPerEU: 1
; AccumOffset: 4
; Occupancy: 8
; WaveLimiterHint : 0
; COMPUTE_PGM_RSRC2:SCRATCH_EN: 0
; COMPUTE_PGM_RSRC2:USER_SGPR: 2
; COMPUTE_PGM_RSRC2:TRAP_HANDLER: 0
; COMPUTE_PGM_RSRC2:TGID_X_EN: 1
; COMPUTE_PGM_RSRC2:TGID_Y_EN: 0
; COMPUTE_PGM_RSRC2:TGID_Z_EN: 0
; COMPUTE_PGM_RSRC2:TIDIG_COMP_CNT: 0
; COMPUTE_PGM_RSRC3_GFX90A:ACCUM_OFFSET: 0
; COMPUTE_PGM_RSRC3_GFX90A:TG_SPLIT: 0
	.section	.text._ZN7rocprim17ROCPRIM_400000_NS6detail17trampoline_kernelINS0_14default_configENS1_22reduce_config_selectorIdEEZNS1_11reduce_implILb1ES3_PdS7_dN6thrust23THRUST_200600_302600_NS4plusIdEEEE10hipError_tPvRmT1_T2_T3_mT4_P12ihipStream_tbEUlT_E1_NS1_11comp_targetILNS1_3genE4ELNS1_11target_archE910ELNS1_3gpuE8ELNS1_3repE0EEENS1_30default_config_static_selectorELNS0_4arch9wavefront6targetE1EEEvSF_,"axG",@progbits,_ZN7rocprim17ROCPRIM_400000_NS6detail17trampoline_kernelINS0_14default_configENS1_22reduce_config_selectorIdEEZNS1_11reduce_implILb1ES3_PdS7_dN6thrust23THRUST_200600_302600_NS4plusIdEEEE10hipError_tPvRmT1_T2_T3_mT4_P12ihipStream_tbEUlT_E1_NS1_11comp_targetILNS1_3genE4ELNS1_11target_archE910ELNS1_3gpuE8ELNS1_3repE0EEENS1_30default_config_static_selectorELNS0_4arch9wavefront6targetE1EEEvSF_,comdat
	.protected	_ZN7rocprim17ROCPRIM_400000_NS6detail17trampoline_kernelINS0_14default_configENS1_22reduce_config_selectorIdEEZNS1_11reduce_implILb1ES3_PdS7_dN6thrust23THRUST_200600_302600_NS4plusIdEEEE10hipError_tPvRmT1_T2_T3_mT4_P12ihipStream_tbEUlT_E1_NS1_11comp_targetILNS1_3genE4ELNS1_11target_archE910ELNS1_3gpuE8ELNS1_3repE0EEENS1_30default_config_static_selectorELNS0_4arch9wavefront6targetE1EEEvSF_ ; -- Begin function _ZN7rocprim17ROCPRIM_400000_NS6detail17trampoline_kernelINS0_14default_configENS1_22reduce_config_selectorIdEEZNS1_11reduce_implILb1ES3_PdS7_dN6thrust23THRUST_200600_302600_NS4plusIdEEEE10hipError_tPvRmT1_T2_T3_mT4_P12ihipStream_tbEUlT_E1_NS1_11comp_targetILNS1_3genE4ELNS1_11target_archE910ELNS1_3gpuE8ELNS1_3repE0EEENS1_30default_config_static_selectorELNS0_4arch9wavefront6targetE1EEEvSF_
	.globl	_ZN7rocprim17ROCPRIM_400000_NS6detail17trampoline_kernelINS0_14default_configENS1_22reduce_config_selectorIdEEZNS1_11reduce_implILb1ES3_PdS7_dN6thrust23THRUST_200600_302600_NS4plusIdEEEE10hipError_tPvRmT1_T2_T3_mT4_P12ihipStream_tbEUlT_E1_NS1_11comp_targetILNS1_3genE4ELNS1_11target_archE910ELNS1_3gpuE8ELNS1_3repE0EEENS1_30default_config_static_selectorELNS0_4arch9wavefront6targetE1EEEvSF_
	.p2align	8
	.type	_ZN7rocprim17ROCPRIM_400000_NS6detail17trampoline_kernelINS0_14default_configENS1_22reduce_config_selectorIdEEZNS1_11reduce_implILb1ES3_PdS7_dN6thrust23THRUST_200600_302600_NS4plusIdEEEE10hipError_tPvRmT1_T2_T3_mT4_P12ihipStream_tbEUlT_E1_NS1_11comp_targetILNS1_3genE4ELNS1_11target_archE910ELNS1_3gpuE8ELNS1_3repE0EEENS1_30default_config_static_selectorELNS0_4arch9wavefront6targetE1EEEvSF_,@function
_ZN7rocprim17ROCPRIM_400000_NS6detail17trampoline_kernelINS0_14default_configENS1_22reduce_config_selectorIdEEZNS1_11reduce_implILb1ES3_PdS7_dN6thrust23THRUST_200600_302600_NS4plusIdEEEE10hipError_tPvRmT1_T2_T3_mT4_P12ihipStream_tbEUlT_E1_NS1_11comp_targetILNS1_3genE4ELNS1_11target_archE910ELNS1_3gpuE8ELNS1_3repE0EEENS1_30default_config_static_selectorELNS0_4arch9wavefront6targetE1EEEvSF_: ; @_ZN7rocprim17ROCPRIM_400000_NS6detail17trampoline_kernelINS0_14default_configENS1_22reduce_config_selectorIdEEZNS1_11reduce_implILb1ES3_PdS7_dN6thrust23THRUST_200600_302600_NS4plusIdEEEE10hipError_tPvRmT1_T2_T3_mT4_P12ihipStream_tbEUlT_E1_NS1_11comp_targetILNS1_3genE4ELNS1_11target_archE910ELNS1_3gpuE8ELNS1_3repE0EEENS1_30default_config_static_selectorELNS0_4arch9wavefront6targetE1EEEvSF_
; %bb.0:
	.section	.rodata,"a",@progbits
	.p2align	6, 0x0
	.amdhsa_kernel _ZN7rocprim17ROCPRIM_400000_NS6detail17trampoline_kernelINS0_14default_configENS1_22reduce_config_selectorIdEEZNS1_11reduce_implILb1ES3_PdS7_dN6thrust23THRUST_200600_302600_NS4plusIdEEEE10hipError_tPvRmT1_T2_T3_mT4_P12ihipStream_tbEUlT_E1_NS1_11comp_targetILNS1_3genE4ELNS1_11target_archE910ELNS1_3gpuE8ELNS1_3repE0EEENS1_30default_config_static_selectorELNS0_4arch9wavefront6targetE1EEEvSF_
		.amdhsa_group_segment_fixed_size 0
		.amdhsa_private_segment_fixed_size 0
		.amdhsa_kernarg_size 48
		.amdhsa_user_sgpr_count 2
		.amdhsa_user_sgpr_dispatch_ptr 0
		.amdhsa_user_sgpr_queue_ptr 0
		.amdhsa_user_sgpr_kernarg_segment_ptr 1
		.amdhsa_user_sgpr_dispatch_id 0
		.amdhsa_user_sgpr_kernarg_preload_length 0
		.amdhsa_user_sgpr_kernarg_preload_offset 0
		.amdhsa_user_sgpr_private_segment_size 0
		.amdhsa_uses_dynamic_stack 0
		.amdhsa_enable_private_segment 0
		.amdhsa_system_sgpr_workgroup_id_x 1
		.amdhsa_system_sgpr_workgroup_id_y 0
		.amdhsa_system_sgpr_workgroup_id_z 0
		.amdhsa_system_sgpr_workgroup_info 0
		.amdhsa_system_vgpr_workitem_id 0
		.amdhsa_next_free_vgpr 1
		.amdhsa_next_free_sgpr 0
		.amdhsa_accum_offset 4
		.amdhsa_reserve_vcc 0
		.amdhsa_float_round_mode_32 0
		.amdhsa_float_round_mode_16_64 0
		.amdhsa_float_denorm_mode_32 3
		.amdhsa_float_denorm_mode_16_64 3
		.amdhsa_dx10_clamp 1
		.amdhsa_ieee_mode 1
		.amdhsa_fp16_overflow 0
		.amdhsa_tg_split 0
		.amdhsa_exception_fp_ieee_invalid_op 0
		.amdhsa_exception_fp_denorm_src 0
		.amdhsa_exception_fp_ieee_div_zero 0
		.amdhsa_exception_fp_ieee_overflow 0
		.amdhsa_exception_fp_ieee_underflow 0
		.amdhsa_exception_fp_ieee_inexact 0
		.amdhsa_exception_int_div_zero 0
	.end_amdhsa_kernel
	.section	.text._ZN7rocprim17ROCPRIM_400000_NS6detail17trampoline_kernelINS0_14default_configENS1_22reduce_config_selectorIdEEZNS1_11reduce_implILb1ES3_PdS7_dN6thrust23THRUST_200600_302600_NS4plusIdEEEE10hipError_tPvRmT1_T2_T3_mT4_P12ihipStream_tbEUlT_E1_NS1_11comp_targetILNS1_3genE4ELNS1_11target_archE910ELNS1_3gpuE8ELNS1_3repE0EEENS1_30default_config_static_selectorELNS0_4arch9wavefront6targetE1EEEvSF_,"axG",@progbits,_ZN7rocprim17ROCPRIM_400000_NS6detail17trampoline_kernelINS0_14default_configENS1_22reduce_config_selectorIdEEZNS1_11reduce_implILb1ES3_PdS7_dN6thrust23THRUST_200600_302600_NS4plusIdEEEE10hipError_tPvRmT1_T2_T3_mT4_P12ihipStream_tbEUlT_E1_NS1_11comp_targetILNS1_3genE4ELNS1_11target_archE910ELNS1_3gpuE8ELNS1_3repE0EEENS1_30default_config_static_selectorELNS0_4arch9wavefront6targetE1EEEvSF_,comdat
.Lfunc_end13:
	.size	_ZN7rocprim17ROCPRIM_400000_NS6detail17trampoline_kernelINS0_14default_configENS1_22reduce_config_selectorIdEEZNS1_11reduce_implILb1ES3_PdS7_dN6thrust23THRUST_200600_302600_NS4plusIdEEEE10hipError_tPvRmT1_T2_T3_mT4_P12ihipStream_tbEUlT_E1_NS1_11comp_targetILNS1_3genE4ELNS1_11target_archE910ELNS1_3gpuE8ELNS1_3repE0EEENS1_30default_config_static_selectorELNS0_4arch9wavefront6targetE1EEEvSF_, .Lfunc_end13-_ZN7rocprim17ROCPRIM_400000_NS6detail17trampoline_kernelINS0_14default_configENS1_22reduce_config_selectorIdEEZNS1_11reduce_implILb1ES3_PdS7_dN6thrust23THRUST_200600_302600_NS4plusIdEEEE10hipError_tPvRmT1_T2_T3_mT4_P12ihipStream_tbEUlT_E1_NS1_11comp_targetILNS1_3genE4ELNS1_11target_archE910ELNS1_3gpuE8ELNS1_3repE0EEENS1_30default_config_static_selectorELNS0_4arch9wavefront6targetE1EEEvSF_
                                        ; -- End function
	.set _ZN7rocprim17ROCPRIM_400000_NS6detail17trampoline_kernelINS0_14default_configENS1_22reduce_config_selectorIdEEZNS1_11reduce_implILb1ES3_PdS7_dN6thrust23THRUST_200600_302600_NS4plusIdEEEE10hipError_tPvRmT1_T2_T3_mT4_P12ihipStream_tbEUlT_E1_NS1_11comp_targetILNS1_3genE4ELNS1_11target_archE910ELNS1_3gpuE8ELNS1_3repE0EEENS1_30default_config_static_selectorELNS0_4arch9wavefront6targetE1EEEvSF_.num_vgpr, 0
	.set _ZN7rocprim17ROCPRIM_400000_NS6detail17trampoline_kernelINS0_14default_configENS1_22reduce_config_selectorIdEEZNS1_11reduce_implILb1ES3_PdS7_dN6thrust23THRUST_200600_302600_NS4plusIdEEEE10hipError_tPvRmT1_T2_T3_mT4_P12ihipStream_tbEUlT_E1_NS1_11comp_targetILNS1_3genE4ELNS1_11target_archE910ELNS1_3gpuE8ELNS1_3repE0EEENS1_30default_config_static_selectorELNS0_4arch9wavefront6targetE1EEEvSF_.num_agpr, 0
	.set _ZN7rocprim17ROCPRIM_400000_NS6detail17trampoline_kernelINS0_14default_configENS1_22reduce_config_selectorIdEEZNS1_11reduce_implILb1ES3_PdS7_dN6thrust23THRUST_200600_302600_NS4plusIdEEEE10hipError_tPvRmT1_T2_T3_mT4_P12ihipStream_tbEUlT_E1_NS1_11comp_targetILNS1_3genE4ELNS1_11target_archE910ELNS1_3gpuE8ELNS1_3repE0EEENS1_30default_config_static_selectorELNS0_4arch9wavefront6targetE1EEEvSF_.numbered_sgpr, 0
	.set _ZN7rocprim17ROCPRIM_400000_NS6detail17trampoline_kernelINS0_14default_configENS1_22reduce_config_selectorIdEEZNS1_11reduce_implILb1ES3_PdS7_dN6thrust23THRUST_200600_302600_NS4plusIdEEEE10hipError_tPvRmT1_T2_T3_mT4_P12ihipStream_tbEUlT_E1_NS1_11comp_targetILNS1_3genE4ELNS1_11target_archE910ELNS1_3gpuE8ELNS1_3repE0EEENS1_30default_config_static_selectorELNS0_4arch9wavefront6targetE1EEEvSF_.num_named_barrier, 0
	.set _ZN7rocprim17ROCPRIM_400000_NS6detail17trampoline_kernelINS0_14default_configENS1_22reduce_config_selectorIdEEZNS1_11reduce_implILb1ES3_PdS7_dN6thrust23THRUST_200600_302600_NS4plusIdEEEE10hipError_tPvRmT1_T2_T3_mT4_P12ihipStream_tbEUlT_E1_NS1_11comp_targetILNS1_3genE4ELNS1_11target_archE910ELNS1_3gpuE8ELNS1_3repE0EEENS1_30default_config_static_selectorELNS0_4arch9wavefront6targetE1EEEvSF_.private_seg_size, 0
	.set _ZN7rocprim17ROCPRIM_400000_NS6detail17trampoline_kernelINS0_14default_configENS1_22reduce_config_selectorIdEEZNS1_11reduce_implILb1ES3_PdS7_dN6thrust23THRUST_200600_302600_NS4plusIdEEEE10hipError_tPvRmT1_T2_T3_mT4_P12ihipStream_tbEUlT_E1_NS1_11comp_targetILNS1_3genE4ELNS1_11target_archE910ELNS1_3gpuE8ELNS1_3repE0EEENS1_30default_config_static_selectorELNS0_4arch9wavefront6targetE1EEEvSF_.uses_vcc, 0
	.set _ZN7rocprim17ROCPRIM_400000_NS6detail17trampoline_kernelINS0_14default_configENS1_22reduce_config_selectorIdEEZNS1_11reduce_implILb1ES3_PdS7_dN6thrust23THRUST_200600_302600_NS4plusIdEEEE10hipError_tPvRmT1_T2_T3_mT4_P12ihipStream_tbEUlT_E1_NS1_11comp_targetILNS1_3genE4ELNS1_11target_archE910ELNS1_3gpuE8ELNS1_3repE0EEENS1_30default_config_static_selectorELNS0_4arch9wavefront6targetE1EEEvSF_.uses_flat_scratch, 0
	.set _ZN7rocprim17ROCPRIM_400000_NS6detail17trampoline_kernelINS0_14default_configENS1_22reduce_config_selectorIdEEZNS1_11reduce_implILb1ES3_PdS7_dN6thrust23THRUST_200600_302600_NS4plusIdEEEE10hipError_tPvRmT1_T2_T3_mT4_P12ihipStream_tbEUlT_E1_NS1_11comp_targetILNS1_3genE4ELNS1_11target_archE910ELNS1_3gpuE8ELNS1_3repE0EEENS1_30default_config_static_selectorELNS0_4arch9wavefront6targetE1EEEvSF_.has_dyn_sized_stack, 0
	.set _ZN7rocprim17ROCPRIM_400000_NS6detail17trampoline_kernelINS0_14default_configENS1_22reduce_config_selectorIdEEZNS1_11reduce_implILb1ES3_PdS7_dN6thrust23THRUST_200600_302600_NS4plusIdEEEE10hipError_tPvRmT1_T2_T3_mT4_P12ihipStream_tbEUlT_E1_NS1_11comp_targetILNS1_3genE4ELNS1_11target_archE910ELNS1_3gpuE8ELNS1_3repE0EEENS1_30default_config_static_selectorELNS0_4arch9wavefront6targetE1EEEvSF_.has_recursion, 0
	.set _ZN7rocprim17ROCPRIM_400000_NS6detail17trampoline_kernelINS0_14default_configENS1_22reduce_config_selectorIdEEZNS1_11reduce_implILb1ES3_PdS7_dN6thrust23THRUST_200600_302600_NS4plusIdEEEE10hipError_tPvRmT1_T2_T3_mT4_P12ihipStream_tbEUlT_E1_NS1_11comp_targetILNS1_3genE4ELNS1_11target_archE910ELNS1_3gpuE8ELNS1_3repE0EEENS1_30default_config_static_selectorELNS0_4arch9wavefront6targetE1EEEvSF_.has_indirect_call, 0
	.section	.AMDGPU.csdata,"",@progbits
; Kernel info:
; codeLenInByte = 0
; TotalNumSgprs: 6
; NumVgprs: 0
; NumAgprs: 0
; TotalNumVgprs: 0
; ScratchSize: 0
; MemoryBound: 0
; FloatMode: 240
; IeeeMode: 1
; LDSByteSize: 0 bytes/workgroup (compile time only)
; SGPRBlocks: 0
; VGPRBlocks: 0
; NumSGPRsForWavesPerEU: 6
; NumVGPRsForWavesPerEU: 1
; AccumOffset: 4
; Occupancy: 8
; WaveLimiterHint : 0
; COMPUTE_PGM_RSRC2:SCRATCH_EN: 0
; COMPUTE_PGM_RSRC2:USER_SGPR: 2
; COMPUTE_PGM_RSRC2:TRAP_HANDLER: 0
; COMPUTE_PGM_RSRC2:TGID_X_EN: 1
; COMPUTE_PGM_RSRC2:TGID_Y_EN: 0
; COMPUTE_PGM_RSRC2:TGID_Z_EN: 0
; COMPUTE_PGM_RSRC2:TIDIG_COMP_CNT: 0
; COMPUTE_PGM_RSRC3_GFX90A:ACCUM_OFFSET: 0
; COMPUTE_PGM_RSRC3_GFX90A:TG_SPLIT: 0
	.section	.text._ZN7rocprim17ROCPRIM_400000_NS6detail17trampoline_kernelINS0_14default_configENS1_22reduce_config_selectorIdEEZNS1_11reduce_implILb1ES3_PdS7_dN6thrust23THRUST_200600_302600_NS4plusIdEEEE10hipError_tPvRmT1_T2_T3_mT4_P12ihipStream_tbEUlT_E1_NS1_11comp_targetILNS1_3genE3ELNS1_11target_archE908ELNS1_3gpuE7ELNS1_3repE0EEENS1_30default_config_static_selectorELNS0_4arch9wavefront6targetE1EEEvSF_,"axG",@progbits,_ZN7rocprim17ROCPRIM_400000_NS6detail17trampoline_kernelINS0_14default_configENS1_22reduce_config_selectorIdEEZNS1_11reduce_implILb1ES3_PdS7_dN6thrust23THRUST_200600_302600_NS4plusIdEEEE10hipError_tPvRmT1_T2_T3_mT4_P12ihipStream_tbEUlT_E1_NS1_11comp_targetILNS1_3genE3ELNS1_11target_archE908ELNS1_3gpuE7ELNS1_3repE0EEENS1_30default_config_static_selectorELNS0_4arch9wavefront6targetE1EEEvSF_,comdat
	.protected	_ZN7rocprim17ROCPRIM_400000_NS6detail17trampoline_kernelINS0_14default_configENS1_22reduce_config_selectorIdEEZNS1_11reduce_implILb1ES3_PdS7_dN6thrust23THRUST_200600_302600_NS4plusIdEEEE10hipError_tPvRmT1_T2_T3_mT4_P12ihipStream_tbEUlT_E1_NS1_11comp_targetILNS1_3genE3ELNS1_11target_archE908ELNS1_3gpuE7ELNS1_3repE0EEENS1_30default_config_static_selectorELNS0_4arch9wavefront6targetE1EEEvSF_ ; -- Begin function _ZN7rocprim17ROCPRIM_400000_NS6detail17trampoline_kernelINS0_14default_configENS1_22reduce_config_selectorIdEEZNS1_11reduce_implILb1ES3_PdS7_dN6thrust23THRUST_200600_302600_NS4plusIdEEEE10hipError_tPvRmT1_T2_T3_mT4_P12ihipStream_tbEUlT_E1_NS1_11comp_targetILNS1_3genE3ELNS1_11target_archE908ELNS1_3gpuE7ELNS1_3repE0EEENS1_30default_config_static_selectorELNS0_4arch9wavefront6targetE1EEEvSF_
	.globl	_ZN7rocprim17ROCPRIM_400000_NS6detail17trampoline_kernelINS0_14default_configENS1_22reduce_config_selectorIdEEZNS1_11reduce_implILb1ES3_PdS7_dN6thrust23THRUST_200600_302600_NS4plusIdEEEE10hipError_tPvRmT1_T2_T3_mT4_P12ihipStream_tbEUlT_E1_NS1_11comp_targetILNS1_3genE3ELNS1_11target_archE908ELNS1_3gpuE7ELNS1_3repE0EEENS1_30default_config_static_selectorELNS0_4arch9wavefront6targetE1EEEvSF_
	.p2align	8
	.type	_ZN7rocprim17ROCPRIM_400000_NS6detail17trampoline_kernelINS0_14default_configENS1_22reduce_config_selectorIdEEZNS1_11reduce_implILb1ES3_PdS7_dN6thrust23THRUST_200600_302600_NS4plusIdEEEE10hipError_tPvRmT1_T2_T3_mT4_P12ihipStream_tbEUlT_E1_NS1_11comp_targetILNS1_3genE3ELNS1_11target_archE908ELNS1_3gpuE7ELNS1_3repE0EEENS1_30default_config_static_selectorELNS0_4arch9wavefront6targetE1EEEvSF_,@function
_ZN7rocprim17ROCPRIM_400000_NS6detail17trampoline_kernelINS0_14default_configENS1_22reduce_config_selectorIdEEZNS1_11reduce_implILb1ES3_PdS7_dN6thrust23THRUST_200600_302600_NS4plusIdEEEE10hipError_tPvRmT1_T2_T3_mT4_P12ihipStream_tbEUlT_E1_NS1_11comp_targetILNS1_3genE3ELNS1_11target_archE908ELNS1_3gpuE7ELNS1_3repE0EEENS1_30default_config_static_selectorELNS0_4arch9wavefront6targetE1EEEvSF_: ; @_ZN7rocprim17ROCPRIM_400000_NS6detail17trampoline_kernelINS0_14default_configENS1_22reduce_config_selectorIdEEZNS1_11reduce_implILb1ES3_PdS7_dN6thrust23THRUST_200600_302600_NS4plusIdEEEE10hipError_tPvRmT1_T2_T3_mT4_P12ihipStream_tbEUlT_E1_NS1_11comp_targetILNS1_3genE3ELNS1_11target_archE908ELNS1_3gpuE7ELNS1_3repE0EEENS1_30default_config_static_selectorELNS0_4arch9wavefront6targetE1EEEvSF_
; %bb.0:
	.section	.rodata,"a",@progbits
	.p2align	6, 0x0
	.amdhsa_kernel _ZN7rocprim17ROCPRIM_400000_NS6detail17trampoline_kernelINS0_14default_configENS1_22reduce_config_selectorIdEEZNS1_11reduce_implILb1ES3_PdS7_dN6thrust23THRUST_200600_302600_NS4plusIdEEEE10hipError_tPvRmT1_T2_T3_mT4_P12ihipStream_tbEUlT_E1_NS1_11comp_targetILNS1_3genE3ELNS1_11target_archE908ELNS1_3gpuE7ELNS1_3repE0EEENS1_30default_config_static_selectorELNS0_4arch9wavefront6targetE1EEEvSF_
		.amdhsa_group_segment_fixed_size 0
		.amdhsa_private_segment_fixed_size 0
		.amdhsa_kernarg_size 48
		.amdhsa_user_sgpr_count 2
		.amdhsa_user_sgpr_dispatch_ptr 0
		.amdhsa_user_sgpr_queue_ptr 0
		.amdhsa_user_sgpr_kernarg_segment_ptr 1
		.amdhsa_user_sgpr_dispatch_id 0
		.amdhsa_user_sgpr_kernarg_preload_length 0
		.amdhsa_user_sgpr_kernarg_preload_offset 0
		.amdhsa_user_sgpr_private_segment_size 0
		.amdhsa_uses_dynamic_stack 0
		.amdhsa_enable_private_segment 0
		.amdhsa_system_sgpr_workgroup_id_x 1
		.amdhsa_system_sgpr_workgroup_id_y 0
		.amdhsa_system_sgpr_workgroup_id_z 0
		.amdhsa_system_sgpr_workgroup_info 0
		.amdhsa_system_vgpr_workitem_id 0
		.amdhsa_next_free_vgpr 1
		.amdhsa_next_free_sgpr 0
		.amdhsa_accum_offset 4
		.amdhsa_reserve_vcc 0
		.amdhsa_float_round_mode_32 0
		.amdhsa_float_round_mode_16_64 0
		.amdhsa_float_denorm_mode_32 3
		.amdhsa_float_denorm_mode_16_64 3
		.amdhsa_dx10_clamp 1
		.amdhsa_ieee_mode 1
		.amdhsa_fp16_overflow 0
		.amdhsa_tg_split 0
		.amdhsa_exception_fp_ieee_invalid_op 0
		.amdhsa_exception_fp_denorm_src 0
		.amdhsa_exception_fp_ieee_div_zero 0
		.amdhsa_exception_fp_ieee_overflow 0
		.amdhsa_exception_fp_ieee_underflow 0
		.amdhsa_exception_fp_ieee_inexact 0
		.amdhsa_exception_int_div_zero 0
	.end_amdhsa_kernel
	.section	.text._ZN7rocprim17ROCPRIM_400000_NS6detail17trampoline_kernelINS0_14default_configENS1_22reduce_config_selectorIdEEZNS1_11reduce_implILb1ES3_PdS7_dN6thrust23THRUST_200600_302600_NS4plusIdEEEE10hipError_tPvRmT1_T2_T3_mT4_P12ihipStream_tbEUlT_E1_NS1_11comp_targetILNS1_3genE3ELNS1_11target_archE908ELNS1_3gpuE7ELNS1_3repE0EEENS1_30default_config_static_selectorELNS0_4arch9wavefront6targetE1EEEvSF_,"axG",@progbits,_ZN7rocprim17ROCPRIM_400000_NS6detail17trampoline_kernelINS0_14default_configENS1_22reduce_config_selectorIdEEZNS1_11reduce_implILb1ES3_PdS7_dN6thrust23THRUST_200600_302600_NS4plusIdEEEE10hipError_tPvRmT1_T2_T3_mT4_P12ihipStream_tbEUlT_E1_NS1_11comp_targetILNS1_3genE3ELNS1_11target_archE908ELNS1_3gpuE7ELNS1_3repE0EEENS1_30default_config_static_selectorELNS0_4arch9wavefront6targetE1EEEvSF_,comdat
.Lfunc_end14:
	.size	_ZN7rocprim17ROCPRIM_400000_NS6detail17trampoline_kernelINS0_14default_configENS1_22reduce_config_selectorIdEEZNS1_11reduce_implILb1ES3_PdS7_dN6thrust23THRUST_200600_302600_NS4plusIdEEEE10hipError_tPvRmT1_T2_T3_mT4_P12ihipStream_tbEUlT_E1_NS1_11comp_targetILNS1_3genE3ELNS1_11target_archE908ELNS1_3gpuE7ELNS1_3repE0EEENS1_30default_config_static_selectorELNS0_4arch9wavefront6targetE1EEEvSF_, .Lfunc_end14-_ZN7rocprim17ROCPRIM_400000_NS6detail17trampoline_kernelINS0_14default_configENS1_22reduce_config_selectorIdEEZNS1_11reduce_implILb1ES3_PdS7_dN6thrust23THRUST_200600_302600_NS4plusIdEEEE10hipError_tPvRmT1_T2_T3_mT4_P12ihipStream_tbEUlT_E1_NS1_11comp_targetILNS1_3genE3ELNS1_11target_archE908ELNS1_3gpuE7ELNS1_3repE0EEENS1_30default_config_static_selectorELNS0_4arch9wavefront6targetE1EEEvSF_
                                        ; -- End function
	.set _ZN7rocprim17ROCPRIM_400000_NS6detail17trampoline_kernelINS0_14default_configENS1_22reduce_config_selectorIdEEZNS1_11reduce_implILb1ES3_PdS7_dN6thrust23THRUST_200600_302600_NS4plusIdEEEE10hipError_tPvRmT1_T2_T3_mT4_P12ihipStream_tbEUlT_E1_NS1_11comp_targetILNS1_3genE3ELNS1_11target_archE908ELNS1_3gpuE7ELNS1_3repE0EEENS1_30default_config_static_selectorELNS0_4arch9wavefront6targetE1EEEvSF_.num_vgpr, 0
	.set _ZN7rocprim17ROCPRIM_400000_NS6detail17trampoline_kernelINS0_14default_configENS1_22reduce_config_selectorIdEEZNS1_11reduce_implILb1ES3_PdS7_dN6thrust23THRUST_200600_302600_NS4plusIdEEEE10hipError_tPvRmT1_T2_T3_mT4_P12ihipStream_tbEUlT_E1_NS1_11comp_targetILNS1_3genE3ELNS1_11target_archE908ELNS1_3gpuE7ELNS1_3repE0EEENS1_30default_config_static_selectorELNS0_4arch9wavefront6targetE1EEEvSF_.num_agpr, 0
	.set _ZN7rocprim17ROCPRIM_400000_NS6detail17trampoline_kernelINS0_14default_configENS1_22reduce_config_selectorIdEEZNS1_11reduce_implILb1ES3_PdS7_dN6thrust23THRUST_200600_302600_NS4plusIdEEEE10hipError_tPvRmT1_T2_T3_mT4_P12ihipStream_tbEUlT_E1_NS1_11comp_targetILNS1_3genE3ELNS1_11target_archE908ELNS1_3gpuE7ELNS1_3repE0EEENS1_30default_config_static_selectorELNS0_4arch9wavefront6targetE1EEEvSF_.numbered_sgpr, 0
	.set _ZN7rocprim17ROCPRIM_400000_NS6detail17trampoline_kernelINS0_14default_configENS1_22reduce_config_selectorIdEEZNS1_11reduce_implILb1ES3_PdS7_dN6thrust23THRUST_200600_302600_NS4plusIdEEEE10hipError_tPvRmT1_T2_T3_mT4_P12ihipStream_tbEUlT_E1_NS1_11comp_targetILNS1_3genE3ELNS1_11target_archE908ELNS1_3gpuE7ELNS1_3repE0EEENS1_30default_config_static_selectorELNS0_4arch9wavefront6targetE1EEEvSF_.num_named_barrier, 0
	.set _ZN7rocprim17ROCPRIM_400000_NS6detail17trampoline_kernelINS0_14default_configENS1_22reduce_config_selectorIdEEZNS1_11reduce_implILb1ES3_PdS7_dN6thrust23THRUST_200600_302600_NS4plusIdEEEE10hipError_tPvRmT1_T2_T3_mT4_P12ihipStream_tbEUlT_E1_NS1_11comp_targetILNS1_3genE3ELNS1_11target_archE908ELNS1_3gpuE7ELNS1_3repE0EEENS1_30default_config_static_selectorELNS0_4arch9wavefront6targetE1EEEvSF_.private_seg_size, 0
	.set _ZN7rocprim17ROCPRIM_400000_NS6detail17trampoline_kernelINS0_14default_configENS1_22reduce_config_selectorIdEEZNS1_11reduce_implILb1ES3_PdS7_dN6thrust23THRUST_200600_302600_NS4plusIdEEEE10hipError_tPvRmT1_T2_T3_mT4_P12ihipStream_tbEUlT_E1_NS1_11comp_targetILNS1_3genE3ELNS1_11target_archE908ELNS1_3gpuE7ELNS1_3repE0EEENS1_30default_config_static_selectorELNS0_4arch9wavefront6targetE1EEEvSF_.uses_vcc, 0
	.set _ZN7rocprim17ROCPRIM_400000_NS6detail17trampoline_kernelINS0_14default_configENS1_22reduce_config_selectorIdEEZNS1_11reduce_implILb1ES3_PdS7_dN6thrust23THRUST_200600_302600_NS4plusIdEEEE10hipError_tPvRmT1_T2_T3_mT4_P12ihipStream_tbEUlT_E1_NS1_11comp_targetILNS1_3genE3ELNS1_11target_archE908ELNS1_3gpuE7ELNS1_3repE0EEENS1_30default_config_static_selectorELNS0_4arch9wavefront6targetE1EEEvSF_.uses_flat_scratch, 0
	.set _ZN7rocprim17ROCPRIM_400000_NS6detail17trampoline_kernelINS0_14default_configENS1_22reduce_config_selectorIdEEZNS1_11reduce_implILb1ES3_PdS7_dN6thrust23THRUST_200600_302600_NS4plusIdEEEE10hipError_tPvRmT1_T2_T3_mT4_P12ihipStream_tbEUlT_E1_NS1_11comp_targetILNS1_3genE3ELNS1_11target_archE908ELNS1_3gpuE7ELNS1_3repE0EEENS1_30default_config_static_selectorELNS0_4arch9wavefront6targetE1EEEvSF_.has_dyn_sized_stack, 0
	.set _ZN7rocprim17ROCPRIM_400000_NS6detail17trampoline_kernelINS0_14default_configENS1_22reduce_config_selectorIdEEZNS1_11reduce_implILb1ES3_PdS7_dN6thrust23THRUST_200600_302600_NS4plusIdEEEE10hipError_tPvRmT1_T2_T3_mT4_P12ihipStream_tbEUlT_E1_NS1_11comp_targetILNS1_3genE3ELNS1_11target_archE908ELNS1_3gpuE7ELNS1_3repE0EEENS1_30default_config_static_selectorELNS0_4arch9wavefront6targetE1EEEvSF_.has_recursion, 0
	.set _ZN7rocprim17ROCPRIM_400000_NS6detail17trampoline_kernelINS0_14default_configENS1_22reduce_config_selectorIdEEZNS1_11reduce_implILb1ES3_PdS7_dN6thrust23THRUST_200600_302600_NS4plusIdEEEE10hipError_tPvRmT1_T2_T3_mT4_P12ihipStream_tbEUlT_E1_NS1_11comp_targetILNS1_3genE3ELNS1_11target_archE908ELNS1_3gpuE7ELNS1_3repE0EEENS1_30default_config_static_selectorELNS0_4arch9wavefront6targetE1EEEvSF_.has_indirect_call, 0
	.section	.AMDGPU.csdata,"",@progbits
; Kernel info:
; codeLenInByte = 0
; TotalNumSgprs: 6
; NumVgprs: 0
; NumAgprs: 0
; TotalNumVgprs: 0
; ScratchSize: 0
; MemoryBound: 0
; FloatMode: 240
; IeeeMode: 1
; LDSByteSize: 0 bytes/workgroup (compile time only)
; SGPRBlocks: 0
; VGPRBlocks: 0
; NumSGPRsForWavesPerEU: 6
; NumVGPRsForWavesPerEU: 1
; AccumOffset: 4
; Occupancy: 8
; WaveLimiterHint : 0
; COMPUTE_PGM_RSRC2:SCRATCH_EN: 0
; COMPUTE_PGM_RSRC2:USER_SGPR: 2
; COMPUTE_PGM_RSRC2:TRAP_HANDLER: 0
; COMPUTE_PGM_RSRC2:TGID_X_EN: 1
; COMPUTE_PGM_RSRC2:TGID_Y_EN: 0
; COMPUTE_PGM_RSRC2:TGID_Z_EN: 0
; COMPUTE_PGM_RSRC2:TIDIG_COMP_CNT: 0
; COMPUTE_PGM_RSRC3_GFX90A:ACCUM_OFFSET: 0
; COMPUTE_PGM_RSRC3_GFX90A:TG_SPLIT: 0
	.section	.text._ZN7rocprim17ROCPRIM_400000_NS6detail17trampoline_kernelINS0_14default_configENS1_22reduce_config_selectorIdEEZNS1_11reduce_implILb1ES3_PdS7_dN6thrust23THRUST_200600_302600_NS4plusIdEEEE10hipError_tPvRmT1_T2_T3_mT4_P12ihipStream_tbEUlT_E1_NS1_11comp_targetILNS1_3genE2ELNS1_11target_archE906ELNS1_3gpuE6ELNS1_3repE0EEENS1_30default_config_static_selectorELNS0_4arch9wavefront6targetE1EEEvSF_,"axG",@progbits,_ZN7rocprim17ROCPRIM_400000_NS6detail17trampoline_kernelINS0_14default_configENS1_22reduce_config_selectorIdEEZNS1_11reduce_implILb1ES3_PdS7_dN6thrust23THRUST_200600_302600_NS4plusIdEEEE10hipError_tPvRmT1_T2_T3_mT4_P12ihipStream_tbEUlT_E1_NS1_11comp_targetILNS1_3genE2ELNS1_11target_archE906ELNS1_3gpuE6ELNS1_3repE0EEENS1_30default_config_static_selectorELNS0_4arch9wavefront6targetE1EEEvSF_,comdat
	.protected	_ZN7rocprim17ROCPRIM_400000_NS6detail17trampoline_kernelINS0_14default_configENS1_22reduce_config_selectorIdEEZNS1_11reduce_implILb1ES3_PdS7_dN6thrust23THRUST_200600_302600_NS4plusIdEEEE10hipError_tPvRmT1_T2_T3_mT4_P12ihipStream_tbEUlT_E1_NS1_11comp_targetILNS1_3genE2ELNS1_11target_archE906ELNS1_3gpuE6ELNS1_3repE0EEENS1_30default_config_static_selectorELNS0_4arch9wavefront6targetE1EEEvSF_ ; -- Begin function _ZN7rocprim17ROCPRIM_400000_NS6detail17trampoline_kernelINS0_14default_configENS1_22reduce_config_selectorIdEEZNS1_11reduce_implILb1ES3_PdS7_dN6thrust23THRUST_200600_302600_NS4plusIdEEEE10hipError_tPvRmT1_T2_T3_mT4_P12ihipStream_tbEUlT_E1_NS1_11comp_targetILNS1_3genE2ELNS1_11target_archE906ELNS1_3gpuE6ELNS1_3repE0EEENS1_30default_config_static_selectorELNS0_4arch9wavefront6targetE1EEEvSF_
	.globl	_ZN7rocprim17ROCPRIM_400000_NS6detail17trampoline_kernelINS0_14default_configENS1_22reduce_config_selectorIdEEZNS1_11reduce_implILb1ES3_PdS7_dN6thrust23THRUST_200600_302600_NS4plusIdEEEE10hipError_tPvRmT1_T2_T3_mT4_P12ihipStream_tbEUlT_E1_NS1_11comp_targetILNS1_3genE2ELNS1_11target_archE906ELNS1_3gpuE6ELNS1_3repE0EEENS1_30default_config_static_selectorELNS0_4arch9wavefront6targetE1EEEvSF_
	.p2align	8
	.type	_ZN7rocprim17ROCPRIM_400000_NS6detail17trampoline_kernelINS0_14default_configENS1_22reduce_config_selectorIdEEZNS1_11reduce_implILb1ES3_PdS7_dN6thrust23THRUST_200600_302600_NS4plusIdEEEE10hipError_tPvRmT1_T2_T3_mT4_P12ihipStream_tbEUlT_E1_NS1_11comp_targetILNS1_3genE2ELNS1_11target_archE906ELNS1_3gpuE6ELNS1_3repE0EEENS1_30default_config_static_selectorELNS0_4arch9wavefront6targetE1EEEvSF_,@function
_ZN7rocprim17ROCPRIM_400000_NS6detail17trampoline_kernelINS0_14default_configENS1_22reduce_config_selectorIdEEZNS1_11reduce_implILb1ES3_PdS7_dN6thrust23THRUST_200600_302600_NS4plusIdEEEE10hipError_tPvRmT1_T2_T3_mT4_P12ihipStream_tbEUlT_E1_NS1_11comp_targetILNS1_3genE2ELNS1_11target_archE906ELNS1_3gpuE6ELNS1_3repE0EEENS1_30default_config_static_selectorELNS0_4arch9wavefront6targetE1EEEvSF_: ; @_ZN7rocprim17ROCPRIM_400000_NS6detail17trampoline_kernelINS0_14default_configENS1_22reduce_config_selectorIdEEZNS1_11reduce_implILb1ES3_PdS7_dN6thrust23THRUST_200600_302600_NS4plusIdEEEE10hipError_tPvRmT1_T2_T3_mT4_P12ihipStream_tbEUlT_E1_NS1_11comp_targetILNS1_3genE2ELNS1_11target_archE906ELNS1_3gpuE6ELNS1_3repE0EEENS1_30default_config_static_selectorELNS0_4arch9wavefront6targetE1EEEvSF_
; %bb.0:
	.section	.rodata,"a",@progbits
	.p2align	6, 0x0
	.amdhsa_kernel _ZN7rocprim17ROCPRIM_400000_NS6detail17trampoline_kernelINS0_14default_configENS1_22reduce_config_selectorIdEEZNS1_11reduce_implILb1ES3_PdS7_dN6thrust23THRUST_200600_302600_NS4plusIdEEEE10hipError_tPvRmT1_T2_T3_mT4_P12ihipStream_tbEUlT_E1_NS1_11comp_targetILNS1_3genE2ELNS1_11target_archE906ELNS1_3gpuE6ELNS1_3repE0EEENS1_30default_config_static_selectorELNS0_4arch9wavefront6targetE1EEEvSF_
		.amdhsa_group_segment_fixed_size 0
		.amdhsa_private_segment_fixed_size 0
		.amdhsa_kernarg_size 48
		.amdhsa_user_sgpr_count 2
		.amdhsa_user_sgpr_dispatch_ptr 0
		.amdhsa_user_sgpr_queue_ptr 0
		.amdhsa_user_sgpr_kernarg_segment_ptr 1
		.amdhsa_user_sgpr_dispatch_id 0
		.amdhsa_user_sgpr_kernarg_preload_length 0
		.amdhsa_user_sgpr_kernarg_preload_offset 0
		.amdhsa_user_sgpr_private_segment_size 0
		.amdhsa_uses_dynamic_stack 0
		.amdhsa_enable_private_segment 0
		.amdhsa_system_sgpr_workgroup_id_x 1
		.amdhsa_system_sgpr_workgroup_id_y 0
		.amdhsa_system_sgpr_workgroup_id_z 0
		.amdhsa_system_sgpr_workgroup_info 0
		.amdhsa_system_vgpr_workitem_id 0
		.amdhsa_next_free_vgpr 1
		.amdhsa_next_free_sgpr 0
		.amdhsa_accum_offset 4
		.amdhsa_reserve_vcc 0
		.amdhsa_float_round_mode_32 0
		.amdhsa_float_round_mode_16_64 0
		.amdhsa_float_denorm_mode_32 3
		.amdhsa_float_denorm_mode_16_64 3
		.amdhsa_dx10_clamp 1
		.amdhsa_ieee_mode 1
		.amdhsa_fp16_overflow 0
		.amdhsa_tg_split 0
		.amdhsa_exception_fp_ieee_invalid_op 0
		.amdhsa_exception_fp_denorm_src 0
		.amdhsa_exception_fp_ieee_div_zero 0
		.amdhsa_exception_fp_ieee_overflow 0
		.amdhsa_exception_fp_ieee_underflow 0
		.amdhsa_exception_fp_ieee_inexact 0
		.amdhsa_exception_int_div_zero 0
	.end_amdhsa_kernel
	.section	.text._ZN7rocprim17ROCPRIM_400000_NS6detail17trampoline_kernelINS0_14default_configENS1_22reduce_config_selectorIdEEZNS1_11reduce_implILb1ES3_PdS7_dN6thrust23THRUST_200600_302600_NS4plusIdEEEE10hipError_tPvRmT1_T2_T3_mT4_P12ihipStream_tbEUlT_E1_NS1_11comp_targetILNS1_3genE2ELNS1_11target_archE906ELNS1_3gpuE6ELNS1_3repE0EEENS1_30default_config_static_selectorELNS0_4arch9wavefront6targetE1EEEvSF_,"axG",@progbits,_ZN7rocprim17ROCPRIM_400000_NS6detail17trampoline_kernelINS0_14default_configENS1_22reduce_config_selectorIdEEZNS1_11reduce_implILb1ES3_PdS7_dN6thrust23THRUST_200600_302600_NS4plusIdEEEE10hipError_tPvRmT1_T2_T3_mT4_P12ihipStream_tbEUlT_E1_NS1_11comp_targetILNS1_3genE2ELNS1_11target_archE906ELNS1_3gpuE6ELNS1_3repE0EEENS1_30default_config_static_selectorELNS0_4arch9wavefront6targetE1EEEvSF_,comdat
.Lfunc_end15:
	.size	_ZN7rocprim17ROCPRIM_400000_NS6detail17trampoline_kernelINS0_14default_configENS1_22reduce_config_selectorIdEEZNS1_11reduce_implILb1ES3_PdS7_dN6thrust23THRUST_200600_302600_NS4plusIdEEEE10hipError_tPvRmT1_T2_T3_mT4_P12ihipStream_tbEUlT_E1_NS1_11comp_targetILNS1_3genE2ELNS1_11target_archE906ELNS1_3gpuE6ELNS1_3repE0EEENS1_30default_config_static_selectorELNS0_4arch9wavefront6targetE1EEEvSF_, .Lfunc_end15-_ZN7rocprim17ROCPRIM_400000_NS6detail17trampoline_kernelINS0_14default_configENS1_22reduce_config_selectorIdEEZNS1_11reduce_implILb1ES3_PdS7_dN6thrust23THRUST_200600_302600_NS4plusIdEEEE10hipError_tPvRmT1_T2_T3_mT4_P12ihipStream_tbEUlT_E1_NS1_11comp_targetILNS1_3genE2ELNS1_11target_archE906ELNS1_3gpuE6ELNS1_3repE0EEENS1_30default_config_static_selectorELNS0_4arch9wavefront6targetE1EEEvSF_
                                        ; -- End function
	.set _ZN7rocprim17ROCPRIM_400000_NS6detail17trampoline_kernelINS0_14default_configENS1_22reduce_config_selectorIdEEZNS1_11reduce_implILb1ES3_PdS7_dN6thrust23THRUST_200600_302600_NS4plusIdEEEE10hipError_tPvRmT1_T2_T3_mT4_P12ihipStream_tbEUlT_E1_NS1_11comp_targetILNS1_3genE2ELNS1_11target_archE906ELNS1_3gpuE6ELNS1_3repE0EEENS1_30default_config_static_selectorELNS0_4arch9wavefront6targetE1EEEvSF_.num_vgpr, 0
	.set _ZN7rocprim17ROCPRIM_400000_NS6detail17trampoline_kernelINS0_14default_configENS1_22reduce_config_selectorIdEEZNS1_11reduce_implILb1ES3_PdS7_dN6thrust23THRUST_200600_302600_NS4plusIdEEEE10hipError_tPvRmT1_T2_T3_mT4_P12ihipStream_tbEUlT_E1_NS1_11comp_targetILNS1_3genE2ELNS1_11target_archE906ELNS1_3gpuE6ELNS1_3repE0EEENS1_30default_config_static_selectorELNS0_4arch9wavefront6targetE1EEEvSF_.num_agpr, 0
	.set _ZN7rocprim17ROCPRIM_400000_NS6detail17trampoline_kernelINS0_14default_configENS1_22reduce_config_selectorIdEEZNS1_11reduce_implILb1ES3_PdS7_dN6thrust23THRUST_200600_302600_NS4plusIdEEEE10hipError_tPvRmT1_T2_T3_mT4_P12ihipStream_tbEUlT_E1_NS1_11comp_targetILNS1_3genE2ELNS1_11target_archE906ELNS1_3gpuE6ELNS1_3repE0EEENS1_30default_config_static_selectorELNS0_4arch9wavefront6targetE1EEEvSF_.numbered_sgpr, 0
	.set _ZN7rocprim17ROCPRIM_400000_NS6detail17trampoline_kernelINS0_14default_configENS1_22reduce_config_selectorIdEEZNS1_11reduce_implILb1ES3_PdS7_dN6thrust23THRUST_200600_302600_NS4plusIdEEEE10hipError_tPvRmT1_T2_T3_mT4_P12ihipStream_tbEUlT_E1_NS1_11comp_targetILNS1_3genE2ELNS1_11target_archE906ELNS1_3gpuE6ELNS1_3repE0EEENS1_30default_config_static_selectorELNS0_4arch9wavefront6targetE1EEEvSF_.num_named_barrier, 0
	.set _ZN7rocprim17ROCPRIM_400000_NS6detail17trampoline_kernelINS0_14default_configENS1_22reduce_config_selectorIdEEZNS1_11reduce_implILb1ES3_PdS7_dN6thrust23THRUST_200600_302600_NS4plusIdEEEE10hipError_tPvRmT1_T2_T3_mT4_P12ihipStream_tbEUlT_E1_NS1_11comp_targetILNS1_3genE2ELNS1_11target_archE906ELNS1_3gpuE6ELNS1_3repE0EEENS1_30default_config_static_selectorELNS0_4arch9wavefront6targetE1EEEvSF_.private_seg_size, 0
	.set _ZN7rocprim17ROCPRIM_400000_NS6detail17trampoline_kernelINS0_14default_configENS1_22reduce_config_selectorIdEEZNS1_11reduce_implILb1ES3_PdS7_dN6thrust23THRUST_200600_302600_NS4plusIdEEEE10hipError_tPvRmT1_T2_T3_mT4_P12ihipStream_tbEUlT_E1_NS1_11comp_targetILNS1_3genE2ELNS1_11target_archE906ELNS1_3gpuE6ELNS1_3repE0EEENS1_30default_config_static_selectorELNS0_4arch9wavefront6targetE1EEEvSF_.uses_vcc, 0
	.set _ZN7rocprim17ROCPRIM_400000_NS6detail17trampoline_kernelINS0_14default_configENS1_22reduce_config_selectorIdEEZNS1_11reduce_implILb1ES3_PdS7_dN6thrust23THRUST_200600_302600_NS4plusIdEEEE10hipError_tPvRmT1_T2_T3_mT4_P12ihipStream_tbEUlT_E1_NS1_11comp_targetILNS1_3genE2ELNS1_11target_archE906ELNS1_3gpuE6ELNS1_3repE0EEENS1_30default_config_static_selectorELNS0_4arch9wavefront6targetE1EEEvSF_.uses_flat_scratch, 0
	.set _ZN7rocprim17ROCPRIM_400000_NS6detail17trampoline_kernelINS0_14default_configENS1_22reduce_config_selectorIdEEZNS1_11reduce_implILb1ES3_PdS7_dN6thrust23THRUST_200600_302600_NS4plusIdEEEE10hipError_tPvRmT1_T2_T3_mT4_P12ihipStream_tbEUlT_E1_NS1_11comp_targetILNS1_3genE2ELNS1_11target_archE906ELNS1_3gpuE6ELNS1_3repE0EEENS1_30default_config_static_selectorELNS0_4arch9wavefront6targetE1EEEvSF_.has_dyn_sized_stack, 0
	.set _ZN7rocprim17ROCPRIM_400000_NS6detail17trampoline_kernelINS0_14default_configENS1_22reduce_config_selectorIdEEZNS1_11reduce_implILb1ES3_PdS7_dN6thrust23THRUST_200600_302600_NS4plusIdEEEE10hipError_tPvRmT1_T2_T3_mT4_P12ihipStream_tbEUlT_E1_NS1_11comp_targetILNS1_3genE2ELNS1_11target_archE906ELNS1_3gpuE6ELNS1_3repE0EEENS1_30default_config_static_selectorELNS0_4arch9wavefront6targetE1EEEvSF_.has_recursion, 0
	.set _ZN7rocprim17ROCPRIM_400000_NS6detail17trampoline_kernelINS0_14default_configENS1_22reduce_config_selectorIdEEZNS1_11reduce_implILb1ES3_PdS7_dN6thrust23THRUST_200600_302600_NS4plusIdEEEE10hipError_tPvRmT1_T2_T3_mT4_P12ihipStream_tbEUlT_E1_NS1_11comp_targetILNS1_3genE2ELNS1_11target_archE906ELNS1_3gpuE6ELNS1_3repE0EEENS1_30default_config_static_selectorELNS0_4arch9wavefront6targetE1EEEvSF_.has_indirect_call, 0
	.section	.AMDGPU.csdata,"",@progbits
; Kernel info:
; codeLenInByte = 0
; TotalNumSgprs: 6
; NumVgprs: 0
; NumAgprs: 0
; TotalNumVgprs: 0
; ScratchSize: 0
; MemoryBound: 0
; FloatMode: 240
; IeeeMode: 1
; LDSByteSize: 0 bytes/workgroup (compile time only)
; SGPRBlocks: 0
; VGPRBlocks: 0
; NumSGPRsForWavesPerEU: 6
; NumVGPRsForWavesPerEU: 1
; AccumOffset: 4
; Occupancy: 8
; WaveLimiterHint : 0
; COMPUTE_PGM_RSRC2:SCRATCH_EN: 0
; COMPUTE_PGM_RSRC2:USER_SGPR: 2
; COMPUTE_PGM_RSRC2:TRAP_HANDLER: 0
; COMPUTE_PGM_RSRC2:TGID_X_EN: 1
; COMPUTE_PGM_RSRC2:TGID_Y_EN: 0
; COMPUTE_PGM_RSRC2:TGID_Z_EN: 0
; COMPUTE_PGM_RSRC2:TIDIG_COMP_CNT: 0
; COMPUTE_PGM_RSRC3_GFX90A:ACCUM_OFFSET: 0
; COMPUTE_PGM_RSRC3_GFX90A:TG_SPLIT: 0
	.section	.text._ZN7rocprim17ROCPRIM_400000_NS6detail17trampoline_kernelINS0_14default_configENS1_22reduce_config_selectorIdEEZNS1_11reduce_implILb1ES3_PdS7_dN6thrust23THRUST_200600_302600_NS4plusIdEEEE10hipError_tPvRmT1_T2_T3_mT4_P12ihipStream_tbEUlT_E1_NS1_11comp_targetILNS1_3genE10ELNS1_11target_archE1201ELNS1_3gpuE5ELNS1_3repE0EEENS1_30default_config_static_selectorELNS0_4arch9wavefront6targetE1EEEvSF_,"axG",@progbits,_ZN7rocprim17ROCPRIM_400000_NS6detail17trampoline_kernelINS0_14default_configENS1_22reduce_config_selectorIdEEZNS1_11reduce_implILb1ES3_PdS7_dN6thrust23THRUST_200600_302600_NS4plusIdEEEE10hipError_tPvRmT1_T2_T3_mT4_P12ihipStream_tbEUlT_E1_NS1_11comp_targetILNS1_3genE10ELNS1_11target_archE1201ELNS1_3gpuE5ELNS1_3repE0EEENS1_30default_config_static_selectorELNS0_4arch9wavefront6targetE1EEEvSF_,comdat
	.protected	_ZN7rocprim17ROCPRIM_400000_NS6detail17trampoline_kernelINS0_14default_configENS1_22reduce_config_selectorIdEEZNS1_11reduce_implILb1ES3_PdS7_dN6thrust23THRUST_200600_302600_NS4plusIdEEEE10hipError_tPvRmT1_T2_T3_mT4_P12ihipStream_tbEUlT_E1_NS1_11comp_targetILNS1_3genE10ELNS1_11target_archE1201ELNS1_3gpuE5ELNS1_3repE0EEENS1_30default_config_static_selectorELNS0_4arch9wavefront6targetE1EEEvSF_ ; -- Begin function _ZN7rocprim17ROCPRIM_400000_NS6detail17trampoline_kernelINS0_14default_configENS1_22reduce_config_selectorIdEEZNS1_11reduce_implILb1ES3_PdS7_dN6thrust23THRUST_200600_302600_NS4plusIdEEEE10hipError_tPvRmT1_T2_T3_mT4_P12ihipStream_tbEUlT_E1_NS1_11comp_targetILNS1_3genE10ELNS1_11target_archE1201ELNS1_3gpuE5ELNS1_3repE0EEENS1_30default_config_static_selectorELNS0_4arch9wavefront6targetE1EEEvSF_
	.globl	_ZN7rocprim17ROCPRIM_400000_NS6detail17trampoline_kernelINS0_14default_configENS1_22reduce_config_selectorIdEEZNS1_11reduce_implILb1ES3_PdS7_dN6thrust23THRUST_200600_302600_NS4plusIdEEEE10hipError_tPvRmT1_T2_T3_mT4_P12ihipStream_tbEUlT_E1_NS1_11comp_targetILNS1_3genE10ELNS1_11target_archE1201ELNS1_3gpuE5ELNS1_3repE0EEENS1_30default_config_static_selectorELNS0_4arch9wavefront6targetE1EEEvSF_
	.p2align	8
	.type	_ZN7rocprim17ROCPRIM_400000_NS6detail17trampoline_kernelINS0_14default_configENS1_22reduce_config_selectorIdEEZNS1_11reduce_implILb1ES3_PdS7_dN6thrust23THRUST_200600_302600_NS4plusIdEEEE10hipError_tPvRmT1_T2_T3_mT4_P12ihipStream_tbEUlT_E1_NS1_11comp_targetILNS1_3genE10ELNS1_11target_archE1201ELNS1_3gpuE5ELNS1_3repE0EEENS1_30default_config_static_selectorELNS0_4arch9wavefront6targetE1EEEvSF_,@function
_ZN7rocprim17ROCPRIM_400000_NS6detail17trampoline_kernelINS0_14default_configENS1_22reduce_config_selectorIdEEZNS1_11reduce_implILb1ES3_PdS7_dN6thrust23THRUST_200600_302600_NS4plusIdEEEE10hipError_tPvRmT1_T2_T3_mT4_P12ihipStream_tbEUlT_E1_NS1_11comp_targetILNS1_3genE10ELNS1_11target_archE1201ELNS1_3gpuE5ELNS1_3repE0EEENS1_30default_config_static_selectorELNS0_4arch9wavefront6targetE1EEEvSF_: ; @_ZN7rocprim17ROCPRIM_400000_NS6detail17trampoline_kernelINS0_14default_configENS1_22reduce_config_selectorIdEEZNS1_11reduce_implILb1ES3_PdS7_dN6thrust23THRUST_200600_302600_NS4plusIdEEEE10hipError_tPvRmT1_T2_T3_mT4_P12ihipStream_tbEUlT_E1_NS1_11comp_targetILNS1_3genE10ELNS1_11target_archE1201ELNS1_3gpuE5ELNS1_3repE0EEENS1_30default_config_static_selectorELNS0_4arch9wavefront6targetE1EEEvSF_
; %bb.0:
	.section	.rodata,"a",@progbits
	.p2align	6, 0x0
	.amdhsa_kernel _ZN7rocprim17ROCPRIM_400000_NS6detail17trampoline_kernelINS0_14default_configENS1_22reduce_config_selectorIdEEZNS1_11reduce_implILb1ES3_PdS7_dN6thrust23THRUST_200600_302600_NS4plusIdEEEE10hipError_tPvRmT1_T2_T3_mT4_P12ihipStream_tbEUlT_E1_NS1_11comp_targetILNS1_3genE10ELNS1_11target_archE1201ELNS1_3gpuE5ELNS1_3repE0EEENS1_30default_config_static_selectorELNS0_4arch9wavefront6targetE1EEEvSF_
		.amdhsa_group_segment_fixed_size 0
		.amdhsa_private_segment_fixed_size 0
		.amdhsa_kernarg_size 48
		.amdhsa_user_sgpr_count 2
		.amdhsa_user_sgpr_dispatch_ptr 0
		.amdhsa_user_sgpr_queue_ptr 0
		.amdhsa_user_sgpr_kernarg_segment_ptr 1
		.amdhsa_user_sgpr_dispatch_id 0
		.amdhsa_user_sgpr_kernarg_preload_length 0
		.amdhsa_user_sgpr_kernarg_preload_offset 0
		.amdhsa_user_sgpr_private_segment_size 0
		.amdhsa_uses_dynamic_stack 0
		.amdhsa_enable_private_segment 0
		.amdhsa_system_sgpr_workgroup_id_x 1
		.amdhsa_system_sgpr_workgroup_id_y 0
		.amdhsa_system_sgpr_workgroup_id_z 0
		.amdhsa_system_sgpr_workgroup_info 0
		.amdhsa_system_vgpr_workitem_id 0
		.amdhsa_next_free_vgpr 1
		.amdhsa_next_free_sgpr 0
		.amdhsa_accum_offset 4
		.amdhsa_reserve_vcc 0
		.amdhsa_float_round_mode_32 0
		.amdhsa_float_round_mode_16_64 0
		.amdhsa_float_denorm_mode_32 3
		.amdhsa_float_denorm_mode_16_64 3
		.amdhsa_dx10_clamp 1
		.amdhsa_ieee_mode 1
		.amdhsa_fp16_overflow 0
		.amdhsa_tg_split 0
		.amdhsa_exception_fp_ieee_invalid_op 0
		.amdhsa_exception_fp_denorm_src 0
		.amdhsa_exception_fp_ieee_div_zero 0
		.amdhsa_exception_fp_ieee_overflow 0
		.amdhsa_exception_fp_ieee_underflow 0
		.amdhsa_exception_fp_ieee_inexact 0
		.amdhsa_exception_int_div_zero 0
	.end_amdhsa_kernel
	.section	.text._ZN7rocprim17ROCPRIM_400000_NS6detail17trampoline_kernelINS0_14default_configENS1_22reduce_config_selectorIdEEZNS1_11reduce_implILb1ES3_PdS7_dN6thrust23THRUST_200600_302600_NS4plusIdEEEE10hipError_tPvRmT1_T2_T3_mT4_P12ihipStream_tbEUlT_E1_NS1_11comp_targetILNS1_3genE10ELNS1_11target_archE1201ELNS1_3gpuE5ELNS1_3repE0EEENS1_30default_config_static_selectorELNS0_4arch9wavefront6targetE1EEEvSF_,"axG",@progbits,_ZN7rocprim17ROCPRIM_400000_NS6detail17trampoline_kernelINS0_14default_configENS1_22reduce_config_selectorIdEEZNS1_11reduce_implILb1ES3_PdS7_dN6thrust23THRUST_200600_302600_NS4plusIdEEEE10hipError_tPvRmT1_T2_T3_mT4_P12ihipStream_tbEUlT_E1_NS1_11comp_targetILNS1_3genE10ELNS1_11target_archE1201ELNS1_3gpuE5ELNS1_3repE0EEENS1_30default_config_static_selectorELNS0_4arch9wavefront6targetE1EEEvSF_,comdat
.Lfunc_end16:
	.size	_ZN7rocprim17ROCPRIM_400000_NS6detail17trampoline_kernelINS0_14default_configENS1_22reduce_config_selectorIdEEZNS1_11reduce_implILb1ES3_PdS7_dN6thrust23THRUST_200600_302600_NS4plusIdEEEE10hipError_tPvRmT1_T2_T3_mT4_P12ihipStream_tbEUlT_E1_NS1_11comp_targetILNS1_3genE10ELNS1_11target_archE1201ELNS1_3gpuE5ELNS1_3repE0EEENS1_30default_config_static_selectorELNS0_4arch9wavefront6targetE1EEEvSF_, .Lfunc_end16-_ZN7rocprim17ROCPRIM_400000_NS6detail17trampoline_kernelINS0_14default_configENS1_22reduce_config_selectorIdEEZNS1_11reduce_implILb1ES3_PdS7_dN6thrust23THRUST_200600_302600_NS4plusIdEEEE10hipError_tPvRmT1_T2_T3_mT4_P12ihipStream_tbEUlT_E1_NS1_11comp_targetILNS1_3genE10ELNS1_11target_archE1201ELNS1_3gpuE5ELNS1_3repE0EEENS1_30default_config_static_selectorELNS0_4arch9wavefront6targetE1EEEvSF_
                                        ; -- End function
	.set _ZN7rocprim17ROCPRIM_400000_NS6detail17trampoline_kernelINS0_14default_configENS1_22reduce_config_selectorIdEEZNS1_11reduce_implILb1ES3_PdS7_dN6thrust23THRUST_200600_302600_NS4plusIdEEEE10hipError_tPvRmT1_T2_T3_mT4_P12ihipStream_tbEUlT_E1_NS1_11comp_targetILNS1_3genE10ELNS1_11target_archE1201ELNS1_3gpuE5ELNS1_3repE0EEENS1_30default_config_static_selectorELNS0_4arch9wavefront6targetE1EEEvSF_.num_vgpr, 0
	.set _ZN7rocprim17ROCPRIM_400000_NS6detail17trampoline_kernelINS0_14default_configENS1_22reduce_config_selectorIdEEZNS1_11reduce_implILb1ES3_PdS7_dN6thrust23THRUST_200600_302600_NS4plusIdEEEE10hipError_tPvRmT1_T2_T3_mT4_P12ihipStream_tbEUlT_E1_NS1_11comp_targetILNS1_3genE10ELNS1_11target_archE1201ELNS1_3gpuE5ELNS1_3repE0EEENS1_30default_config_static_selectorELNS0_4arch9wavefront6targetE1EEEvSF_.num_agpr, 0
	.set _ZN7rocprim17ROCPRIM_400000_NS6detail17trampoline_kernelINS0_14default_configENS1_22reduce_config_selectorIdEEZNS1_11reduce_implILb1ES3_PdS7_dN6thrust23THRUST_200600_302600_NS4plusIdEEEE10hipError_tPvRmT1_T2_T3_mT4_P12ihipStream_tbEUlT_E1_NS1_11comp_targetILNS1_3genE10ELNS1_11target_archE1201ELNS1_3gpuE5ELNS1_3repE0EEENS1_30default_config_static_selectorELNS0_4arch9wavefront6targetE1EEEvSF_.numbered_sgpr, 0
	.set _ZN7rocprim17ROCPRIM_400000_NS6detail17trampoline_kernelINS0_14default_configENS1_22reduce_config_selectorIdEEZNS1_11reduce_implILb1ES3_PdS7_dN6thrust23THRUST_200600_302600_NS4plusIdEEEE10hipError_tPvRmT1_T2_T3_mT4_P12ihipStream_tbEUlT_E1_NS1_11comp_targetILNS1_3genE10ELNS1_11target_archE1201ELNS1_3gpuE5ELNS1_3repE0EEENS1_30default_config_static_selectorELNS0_4arch9wavefront6targetE1EEEvSF_.num_named_barrier, 0
	.set _ZN7rocprim17ROCPRIM_400000_NS6detail17trampoline_kernelINS0_14default_configENS1_22reduce_config_selectorIdEEZNS1_11reduce_implILb1ES3_PdS7_dN6thrust23THRUST_200600_302600_NS4plusIdEEEE10hipError_tPvRmT1_T2_T3_mT4_P12ihipStream_tbEUlT_E1_NS1_11comp_targetILNS1_3genE10ELNS1_11target_archE1201ELNS1_3gpuE5ELNS1_3repE0EEENS1_30default_config_static_selectorELNS0_4arch9wavefront6targetE1EEEvSF_.private_seg_size, 0
	.set _ZN7rocprim17ROCPRIM_400000_NS6detail17trampoline_kernelINS0_14default_configENS1_22reduce_config_selectorIdEEZNS1_11reduce_implILb1ES3_PdS7_dN6thrust23THRUST_200600_302600_NS4plusIdEEEE10hipError_tPvRmT1_T2_T3_mT4_P12ihipStream_tbEUlT_E1_NS1_11comp_targetILNS1_3genE10ELNS1_11target_archE1201ELNS1_3gpuE5ELNS1_3repE0EEENS1_30default_config_static_selectorELNS0_4arch9wavefront6targetE1EEEvSF_.uses_vcc, 0
	.set _ZN7rocprim17ROCPRIM_400000_NS6detail17trampoline_kernelINS0_14default_configENS1_22reduce_config_selectorIdEEZNS1_11reduce_implILb1ES3_PdS7_dN6thrust23THRUST_200600_302600_NS4plusIdEEEE10hipError_tPvRmT1_T2_T3_mT4_P12ihipStream_tbEUlT_E1_NS1_11comp_targetILNS1_3genE10ELNS1_11target_archE1201ELNS1_3gpuE5ELNS1_3repE0EEENS1_30default_config_static_selectorELNS0_4arch9wavefront6targetE1EEEvSF_.uses_flat_scratch, 0
	.set _ZN7rocprim17ROCPRIM_400000_NS6detail17trampoline_kernelINS0_14default_configENS1_22reduce_config_selectorIdEEZNS1_11reduce_implILb1ES3_PdS7_dN6thrust23THRUST_200600_302600_NS4plusIdEEEE10hipError_tPvRmT1_T2_T3_mT4_P12ihipStream_tbEUlT_E1_NS1_11comp_targetILNS1_3genE10ELNS1_11target_archE1201ELNS1_3gpuE5ELNS1_3repE0EEENS1_30default_config_static_selectorELNS0_4arch9wavefront6targetE1EEEvSF_.has_dyn_sized_stack, 0
	.set _ZN7rocprim17ROCPRIM_400000_NS6detail17trampoline_kernelINS0_14default_configENS1_22reduce_config_selectorIdEEZNS1_11reduce_implILb1ES3_PdS7_dN6thrust23THRUST_200600_302600_NS4plusIdEEEE10hipError_tPvRmT1_T2_T3_mT4_P12ihipStream_tbEUlT_E1_NS1_11comp_targetILNS1_3genE10ELNS1_11target_archE1201ELNS1_3gpuE5ELNS1_3repE0EEENS1_30default_config_static_selectorELNS0_4arch9wavefront6targetE1EEEvSF_.has_recursion, 0
	.set _ZN7rocprim17ROCPRIM_400000_NS6detail17trampoline_kernelINS0_14default_configENS1_22reduce_config_selectorIdEEZNS1_11reduce_implILb1ES3_PdS7_dN6thrust23THRUST_200600_302600_NS4plusIdEEEE10hipError_tPvRmT1_T2_T3_mT4_P12ihipStream_tbEUlT_E1_NS1_11comp_targetILNS1_3genE10ELNS1_11target_archE1201ELNS1_3gpuE5ELNS1_3repE0EEENS1_30default_config_static_selectorELNS0_4arch9wavefront6targetE1EEEvSF_.has_indirect_call, 0
	.section	.AMDGPU.csdata,"",@progbits
; Kernel info:
; codeLenInByte = 0
; TotalNumSgprs: 6
; NumVgprs: 0
; NumAgprs: 0
; TotalNumVgprs: 0
; ScratchSize: 0
; MemoryBound: 0
; FloatMode: 240
; IeeeMode: 1
; LDSByteSize: 0 bytes/workgroup (compile time only)
; SGPRBlocks: 0
; VGPRBlocks: 0
; NumSGPRsForWavesPerEU: 6
; NumVGPRsForWavesPerEU: 1
; AccumOffset: 4
; Occupancy: 8
; WaveLimiterHint : 0
; COMPUTE_PGM_RSRC2:SCRATCH_EN: 0
; COMPUTE_PGM_RSRC2:USER_SGPR: 2
; COMPUTE_PGM_RSRC2:TRAP_HANDLER: 0
; COMPUTE_PGM_RSRC2:TGID_X_EN: 1
; COMPUTE_PGM_RSRC2:TGID_Y_EN: 0
; COMPUTE_PGM_RSRC2:TGID_Z_EN: 0
; COMPUTE_PGM_RSRC2:TIDIG_COMP_CNT: 0
; COMPUTE_PGM_RSRC3_GFX90A:ACCUM_OFFSET: 0
; COMPUTE_PGM_RSRC3_GFX90A:TG_SPLIT: 0
	.section	.text._ZN7rocprim17ROCPRIM_400000_NS6detail17trampoline_kernelINS0_14default_configENS1_22reduce_config_selectorIdEEZNS1_11reduce_implILb1ES3_PdS7_dN6thrust23THRUST_200600_302600_NS4plusIdEEEE10hipError_tPvRmT1_T2_T3_mT4_P12ihipStream_tbEUlT_E1_NS1_11comp_targetILNS1_3genE10ELNS1_11target_archE1200ELNS1_3gpuE4ELNS1_3repE0EEENS1_30default_config_static_selectorELNS0_4arch9wavefront6targetE1EEEvSF_,"axG",@progbits,_ZN7rocprim17ROCPRIM_400000_NS6detail17trampoline_kernelINS0_14default_configENS1_22reduce_config_selectorIdEEZNS1_11reduce_implILb1ES3_PdS7_dN6thrust23THRUST_200600_302600_NS4plusIdEEEE10hipError_tPvRmT1_T2_T3_mT4_P12ihipStream_tbEUlT_E1_NS1_11comp_targetILNS1_3genE10ELNS1_11target_archE1200ELNS1_3gpuE4ELNS1_3repE0EEENS1_30default_config_static_selectorELNS0_4arch9wavefront6targetE1EEEvSF_,comdat
	.protected	_ZN7rocprim17ROCPRIM_400000_NS6detail17trampoline_kernelINS0_14default_configENS1_22reduce_config_selectorIdEEZNS1_11reduce_implILb1ES3_PdS7_dN6thrust23THRUST_200600_302600_NS4plusIdEEEE10hipError_tPvRmT1_T2_T3_mT4_P12ihipStream_tbEUlT_E1_NS1_11comp_targetILNS1_3genE10ELNS1_11target_archE1200ELNS1_3gpuE4ELNS1_3repE0EEENS1_30default_config_static_selectorELNS0_4arch9wavefront6targetE1EEEvSF_ ; -- Begin function _ZN7rocprim17ROCPRIM_400000_NS6detail17trampoline_kernelINS0_14default_configENS1_22reduce_config_selectorIdEEZNS1_11reduce_implILb1ES3_PdS7_dN6thrust23THRUST_200600_302600_NS4plusIdEEEE10hipError_tPvRmT1_T2_T3_mT4_P12ihipStream_tbEUlT_E1_NS1_11comp_targetILNS1_3genE10ELNS1_11target_archE1200ELNS1_3gpuE4ELNS1_3repE0EEENS1_30default_config_static_selectorELNS0_4arch9wavefront6targetE1EEEvSF_
	.globl	_ZN7rocprim17ROCPRIM_400000_NS6detail17trampoline_kernelINS0_14default_configENS1_22reduce_config_selectorIdEEZNS1_11reduce_implILb1ES3_PdS7_dN6thrust23THRUST_200600_302600_NS4plusIdEEEE10hipError_tPvRmT1_T2_T3_mT4_P12ihipStream_tbEUlT_E1_NS1_11comp_targetILNS1_3genE10ELNS1_11target_archE1200ELNS1_3gpuE4ELNS1_3repE0EEENS1_30default_config_static_selectorELNS0_4arch9wavefront6targetE1EEEvSF_
	.p2align	8
	.type	_ZN7rocprim17ROCPRIM_400000_NS6detail17trampoline_kernelINS0_14default_configENS1_22reduce_config_selectorIdEEZNS1_11reduce_implILb1ES3_PdS7_dN6thrust23THRUST_200600_302600_NS4plusIdEEEE10hipError_tPvRmT1_T2_T3_mT4_P12ihipStream_tbEUlT_E1_NS1_11comp_targetILNS1_3genE10ELNS1_11target_archE1200ELNS1_3gpuE4ELNS1_3repE0EEENS1_30default_config_static_selectorELNS0_4arch9wavefront6targetE1EEEvSF_,@function
_ZN7rocprim17ROCPRIM_400000_NS6detail17trampoline_kernelINS0_14default_configENS1_22reduce_config_selectorIdEEZNS1_11reduce_implILb1ES3_PdS7_dN6thrust23THRUST_200600_302600_NS4plusIdEEEE10hipError_tPvRmT1_T2_T3_mT4_P12ihipStream_tbEUlT_E1_NS1_11comp_targetILNS1_3genE10ELNS1_11target_archE1200ELNS1_3gpuE4ELNS1_3repE0EEENS1_30default_config_static_selectorELNS0_4arch9wavefront6targetE1EEEvSF_: ; @_ZN7rocprim17ROCPRIM_400000_NS6detail17trampoline_kernelINS0_14default_configENS1_22reduce_config_selectorIdEEZNS1_11reduce_implILb1ES3_PdS7_dN6thrust23THRUST_200600_302600_NS4plusIdEEEE10hipError_tPvRmT1_T2_T3_mT4_P12ihipStream_tbEUlT_E1_NS1_11comp_targetILNS1_3genE10ELNS1_11target_archE1200ELNS1_3gpuE4ELNS1_3repE0EEENS1_30default_config_static_selectorELNS0_4arch9wavefront6targetE1EEEvSF_
; %bb.0:
	.section	.rodata,"a",@progbits
	.p2align	6, 0x0
	.amdhsa_kernel _ZN7rocprim17ROCPRIM_400000_NS6detail17trampoline_kernelINS0_14default_configENS1_22reduce_config_selectorIdEEZNS1_11reduce_implILb1ES3_PdS7_dN6thrust23THRUST_200600_302600_NS4plusIdEEEE10hipError_tPvRmT1_T2_T3_mT4_P12ihipStream_tbEUlT_E1_NS1_11comp_targetILNS1_3genE10ELNS1_11target_archE1200ELNS1_3gpuE4ELNS1_3repE0EEENS1_30default_config_static_selectorELNS0_4arch9wavefront6targetE1EEEvSF_
		.amdhsa_group_segment_fixed_size 0
		.amdhsa_private_segment_fixed_size 0
		.amdhsa_kernarg_size 48
		.amdhsa_user_sgpr_count 2
		.amdhsa_user_sgpr_dispatch_ptr 0
		.amdhsa_user_sgpr_queue_ptr 0
		.amdhsa_user_sgpr_kernarg_segment_ptr 1
		.amdhsa_user_sgpr_dispatch_id 0
		.amdhsa_user_sgpr_kernarg_preload_length 0
		.amdhsa_user_sgpr_kernarg_preload_offset 0
		.amdhsa_user_sgpr_private_segment_size 0
		.amdhsa_uses_dynamic_stack 0
		.amdhsa_enable_private_segment 0
		.amdhsa_system_sgpr_workgroup_id_x 1
		.amdhsa_system_sgpr_workgroup_id_y 0
		.amdhsa_system_sgpr_workgroup_id_z 0
		.amdhsa_system_sgpr_workgroup_info 0
		.amdhsa_system_vgpr_workitem_id 0
		.amdhsa_next_free_vgpr 1
		.amdhsa_next_free_sgpr 0
		.amdhsa_accum_offset 4
		.amdhsa_reserve_vcc 0
		.amdhsa_float_round_mode_32 0
		.amdhsa_float_round_mode_16_64 0
		.amdhsa_float_denorm_mode_32 3
		.amdhsa_float_denorm_mode_16_64 3
		.amdhsa_dx10_clamp 1
		.amdhsa_ieee_mode 1
		.amdhsa_fp16_overflow 0
		.amdhsa_tg_split 0
		.amdhsa_exception_fp_ieee_invalid_op 0
		.amdhsa_exception_fp_denorm_src 0
		.amdhsa_exception_fp_ieee_div_zero 0
		.amdhsa_exception_fp_ieee_overflow 0
		.amdhsa_exception_fp_ieee_underflow 0
		.amdhsa_exception_fp_ieee_inexact 0
		.amdhsa_exception_int_div_zero 0
	.end_amdhsa_kernel
	.section	.text._ZN7rocprim17ROCPRIM_400000_NS6detail17trampoline_kernelINS0_14default_configENS1_22reduce_config_selectorIdEEZNS1_11reduce_implILb1ES3_PdS7_dN6thrust23THRUST_200600_302600_NS4plusIdEEEE10hipError_tPvRmT1_T2_T3_mT4_P12ihipStream_tbEUlT_E1_NS1_11comp_targetILNS1_3genE10ELNS1_11target_archE1200ELNS1_3gpuE4ELNS1_3repE0EEENS1_30default_config_static_selectorELNS0_4arch9wavefront6targetE1EEEvSF_,"axG",@progbits,_ZN7rocprim17ROCPRIM_400000_NS6detail17trampoline_kernelINS0_14default_configENS1_22reduce_config_selectorIdEEZNS1_11reduce_implILb1ES3_PdS7_dN6thrust23THRUST_200600_302600_NS4plusIdEEEE10hipError_tPvRmT1_T2_T3_mT4_P12ihipStream_tbEUlT_E1_NS1_11comp_targetILNS1_3genE10ELNS1_11target_archE1200ELNS1_3gpuE4ELNS1_3repE0EEENS1_30default_config_static_selectorELNS0_4arch9wavefront6targetE1EEEvSF_,comdat
.Lfunc_end17:
	.size	_ZN7rocprim17ROCPRIM_400000_NS6detail17trampoline_kernelINS0_14default_configENS1_22reduce_config_selectorIdEEZNS1_11reduce_implILb1ES3_PdS7_dN6thrust23THRUST_200600_302600_NS4plusIdEEEE10hipError_tPvRmT1_T2_T3_mT4_P12ihipStream_tbEUlT_E1_NS1_11comp_targetILNS1_3genE10ELNS1_11target_archE1200ELNS1_3gpuE4ELNS1_3repE0EEENS1_30default_config_static_selectorELNS0_4arch9wavefront6targetE1EEEvSF_, .Lfunc_end17-_ZN7rocprim17ROCPRIM_400000_NS6detail17trampoline_kernelINS0_14default_configENS1_22reduce_config_selectorIdEEZNS1_11reduce_implILb1ES3_PdS7_dN6thrust23THRUST_200600_302600_NS4plusIdEEEE10hipError_tPvRmT1_T2_T3_mT4_P12ihipStream_tbEUlT_E1_NS1_11comp_targetILNS1_3genE10ELNS1_11target_archE1200ELNS1_3gpuE4ELNS1_3repE0EEENS1_30default_config_static_selectorELNS0_4arch9wavefront6targetE1EEEvSF_
                                        ; -- End function
	.set _ZN7rocprim17ROCPRIM_400000_NS6detail17trampoline_kernelINS0_14default_configENS1_22reduce_config_selectorIdEEZNS1_11reduce_implILb1ES3_PdS7_dN6thrust23THRUST_200600_302600_NS4plusIdEEEE10hipError_tPvRmT1_T2_T3_mT4_P12ihipStream_tbEUlT_E1_NS1_11comp_targetILNS1_3genE10ELNS1_11target_archE1200ELNS1_3gpuE4ELNS1_3repE0EEENS1_30default_config_static_selectorELNS0_4arch9wavefront6targetE1EEEvSF_.num_vgpr, 0
	.set _ZN7rocprim17ROCPRIM_400000_NS6detail17trampoline_kernelINS0_14default_configENS1_22reduce_config_selectorIdEEZNS1_11reduce_implILb1ES3_PdS7_dN6thrust23THRUST_200600_302600_NS4plusIdEEEE10hipError_tPvRmT1_T2_T3_mT4_P12ihipStream_tbEUlT_E1_NS1_11comp_targetILNS1_3genE10ELNS1_11target_archE1200ELNS1_3gpuE4ELNS1_3repE0EEENS1_30default_config_static_selectorELNS0_4arch9wavefront6targetE1EEEvSF_.num_agpr, 0
	.set _ZN7rocprim17ROCPRIM_400000_NS6detail17trampoline_kernelINS0_14default_configENS1_22reduce_config_selectorIdEEZNS1_11reduce_implILb1ES3_PdS7_dN6thrust23THRUST_200600_302600_NS4plusIdEEEE10hipError_tPvRmT1_T2_T3_mT4_P12ihipStream_tbEUlT_E1_NS1_11comp_targetILNS1_3genE10ELNS1_11target_archE1200ELNS1_3gpuE4ELNS1_3repE0EEENS1_30default_config_static_selectorELNS0_4arch9wavefront6targetE1EEEvSF_.numbered_sgpr, 0
	.set _ZN7rocprim17ROCPRIM_400000_NS6detail17trampoline_kernelINS0_14default_configENS1_22reduce_config_selectorIdEEZNS1_11reduce_implILb1ES3_PdS7_dN6thrust23THRUST_200600_302600_NS4plusIdEEEE10hipError_tPvRmT1_T2_T3_mT4_P12ihipStream_tbEUlT_E1_NS1_11comp_targetILNS1_3genE10ELNS1_11target_archE1200ELNS1_3gpuE4ELNS1_3repE0EEENS1_30default_config_static_selectorELNS0_4arch9wavefront6targetE1EEEvSF_.num_named_barrier, 0
	.set _ZN7rocprim17ROCPRIM_400000_NS6detail17trampoline_kernelINS0_14default_configENS1_22reduce_config_selectorIdEEZNS1_11reduce_implILb1ES3_PdS7_dN6thrust23THRUST_200600_302600_NS4plusIdEEEE10hipError_tPvRmT1_T2_T3_mT4_P12ihipStream_tbEUlT_E1_NS1_11comp_targetILNS1_3genE10ELNS1_11target_archE1200ELNS1_3gpuE4ELNS1_3repE0EEENS1_30default_config_static_selectorELNS0_4arch9wavefront6targetE1EEEvSF_.private_seg_size, 0
	.set _ZN7rocprim17ROCPRIM_400000_NS6detail17trampoline_kernelINS0_14default_configENS1_22reduce_config_selectorIdEEZNS1_11reduce_implILb1ES3_PdS7_dN6thrust23THRUST_200600_302600_NS4plusIdEEEE10hipError_tPvRmT1_T2_T3_mT4_P12ihipStream_tbEUlT_E1_NS1_11comp_targetILNS1_3genE10ELNS1_11target_archE1200ELNS1_3gpuE4ELNS1_3repE0EEENS1_30default_config_static_selectorELNS0_4arch9wavefront6targetE1EEEvSF_.uses_vcc, 0
	.set _ZN7rocprim17ROCPRIM_400000_NS6detail17trampoline_kernelINS0_14default_configENS1_22reduce_config_selectorIdEEZNS1_11reduce_implILb1ES3_PdS7_dN6thrust23THRUST_200600_302600_NS4plusIdEEEE10hipError_tPvRmT1_T2_T3_mT4_P12ihipStream_tbEUlT_E1_NS1_11comp_targetILNS1_3genE10ELNS1_11target_archE1200ELNS1_3gpuE4ELNS1_3repE0EEENS1_30default_config_static_selectorELNS0_4arch9wavefront6targetE1EEEvSF_.uses_flat_scratch, 0
	.set _ZN7rocprim17ROCPRIM_400000_NS6detail17trampoline_kernelINS0_14default_configENS1_22reduce_config_selectorIdEEZNS1_11reduce_implILb1ES3_PdS7_dN6thrust23THRUST_200600_302600_NS4plusIdEEEE10hipError_tPvRmT1_T2_T3_mT4_P12ihipStream_tbEUlT_E1_NS1_11comp_targetILNS1_3genE10ELNS1_11target_archE1200ELNS1_3gpuE4ELNS1_3repE0EEENS1_30default_config_static_selectorELNS0_4arch9wavefront6targetE1EEEvSF_.has_dyn_sized_stack, 0
	.set _ZN7rocprim17ROCPRIM_400000_NS6detail17trampoline_kernelINS0_14default_configENS1_22reduce_config_selectorIdEEZNS1_11reduce_implILb1ES3_PdS7_dN6thrust23THRUST_200600_302600_NS4plusIdEEEE10hipError_tPvRmT1_T2_T3_mT4_P12ihipStream_tbEUlT_E1_NS1_11comp_targetILNS1_3genE10ELNS1_11target_archE1200ELNS1_3gpuE4ELNS1_3repE0EEENS1_30default_config_static_selectorELNS0_4arch9wavefront6targetE1EEEvSF_.has_recursion, 0
	.set _ZN7rocprim17ROCPRIM_400000_NS6detail17trampoline_kernelINS0_14default_configENS1_22reduce_config_selectorIdEEZNS1_11reduce_implILb1ES3_PdS7_dN6thrust23THRUST_200600_302600_NS4plusIdEEEE10hipError_tPvRmT1_T2_T3_mT4_P12ihipStream_tbEUlT_E1_NS1_11comp_targetILNS1_3genE10ELNS1_11target_archE1200ELNS1_3gpuE4ELNS1_3repE0EEENS1_30default_config_static_selectorELNS0_4arch9wavefront6targetE1EEEvSF_.has_indirect_call, 0
	.section	.AMDGPU.csdata,"",@progbits
; Kernel info:
; codeLenInByte = 0
; TotalNumSgprs: 6
; NumVgprs: 0
; NumAgprs: 0
; TotalNumVgprs: 0
; ScratchSize: 0
; MemoryBound: 0
; FloatMode: 240
; IeeeMode: 1
; LDSByteSize: 0 bytes/workgroup (compile time only)
; SGPRBlocks: 0
; VGPRBlocks: 0
; NumSGPRsForWavesPerEU: 6
; NumVGPRsForWavesPerEU: 1
; AccumOffset: 4
; Occupancy: 8
; WaveLimiterHint : 0
; COMPUTE_PGM_RSRC2:SCRATCH_EN: 0
; COMPUTE_PGM_RSRC2:USER_SGPR: 2
; COMPUTE_PGM_RSRC2:TRAP_HANDLER: 0
; COMPUTE_PGM_RSRC2:TGID_X_EN: 1
; COMPUTE_PGM_RSRC2:TGID_Y_EN: 0
; COMPUTE_PGM_RSRC2:TGID_Z_EN: 0
; COMPUTE_PGM_RSRC2:TIDIG_COMP_CNT: 0
; COMPUTE_PGM_RSRC3_GFX90A:ACCUM_OFFSET: 0
; COMPUTE_PGM_RSRC3_GFX90A:TG_SPLIT: 0
	.section	.text._ZN7rocprim17ROCPRIM_400000_NS6detail17trampoline_kernelINS0_14default_configENS1_22reduce_config_selectorIdEEZNS1_11reduce_implILb1ES3_PdS7_dN6thrust23THRUST_200600_302600_NS4plusIdEEEE10hipError_tPvRmT1_T2_T3_mT4_P12ihipStream_tbEUlT_E1_NS1_11comp_targetILNS1_3genE9ELNS1_11target_archE1100ELNS1_3gpuE3ELNS1_3repE0EEENS1_30default_config_static_selectorELNS0_4arch9wavefront6targetE1EEEvSF_,"axG",@progbits,_ZN7rocprim17ROCPRIM_400000_NS6detail17trampoline_kernelINS0_14default_configENS1_22reduce_config_selectorIdEEZNS1_11reduce_implILb1ES3_PdS7_dN6thrust23THRUST_200600_302600_NS4plusIdEEEE10hipError_tPvRmT1_T2_T3_mT4_P12ihipStream_tbEUlT_E1_NS1_11comp_targetILNS1_3genE9ELNS1_11target_archE1100ELNS1_3gpuE3ELNS1_3repE0EEENS1_30default_config_static_selectorELNS0_4arch9wavefront6targetE1EEEvSF_,comdat
	.protected	_ZN7rocprim17ROCPRIM_400000_NS6detail17trampoline_kernelINS0_14default_configENS1_22reduce_config_selectorIdEEZNS1_11reduce_implILb1ES3_PdS7_dN6thrust23THRUST_200600_302600_NS4plusIdEEEE10hipError_tPvRmT1_T2_T3_mT4_P12ihipStream_tbEUlT_E1_NS1_11comp_targetILNS1_3genE9ELNS1_11target_archE1100ELNS1_3gpuE3ELNS1_3repE0EEENS1_30default_config_static_selectorELNS0_4arch9wavefront6targetE1EEEvSF_ ; -- Begin function _ZN7rocprim17ROCPRIM_400000_NS6detail17trampoline_kernelINS0_14default_configENS1_22reduce_config_selectorIdEEZNS1_11reduce_implILb1ES3_PdS7_dN6thrust23THRUST_200600_302600_NS4plusIdEEEE10hipError_tPvRmT1_T2_T3_mT4_P12ihipStream_tbEUlT_E1_NS1_11comp_targetILNS1_3genE9ELNS1_11target_archE1100ELNS1_3gpuE3ELNS1_3repE0EEENS1_30default_config_static_selectorELNS0_4arch9wavefront6targetE1EEEvSF_
	.globl	_ZN7rocprim17ROCPRIM_400000_NS6detail17trampoline_kernelINS0_14default_configENS1_22reduce_config_selectorIdEEZNS1_11reduce_implILb1ES3_PdS7_dN6thrust23THRUST_200600_302600_NS4plusIdEEEE10hipError_tPvRmT1_T2_T3_mT4_P12ihipStream_tbEUlT_E1_NS1_11comp_targetILNS1_3genE9ELNS1_11target_archE1100ELNS1_3gpuE3ELNS1_3repE0EEENS1_30default_config_static_selectorELNS0_4arch9wavefront6targetE1EEEvSF_
	.p2align	8
	.type	_ZN7rocprim17ROCPRIM_400000_NS6detail17trampoline_kernelINS0_14default_configENS1_22reduce_config_selectorIdEEZNS1_11reduce_implILb1ES3_PdS7_dN6thrust23THRUST_200600_302600_NS4plusIdEEEE10hipError_tPvRmT1_T2_T3_mT4_P12ihipStream_tbEUlT_E1_NS1_11comp_targetILNS1_3genE9ELNS1_11target_archE1100ELNS1_3gpuE3ELNS1_3repE0EEENS1_30default_config_static_selectorELNS0_4arch9wavefront6targetE1EEEvSF_,@function
_ZN7rocprim17ROCPRIM_400000_NS6detail17trampoline_kernelINS0_14default_configENS1_22reduce_config_selectorIdEEZNS1_11reduce_implILb1ES3_PdS7_dN6thrust23THRUST_200600_302600_NS4plusIdEEEE10hipError_tPvRmT1_T2_T3_mT4_P12ihipStream_tbEUlT_E1_NS1_11comp_targetILNS1_3genE9ELNS1_11target_archE1100ELNS1_3gpuE3ELNS1_3repE0EEENS1_30default_config_static_selectorELNS0_4arch9wavefront6targetE1EEEvSF_: ; @_ZN7rocprim17ROCPRIM_400000_NS6detail17trampoline_kernelINS0_14default_configENS1_22reduce_config_selectorIdEEZNS1_11reduce_implILb1ES3_PdS7_dN6thrust23THRUST_200600_302600_NS4plusIdEEEE10hipError_tPvRmT1_T2_T3_mT4_P12ihipStream_tbEUlT_E1_NS1_11comp_targetILNS1_3genE9ELNS1_11target_archE1100ELNS1_3gpuE3ELNS1_3repE0EEENS1_30default_config_static_selectorELNS0_4arch9wavefront6targetE1EEEvSF_
; %bb.0:
	.section	.rodata,"a",@progbits
	.p2align	6, 0x0
	.amdhsa_kernel _ZN7rocprim17ROCPRIM_400000_NS6detail17trampoline_kernelINS0_14default_configENS1_22reduce_config_selectorIdEEZNS1_11reduce_implILb1ES3_PdS7_dN6thrust23THRUST_200600_302600_NS4plusIdEEEE10hipError_tPvRmT1_T2_T3_mT4_P12ihipStream_tbEUlT_E1_NS1_11comp_targetILNS1_3genE9ELNS1_11target_archE1100ELNS1_3gpuE3ELNS1_3repE0EEENS1_30default_config_static_selectorELNS0_4arch9wavefront6targetE1EEEvSF_
		.amdhsa_group_segment_fixed_size 0
		.amdhsa_private_segment_fixed_size 0
		.amdhsa_kernarg_size 48
		.amdhsa_user_sgpr_count 2
		.amdhsa_user_sgpr_dispatch_ptr 0
		.amdhsa_user_sgpr_queue_ptr 0
		.amdhsa_user_sgpr_kernarg_segment_ptr 1
		.amdhsa_user_sgpr_dispatch_id 0
		.amdhsa_user_sgpr_kernarg_preload_length 0
		.amdhsa_user_sgpr_kernarg_preload_offset 0
		.amdhsa_user_sgpr_private_segment_size 0
		.amdhsa_uses_dynamic_stack 0
		.amdhsa_enable_private_segment 0
		.amdhsa_system_sgpr_workgroup_id_x 1
		.amdhsa_system_sgpr_workgroup_id_y 0
		.amdhsa_system_sgpr_workgroup_id_z 0
		.amdhsa_system_sgpr_workgroup_info 0
		.amdhsa_system_vgpr_workitem_id 0
		.amdhsa_next_free_vgpr 1
		.amdhsa_next_free_sgpr 0
		.amdhsa_accum_offset 4
		.amdhsa_reserve_vcc 0
		.amdhsa_float_round_mode_32 0
		.amdhsa_float_round_mode_16_64 0
		.amdhsa_float_denorm_mode_32 3
		.amdhsa_float_denorm_mode_16_64 3
		.amdhsa_dx10_clamp 1
		.amdhsa_ieee_mode 1
		.amdhsa_fp16_overflow 0
		.amdhsa_tg_split 0
		.amdhsa_exception_fp_ieee_invalid_op 0
		.amdhsa_exception_fp_denorm_src 0
		.amdhsa_exception_fp_ieee_div_zero 0
		.amdhsa_exception_fp_ieee_overflow 0
		.amdhsa_exception_fp_ieee_underflow 0
		.amdhsa_exception_fp_ieee_inexact 0
		.amdhsa_exception_int_div_zero 0
	.end_amdhsa_kernel
	.section	.text._ZN7rocprim17ROCPRIM_400000_NS6detail17trampoline_kernelINS0_14default_configENS1_22reduce_config_selectorIdEEZNS1_11reduce_implILb1ES3_PdS7_dN6thrust23THRUST_200600_302600_NS4plusIdEEEE10hipError_tPvRmT1_T2_T3_mT4_P12ihipStream_tbEUlT_E1_NS1_11comp_targetILNS1_3genE9ELNS1_11target_archE1100ELNS1_3gpuE3ELNS1_3repE0EEENS1_30default_config_static_selectorELNS0_4arch9wavefront6targetE1EEEvSF_,"axG",@progbits,_ZN7rocprim17ROCPRIM_400000_NS6detail17trampoline_kernelINS0_14default_configENS1_22reduce_config_selectorIdEEZNS1_11reduce_implILb1ES3_PdS7_dN6thrust23THRUST_200600_302600_NS4plusIdEEEE10hipError_tPvRmT1_T2_T3_mT4_P12ihipStream_tbEUlT_E1_NS1_11comp_targetILNS1_3genE9ELNS1_11target_archE1100ELNS1_3gpuE3ELNS1_3repE0EEENS1_30default_config_static_selectorELNS0_4arch9wavefront6targetE1EEEvSF_,comdat
.Lfunc_end18:
	.size	_ZN7rocprim17ROCPRIM_400000_NS6detail17trampoline_kernelINS0_14default_configENS1_22reduce_config_selectorIdEEZNS1_11reduce_implILb1ES3_PdS7_dN6thrust23THRUST_200600_302600_NS4plusIdEEEE10hipError_tPvRmT1_T2_T3_mT4_P12ihipStream_tbEUlT_E1_NS1_11comp_targetILNS1_3genE9ELNS1_11target_archE1100ELNS1_3gpuE3ELNS1_3repE0EEENS1_30default_config_static_selectorELNS0_4arch9wavefront6targetE1EEEvSF_, .Lfunc_end18-_ZN7rocprim17ROCPRIM_400000_NS6detail17trampoline_kernelINS0_14default_configENS1_22reduce_config_selectorIdEEZNS1_11reduce_implILb1ES3_PdS7_dN6thrust23THRUST_200600_302600_NS4plusIdEEEE10hipError_tPvRmT1_T2_T3_mT4_P12ihipStream_tbEUlT_E1_NS1_11comp_targetILNS1_3genE9ELNS1_11target_archE1100ELNS1_3gpuE3ELNS1_3repE0EEENS1_30default_config_static_selectorELNS0_4arch9wavefront6targetE1EEEvSF_
                                        ; -- End function
	.set _ZN7rocprim17ROCPRIM_400000_NS6detail17trampoline_kernelINS0_14default_configENS1_22reduce_config_selectorIdEEZNS1_11reduce_implILb1ES3_PdS7_dN6thrust23THRUST_200600_302600_NS4plusIdEEEE10hipError_tPvRmT1_T2_T3_mT4_P12ihipStream_tbEUlT_E1_NS1_11comp_targetILNS1_3genE9ELNS1_11target_archE1100ELNS1_3gpuE3ELNS1_3repE0EEENS1_30default_config_static_selectorELNS0_4arch9wavefront6targetE1EEEvSF_.num_vgpr, 0
	.set _ZN7rocprim17ROCPRIM_400000_NS6detail17trampoline_kernelINS0_14default_configENS1_22reduce_config_selectorIdEEZNS1_11reduce_implILb1ES3_PdS7_dN6thrust23THRUST_200600_302600_NS4plusIdEEEE10hipError_tPvRmT1_T2_T3_mT4_P12ihipStream_tbEUlT_E1_NS1_11comp_targetILNS1_3genE9ELNS1_11target_archE1100ELNS1_3gpuE3ELNS1_3repE0EEENS1_30default_config_static_selectorELNS0_4arch9wavefront6targetE1EEEvSF_.num_agpr, 0
	.set _ZN7rocprim17ROCPRIM_400000_NS6detail17trampoline_kernelINS0_14default_configENS1_22reduce_config_selectorIdEEZNS1_11reduce_implILb1ES3_PdS7_dN6thrust23THRUST_200600_302600_NS4plusIdEEEE10hipError_tPvRmT1_T2_T3_mT4_P12ihipStream_tbEUlT_E1_NS1_11comp_targetILNS1_3genE9ELNS1_11target_archE1100ELNS1_3gpuE3ELNS1_3repE0EEENS1_30default_config_static_selectorELNS0_4arch9wavefront6targetE1EEEvSF_.numbered_sgpr, 0
	.set _ZN7rocprim17ROCPRIM_400000_NS6detail17trampoline_kernelINS0_14default_configENS1_22reduce_config_selectorIdEEZNS1_11reduce_implILb1ES3_PdS7_dN6thrust23THRUST_200600_302600_NS4plusIdEEEE10hipError_tPvRmT1_T2_T3_mT4_P12ihipStream_tbEUlT_E1_NS1_11comp_targetILNS1_3genE9ELNS1_11target_archE1100ELNS1_3gpuE3ELNS1_3repE0EEENS1_30default_config_static_selectorELNS0_4arch9wavefront6targetE1EEEvSF_.num_named_barrier, 0
	.set _ZN7rocprim17ROCPRIM_400000_NS6detail17trampoline_kernelINS0_14default_configENS1_22reduce_config_selectorIdEEZNS1_11reduce_implILb1ES3_PdS7_dN6thrust23THRUST_200600_302600_NS4plusIdEEEE10hipError_tPvRmT1_T2_T3_mT4_P12ihipStream_tbEUlT_E1_NS1_11comp_targetILNS1_3genE9ELNS1_11target_archE1100ELNS1_3gpuE3ELNS1_3repE0EEENS1_30default_config_static_selectorELNS0_4arch9wavefront6targetE1EEEvSF_.private_seg_size, 0
	.set _ZN7rocprim17ROCPRIM_400000_NS6detail17trampoline_kernelINS0_14default_configENS1_22reduce_config_selectorIdEEZNS1_11reduce_implILb1ES3_PdS7_dN6thrust23THRUST_200600_302600_NS4plusIdEEEE10hipError_tPvRmT1_T2_T3_mT4_P12ihipStream_tbEUlT_E1_NS1_11comp_targetILNS1_3genE9ELNS1_11target_archE1100ELNS1_3gpuE3ELNS1_3repE0EEENS1_30default_config_static_selectorELNS0_4arch9wavefront6targetE1EEEvSF_.uses_vcc, 0
	.set _ZN7rocprim17ROCPRIM_400000_NS6detail17trampoline_kernelINS0_14default_configENS1_22reduce_config_selectorIdEEZNS1_11reduce_implILb1ES3_PdS7_dN6thrust23THRUST_200600_302600_NS4plusIdEEEE10hipError_tPvRmT1_T2_T3_mT4_P12ihipStream_tbEUlT_E1_NS1_11comp_targetILNS1_3genE9ELNS1_11target_archE1100ELNS1_3gpuE3ELNS1_3repE0EEENS1_30default_config_static_selectorELNS0_4arch9wavefront6targetE1EEEvSF_.uses_flat_scratch, 0
	.set _ZN7rocprim17ROCPRIM_400000_NS6detail17trampoline_kernelINS0_14default_configENS1_22reduce_config_selectorIdEEZNS1_11reduce_implILb1ES3_PdS7_dN6thrust23THRUST_200600_302600_NS4plusIdEEEE10hipError_tPvRmT1_T2_T3_mT4_P12ihipStream_tbEUlT_E1_NS1_11comp_targetILNS1_3genE9ELNS1_11target_archE1100ELNS1_3gpuE3ELNS1_3repE0EEENS1_30default_config_static_selectorELNS0_4arch9wavefront6targetE1EEEvSF_.has_dyn_sized_stack, 0
	.set _ZN7rocprim17ROCPRIM_400000_NS6detail17trampoline_kernelINS0_14default_configENS1_22reduce_config_selectorIdEEZNS1_11reduce_implILb1ES3_PdS7_dN6thrust23THRUST_200600_302600_NS4plusIdEEEE10hipError_tPvRmT1_T2_T3_mT4_P12ihipStream_tbEUlT_E1_NS1_11comp_targetILNS1_3genE9ELNS1_11target_archE1100ELNS1_3gpuE3ELNS1_3repE0EEENS1_30default_config_static_selectorELNS0_4arch9wavefront6targetE1EEEvSF_.has_recursion, 0
	.set _ZN7rocprim17ROCPRIM_400000_NS6detail17trampoline_kernelINS0_14default_configENS1_22reduce_config_selectorIdEEZNS1_11reduce_implILb1ES3_PdS7_dN6thrust23THRUST_200600_302600_NS4plusIdEEEE10hipError_tPvRmT1_T2_T3_mT4_P12ihipStream_tbEUlT_E1_NS1_11comp_targetILNS1_3genE9ELNS1_11target_archE1100ELNS1_3gpuE3ELNS1_3repE0EEENS1_30default_config_static_selectorELNS0_4arch9wavefront6targetE1EEEvSF_.has_indirect_call, 0
	.section	.AMDGPU.csdata,"",@progbits
; Kernel info:
; codeLenInByte = 0
; TotalNumSgprs: 6
; NumVgprs: 0
; NumAgprs: 0
; TotalNumVgprs: 0
; ScratchSize: 0
; MemoryBound: 0
; FloatMode: 240
; IeeeMode: 1
; LDSByteSize: 0 bytes/workgroup (compile time only)
; SGPRBlocks: 0
; VGPRBlocks: 0
; NumSGPRsForWavesPerEU: 6
; NumVGPRsForWavesPerEU: 1
; AccumOffset: 4
; Occupancy: 8
; WaveLimiterHint : 0
; COMPUTE_PGM_RSRC2:SCRATCH_EN: 0
; COMPUTE_PGM_RSRC2:USER_SGPR: 2
; COMPUTE_PGM_RSRC2:TRAP_HANDLER: 0
; COMPUTE_PGM_RSRC2:TGID_X_EN: 1
; COMPUTE_PGM_RSRC2:TGID_Y_EN: 0
; COMPUTE_PGM_RSRC2:TGID_Z_EN: 0
; COMPUTE_PGM_RSRC2:TIDIG_COMP_CNT: 0
; COMPUTE_PGM_RSRC3_GFX90A:ACCUM_OFFSET: 0
; COMPUTE_PGM_RSRC3_GFX90A:TG_SPLIT: 0
	.section	.text._ZN7rocprim17ROCPRIM_400000_NS6detail17trampoline_kernelINS0_14default_configENS1_22reduce_config_selectorIdEEZNS1_11reduce_implILb1ES3_PdS7_dN6thrust23THRUST_200600_302600_NS4plusIdEEEE10hipError_tPvRmT1_T2_T3_mT4_P12ihipStream_tbEUlT_E1_NS1_11comp_targetILNS1_3genE8ELNS1_11target_archE1030ELNS1_3gpuE2ELNS1_3repE0EEENS1_30default_config_static_selectorELNS0_4arch9wavefront6targetE1EEEvSF_,"axG",@progbits,_ZN7rocprim17ROCPRIM_400000_NS6detail17trampoline_kernelINS0_14default_configENS1_22reduce_config_selectorIdEEZNS1_11reduce_implILb1ES3_PdS7_dN6thrust23THRUST_200600_302600_NS4plusIdEEEE10hipError_tPvRmT1_T2_T3_mT4_P12ihipStream_tbEUlT_E1_NS1_11comp_targetILNS1_3genE8ELNS1_11target_archE1030ELNS1_3gpuE2ELNS1_3repE0EEENS1_30default_config_static_selectorELNS0_4arch9wavefront6targetE1EEEvSF_,comdat
	.protected	_ZN7rocprim17ROCPRIM_400000_NS6detail17trampoline_kernelINS0_14default_configENS1_22reduce_config_selectorIdEEZNS1_11reduce_implILb1ES3_PdS7_dN6thrust23THRUST_200600_302600_NS4plusIdEEEE10hipError_tPvRmT1_T2_T3_mT4_P12ihipStream_tbEUlT_E1_NS1_11comp_targetILNS1_3genE8ELNS1_11target_archE1030ELNS1_3gpuE2ELNS1_3repE0EEENS1_30default_config_static_selectorELNS0_4arch9wavefront6targetE1EEEvSF_ ; -- Begin function _ZN7rocprim17ROCPRIM_400000_NS6detail17trampoline_kernelINS0_14default_configENS1_22reduce_config_selectorIdEEZNS1_11reduce_implILb1ES3_PdS7_dN6thrust23THRUST_200600_302600_NS4plusIdEEEE10hipError_tPvRmT1_T2_T3_mT4_P12ihipStream_tbEUlT_E1_NS1_11comp_targetILNS1_3genE8ELNS1_11target_archE1030ELNS1_3gpuE2ELNS1_3repE0EEENS1_30default_config_static_selectorELNS0_4arch9wavefront6targetE1EEEvSF_
	.globl	_ZN7rocprim17ROCPRIM_400000_NS6detail17trampoline_kernelINS0_14default_configENS1_22reduce_config_selectorIdEEZNS1_11reduce_implILb1ES3_PdS7_dN6thrust23THRUST_200600_302600_NS4plusIdEEEE10hipError_tPvRmT1_T2_T3_mT4_P12ihipStream_tbEUlT_E1_NS1_11comp_targetILNS1_3genE8ELNS1_11target_archE1030ELNS1_3gpuE2ELNS1_3repE0EEENS1_30default_config_static_selectorELNS0_4arch9wavefront6targetE1EEEvSF_
	.p2align	8
	.type	_ZN7rocprim17ROCPRIM_400000_NS6detail17trampoline_kernelINS0_14default_configENS1_22reduce_config_selectorIdEEZNS1_11reduce_implILb1ES3_PdS7_dN6thrust23THRUST_200600_302600_NS4plusIdEEEE10hipError_tPvRmT1_T2_T3_mT4_P12ihipStream_tbEUlT_E1_NS1_11comp_targetILNS1_3genE8ELNS1_11target_archE1030ELNS1_3gpuE2ELNS1_3repE0EEENS1_30default_config_static_selectorELNS0_4arch9wavefront6targetE1EEEvSF_,@function
_ZN7rocprim17ROCPRIM_400000_NS6detail17trampoline_kernelINS0_14default_configENS1_22reduce_config_selectorIdEEZNS1_11reduce_implILb1ES3_PdS7_dN6thrust23THRUST_200600_302600_NS4plusIdEEEE10hipError_tPvRmT1_T2_T3_mT4_P12ihipStream_tbEUlT_E1_NS1_11comp_targetILNS1_3genE8ELNS1_11target_archE1030ELNS1_3gpuE2ELNS1_3repE0EEENS1_30default_config_static_selectorELNS0_4arch9wavefront6targetE1EEEvSF_: ; @_ZN7rocprim17ROCPRIM_400000_NS6detail17trampoline_kernelINS0_14default_configENS1_22reduce_config_selectorIdEEZNS1_11reduce_implILb1ES3_PdS7_dN6thrust23THRUST_200600_302600_NS4plusIdEEEE10hipError_tPvRmT1_T2_T3_mT4_P12ihipStream_tbEUlT_E1_NS1_11comp_targetILNS1_3genE8ELNS1_11target_archE1030ELNS1_3gpuE2ELNS1_3repE0EEENS1_30default_config_static_selectorELNS0_4arch9wavefront6targetE1EEEvSF_
; %bb.0:
	.section	.rodata,"a",@progbits
	.p2align	6, 0x0
	.amdhsa_kernel _ZN7rocprim17ROCPRIM_400000_NS6detail17trampoline_kernelINS0_14default_configENS1_22reduce_config_selectorIdEEZNS1_11reduce_implILb1ES3_PdS7_dN6thrust23THRUST_200600_302600_NS4plusIdEEEE10hipError_tPvRmT1_T2_T3_mT4_P12ihipStream_tbEUlT_E1_NS1_11comp_targetILNS1_3genE8ELNS1_11target_archE1030ELNS1_3gpuE2ELNS1_3repE0EEENS1_30default_config_static_selectorELNS0_4arch9wavefront6targetE1EEEvSF_
		.amdhsa_group_segment_fixed_size 0
		.amdhsa_private_segment_fixed_size 0
		.amdhsa_kernarg_size 48
		.amdhsa_user_sgpr_count 2
		.amdhsa_user_sgpr_dispatch_ptr 0
		.amdhsa_user_sgpr_queue_ptr 0
		.amdhsa_user_sgpr_kernarg_segment_ptr 1
		.amdhsa_user_sgpr_dispatch_id 0
		.amdhsa_user_sgpr_kernarg_preload_length 0
		.amdhsa_user_sgpr_kernarg_preload_offset 0
		.amdhsa_user_sgpr_private_segment_size 0
		.amdhsa_uses_dynamic_stack 0
		.amdhsa_enable_private_segment 0
		.amdhsa_system_sgpr_workgroup_id_x 1
		.amdhsa_system_sgpr_workgroup_id_y 0
		.amdhsa_system_sgpr_workgroup_id_z 0
		.amdhsa_system_sgpr_workgroup_info 0
		.amdhsa_system_vgpr_workitem_id 0
		.amdhsa_next_free_vgpr 1
		.amdhsa_next_free_sgpr 0
		.amdhsa_accum_offset 4
		.amdhsa_reserve_vcc 0
		.amdhsa_float_round_mode_32 0
		.amdhsa_float_round_mode_16_64 0
		.amdhsa_float_denorm_mode_32 3
		.amdhsa_float_denorm_mode_16_64 3
		.amdhsa_dx10_clamp 1
		.amdhsa_ieee_mode 1
		.amdhsa_fp16_overflow 0
		.amdhsa_tg_split 0
		.amdhsa_exception_fp_ieee_invalid_op 0
		.amdhsa_exception_fp_denorm_src 0
		.amdhsa_exception_fp_ieee_div_zero 0
		.amdhsa_exception_fp_ieee_overflow 0
		.amdhsa_exception_fp_ieee_underflow 0
		.amdhsa_exception_fp_ieee_inexact 0
		.amdhsa_exception_int_div_zero 0
	.end_amdhsa_kernel
	.section	.text._ZN7rocprim17ROCPRIM_400000_NS6detail17trampoline_kernelINS0_14default_configENS1_22reduce_config_selectorIdEEZNS1_11reduce_implILb1ES3_PdS7_dN6thrust23THRUST_200600_302600_NS4plusIdEEEE10hipError_tPvRmT1_T2_T3_mT4_P12ihipStream_tbEUlT_E1_NS1_11comp_targetILNS1_3genE8ELNS1_11target_archE1030ELNS1_3gpuE2ELNS1_3repE0EEENS1_30default_config_static_selectorELNS0_4arch9wavefront6targetE1EEEvSF_,"axG",@progbits,_ZN7rocprim17ROCPRIM_400000_NS6detail17trampoline_kernelINS0_14default_configENS1_22reduce_config_selectorIdEEZNS1_11reduce_implILb1ES3_PdS7_dN6thrust23THRUST_200600_302600_NS4plusIdEEEE10hipError_tPvRmT1_T2_T3_mT4_P12ihipStream_tbEUlT_E1_NS1_11comp_targetILNS1_3genE8ELNS1_11target_archE1030ELNS1_3gpuE2ELNS1_3repE0EEENS1_30default_config_static_selectorELNS0_4arch9wavefront6targetE1EEEvSF_,comdat
.Lfunc_end19:
	.size	_ZN7rocprim17ROCPRIM_400000_NS6detail17trampoline_kernelINS0_14default_configENS1_22reduce_config_selectorIdEEZNS1_11reduce_implILb1ES3_PdS7_dN6thrust23THRUST_200600_302600_NS4plusIdEEEE10hipError_tPvRmT1_T2_T3_mT4_P12ihipStream_tbEUlT_E1_NS1_11comp_targetILNS1_3genE8ELNS1_11target_archE1030ELNS1_3gpuE2ELNS1_3repE0EEENS1_30default_config_static_selectorELNS0_4arch9wavefront6targetE1EEEvSF_, .Lfunc_end19-_ZN7rocprim17ROCPRIM_400000_NS6detail17trampoline_kernelINS0_14default_configENS1_22reduce_config_selectorIdEEZNS1_11reduce_implILb1ES3_PdS7_dN6thrust23THRUST_200600_302600_NS4plusIdEEEE10hipError_tPvRmT1_T2_T3_mT4_P12ihipStream_tbEUlT_E1_NS1_11comp_targetILNS1_3genE8ELNS1_11target_archE1030ELNS1_3gpuE2ELNS1_3repE0EEENS1_30default_config_static_selectorELNS0_4arch9wavefront6targetE1EEEvSF_
                                        ; -- End function
	.set _ZN7rocprim17ROCPRIM_400000_NS6detail17trampoline_kernelINS0_14default_configENS1_22reduce_config_selectorIdEEZNS1_11reduce_implILb1ES3_PdS7_dN6thrust23THRUST_200600_302600_NS4plusIdEEEE10hipError_tPvRmT1_T2_T3_mT4_P12ihipStream_tbEUlT_E1_NS1_11comp_targetILNS1_3genE8ELNS1_11target_archE1030ELNS1_3gpuE2ELNS1_3repE0EEENS1_30default_config_static_selectorELNS0_4arch9wavefront6targetE1EEEvSF_.num_vgpr, 0
	.set _ZN7rocprim17ROCPRIM_400000_NS6detail17trampoline_kernelINS0_14default_configENS1_22reduce_config_selectorIdEEZNS1_11reduce_implILb1ES3_PdS7_dN6thrust23THRUST_200600_302600_NS4plusIdEEEE10hipError_tPvRmT1_T2_T3_mT4_P12ihipStream_tbEUlT_E1_NS1_11comp_targetILNS1_3genE8ELNS1_11target_archE1030ELNS1_3gpuE2ELNS1_3repE0EEENS1_30default_config_static_selectorELNS0_4arch9wavefront6targetE1EEEvSF_.num_agpr, 0
	.set _ZN7rocprim17ROCPRIM_400000_NS6detail17trampoline_kernelINS0_14default_configENS1_22reduce_config_selectorIdEEZNS1_11reduce_implILb1ES3_PdS7_dN6thrust23THRUST_200600_302600_NS4plusIdEEEE10hipError_tPvRmT1_T2_T3_mT4_P12ihipStream_tbEUlT_E1_NS1_11comp_targetILNS1_3genE8ELNS1_11target_archE1030ELNS1_3gpuE2ELNS1_3repE0EEENS1_30default_config_static_selectorELNS0_4arch9wavefront6targetE1EEEvSF_.numbered_sgpr, 0
	.set _ZN7rocprim17ROCPRIM_400000_NS6detail17trampoline_kernelINS0_14default_configENS1_22reduce_config_selectorIdEEZNS1_11reduce_implILb1ES3_PdS7_dN6thrust23THRUST_200600_302600_NS4plusIdEEEE10hipError_tPvRmT1_T2_T3_mT4_P12ihipStream_tbEUlT_E1_NS1_11comp_targetILNS1_3genE8ELNS1_11target_archE1030ELNS1_3gpuE2ELNS1_3repE0EEENS1_30default_config_static_selectorELNS0_4arch9wavefront6targetE1EEEvSF_.num_named_barrier, 0
	.set _ZN7rocprim17ROCPRIM_400000_NS6detail17trampoline_kernelINS0_14default_configENS1_22reduce_config_selectorIdEEZNS1_11reduce_implILb1ES3_PdS7_dN6thrust23THRUST_200600_302600_NS4plusIdEEEE10hipError_tPvRmT1_T2_T3_mT4_P12ihipStream_tbEUlT_E1_NS1_11comp_targetILNS1_3genE8ELNS1_11target_archE1030ELNS1_3gpuE2ELNS1_3repE0EEENS1_30default_config_static_selectorELNS0_4arch9wavefront6targetE1EEEvSF_.private_seg_size, 0
	.set _ZN7rocprim17ROCPRIM_400000_NS6detail17trampoline_kernelINS0_14default_configENS1_22reduce_config_selectorIdEEZNS1_11reduce_implILb1ES3_PdS7_dN6thrust23THRUST_200600_302600_NS4plusIdEEEE10hipError_tPvRmT1_T2_T3_mT4_P12ihipStream_tbEUlT_E1_NS1_11comp_targetILNS1_3genE8ELNS1_11target_archE1030ELNS1_3gpuE2ELNS1_3repE0EEENS1_30default_config_static_selectorELNS0_4arch9wavefront6targetE1EEEvSF_.uses_vcc, 0
	.set _ZN7rocprim17ROCPRIM_400000_NS6detail17trampoline_kernelINS0_14default_configENS1_22reduce_config_selectorIdEEZNS1_11reduce_implILb1ES3_PdS7_dN6thrust23THRUST_200600_302600_NS4plusIdEEEE10hipError_tPvRmT1_T2_T3_mT4_P12ihipStream_tbEUlT_E1_NS1_11comp_targetILNS1_3genE8ELNS1_11target_archE1030ELNS1_3gpuE2ELNS1_3repE0EEENS1_30default_config_static_selectorELNS0_4arch9wavefront6targetE1EEEvSF_.uses_flat_scratch, 0
	.set _ZN7rocprim17ROCPRIM_400000_NS6detail17trampoline_kernelINS0_14default_configENS1_22reduce_config_selectorIdEEZNS1_11reduce_implILb1ES3_PdS7_dN6thrust23THRUST_200600_302600_NS4plusIdEEEE10hipError_tPvRmT1_T2_T3_mT4_P12ihipStream_tbEUlT_E1_NS1_11comp_targetILNS1_3genE8ELNS1_11target_archE1030ELNS1_3gpuE2ELNS1_3repE0EEENS1_30default_config_static_selectorELNS0_4arch9wavefront6targetE1EEEvSF_.has_dyn_sized_stack, 0
	.set _ZN7rocprim17ROCPRIM_400000_NS6detail17trampoline_kernelINS0_14default_configENS1_22reduce_config_selectorIdEEZNS1_11reduce_implILb1ES3_PdS7_dN6thrust23THRUST_200600_302600_NS4plusIdEEEE10hipError_tPvRmT1_T2_T3_mT4_P12ihipStream_tbEUlT_E1_NS1_11comp_targetILNS1_3genE8ELNS1_11target_archE1030ELNS1_3gpuE2ELNS1_3repE0EEENS1_30default_config_static_selectorELNS0_4arch9wavefront6targetE1EEEvSF_.has_recursion, 0
	.set _ZN7rocprim17ROCPRIM_400000_NS6detail17trampoline_kernelINS0_14default_configENS1_22reduce_config_selectorIdEEZNS1_11reduce_implILb1ES3_PdS7_dN6thrust23THRUST_200600_302600_NS4plusIdEEEE10hipError_tPvRmT1_T2_T3_mT4_P12ihipStream_tbEUlT_E1_NS1_11comp_targetILNS1_3genE8ELNS1_11target_archE1030ELNS1_3gpuE2ELNS1_3repE0EEENS1_30default_config_static_selectorELNS0_4arch9wavefront6targetE1EEEvSF_.has_indirect_call, 0
	.section	.AMDGPU.csdata,"",@progbits
; Kernel info:
; codeLenInByte = 0
; TotalNumSgprs: 6
; NumVgprs: 0
; NumAgprs: 0
; TotalNumVgprs: 0
; ScratchSize: 0
; MemoryBound: 0
; FloatMode: 240
; IeeeMode: 1
; LDSByteSize: 0 bytes/workgroup (compile time only)
; SGPRBlocks: 0
; VGPRBlocks: 0
; NumSGPRsForWavesPerEU: 6
; NumVGPRsForWavesPerEU: 1
; AccumOffset: 4
; Occupancy: 8
; WaveLimiterHint : 0
; COMPUTE_PGM_RSRC2:SCRATCH_EN: 0
; COMPUTE_PGM_RSRC2:USER_SGPR: 2
; COMPUTE_PGM_RSRC2:TRAP_HANDLER: 0
; COMPUTE_PGM_RSRC2:TGID_X_EN: 1
; COMPUTE_PGM_RSRC2:TGID_Y_EN: 0
; COMPUTE_PGM_RSRC2:TGID_Z_EN: 0
; COMPUTE_PGM_RSRC2:TIDIG_COMP_CNT: 0
; COMPUTE_PGM_RSRC3_GFX90A:ACCUM_OFFSET: 0
; COMPUTE_PGM_RSRC3_GFX90A:TG_SPLIT: 0
	.section	.text._ZN7rocprim17ROCPRIM_400000_NS6detail17trampoline_kernelINS0_14default_configENS1_22reduce_config_selectorIdEEZNS1_11reduce_implILb1ES3_N6thrust23THRUST_200600_302600_NS6detail15normal_iteratorINS8_10device_ptrIdEEEEPddNS8_4plusIdEEEE10hipError_tPvRmT1_T2_T3_mT4_P12ihipStream_tbEUlT_E0_NS1_11comp_targetILNS1_3genE0ELNS1_11target_archE4294967295ELNS1_3gpuE0ELNS1_3repE0EEENS1_30default_config_static_selectorELNS0_4arch9wavefront6targetE1EEEvSK_,"axG",@progbits,_ZN7rocprim17ROCPRIM_400000_NS6detail17trampoline_kernelINS0_14default_configENS1_22reduce_config_selectorIdEEZNS1_11reduce_implILb1ES3_N6thrust23THRUST_200600_302600_NS6detail15normal_iteratorINS8_10device_ptrIdEEEEPddNS8_4plusIdEEEE10hipError_tPvRmT1_T2_T3_mT4_P12ihipStream_tbEUlT_E0_NS1_11comp_targetILNS1_3genE0ELNS1_11target_archE4294967295ELNS1_3gpuE0ELNS1_3repE0EEENS1_30default_config_static_selectorELNS0_4arch9wavefront6targetE1EEEvSK_,comdat
	.protected	_ZN7rocprim17ROCPRIM_400000_NS6detail17trampoline_kernelINS0_14default_configENS1_22reduce_config_selectorIdEEZNS1_11reduce_implILb1ES3_N6thrust23THRUST_200600_302600_NS6detail15normal_iteratorINS8_10device_ptrIdEEEEPddNS8_4plusIdEEEE10hipError_tPvRmT1_T2_T3_mT4_P12ihipStream_tbEUlT_E0_NS1_11comp_targetILNS1_3genE0ELNS1_11target_archE4294967295ELNS1_3gpuE0ELNS1_3repE0EEENS1_30default_config_static_selectorELNS0_4arch9wavefront6targetE1EEEvSK_ ; -- Begin function _ZN7rocprim17ROCPRIM_400000_NS6detail17trampoline_kernelINS0_14default_configENS1_22reduce_config_selectorIdEEZNS1_11reduce_implILb1ES3_N6thrust23THRUST_200600_302600_NS6detail15normal_iteratorINS8_10device_ptrIdEEEEPddNS8_4plusIdEEEE10hipError_tPvRmT1_T2_T3_mT4_P12ihipStream_tbEUlT_E0_NS1_11comp_targetILNS1_3genE0ELNS1_11target_archE4294967295ELNS1_3gpuE0ELNS1_3repE0EEENS1_30default_config_static_selectorELNS0_4arch9wavefront6targetE1EEEvSK_
	.globl	_ZN7rocprim17ROCPRIM_400000_NS6detail17trampoline_kernelINS0_14default_configENS1_22reduce_config_selectorIdEEZNS1_11reduce_implILb1ES3_N6thrust23THRUST_200600_302600_NS6detail15normal_iteratorINS8_10device_ptrIdEEEEPddNS8_4plusIdEEEE10hipError_tPvRmT1_T2_T3_mT4_P12ihipStream_tbEUlT_E0_NS1_11comp_targetILNS1_3genE0ELNS1_11target_archE4294967295ELNS1_3gpuE0ELNS1_3repE0EEENS1_30default_config_static_selectorELNS0_4arch9wavefront6targetE1EEEvSK_
	.p2align	8
	.type	_ZN7rocprim17ROCPRIM_400000_NS6detail17trampoline_kernelINS0_14default_configENS1_22reduce_config_selectorIdEEZNS1_11reduce_implILb1ES3_N6thrust23THRUST_200600_302600_NS6detail15normal_iteratorINS8_10device_ptrIdEEEEPddNS8_4plusIdEEEE10hipError_tPvRmT1_T2_T3_mT4_P12ihipStream_tbEUlT_E0_NS1_11comp_targetILNS1_3genE0ELNS1_11target_archE4294967295ELNS1_3gpuE0ELNS1_3repE0EEENS1_30default_config_static_selectorELNS0_4arch9wavefront6targetE1EEEvSK_,@function
_ZN7rocprim17ROCPRIM_400000_NS6detail17trampoline_kernelINS0_14default_configENS1_22reduce_config_selectorIdEEZNS1_11reduce_implILb1ES3_N6thrust23THRUST_200600_302600_NS6detail15normal_iteratorINS8_10device_ptrIdEEEEPddNS8_4plusIdEEEE10hipError_tPvRmT1_T2_T3_mT4_P12ihipStream_tbEUlT_E0_NS1_11comp_targetILNS1_3genE0ELNS1_11target_archE4294967295ELNS1_3gpuE0ELNS1_3repE0EEENS1_30default_config_static_selectorELNS0_4arch9wavefront6targetE1EEEvSK_: ; @_ZN7rocprim17ROCPRIM_400000_NS6detail17trampoline_kernelINS0_14default_configENS1_22reduce_config_selectorIdEEZNS1_11reduce_implILb1ES3_N6thrust23THRUST_200600_302600_NS6detail15normal_iteratorINS8_10device_ptrIdEEEEPddNS8_4plusIdEEEE10hipError_tPvRmT1_T2_T3_mT4_P12ihipStream_tbEUlT_E0_NS1_11comp_targetILNS1_3genE0ELNS1_11target_archE4294967295ELNS1_3gpuE0ELNS1_3repE0EEENS1_30default_config_static_selectorELNS0_4arch9wavefront6targetE1EEEvSK_
; %bb.0:
	s_load_dwordx8 s[36:43], s[0:1], 0x0
	s_load_dwordx4 s[44:47], s[0:1], 0x20
	s_load_dwordx2 s[30:31], s[0:1], 0x30
	v_lshlrev_b32_e32 v34, 3, v0
	v_mbcnt_lo_u32_b32 v1, -1, 0
	s_waitcnt lgkmcnt(0)
	s_lshl_b64 s[0:1], s[38:39], 3
	s_add_u32 s8, s36, s0
	s_addc_u32 s9, s37, s1
	s_lshl_b32 s0, s2, 12
	s_mov_b32 s1, 0
	s_lshr_b64 s[4:5], s[40:41], 12
	s_lshl_b64 s[6:7], s[0:1], 3
	s_add_u32 s34, s8, s6
	s_mov_b32 s3, s1
	s_addc_u32 s35, s9, s7
	s_cmp_lg_u64 s[4:5], s[2:3]
	s_cbranch_scc0 .LBB20_6
; %bb.1:
	v_mov_b32_e32 v35, 0
	v_lshl_add_u64 v[2:3], s[34:35], 0, v[34:35]
	v_add_co_u32_e32 v4, vcc, 0x1000, v2
	s_nop 1
	v_addc_co_u32_e32 v5, vcc, 0, v3, vcc
	flat_load_dwordx2 v[6:7], v[2:3]
	flat_load_dwordx2 v[8:9], v[2:3] offset:2048
	flat_load_dwordx2 v[10:11], v[4:5]
	flat_load_dwordx2 v[12:13], v[4:5] offset:2048
	v_add_co_u32_e32 v4, vcc, 0x2000, v2
	s_nop 1
	v_addc_co_u32_e32 v5, vcc, 0, v3, vcc
	v_add_co_u32_e32 v14, vcc, 0x3000, v2
	s_nop 1
	v_addc_co_u32_e32 v15, vcc, 0, v3, vcc
	flat_load_dwordx2 v[16:17], v[4:5]
	flat_load_dwordx2 v[18:19], v[4:5] offset:2048
	flat_load_dwordx2 v[20:21], v[14:15]
	flat_load_dwordx2 v[22:23], v[14:15] offset:2048
	v_add_co_u32_e32 v4, vcc, 0x4000, v2
	s_nop 1
	v_addc_co_u32_e32 v5, vcc, 0, v3, vcc
	;; [unrolled: 10-line block ×3, first 2 shown]
	v_add_co_u32_e32 v2, vcc, 0x7000, v2
	s_nop 1
	v_addc_co_u32_e32 v3, vcc, 0, v3, vcc
	flat_load_dwordx2 v[14:15], v[4:5]
	flat_load_dwordx2 v[32:33], v[4:5] offset:2048
	flat_load_dwordx2 v[36:37], v[2:3]
	flat_load_dwordx2 v[38:39], v[2:3] offset:2048
	v_mbcnt_hi_u32_b32 v4, -1, v1
	v_lshlrev_b32_e32 v5, 2, v4
	v_or_b32_e32 v35, 0xfc, v5
	v_cmp_eq_u32_e32 vcc, 0, v4
	s_waitcnt vmcnt(0) lgkmcnt(0)
	v_add_f64 v[2:3], v[6:7], v[8:9]
	v_add_f64 v[2:3], v[2:3], v[10:11]
	v_add_f64 v[2:3], v[2:3], v[12:13]
	v_add_f64 v[2:3], v[2:3], v[16:17]
	v_add_f64 v[2:3], v[2:3], v[18:19]
	v_add_f64 v[2:3], v[2:3], v[20:21]
	v_add_f64 v[2:3], v[2:3], v[22:23]
	v_add_f64 v[2:3], v[2:3], v[24:25]
	v_add_f64 v[2:3], v[2:3], v[26:27]
	v_add_f64 v[2:3], v[2:3], v[28:29]
	v_add_f64 v[2:3], v[2:3], v[30:31]
	v_add_f64 v[2:3], v[2:3], v[14:15]
	v_add_f64 v[2:3], v[2:3], v[32:33]
	v_add_f64 v[2:3], v[2:3], v[36:37]
	v_add_f64 v[2:3], v[2:3], v[38:39]
	s_nop 1
	v_mov_b32_dpp v6, v2 quad_perm:[1,0,3,2] row_mask:0xf bank_mask:0xf bound_ctrl:1
	v_mov_b32_dpp v7, v3 quad_perm:[1,0,3,2] row_mask:0xf bank_mask:0xf bound_ctrl:1
	v_add_f64 v[2:3], v[2:3], v[6:7]
	s_nop 1
	v_mov_b32_dpp v6, v2 quad_perm:[2,3,0,1] row_mask:0xf bank_mask:0xf bound_ctrl:1
	v_mov_b32_dpp v7, v3 quad_perm:[2,3,0,1] row_mask:0xf bank_mask:0xf bound_ctrl:1
	v_add_f64 v[2:3], v[2:3], v[6:7]
	s_nop 1
	v_mov_b32_dpp v6, v2 row_ror:4 row_mask:0xf bank_mask:0xf bound_ctrl:1
	v_mov_b32_dpp v7, v3 row_ror:4 row_mask:0xf bank_mask:0xf bound_ctrl:1
	v_add_f64 v[2:3], v[2:3], v[6:7]
	s_nop 1
	v_mov_b32_dpp v6, v2 row_ror:8 row_mask:0xf bank_mask:0xf bound_ctrl:1
	v_mov_b32_dpp v7, v3 row_ror:8 row_mask:0xf bank_mask:0xf bound_ctrl:1
	v_add_f64 v[2:3], v[2:3], v[6:7]
	s_nop 1
	v_mov_b32_dpp v6, v2 row_bcast:15 row_mask:0xf bank_mask:0xf bound_ctrl:1
	v_mov_b32_dpp v7, v3 row_bcast:15 row_mask:0xf bank_mask:0xf bound_ctrl:1
	v_add_f64 v[2:3], v[2:3], v[6:7]
	s_nop 1
	v_mov_b32_dpp v6, v2 row_bcast:31 row_mask:0xf bank_mask:0xf bound_ctrl:1
	v_mov_b32_dpp v7, v3 row_bcast:31 row_mask:0xf bank_mask:0xf bound_ctrl:1
	v_add_f64 v[2:3], v[2:3], v[6:7]
	ds_bpermute_b32 v2, v35, v2
	ds_bpermute_b32 v3, v35, v3
	s_and_saveexec_b64 s[4:5], vcc
	s_cbranch_execz .LBB20_3
; %bb.2:
	v_lshrrev_b32_e32 v6, 3, v0
	v_and_b32_e32 v6, 24, v6
	s_waitcnt lgkmcnt(0)
	ds_write_b64 v6, v[2:3]
.LBB20_3:
	s_or_b64 exec, exec, s[4:5]
	v_cmp_gt_u32_e32 vcc, 64, v0
	s_waitcnt lgkmcnt(0)
	s_barrier
	s_and_saveexec_b64 s[4:5], vcc
	s_cbranch_execz .LBB20_5
; %bb.4:
	v_and_b32_e32 v6, 3, v4
	v_lshlrev_b32_e32 v2, 3, v6
	ds_read_b64 v[2:3], v2
	v_cmp_ne_u32_e32 vcc, 3, v6
	v_or_b32_e32 v5, 8, v5
	s_nop 0
	v_addc_co_u32_e32 v4, vcc, 0, v4, vcc
	v_lshlrev_b32_e32 v4, 2, v4
	s_waitcnt lgkmcnt(0)
	ds_bpermute_b32 v6, v4, v2
	ds_bpermute_b32 v7, v4, v3
	s_waitcnt lgkmcnt(0)
	v_add_f64 v[2:3], v[2:3], v[6:7]
	ds_bpermute_b32 v4, v5, v2
	ds_bpermute_b32 v5, v5, v3
	s_waitcnt lgkmcnt(0)
	v_add_f64 v[2:3], v[2:3], v[4:5]
.LBB20_5:
	s_or_b64 exec, exec, s[4:5]
	s_branch .LBB20_48
.LBB20_6:
                                        ; implicit-def: $vgpr2_vgpr3
	s_cbranch_execz .LBB20_48
; %bb.7:
	s_sub_i32 s33, s40, s0
	v_mov_b32_e32 v2, 0
	v_cmp_gt_u32_e32 vcc, s33, v0
	v_mov_b32_e32 v3, v2
	v_mov_b32_e32 v4, v2
	;; [unrolled: 1-line block ×31, first 2 shown]
	s_and_saveexec_b64 s[0:1], vcc
	s_cbranch_execz .LBB20_9
; %bb.8:
	v_mov_b32_e32 v35, v2
	v_lshl_add_u64 v[4:5], s[34:35], 0, v[34:35]
	flat_load_dwordx2 v[36:37], v[4:5]
	v_mov_b32_e32 v38, v2
	v_mov_b32_e32 v39, v2
	;; [unrolled: 1-line block ×30, first 2 shown]
	s_waitcnt vmcnt(0) lgkmcnt(0)
	v_mov_b64_e32 v[2:3], v[36:37]
	v_mov_b64_e32 v[4:5], v[38:39]
	v_mov_b64_e32 v[6:7], v[40:41]
	v_mov_b64_e32 v[8:9], v[42:43]
	v_mov_b64_e32 v[10:11], v[44:45]
	v_mov_b64_e32 v[12:13], v[46:47]
	v_mov_b64_e32 v[14:15], v[48:49]
	v_mov_b64_e32 v[16:17], v[50:51]
	v_mov_b64_e32 v[18:19], v[52:53]
	v_mov_b64_e32 v[20:21], v[54:55]
	v_mov_b64_e32 v[22:23], v[56:57]
	v_mov_b64_e32 v[24:25], v[58:59]
	v_mov_b64_e32 v[26:27], v[60:61]
	v_mov_b64_e32 v[28:29], v[62:63]
	v_mov_b64_e32 v[30:31], v[64:65]
	v_mov_b64_e32 v[32:33], v[66:67]
.LBB20_9:
	s_or_b64 exec, exec, s[0:1]
	v_or_b32_e32 v35, 0x100, v0
	v_cmp_gt_u32_e32 vcc, s33, v35
	s_and_saveexec_b64 s[0:1], vcc
	s_cbranch_execz .LBB20_11
; %bb.10:
	v_mov_b32_e32 v35, 0
	v_lshl_add_u64 v[4:5], s[34:35], 0, v[34:35]
	flat_load_dwordx2 v[4:5], v[4:5] offset:2048
.LBB20_11:
	s_or_b64 exec, exec, s[0:1]
	v_or_b32_e32 v34, 0x200, v0
	v_cmp_gt_u32_e64 s[0:1], s33, v34
	s_and_saveexec_b64 s[4:5], s[0:1]
	s_cbranch_execz .LBB20_13
; %bb.12:
	v_lshlrev_b32_e32 v6, 3, v34
	v_mov_b32_e32 v7, 0
	v_lshl_add_u64 v[6:7], s[34:35], 0, v[6:7]
	flat_load_dwordx2 v[6:7], v[6:7]
.LBB20_13:
	s_or_b64 exec, exec, s[4:5]
	v_or_b32_e32 v34, 0x300, v0
	v_cmp_gt_u32_e64 s[4:5], s33, v34
	s_and_saveexec_b64 s[6:7], s[4:5]
	s_cbranch_execz .LBB20_15
; %bb.14:
	v_lshlrev_b32_e32 v8, 3, v34
	v_mov_b32_e32 v9, 0
	v_lshl_add_u64 v[8:9], s[34:35], 0, v[8:9]
	flat_load_dwordx2 v[8:9], v[8:9]
.LBB20_15:
	;; [unrolled: 11-line block ×14, first 2 shown]
	s_or_b64 exec, exec, s[36:37]
	s_waitcnt vmcnt(0) lgkmcnt(0)
	v_add_f64 v[4:5], v[2:3], v[4:5]
	v_cndmask_b32_e32 v3, v3, v5, vcc
	v_cndmask_b32_e32 v2, v2, v4, vcc
	v_add_f64 v[4:5], v[6:7], v[2:3]
	v_cndmask_b32_e64 v3, v3, v5, s[0:1]
	v_cndmask_b32_e64 v2, v2, v4, s[0:1]
	v_add_f64 v[4:5], v[8:9], v[2:3]
	v_cndmask_b32_e64 v3, v3, v5, s[4:5]
	v_cndmask_b32_e64 v2, v2, v4, s[4:5]
	;; [unrolled: 3-line block ×12, first 2 shown]
	v_add_f64 v[4:5], v[30:31], v[2:3]
	v_mbcnt_hi_u32_b32 v1, -1, v1
	v_cndmask_b32_e64 v3, v3, v5, s[26:27]
	v_cndmask_b32_e64 v2, v2, v4, s[26:27]
	v_and_b32_e32 v11, 63, v1
	v_add_f64 v[4:5], v[32:33], v[2:3]
	v_cmp_ne_u32_e32 vcc, 63, v11
	v_cndmask_b32_e64 v2, v2, v4, s[28:29]
	v_cndmask_b32_e64 v3, v3, v5, s[28:29]
	v_addc_co_u32_e32 v4, vcc, 0, v1, vcc
	v_lshlrev_b32_e32 v5, 2, v4
	ds_bpermute_b32 v4, v5, v2
	ds_bpermute_b32 v5, v5, v3
	s_min_u32 s6, s33, 0x100
	v_and_b32_e32 v6, 0xc0, v0
	v_sub_u32_e64 v10, s6, v6 clamp
	v_add_u32_e32 v6, 1, v11
	v_cmp_gt_u32_e32 vcc, 62, v11
	s_waitcnt lgkmcnt(0)
	v_add_f64 v[4:5], v[2:3], v[4:5]
	v_cmp_lt_u32_e64 s[0:1], v6, v10
	v_cndmask_b32_e64 v6, 0, 2, vcc
	v_add_lshl_u32 v7, v6, v1, 2
	v_cndmask_b32_e64 v4, v2, v4, s[0:1]
	v_cndmask_b32_e64 v5, v3, v5, s[0:1]
	ds_bpermute_b32 v6, v7, v4
	ds_bpermute_b32 v7, v7, v5
	v_add_u32_e32 v8, 2, v11
	v_cmp_lt_u32_e32 vcc, v8, v10
	v_add_u32_e32 v8, 4, v11
	v_lshlrev_b32_e32 v12, 2, v1
	s_waitcnt lgkmcnt(0)
	v_add_f64 v[6:7], v[4:5], v[6:7]
	v_cndmask_b32_e32 v4, v4, v6, vcc
	v_cndmask_b32_e32 v5, v5, v7, vcc
	v_cmp_gt_u32_e32 vcc, 60, v11
	v_or_b32_e32 v13, 0x80, v12
	s_nop 0
	v_cndmask_b32_e64 v6, 0, 4, vcc
	v_add_lshl_u32 v7, v6, v1, 2
	ds_bpermute_b32 v6, v7, v4
	ds_bpermute_b32 v7, v7, v5
	v_cmp_lt_u32_e32 vcc, v8, v10
	v_add_u32_e32 v8, 8, v11
	s_waitcnt lgkmcnt(0)
	v_add_f64 v[6:7], v[4:5], v[6:7]
	v_cndmask_b32_e32 v4, v4, v6, vcc
	v_cndmask_b32_e32 v5, v5, v7, vcc
	v_cmp_gt_u32_e32 vcc, 56, v11
	s_nop 1
	v_cndmask_b32_e64 v6, 0, 8, vcc
	v_add_lshl_u32 v7, v6, v1, 2
	ds_bpermute_b32 v6, v7, v4
	ds_bpermute_b32 v7, v7, v5
	v_cmp_lt_u32_e32 vcc, v8, v10
	v_add_u32_e32 v8, 16, v11
	s_waitcnt lgkmcnt(0)
	v_add_f64 v[6:7], v[4:5], v[6:7]
	v_cndmask_b32_e32 v4, v4, v6, vcc
	v_cndmask_b32_e32 v5, v5, v7, vcc
	v_cmp_gt_u32_e32 vcc, 48, v11
	s_nop 1
	v_cndmask_b32_e64 v6, 0, 16, vcc
	v_add_lshl_u32 v7, v6, v1, 2
	ds_bpermute_b32 v6, v7, v4
	ds_bpermute_b32 v7, v7, v5
	v_cmp_lt_u32_e32 vcc, v8, v10
	s_waitcnt lgkmcnt(0)
	v_add_f64 v[6:7], v[4:5], v[6:7]
	v_cndmask_b32_e32 v9, v5, v7, vcc
	v_cndmask_b32_e32 v8, v4, v6, vcc
	ds_bpermute_b32 v8, v13, v8
	ds_bpermute_b32 v9, v13, v9
	s_and_saveexec_b64 s[4:5], s[0:1]
	s_cbranch_execz .LBB20_41
; %bb.40:
	v_add_u32_e32 v11, 32, v11
	v_cndmask_b32_e32 v3, v5, v7, vcc
	v_cndmask_b32_e32 v2, v4, v6, vcc
	s_waitcnt lgkmcnt(0)
	v_add_f64 v[4:5], v[2:3], v[8:9]
	v_cmp_lt_u32_e32 vcc, v11, v10
	s_nop 1
	v_cndmask_b32_e32 v3, v3, v5, vcc
	v_cndmask_b32_e32 v2, v2, v4, vcc
.LBB20_41:
	s_or_b64 exec, exec, s[4:5]
	v_cmp_eq_u32_e32 vcc, 0, v1
	s_and_saveexec_b64 s[0:1], vcc
; %bb.42:
	v_lshrrev_b32_e32 v4, 3, v0
	v_and_b32_e32 v4, 24, v4
	ds_write_b64 v4, v[2:3] offset:32
; %bb.43:
	s_or_b64 exec, exec, s[0:1]
	v_cmp_gt_u32_e32 vcc, 4, v0
	s_waitcnt lgkmcnt(0)
	s_barrier
	s_and_saveexec_b64 s[0:1], vcc
	s_cbranch_execz .LBB20_47
; %bb.44:
	v_lshlrev_b32_e32 v2, 3, v1
	ds_read_b64 v[2:3], v2 offset:32
	v_and_b32_e32 v8, 3, v1
	v_cmp_ne_u32_e32 vcc, 3, v8
	s_add_i32 s6, s6, 63
	s_lshr_b32 s6, s6, 6
	v_addc_co_u32_e32 v1, vcc, 0, v1, vcc
	v_lshlrev_b32_e32 v1, 2, v1
	s_waitcnt lgkmcnt(0)
	ds_bpermute_b32 v4, v1, v2
	ds_bpermute_b32 v5, v1, v3
	v_add_u32_e32 v1, 1, v8
	v_cmp_gt_u32_e32 vcc, s6, v1
	v_or_b32_e32 v7, 8, v12
	s_waitcnt lgkmcnt(0)
	v_add_f64 v[4:5], v[2:3], v[4:5]
	v_cndmask_b32_e32 v1, v3, v5, vcc
	v_cndmask_b32_e32 v6, v2, v4, vcc
	ds_bpermute_b32 v6, v7, v6
	ds_bpermute_b32 v7, v7, v1
	s_and_saveexec_b64 s[4:5], vcc
	s_cbranch_execz .LBB20_46
; %bb.45:
	v_add_u32_e32 v1, 2, v8
	s_waitcnt lgkmcnt(0)
	v_add_f64 v[2:3], v[4:5], v[6:7]
	v_cmp_gt_u32_e32 vcc, s6, v1
	s_nop 1
	v_cndmask_b32_e32 v3, v5, v3, vcc
	v_cndmask_b32_e32 v2, v4, v2, vcc
.LBB20_46:
	s_or_b64 exec, exec, s[4:5]
.LBB20_47:
	s_or_b64 exec, exec, s[0:1]
.LBB20_48:
	v_cmp_eq_u32_e32 vcc, 0, v0
	s_and_saveexec_b64 s[0:1], vcc
	s_cbranch_execnz .LBB20_50
; %bb.49:
	s_endpgm
.LBB20_50:
	s_mul_i32 s0, s46, s45
	s_mul_hi_u32 s1, s46, s44
	s_add_i32 s0, s1, s0
	s_mul_i32 s1, s47, s44
	s_add_i32 s1, s0, s1
	s_mul_i32 s0, s46, s44
	s_lshl_b64 s[0:1], s[0:1], 3
	s_add_u32 s4, s42, s0
	s_addc_u32 s5, s43, s1
	s_cmp_eq_u64 s[40:41], 0
	v_mov_b32_e32 v0, s31
	s_cselect_b64 vcc, -1, 0
	s_lshl_b64 s[0:1], s[2:3], 3
	v_cndmask_b32_e32 v1, v3, v0, vcc
	v_mov_b32_e32 v0, s30
	s_add_u32 s0, s4, s0
	v_cndmask_b32_e32 v0, v2, v0, vcc
	s_addc_u32 s1, s5, s1
	v_mov_b32_e32 v2, 0
	global_store_dwordx2 v2, v[0:1], s[0:1]
	s_endpgm
	.section	.rodata,"a",@progbits
	.p2align	6, 0x0
	.amdhsa_kernel _ZN7rocprim17ROCPRIM_400000_NS6detail17trampoline_kernelINS0_14default_configENS1_22reduce_config_selectorIdEEZNS1_11reduce_implILb1ES3_N6thrust23THRUST_200600_302600_NS6detail15normal_iteratorINS8_10device_ptrIdEEEEPddNS8_4plusIdEEEE10hipError_tPvRmT1_T2_T3_mT4_P12ihipStream_tbEUlT_E0_NS1_11comp_targetILNS1_3genE0ELNS1_11target_archE4294967295ELNS1_3gpuE0ELNS1_3repE0EEENS1_30default_config_static_selectorELNS0_4arch9wavefront6targetE1EEEvSK_
		.amdhsa_group_segment_fixed_size 64
		.amdhsa_private_segment_fixed_size 0
		.amdhsa_kernarg_size 64
		.amdhsa_user_sgpr_count 2
		.amdhsa_user_sgpr_dispatch_ptr 0
		.amdhsa_user_sgpr_queue_ptr 0
		.amdhsa_user_sgpr_kernarg_segment_ptr 1
		.amdhsa_user_sgpr_dispatch_id 0
		.amdhsa_user_sgpr_kernarg_preload_length 0
		.amdhsa_user_sgpr_kernarg_preload_offset 0
		.amdhsa_user_sgpr_private_segment_size 0
		.amdhsa_uses_dynamic_stack 0
		.amdhsa_enable_private_segment 0
		.amdhsa_system_sgpr_workgroup_id_x 1
		.amdhsa_system_sgpr_workgroup_id_y 0
		.amdhsa_system_sgpr_workgroup_id_z 0
		.amdhsa_system_sgpr_workgroup_info 0
		.amdhsa_system_vgpr_workitem_id 0
		.amdhsa_next_free_vgpr 68
		.amdhsa_next_free_sgpr 48
		.amdhsa_accum_offset 68
		.amdhsa_reserve_vcc 1
		.amdhsa_float_round_mode_32 0
		.amdhsa_float_round_mode_16_64 0
		.amdhsa_float_denorm_mode_32 3
		.amdhsa_float_denorm_mode_16_64 3
		.amdhsa_dx10_clamp 1
		.amdhsa_ieee_mode 1
		.amdhsa_fp16_overflow 0
		.amdhsa_tg_split 0
		.amdhsa_exception_fp_ieee_invalid_op 0
		.amdhsa_exception_fp_denorm_src 0
		.amdhsa_exception_fp_ieee_div_zero 0
		.amdhsa_exception_fp_ieee_overflow 0
		.amdhsa_exception_fp_ieee_underflow 0
		.amdhsa_exception_fp_ieee_inexact 0
		.amdhsa_exception_int_div_zero 0
	.end_amdhsa_kernel
	.section	.text._ZN7rocprim17ROCPRIM_400000_NS6detail17trampoline_kernelINS0_14default_configENS1_22reduce_config_selectorIdEEZNS1_11reduce_implILb1ES3_N6thrust23THRUST_200600_302600_NS6detail15normal_iteratorINS8_10device_ptrIdEEEEPddNS8_4plusIdEEEE10hipError_tPvRmT1_T2_T3_mT4_P12ihipStream_tbEUlT_E0_NS1_11comp_targetILNS1_3genE0ELNS1_11target_archE4294967295ELNS1_3gpuE0ELNS1_3repE0EEENS1_30default_config_static_selectorELNS0_4arch9wavefront6targetE1EEEvSK_,"axG",@progbits,_ZN7rocprim17ROCPRIM_400000_NS6detail17trampoline_kernelINS0_14default_configENS1_22reduce_config_selectorIdEEZNS1_11reduce_implILb1ES3_N6thrust23THRUST_200600_302600_NS6detail15normal_iteratorINS8_10device_ptrIdEEEEPddNS8_4plusIdEEEE10hipError_tPvRmT1_T2_T3_mT4_P12ihipStream_tbEUlT_E0_NS1_11comp_targetILNS1_3genE0ELNS1_11target_archE4294967295ELNS1_3gpuE0ELNS1_3repE0EEENS1_30default_config_static_selectorELNS0_4arch9wavefront6targetE1EEEvSK_,comdat
.Lfunc_end20:
	.size	_ZN7rocprim17ROCPRIM_400000_NS6detail17trampoline_kernelINS0_14default_configENS1_22reduce_config_selectorIdEEZNS1_11reduce_implILb1ES3_N6thrust23THRUST_200600_302600_NS6detail15normal_iteratorINS8_10device_ptrIdEEEEPddNS8_4plusIdEEEE10hipError_tPvRmT1_T2_T3_mT4_P12ihipStream_tbEUlT_E0_NS1_11comp_targetILNS1_3genE0ELNS1_11target_archE4294967295ELNS1_3gpuE0ELNS1_3repE0EEENS1_30default_config_static_selectorELNS0_4arch9wavefront6targetE1EEEvSK_, .Lfunc_end20-_ZN7rocprim17ROCPRIM_400000_NS6detail17trampoline_kernelINS0_14default_configENS1_22reduce_config_selectorIdEEZNS1_11reduce_implILb1ES3_N6thrust23THRUST_200600_302600_NS6detail15normal_iteratorINS8_10device_ptrIdEEEEPddNS8_4plusIdEEEE10hipError_tPvRmT1_T2_T3_mT4_P12ihipStream_tbEUlT_E0_NS1_11comp_targetILNS1_3genE0ELNS1_11target_archE4294967295ELNS1_3gpuE0ELNS1_3repE0EEENS1_30default_config_static_selectorELNS0_4arch9wavefront6targetE1EEEvSK_
                                        ; -- End function
	.set _ZN7rocprim17ROCPRIM_400000_NS6detail17trampoline_kernelINS0_14default_configENS1_22reduce_config_selectorIdEEZNS1_11reduce_implILb1ES3_N6thrust23THRUST_200600_302600_NS6detail15normal_iteratorINS8_10device_ptrIdEEEEPddNS8_4plusIdEEEE10hipError_tPvRmT1_T2_T3_mT4_P12ihipStream_tbEUlT_E0_NS1_11comp_targetILNS1_3genE0ELNS1_11target_archE4294967295ELNS1_3gpuE0ELNS1_3repE0EEENS1_30default_config_static_selectorELNS0_4arch9wavefront6targetE1EEEvSK_.num_vgpr, 68
	.set _ZN7rocprim17ROCPRIM_400000_NS6detail17trampoline_kernelINS0_14default_configENS1_22reduce_config_selectorIdEEZNS1_11reduce_implILb1ES3_N6thrust23THRUST_200600_302600_NS6detail15normal_iteratorINS8_10device_ptrIdEEEEPddNS8_4plusIdEEEE10hipError_tPvRmT1_T2_T3_mT4_P12ihipStream_tbEUlT_E0_NS1_11comp_targetILNS1_3genE0ELNS1_11target_archE4294967295ELNS1_3gpuE0ELNS1_3repE0EEENS1_30default_config_static_selectorELNS0_4arch9wavefront6targetE1EEEvSK_.num_agpr, 0
	.set _ZN7rocprim17ROCPRIM_400000_NS6detail17trampoline_kernelINS0_14default_configENS1_22reduce_config_selectorIdEEZNS1_11reduce_implILb1ES3_N6thrust23THRUST_200600_302600_NS6detail15normal_iteratorINS8_10device_ptrIdEEEEPddNS8_4plusIdEEEE10hipError_tPvRmT1_T2_T3_mT4_P12ihipStream_tbEUlT_E0_NS1_11comp_targetILNS1_3genE0ELNS1_11target_archE4294967295ELNS1_3gpuE0ELNS1_3repE0EEENS1_30default_config_static_selectorELNS0_4arch9wavefront6targetE1EEEvSK_.numbered_sgpr, 48
	.set _ZN7rocprim17ROCPRIM_400000_NS6detail17trampoline_kernelINS0_14default_configENS1_22reduce_config_selectorIdEEZNS1_11reduce_implILb1ES3_N6thrust23THRUST_200600_302600_NS6detail15normal_iteratorINS8_10device_ptrIdEEEEPddNS8_4plusIdEEEE10hipError_tPvRmT1_T2_T3_mT4_P12ihipStream_tbEUlT_E0_NS1_11comp_targetILNS1_3genE0ELNS1_11target_archE4294967295ELNS1_3gpuE0ELNS1_3repE0EEENS1_30default_config_static_selectorELNS0_4arch9wavefront6targetE1EEEvSK_.num_named_barrier, 0
	.set _ZN7rocprim17ROCPRIM_400000_NS6detail17trampoline_kernelINS0_14default_configENS1_22reduce_config_selectorIdEEZNS1_11reduce_implILb1ES3_N6thrust23THRUST_200600_302600_NS6detail15normal_iteratorINS8_10device_ptrIdEEEEPddNS8_4plusIdEEEE10hipError_tPvRmT1_T2_T3_mT4_P12ihipStream_tbEUlT_E0_NS1_11comp_targetILNS1_3genE0ELNS1_11target_archE4294967295ELNS1_3gpuE0ELNS1_3repE0EEENS1_30default_config_static_selectorELNS0_4arch9wavefront6targetE1EEEvSK_.private_seg_size, 0
	.set _ZN7rocprim17ROCPRIM_400000_NS6detail17trampoline_kernelINS0_14default_configENS1_22reduce_config_selectorIdEEZNS1_11reduce_implILb1ES3_N6thrust23THRUST_200600_302600_NS6detail15normal_iteratorINS8_10device_ptrIdEEEEPddNS8_4plusIdEEEE10hipError_tPvRmT1_T2_T3_mT4_P12ihipStream_tbEUlT_E0_NS1_11comp_targetILNS1_3genE0ELNS1_11target_archE4294967295ELNS1_3gpuE0ELNS1_3repE0EEENS1_30default_config_static_selectorELNS0_4arch9wavefront6targetE1EEEvSK_.uses_vcc, 1
	.set _ZN7rocprim17ROCPRIM_400000_NS6detail17trampoline_kernelINS0_14default_configENS1_22reduce_config_selectorIdEEZNS1_11reduce_implILb1ES3_N6thrust23THRUST_200600_302600_NS6detail15normal_iteratorINS8_10device_ptrIdEEEEPddNS8_4plusIdEEEE10hipError_tPvRmT1_T2_T3_mT4_P12ihipStream_tbEUlT_E0_NS1_11comp_targetILNS1_3genE0ELNS1_11target_archE4294967295ELNS1_3gpuE0ELNS1_3repE0EEENS1_30default_config_static_selectorELNS0_4arch9wavefront6targetE1EEEvSK_.uses_flat_scratch, 0
	.set _ZN7rocprim17ROCPRIM_400000_NS6detail17trampoline_kernelINS0_14default_configENS1_22reduce_config_selectorIdEEZNS1_11reduce_implILb1ES3_N6thrust23THRUST_200600_302600_NS6detail15normal_iteratorINS8_10device_ptrIdEEEEPddNS8_4plusIdEEEE10hipError_tPvRmT1_T2_T3_mT4_P12ihipStream_tbEUlT_E0_NS1_11comp_targetILNS1_3genE0ELNS1_11target_archE4294967295ELNS1_3gpuE0ELNS1_3repE0EEENS1_30default_config_static_selectorELNS0_4arch9wavefront6targetE1EEEvSK_.has_dyn_sized_stack, 0
	.set _ZN7rocprim17ROCPRIM_400000_NS6detail17trampoline_kernelINS0_14default_configENS1_22reduce_config_selectorIdEEZNS1_11reduce_implILb1ES3_N6thrust23THRUST_200600_302600_NS6detail15normal_iteratorINS8_10device_ptrIdEEEEPddNS8_4plusIdEEEE10hipError_tPvRmT1_T2_T3_mT4_P12ihipStream_tbEUlT_E0_NS1_11comp_targetILNS1_3genE0ELNS1_11target_archE4294967295ELNS1_3gpuE0ELNS1_3repE0EEENS1_30default_config_static_selectorELNS0_4arch9wavefront6targetE1EEEvSK_.has_recursion, 0
	.set _ZN7rocprim17ROCPRIM_400000_NS6detail17trampoline_kernelINS0_14default_configENS1_22reduce_config_selectorIdEEZNS1_11reduce_implILb1ES3_N6thrust23THRUST_200600_302600_NS6detail15normal_iteratorINS8_10device_ptrIdEEEEPddNS8_4plusIdEEEE10hipError_tPvRmT1_T2_T3_mT4_P12ihipStream_tbEUlT_E0_NS1_11comp_targetILNS1_3genE0ELNS1_11target_archE4294967295ELNS1_3gpuE0ELNS1_3repE0EEENS1_30default_config_static_selectorELNS0_4arch9wavefront6targetE1EEEvSK_.has_indirect_call, 0
	.section	.AMDGPU.csdata,"",@progbits
; Kernel info:
; codeLenInByte = 3072
; TotalNumSgprs: 54
; NumVgprs: 68
; NumAgprs: 0
; TotalNumVgprs: 68
; ScratchSize: 0
; MemoryBound: 0
; FloatMode: 240
; IeeeMode: 1
; LDSByteSize: 64 bytes/workgroup (compile time only)
; SGPRBlocks: 6
; VGPRBlocks: 8
; NumSGPRsForWavesPerEU: 54
; NumVGPRsForWavesPerEU: 68
; AccumOffset: 68
; Occupancy: 7
; WaveLimiterHint : 1
; COMPUTE_PGM_RSRC2:SCRATCH_EN: 0
; COMPUTE_PGM_RSRC2:USER_SGPR: 2
; COMPUTE_PGM_RSRC2:TRAP_HANDLER: 0
; COMPUTE_PGM_RSRC2:TGID_X_EN: 1
; COMPUTE_PGM_RSRC2:TGID_Y_EN: 0
; COMPUTE_PGM_RSRC2:TGID_Z_EN: 0
; COMPUTE_PGM_RSRC2:TIDIG_COMP_CNT: 0
; COMPUTE_PGM_RSRC3_GFX90A:ACCUM_OFFSET: 16
; COMPUTE_PGM_RSRC3_GFX90A:TG_SPLIT: 0
	.section	.text._ZN7rocprim17ROCPRIM_400000_NS6detail17trampoline_kernelINS0_14default_configENS1_22reduce_config_selectorIdEEZNS1_11reduce_implILb1ES3_N6thrust23THRUST_200600_302600_NS6detail15normal_iteratorINS8_10device_ptrIdEEEEPddNS8_4plusIdEEEE10hipError_tPvRmT1_T2_T3_mT4_P12ihipStream_tbEUlT_E0_NS1_11comp_targetILNS1_3genE5ELNS1_11target_archE942ELNS1_3gpuE9ELNS1_3repE0EEENS1_30default_config_static_selectorELNS0_4arch9wavefront6targetE1EEEvSK_,"axG",@progbits,_ZN7rocprim17ROCPRIM_400000_NS6detail17trampoline_kernelINS0_14default_configENS1_22reduce_config_selectorIdEEZNS1_11reduce_implILb1ES3_N6thrust23THRUST_200600_302600_NS6detail15normal_iteratorINS8_10device_ptrIdEEEEPddNS8_4plusIdEEEE10hipError_tPvRmT1_T2_T3_mT4_P12ihipStream_tbEUlT_E0_NS1_11comp_targetILNS1_3genE5ELNS1_11target_archE942ELNS1_3gpuE9ELNS1_3repE0EEENS1_30default_config_static_selectorELNS0_4arch9wavefront6targetE1EEEvSK_,comdat
	.protected	_ZN7rocprim17ROCPRIM_400000_NS6detail17trampoline_kernelINS0_14default_configENS1_22reduce_config_selectorIdEEZNS1_11reduce_implILb1ES3_N6thrust23THRUST_200600_302600_NS6detail15normal_iteratorINS8_10device_ptrIdEEEEPddNS8_4plusIdEEEE10hipError_tPvRmT1_T2_T3_mT4_P12ihipStream_tbEUlT_E0_NS1_11comp_targetILNS1_3genE5ELNS1_11target_archE942ELNS1_3gpuE9ELNS1_3repE0EEENS1_30default_config_static_selectorELNS0_4arch9wavefront6targetE1EEEvSK_ ; -- Begin function _ZN7rocprim17ROCPRIM_400000_NS6detail17trampoline_kernelINS0_14default_configENS1_22reduce_config_selectorIdEEZNS1_11reduce_implILb1ES3_N6thrust23THRUST_200600_302600_NS6detail15normal_iteratorINS8_10device_ptrIdEEEEPddNS8_4plusIdEEEE10hipError_tPvRmT1_T2_T3_mT4_P12ihipStream_tbEUlT_E0_NS1_11comp_targetILNS1_3genE5ELNS1_11target_archE942ELNS1_3gpuE9ELNS1_3repE0EEENS1_30default_config_static_selectorELNS0_4arch9wavefront6targetE1EEEvSK_
	.globl	_ZN7rocprim17ROCPRIM_400000_NS6detail17trampoline_kernelINS0_14default_configENS1_22reduce_config_selectorIdEEZNS1_11reduce_implILb1ES3_N6thrust23THRUST_200600_302600_NS6detail15normal_iteratorINS8_10device_ptrIdEEEEPddNS8_4plusIdEEEE10hipError_tPvRmT1_T2_T3_mT4_P12ihipStream_tbEUlT_E0_NS1_11comp_targetILNS1_3genE5ELNS1_11target_archE942ELNS1_3gpuE9ELNS1_3repE0EEENS1_30default_config_static_selectorELNS0_4arch9wavefront6targetE1EEEvSK_
	.p2align	8
	.type	_ZN7rocprim17ROCPRIM_400000_NS6detail17trampoline_kernelINS0_14default_configENS1_22reduce_config_selectorIdEEZNS1_11reduce_implILb1ES3_N6thrust23THRUST_200600_302600_NS6detail15normal_iteratorINS8_10device_ptrIdEEEEPddNS8_4plusIdEEEE10hipError_tPvRmT1_T2_T3_mT4_P12ihipStream_tbEUlT_E0_NS1_11comp_targetILNS1_3genE5ELNS1_11target_archE942ELNS1_3gpuE9ELNS1_3repE0EEENS1_30default_config_static_selectorELNS0_4arch9wavefront6targetE1EEEvSK_,@function
_ZN7rocprim17ROCPRIM_400000_NS6detail17trampoline_kernelINS0_14default_configENS1_22reduce_config_selectorIdEEZNS1_11reduce_implILb1ES3_N6thrust23THRUST_200600_302600_NS6detail15normal_iteratorINS8_10device_ptrIdEEEEPddNS8_4plusIdEEEE10hipError_tPvRmT1_T2_T3_mT4_P12ihipStream_tbEUlT_E0_NS1_11comp_targetILNS1_3genE5ELNS1_11target_archE942ELNS1_3gpuE9ELNS1_3repE0EEENS1_30default_config_static_selectorELNS0_4arch9wavefront6targetE1EEEvSK_: ; @_ZN7rocprim17ROCPRIM_400000_NS6detail17trampoline_kernelINS0_14default_configENS1_22reduce_config_selectorIdEEZNS1_11reduce_implILb1ES3_N6thrust23THRUST_200600_302600_NS6detail15normal_iteratorINS8_10device_ptrIdEEEEPddNS8_4plusIdEEEE10hipError_tPvRmT1_T2_T3_mT4_P12ihipStream_tbEUlT_E0_NS1_11comp_targetILNS1_3genE5ELNS1_11target_archE942ELNS1_3gpuE9ELNS1_3repE0EEENS1_30default_config_static_selectorELNS0_4arch9wavefront6targetE1EEEvSK_
; %bb.0:
	.section	.rodata,"a",@progbits
	.p2align	6, 0x0
	.amdhsa_kernel _ZN7rocprim17ROCPRIM_400000_NS6detail17trampoline_kernelINS0_14default_configENS1_22reduce_config_selectorIdEEZNS1_11reduce_implILb1ES3_N6thrust23THRUST_200600_302600_NS6detail15normal_iteratorINS8_10device_ptrIdEEEEPddNS8_4plusIdEEEE10hipError_tPvRmT1_T2_T3_mT4_P12ihipStream_tbEUlT_E0_NS1_11comp_targetILNS1_3genE5ELNS1_11target_archE942ELNS1_3gpuE9ELNS1_3repE0EEENS1_30default_config_static_selectorELNS0_4arch9wavefront6targetE1EEEvSK_
		.amdhsa_group_segment_fixed_size 0
		.amdhsa_private_segment_fixed_size 0
		.amdhsa_kernarg_size 64
		.amdhsa_user_sgpr_count 2
		.amdhsa_user_sgpr_dispatch_ptr 0
		.amdhsa_user_sgpr_queue_ptr 0
		.amdhsa_user_sgpr_kernarg_segment_ptr 1
		.amdhsa_user_sgpr_dispatch_id 0
		.amdhsa_user_sgpr_kernarg_preload_length 0
		.amdhsa_user_sgpr_kernarg_preload_offset 0
		.amdhsa_user_sgpr_private_segment_size 0
		.amdhsa_uses_dynamic_stack 0
		.amdhsa_enable_private_segment 0
		.amdhsa_system_sgpr_workgroup_id_x 1
		.amdhsa_system_sgpr_workgroup_id_y 0
		.amdhsa_system_sgpr_workgroup_id_z 0
		.amdhsa_system_sgpr_workgroup_info 0
		.amdhsa_system_vgpr_workitem_id 0
		.amdhsa_next_free_vgpr 1
		.amdhsa_next_free_sgpr 0
		.amdhsa_accum_offset 4
		.amdhsa_reserve_vcc 0
		.amdhsa_float_round_mode_32 0
		.amdhsa_float_round_mode_16_64 0
		.amdhsa_float_denorm_mode_32 3
		.amdhsa_float_denorm_mode_16_64 3
		.amdhsa_dx10_clamp 1
		.amdhsa_ieee_mode 1
		.amdhsa_fp16_overflow 0
		.amdhsa_tg_split 0
		.amdhsa_exception_fp_ieee_invalid_op 0
		.amdhsa_exception_fp_denorm_src 0
		.amdhsa_exception_fp_ieee_div_zero 0
		.amdhsa_exception_fp_ieee_overflow 0
		.amdhsa_exception_fp_ieee_underflow 0
		.amdhsa_exception_fp_ieee_inexact 0
		.amdhsa_exception_int_div_zero 0
	.end_amdhsa_kernel
	.section	.text._ZN7rocprim17ROCPRIM_400000_NS6detail17trampoline_kernelINS0_14default_configENS1_22reduce_config_selectorIdEEZNS1_11reduce_implILb1ES3_N6thrust23THRUST_200600_302600_NS6detail15normal_iteratorINS8_10device_ptrIdEEEEPddNS8_4plusIdEEEE10hipError_tPvRmT1_T2_T3_mT4_P12ihipStream_tbEUlT_E0_NS1_11comp_targetILNS1_3genE5ELNS1_11target_archE942ELNS1_3gpuE9ELNS1_3repE0EEENS1_30default_config_static_selectorELNS0_4arch9wavefront6targetE1EEEvSK_,"axG",@progbits,_ZN7rocprim17ROCPRIM_400000_NS6detail17trampoline_kernelINS0_14default_configENS1_22reduce_config_selectorIdEEZNS1_11reduce_implILb1ES3_N6thrust23THRUST_200600_302600_NS6detail15normal_iteratorINS8_10device_ptrIdEEEEPddNS8_4plusIdEEEE10hipError_tPvRmT1_T2_T3_mT4_P12ihipStream_tbEUlT_E0_NS1_11comp_targetILNS1_3genE5ELNS1_11target_archE942ELNS1_3gpuE9ELNS1_3repE0EEENS1_30default_config_static_selectorELNS0_4arch9wavefront6targetE1EEEvSK_,comdat
.Lfunc_end21:
	.size	_ZN7rocprim17ROCPRIM_400000_NS6detail17trampoline_kernelINS0_14default_configENS1_22reduce_config_selectorIdEEZNS1_11reduce_implILb1ES3_N6thrust23THRUST_200600_302600_NS6detail15normal_iteratorINS8_10device_ptrIdEEEEPddNS8_4plusIdEEEE10hipError_tPvRmT1_T2_T3_mT4_P12ihipStream_tbEUlT_E0_NS1_11comp_targetILNS1_3genE5ELNS1_11target_archE942ELNS1_3gpuE9ELNS1_3repE0EEENS1_30default_config_static_selectorELNS0_4arch9wavefront6targetE1EEEvSK_, .Lfunc_end21-_ZN7rocprim17ROCPRIM_400000_NS6detail17trampoline_kernelINS0_14default_configENS1_22reduce_config_selectorIdEEZNS1_11reduce_implILb1ES3_N6thrust23THRUST_200600_302600_NS6detail15normal_iteratorINS8_10device_ptrIdEEEEPddNS8_4plusIdEEEE10hipError_tPvRmT1_T2_T3_mT4_P12ihipStream_tbEUlT_E0_NS1_11comp_targetILNS1_3genE5ELNS1_11target_archE942ELNS1_3gpuE9ELNS1_3repE0EEENS1_30default_config_static_selectorELNS0_4arch9wavefront6targetE1EEEvSK_
                                        ; -- End function
	.set _ZN7rocprim17ROCPRIM_400000_NS6detail17trampoline_kernelINS0_14default_configENS1_22reduce_config_selectorIdEEZNS1_11reduce_implILb1ES3_N6thrust23THRUST_200600_302600_NS6detail15normal_iteratorINS8_10device_ptrIdEEEEPddNS8_4plusIdEEEE10hipError_tPvRmT1_T2_T3_mT4_P12ihipStream_tbEUlT_E0_NS1_11comp_targetILNS1_3genE5ELNS1_11target_archE942ELNS1_3gpuE9ELNS1_3repE0EEENS1_30default_config_static_selectorELNS0_4arch9wavefront6targetE1EEEvSK_.num_vgpr, 0
	.set _ZN7rocprim17ROCPRIM_400000_NS6detail17trampoline_kernelINS0_14default_configENS1_22reduce_config_selectorIdEEZNS1_11reduce_implILb1ES3_N6thrust23THRUST_200600_302600_NS6detail15normal_iteratorINS8_10device_ptrIdEEEEPddNS8_4plusIdEEEE10hipError_tPvRmT1_T2_T3_mT4_P12ihipStream_tbEUlT_E0_NS1_11comp_targetILNS1_3genE5ELNS1_11target_archE942ELNS1_3gpuE9ELNS1_3repE0EEENS1_30default_config_static_selectorELNS0_4arch9wavefront6targetE1EEEvSK_.num_agpr, 0
	.set _ZN7rocprim17ROCPRIM_400000_NS6detail17trampoline_kernelINS0_14default_configENS1_22reduce_config_selectorIdEEZNS1_11reduce_implILb1ES3_N6thrust23THRUST_200600_302600_NS6detail15normal_iteratorINS8_10device_ptrIdEEEEPddNS8_4plusIdEEEE10hipError_tPvRmT1_T2_T3_mT4_P12ihipStream_tbEUlT_E0_NS1_11comp_targetILNS1_3genE5ELNS1_11target_archE942ELNS1_3gpuE9ELNS1_3repE0EEENS1_30default_config_static_selectorELNS0_4arch9wavefront6targetE1EEEvSK_.numbered_sgpr, 0
	.set _ZN7rocprim17ROCPRIM_400000_NS6detail17trampoline_kernelINS0_14default_configENS1_22reduce_config_selectorIdEEZNS1_11reduce_implILb1ES3_N6thrust23THRUST_200600_302600_NS6detail15normal_iteratorINS8_10device_ptrIdEEEEPddNS8_4plusIdEEEE10hipError_tPvRmT1_T2_T3_mT4_P12ihipStream_tbEUlT_E0_NS1_11comp_targetILNS1_3genE5ELNS1_11target_archE942ELNS1_3gpuE9ELNS1_3repE0EEENS1_30default_config_static_selectorELNS0_4arch9wavefront6targetE1EEEvSK_.num_named_barrier, 0
	.set _ZN7rocprim17ROCPRIM_400000_NS6detail17trampoline_kernelINS0_14default_configENS1_22reduce_config_selectorIdEEZNS1_11reduce_implILb1ES3_N6thrust23THRUST_200600_302600_NS6detail15normal_iteratorINS8_10device_ptrIdEEEEPddNS8_4plusIdEEEE10hipError_tPvRmT1_T2_T3_mT4_P12ihipStream_tbEUlT_E0_NS1_11comp_targetILNS1_3genE5ELNS1_11target_archE942ELNS1_3gpuE9ELNS1_3repE0EEENS1_30default_config_static_selectorELNS0_4arch9wavefront6targetE1EEEvSK_.private_seg_size, 0
	.set _ZN7rocprim17ROCPRIM_400000_NS6detail17trampoline_kernelINS0_14default_configENS1_22reduce_config_selectorIdEEZNS1_11reduce_implILb1ES3_N6thrust23THRUST_200600_302600_NS6detail15normal_iteratorINS8_10device_ptrIdEEEEPddNS8_4plusIdEEEE10hipError_tPvRmT1_T2_T3_mT4_P12ihipStream_tbEUlT_E0_NS1_11comp_targetILNS1_3genE5ELNS1_11target_archE942ELNS1_3gpuE9ELNS1_3repE0EEENS1_30default_config_static_selectorELNS0_4arch9wavefront6targetE1EEEvSK_.uses_vcc, 0
	.set _ZN7rocprim17ROCPRIM_400000_NS6detail17trampoline_kernelINS0_14default_configENS1_22reduce_config_selectorIdEEZNS1_11reduce_implILb1ES3_N6thrust23THRUST_200600_302600_NS6detail15normal_iteratorINS8_10device_ptrIdEEEEPddNS8_4plusIdEEEE10hipError_tPvRmT1_T2_T3_mT4_P12ihipStream_tbEUlT_E0_NS1_11comp_targetILNS1_3genE5ELNS1_11target_archE942ELNS1_3gpuE9ELNS1_3repE0EEENS1_30default_config_static_selectorELNS0_4arch9wavefront6targetE1EEEvSK_.uses_flat_scratch, 0
	.set _ZN7rocprim17ROCPRIM_400000_NS6detail17trampoline_kernelINS0_14default_configENS1_22reduce_config_selectorIdEEZNS1_11reduce_implILb1ES3_N6thrust23THRUST_200600_302600_NS6detail15normal_iteratorINS8_10device_ptrIdEEEEPddNS8_4plusIdEEEE10hipError_tPvRmT1_T2_T3_mT4_P12ihipStream_tbEUlT_E0_NS1_11comp_targetILNS1_3genE5ELNS1_11target_archE942ELNS1_3gpuE9ELNS1_3repE0EEENS1_30default_config_static_selectorELNS0_4arch9wavefront6targetE1EEEvSK_.has_dyn_sized_stack, 0
	.set _ZN7rocprim17ROCPRIM_400000_NS6detail17trampoline_kernelINS0_14default_configENS1_22reduce_config_selectorIdEEZNS1_11reduce_implILb1ES3_N6thrust23THRUST_200600_302600_NS6detail15normal_iteratorINS8_10device_ptrIdEEEEPddNS8_4plusIdEEEE10hipError_tPvRmT1_T2_T3_mT4_P12ihipStream_tbEUlT_E0_NS1_11comp_targetILNS1_3genE5ELNS1_11target_archE942ELNS1_3gpuE9ELNS1_3repE0EEENS1_30default_config_static_selectorELNS0_4arch9wavefront6targetE1EEEvSK_.has_recursion, 0
	.set _ZN7rocprim17ROCPRIM_400000_NS6detail17trampoline_kernelINS0_14default_configENS1_22reduce_config_selectorIdEEZNS1_11reduce_implILb1ES3_N6thrust23THRUST_200600_302600_NS6detail15normal_iteratorINS8_10device_ptrIdEEEEPddNS8_4plusIdEEEE10hipError_tPvRmT1_T2_T3_mT4_P12ihipStream_tbEUlT_E0_NS1_11comp_targetILNS1_3genE5ELNS1_11target_archE942ELNS1_3gpuE9ELNS1_3repE0EEENS1_30default_config_static_selectorELNS0_4arch9wavefront6targetE1EEEvSK_.has_indirect_call, 0
	.section	.AMDGPU.csdata,"",@progbits
; Kernel info:
; codeLenInByte = 0
; TotalNumSgprs: 6
; NumVgprs: 0
; NumAgprs: 0
; TotalNumVgprs: 0
; ScratchSize: 0
; MemoryBound: 0
; FloatMode: 240
; IeeeMode: 1
; LDSByteSize: 0 bytes/workgroup (compile time only)
; SGPRBlocks: 0
; VGPRBlocks: 0
; NumSGPRsForWavesPerEU: 6
; NumVGPRsForWavesPerEU: 1
; AccumOffset: 4
; Occupancy: 8
; WaveLimiterHint : 0
; COMPUTE_PGM_RSRC2:SCRATCH_EN: 0
; COMPUTE_PGM_RSRC2:USER_SGPR: 2
; COMPUTE_PGM_RSRC2:TRAP_HANDLER: 0
; COMPUTE_PGM_RSRC2:TGID_X_EN: 1
; COMPUTE_PGM_RSRC2:TGID_Y_EN: 0
; COMPUTE_PGM_RSRC2:TGID_Z_EN: 0
; COMPUTE_PGM_RSRC2:TIDIG_COMP_CNT: 0
; COMPUTE_PGM_RSRC3_GFX90A:ACCUM_OFFSET: 0
; COMPUTE_PGM_RSRC3_GFX90A:TG_SPLIT: 0
	.section	.text._ZN7rocprim17ROCPRIM_400000_NS6detail17trampoline_kernelINS0_14default_configENS1_22reduce_config_selectorIdEEZNS1_11reduce_implILb1ES3_N6thrust23THRUST_200600_302600_NS6detail15normal_iteratorINS8_10device_ptrIdEEEEPddNS8_4plusIdEEEE10hipError_tPvRmT1_T2_T3_mT4_P12ihipStream_tbEUlT_E0_NS1_11comp_targetILNS1_3genE4ELNS1_11target_archE910ELNS1_3gpuE8ELNS1_3repE0EEENS1_30default_config_static_selectorELNS0_4arch9wavefront6targetE1EEEvSK_,"axG",@progbits,_ZN7rocprim17ROCPRIM_400000_NS6detail17trampoline_kernelINS0_14default_configENS1_22reduce_config_selectorIdEEZNS1_11reduce_implILb1ES3_N6thrust23THRUST_200600_302600_NS6detail15normal_iteratorINS8_10device_ptrIdEEEEPddNS8_4plusIdEEEE10hipError_tPvRmT1_T2_T3_mT4_P12ihipStream_tbEUlT_E0_NS1_11comp_targetILNS1_3genE4ELNS1_11target_archE910ELNS1_3gpuE8ELNS1_3repE0EEENS1_30default_config_static_selectorELNS0_4arch9wavefront6targetE1EEEvSK_,comdat
	.protected	_ZN7rocprim17ROCPRIM_400000_NS6detail17trampoline_kernelINS0_14default_configENS1_22reduce_config_selectorIdEEZNS1_11reduce_implILb1ES3_N6thrust23THRUST_200600_302600_NS6detail15normal_iteratorINS8_10device_ptrIdEEEEPddNS8_4plusIdEEEE10hipError_tPvRmT1_T2_T3_mT4_P12ihipStream_tbEUlT_E0_NS1_11comp_targetILNS1_3genE4ELNS1_11target_archE910ELNS1_3gpuE8ELNS1_3repE0EEENS1_30default_config_static_selectorELNS0_4arch9wavefront6targetE1EEEvSK_ ; -- Begin function _ZN7rocprim17ROCPRIM_400000_NS6detail17trampoline_kernelINS0_14default_configENS1_22reduce_config_selectorIdEEZNS1_11reduce_implILb1ES3_N6thrust23THRUST_200600_302600_NS6detail15normal_iteratorINS8_10device_ptrIdEEEEPddNS8_4plusIdEEEE10hipError_tPvRmT1_T2_T3_mT4_P12ihipStream_tbEUlT_E0_NS1_11comp_targetILNS1_3genE4ELNS1_11target_archE910ELNS1_3gpuE8ELNS1_3repE0EEENS1_30default_config_static_selectorELNS0_4arch9wavefront6targetE1EEEvSK_
	.globl	_ZN7rocprim17ROCPRIM_400000_NS6detail17trampoline_kernelINS0_14default_configENS1_22reduce_config_selectorIdEEZNS1_11reduce_implILb1ES3_N6thrust23THRUST_200600_302600_NS6detail15normal_iteratorINS8_10device_ptrIdEEEEPddNS8_4plusIdEEEE10hipError_tPvRmT1_T2_T3_mT4_P12ihipStream_tbEUlT_E0_NS1_11comp_targetILNS1_3genE4ELNS1_11target_archE910ELNS1_3gpuE8ELNS1_3repE0EEENS1_30default_config_static_selectorELNS0_4arch9wavefront6targetE1EEEvSK_
	.p2align	8
	.type	_ZN7rocprim17ROCPRIM_400000_NS6detail17trampoline_kernelINS0_14default_configENS1_22reduce_config_selectorIdEEZNS1_11reduce_implILb1ES3_N6thrust23THRUST_200600_302600_NS6detail15normal_iteratorINS8_10device_ptrIdEEEEPddNS8_4plusIdEEEE10hipError_tPvRmT1_T2_T3_mT4_P12ihipStream_tbEUlT_E0_NS1_11comp_targetILNS1_3genE4ELNS1_11target_archE910ELNS1_3gpuE8ELNS1_3repE0EEENS1_30default_config_static_selectorELNS0_4arch9wavefront6targetE1EEEvSK_,@function
_ZN7rocprim17ROCPRIM_400000_NS6detail17trampoline_kernelINS0_14default_configENS1_22reduce_config_selectorIdEEZNS1_11reduce_implILb1ES3_N6thrust23THRUST_200600_302600_NS6detail15normal_iteratorINS8_10device_ptrIdEEEEPddNS8_4plusIdEEEE10hipError_tPvRmT1_T2_T3_mT4_P12ihipStream_tbEUlT_E0_NS1_11comp_targetILNS1_3genE4ELNS1_11target_archE910ELNS1_3gpuE8ELNS1_3repE0EEENS1_30default_config_static_selectorELNS0_4arch9wavefront6targetE1EEEvSK_: ; @_ZN7rocprim17ROCPRIM_400000_NS6detail17trampoline_kernelINS0_14default_configENS1_22reduce_config_selectorIdEEZNS1_11reduce_implILb1ES3_N6thrust23THRUST_200600_302600_NS6detail15normal_iteratorINS8_10device_ptrIdEEEEPddNS8_4plusIdEEEE10hipError_tPvRmT1_T2_T3_mT4_P12ihipStream_tbEUlT_E0_NS1_11comp_targetILNS1_3genE4ELNS1_11target_archE910ELNS1_3gpuE8ELNS1_3repE0EEENS1_30default_config_static_selectorELNS0_4arch9wavefront6targetE1EEEvSK_
; %bb.0:
	.section	.rodata,"a",@progbits
	.p2align	6, 0x0
	.amdhsa_kernel _ZN7rocprim17ROCPRIM_400000_NS6detail17trampoline_kernelINS0_14default_configENS1_22reduce_config_selectorIdEEZNS1_11reduce_implILb1ES3_N6thrust23THRUST_200600_302600_NS6detail15normal_iteratorINS8_10device_ptrIdEEEEPddNS8_4plusIdEEEE10hipError_tPvRmT1_T2_T3_mT4_P12ihipStream_tbEUlT_E0_NS1_11comp_targetILNS1_3genE4ELNS1_11target_archE910ELNS1_3gpuE8ELNS1_3repE0EEENS1_30default_config_static_selectorELNS0_4arch9wavefront6targetE1EEEvSK_
		.amdhsa_group_segment_fixed_size 0
		.amdhsa_private_segment_fixed_size 0
		.amdhsa_kernarg_size 64
		.amdhsa_user_sgpr_count 2
		.amdhsa_user_sgpr_dispatch_ptr 0
		.amdhsa_user_sgpr_queue_ptr 0
		.amdhsa_user_sgpr_kernarg_segment_ptr 1
		.amdhsa_user_sgpr_dispatch_id 0
		.amdhsa_user_sgpr_kernarg_preload_length 0
		.amdhsa_user_sgpr_kernarg_preload_offset 0
		.amdhsa_user_sgpr_private_segment_size 0
		.amdhsa_uses_dynamic_stack 0
		.amdhsa_enable_private_segment 0
		.amdhsa_system_sgpr_workgroup_id_x 1
		.amdhsa_system_sgpr_workgroup_id_y 0
		.amdhsa_system_sgpr_workgroup_id_z 0
		.amdhsa_system_sgpr_workgroup_info 0
		.amdhsa_system_vgpr_workitem_id 0
		.amdhsa_next_free_vgpr 1
		.amdhsa_next_free_sgpr 0
		.amdhsa_accum_offset 4
		.amdhsa_reserve_vcc 0
		.amdhsa_float_round_mode_32 0
		.amdhsa_float_round_mode_16_64 0
		.amdhsa_float_denorm_mode_32 3
		.amdhsa_float_denorm_mode_16_64 3
		.amdhsa_dx10_clamp 1
		.amdhsa_ieee_mode 1
		.amdhsa_fp16_overflow 0
		.amdhsa_tg_split 0
		.amdhsa_exception_fp_ieee_invalid_op 0
		.amdhsa_exception_fp_denorm_src 0
		.amdhsa_exception_fp_ieee_div_zero 0
		.amdhsa_exception_fp_ieee_overflow 0
		.amdhsa_exception_fp_ieee_underflow 0
		.amdhsa_exception_fp_ieee_inexact 0
		.amdhsa_exception_int_div_zero 0
	.end_amdhsa_kernel
	.section	.text._ZN7rocprim17ROCPRIM_400000_NS6detail17trampoline_kernelINS0_14default_configENS1_22reduce_config_selectorIdEEZNS1_11reduce_implILb1ES3_N6thrust23THRUST_200600_302600_NS6detail15normal_iteratorINS8_10device_ptrIdEEEEPddNS8_4plusIdEEEE10hipError_tPvRmT1_T2_T3_mT4_P12ihipStream_tbEUlT_E0_NS1_11comp_targetILNS1_3genE4ELNS1_11target_archE910ELNS1_3gpuE8ELNS1_3repE0EEENS1_30default_config_static_selectorELNS0_4arch9wavefront6targetE1EEEvSK_,"axG",@progbits,_ZN7rocprim17ROCPRIM_400000_NS6detail17trampoline_kernelINS0_14default_configENS1_22reduce_config_selectorIdEEZNS1_11reduce_implILb1ES3_N6thrust23THRUST_200600_302600_NS6detail15normal_iteratorINS8_10device_ptrIdEEEEPddNS8_4plusIdEEEE10hipError_tPvRmT1_T2_T3_mT4_P12ihipStream_tbEUlT_E0_NS1_11comp_targetILNS1_3genE4ELNS1_11target_archE910ELNS1_3gpuE8ELNS1_3repE0EEENS1_30default_config_static_selectorELNS0_4arch9wavefront6targetE1EEEvSK_,comdat
.Lfunc_end22:
	.size	_ZN7rocprim17ROCPRIM_400000_NS6detail17trampoline_kernelINS0_14default_configENS1_22reduce_config_selectorIdEEZNS1_11reduce_implILb1ES3_N6thrust23THRUST_200600_302600_NS6detail15normal_iteratorINS8_10device_ptrIdEEEEPddNS8_4plusIdEEEE10hipError_tPvRmT1_T2_T3_mT4_P12ihipStream_tbEUlT_E0_NS1_11comp_targetILNS1_3genE4ELNS1_11target_archE910ELNS1_3gpuE8ELNS1_3repE0EEENS1_30default_config_static_selectorELNS0_4arch9wavefront6targetE1EEEvSK_, .Lfunc_end22-_ZN7rocprim17ROCPRIM_400000_NS6detail17trampoline_kernelINS0_14default_configENS1_22reduce_config_selectorIdEEZNS1_11reduce_implILb1ES3_N6thrust23THRUST_200600_302600_NS6detail15normal_iteratorINS8_10device_ptrIdEEEEPddNS8_4plusIdEEEE10hipError_tPvRmT1_T2_T3_mT4_P12ihipStream_tbEUlT_E0_NS1_11comp_targetILNS1_3genE4ELNS1_11target_archE910ELNS1_3gpuE8ELNS1_3repE0EEENS1_30default_config_static_selectorELNS0_4arch9wavefront6targetE1EEEvSK_
                                        ; -- End function
	.set _ZN7rocprim17ROCPRIM_400000_NS6detail17trampoline_kernelINS0_14default_configENS1_22reduce_config_selectorIdEEZNS1_11reduce_implILb1ES3_N6thrust23THRUST_200600_302600_NS6detail15normal_iteratorINS8_10device_ptrIdEEEEPddNS8_4plusIdEEEE10hipError_tPvRmT1_T2_T3_mT4_P12ihipStream_tbEUlT_E0_NS1_11comp_targetILNS1_3genE4ELNS1_11target_archE910ELNS1_3gpuE8ELNS1_3repE0EEENS1_30default_config_static_selectorELNS0_4arch9wavefront6targetE1EEEvSK_.num_vgpr, 0
	.set _ZN7rocprim17ROCPRIM_400000_NS6detail17trampoline_kernelINS0_14default_configENS1_22reduce_config_selectorIdEEZNS1_11reduce_implILb1ES3_N6thrust23THRUST_200600_302600_NS6detail15normal_iteratorINS8_10device_ptrIdEEEEPddNS8_4plusIdEEEE10hipError_tPvRmT1_T2_T3_mT4_P12ihipStream_tbEUlT_E0_NS1_11comp_targetILNS1_3genE4ELNS1_11target_archE910ELNS1_3gpuE8ELNS1_3repE0EEENS1_30default_config_static_selectorELNS0_4arch9wavefront6targetE1EEEvSK_.num_agpr, 0
	.set _ZN7rocprim17ROCPRIM_400000_NS6detail17trampoline_kernelINS0_14default_configENS1_22reduce_config_selectorIdEEZNS1_11reduce_implILb1ES3_N6thrust23THRUST_200600_302600_NS6detail15normal_iteratorINS8_10device_ptrIdEEEEPddNS8_4plusIdEEEE10hipError_tPvRmT1_T2_T3_mT4_P12ihipStream_tbEUlT_E0_NS1_11comp_targetILNS1_3genE4ELNS1_11target_archE910ELNS1_3gpuE8ELNS1_3repE0EEENS1_30default_config_static_selectorELNS0_4arch9wavefront6targetE1EEEvSK_.numbered_sgpr, 0
	.set _ZN7rocprim17ROCPRIM_400000_NS6detail17trampoline_kernelINS0_14default_configENS1_22reduce_config_selectorIdEEZNS1_11reduce_implILb1ES3_N6thrust23THRUST_200600_302600_NS6detail15normal_iteratorINS8_10device_ptrIdEEEEPddNS8_4plusIdEEEE10hipError_tPvRmT1_T2_T3_mT4_P12ihipStream_tbEUlT_E0_NS1_11comp_targetILNS1_3genE4ELNS1_11target_archE910ELNS1_3gpuE8ELNS1_3repE0EEENS1_30default_config_static_selectorELNS0_4arch9wavefront6targetE1EEEvSK_.num_named_barrier, 0
	.set _ZN7rocprim17ROCPRIM_400000_NS6detail17trampoline_kernelINS0_14default_configENS1_22reduce_config_selectorIdEEZNS1_11reduce_implILb1ES3_N6thrust23THRUST_200600_302600_NS6detail15normal_iteratorINS8_10device_ptrIdEEEEPddNS8_4plusIdEEEE10hipError_tPvRmT1_T2_T3_mT4_P12ihipStream_tbEUlT_E0_NS1_11comp_targetILNS1_3genE4ELNS1_11target_archE910ELNS1_3gpuE8ELNS1_3repE0EEENS1_30default_config_static_selectorELNS0_4arch9wavefront6targetE1EEEvSK_.private_seg_size, 0
	.set _ZN7rocprim17ROCPRIM_400000_NS6detail17trampoline_kernelINS0_14default_configENS1_22reduce_config_selectorIdEEZNS1_11reduce_implILb1ES3_N6thrust23THRUST_200600_302600_NS6detail15normal_iteratorINS8_10device_ptrIdEEEEPddNS8_4plusIdEEEE10hipError_tPvRmT1_T2_T3_mT4_P12ihipStream_tbEUlT_E0_NS1_11comp_targetILNS1_3genE4ELNS1_11target_archE910ELNS1_3gpuE8ELNS1_3repE0EEENS1_30default_config_static_selectorELNS0_4arch9wavefront6targetE1EEEvSK_.uses_vcc, 0
	.set _ZN7rocprim17ROCPRIM_400000_NS6detail17trampoline_kernelINS0_14default_configENS1_22reduce_config_selectorIdEEZNS1_11reduce_implILb1ES3_N6thrust23THRUST_200600_302600_NS6detail15normal_iteratorINS8_10device_ptrIdEEEEPddNS8_4plusIdEEEE10hipError_tPvRmT1_T2_T3_mT4_P12ihipStream_tbEUlT_E0_NS1_11comp_targetILNS1_3genE4ELNS1_11target_archE910ELNS1_3gpuE8ELNS1_3repE0EEENS1_30default_config_static_selectorELNS0_4arch9wavefront6targetE1EEEvSK_.uses_flat_scratch, 0
	.set _ZN7rocprim17ROCPRIM_400000_NS6detail17trampoline_kernelINS0_14default_configENS1_22reduce_config_selectorIdEEZNS1_11reduce_implILb1ES3_N6thrust23THRUST_200600_302600_NS6detail15normal_iteratorINS8_10device_ptrIdEEEEPddNS8_4plusIdEEEE10hipError_tPvRmT1_T2_T3_mT4_P12ihipStream_tbEUlT_E0_NS1_11comp_targetILNS1_3genE4ELNS1_11target_archE910ELNS1_3gpuE8ELNS1_3repE0EEENS1_30default_config_static_selectorELNS0_4arch9wavefront6targetE1EEEvSK_.has_dyn_sized_stack, 0
	.set _ZN7rocprim17ROCPRIM_400000_NS6detail17trampoline_kernelINS0_14default_configENS1_22reduce_config_selectorIdEEZNS1_11reduce_implILb1ES3_N6thrust23THRUST_200600_302600_NS6detail15normal_iteratorINS8_10device_ptrIdEEEEPddNS8_4plusIdEEEE10hipError_tPvRmT1_T2_T3_mT4_P12ihipStream_tbEUlT_E0_NS1_11comp_targetILNS1_3genE4ELNS1_11target_archE910ELNS1_3gpuE8ELNS1_3repE0EEENS1_30default_config_static_selectorELNS0_4arch9wavefront6targetE1EEEvSK_.has_recursion, 0
	.set _ZN7rocprim17ROCPRIM_400000_NS6detail17trampoline_kernelINS0_14default_configENS1_22reduce_config_selectorIdEEZNS1_11reduce_implILb1ES3_N6thrust23THRUST_200600_302600_NS6detail15normal_iteratorINS8_10device_ptrIdEEEEPddNS8_4plusIdEEEE10hipError_tPvRmT1_T2_T3_mT4_P12ihipStream_tbEUlT_E0_NS1_11comp_targetILNS1_3genE4ELNS1_11target_archE910ELNS1_3gpuE8ELNS1_3repE0EEENS1_30default_config_static_selectorELNS0_4arch9wavefront6targetE1EEEvSK_.has_indirect_call, 0
	.section	.AMDGPU.csdata,"",@progbits
; Kernel info:
; codeLenInByte = 0
; TotalNumSgprs: 6
; NumVgprs: 0
; NumAgprs: 0
; TotalNumVgprs: 0
; ScratchSize: 0
; MemoryBound: 0
; FloatMode: 240
; IeeeMode: 1
; LDSByteSize: 0 bytes/workgroup (compile time only)
; SGPRBlocks: 0
; VGPRBlocks: 0
; NumSGPRsForWavesPerEU: 6
; NumVGPRsForWavesPerEU: 1
; AccumOffset: 4
; Occupancy: 8
; WaveLimiterHint : 0
; COMPUTE_PGM_RSRC2:SCRATCH_EN: 0
; COMPUTE_PGM_RSRC2:USER_SGPR: 2
; COMPUTE_PGM_RSRC2:TRAP_HANDLER: 0
; COMPUTE_PGM_RSRC2:TGID_X_EN: 1
; COMPUTE_PGM_RSRC2:TGID_Y_EN: 0
; COMPUTE_PGM_RSRC2:TGID_Z_EN: 0
; COMPUTE_PGM_RSRC2:TIDIG_COMP_CNT: 0
; COMPUTE_PGM_RSRC3_GFX90A:ACCUM_OFFSET: 0
; COMPUTE_PGM_RSRC3_GFX90A:TG_SPLIT: 0
	.section	.text._ZN7rocprim17ROCPRIM_400000_NS6detail17trampoline_kernelINS0_14default_configENS1_22reduce_config_selectorIdEEZNS1_11reduce_implILb1ES3_N6thrust23THRUST_200600_302600_NS6detail15normal_iteratorINS8_10device_ptrIdEEEEPddNS8_4plusIdEEEE10hipError_tPvRmT1_T2_T3_mT4_P12ihipStream_tbEUlT_E0_NS1_11comp_targetILNS1_3genE3ELNS1_11target_archE908ELNS1_3gpuE7ELNS1_3repE0EEENS1_30default_config_static_selectorELNS0_4arch9wavefront6targetE1EEEvSK_,"axG",@progbits,_ZN7rocprim17ROCPRIM_400000_NS6detail17trampoline_kernelINS0_14default_configENS1_22reduce_config_selectorIdEEZNS1_11reduce_implILb1ES3_N6thrust23THRUST_200600_302600_NS6detail15normal_iteratorINS8_10device_ptrIdEEEEPddNS8_4plusIdEEEE10hipError_tPvRmT1_T2_T3_mT4_P12ihipStream_tbEUlT_E0_NS1_11comp_targetILNS1_3genE3ELNS1_11target_archE908ELNS1_3gpuE7ELNS1_3repE0EEENS1_30default_config_static_selectorELNS0_4arch9wavefront6targetE1EEEvSK_,comdat
	.protected	_ZN7rocprim17ROCPRIM_400000_NS6detail17trampoline_kernelINS0_14default_configENS1_22reduce_config_selectorIdEEZNS1_11reduce_implILb1ES3_N6thrust23THRUST_200600_302600_NS6detail15normal_iteratorINS8_10device_ptrIdEEEEPddNS8_4plusIdEEEE10hipError_tPvRmT1_T2_T3_mT4_P12ihipStream_tbEUlT_E0_NS1_11comp_targetILNS1_3genE3ELNS1_11target_archE908ELNS1_3gpuE7ELNS1_3repE0EEENS1_30default_config_static_selectorELNS0_4arch9wavefront6targetE1EEEvSK_ ; -- Begin function _ZN7rocprim17ROCPRIM_400000_NS6detail17trampoline_kernelINS0_14default_configENS1_22reduce_config_selectorIdEEZNS1_11reduce_implILb1ES3_N6thrust23THRUST_200600_302600_NS6detail15normal_iteratorINS8_10device_ptrIdEEEEPddNS8_4plusIdEEEE10hipError_tPvRmT1_T2_T3_mT4_P12ihipStream_tbEUlT_E0_NS1_11comp_targetILNS1_3genE3ELNS1_11target_archE908ELNS1_3gpuE7ELNS1_3repE0EEENS1_30default_config_static_selectorELNS0_4arch9wavefront6targetE1EEEvSK_
	.globl	_ZN7rocprim17ROCPRIM_400000_NS6detail17trampoline_kernelINS0_14default_configENS1_22reduce_config_selectorIdEEZNS1_11reduce_implILb1ES3_N6thrust23THRUST_200600_302600_NS6detail15normal_iteratorINS8_10device_ptrIdEEEEPddNS8_4plusIdEEEE10hipError_tPvRmT1_T2_T3_mT4_P12ihipStream_tbEUlT_E0_NS1_11comp_targetILNS1_3genE3ELNS1_11target_archE908ELNS1_3gpuE7ELNS1_3repE0EEENS1_30default_config_static_selectorELNS0_4arch9wavefront6targetE1EEEvSK_
	.p2align	8
	.type	_ZN7rocprim17ROCPRIM_400000_NS6detail17trampoline_kernelINS0_14default_configENS1_22reduce_config_selectorIdEEZNS1_11reduce_implILb1ES3_N6thrust23THRUST_200600_302600_NS6detail15normal_iteratorINS8_10device_ptrIdEEEEPddNS8_4plusIdEEEE10hipError_tPvRmT1_T2_T3_mT4_P12ihipStream_tbEUlT_E0_NS1_11comp_targetILNS1_3genE3ELNS1_11target_archE908ELNS1_3gpuE7ELNS1_3repE0EEENS1_30default_config_static_selectorELNS0_4arch9wavefront6targetE1EEEvSK_,@function
_ZN7rocprim17ROCPRIM_400000_NS6detail17trampoline_kernelINS0_14default_configENS1_22reduce_config_selectorIdEEZNS1_11reduce_implILb1ES3_N6thrust23THRUST_200600_302600_NS6detail15normal_iteratorINS8_10device_ptrIdEEEEPddNS8_4plusIdEEEE10hipError_tPvRmT1_T2_T3_mT4_P12ihipStream_tbEUlT_E0_NS1_11comp_targetILNS1_3genE3ELNS1_11target_archE908ELNS1_3gpuE7ELNS1_3repE0EEENS1_30default_config_static_selectorELNS0_4arch9wavefront6targetE1EEEvSK_: ; @_ZN7rocprim17ROCPRIM_400000_NS6detail17trampoline_kernelINS0_14default_configENS1_22reduce_config_selectorIdEEZNS1_11reduce_implILb1ES3_N6thrust23THRUST_200600_302600_NS6detail15normal_iteratorINS8_10device_ptrIdEEEEPddNS8_4plusIdEEEE10hipError_tPvRmT1_T2_T3_mT4_P12ihipStream_tbEUlT_E0_NS1_11comp_targetILNS1_3genE3ELNS1_11target_archE908ELNS1_3gpuE7ELNS1_3repE0EEENS1_30default_config_static_selectorELNS0_4arch9wavefront6targetE1EEEvSK_
; %bb.0:
	.section	.rodata,"a",@progbits
	.p2align	6, 0x0
	.amdhsa_kernel _ZN7rocprim17ROCPRIM_400000_NS6detail17trampoline_kernelINS0_14default_configENS1_22reduce_config_selectorIdEEZNS1_11reduce_implILb1ES3_N6thrust23THRUST_200600_302600_NS6detail15normal_iteratorINS8_10device_ptrIdEEEEPddNS8_4plusIdEEEE10hipError_tPvRmT1_T2_T3_mT4_P12ihipStream_tbEUlT_E0_NS1_11comp_targetILNS1_3genE3ELNS1_11target_archE908ELNS1_3gpuE7ELNS1_3repE0EEENS1_30default_config_static_selectorELNS0_4arch9wavefront6targetE1EEEvSK_
		.amdhsa_group_segment_fixed_size 0
		.amdhsa_private_segment_fixed_size 0
		.amdhsa_kernarg_size 64
		.amdhsa_user_sgpr_count 2
		.amdhsa_user_sgpr_dispatch_ptr 0
		.amdhsa_user_sgpr_queue_ptr 0
		.amdhsa_user_sgpr_kernarg_segment_ptr 1
		.amdhsa_user_sgpr_dispatch_id 0
		.amdhsa_user_sgpr_kernarg_preload_length 0
		.amdhsa_user_sgpr_kernarg_preload_offset 0
		.amdhsa_user_sgpr_private_segment_size 0
		.amdhsa_uses_dynamic_stack 0
		.amdhsa_enable_private_segment 0
		.amdhsa_system_sgpr_workgroup_id_x 1
		.amdhsa_system_sgpr_workgroup_id_y 0
		.amdhsa_system_sgpr_workgroup_id_z 0
		.amdhsa_system_sgpr_workgroup_info 0
		.amdhsa_system_vgpr_workitem_id 0
		.amdhsa_next_free_vgpr 1
		.amdhsa_next_free_sgpr 0
		.amdhsa_accum_offset 4
		.amdhsa_reserve_vcc 0
		.amdhsa_float_round_mode_32 0
		.amdhsa_float_round_mode_16_64 0
		.amdhsa_float_denorm_mode_32 3
		.amdhsa_float_denorm_mode_16_64 3
		.amdhsa_dx10_clamp 1
		.amdhsa_ieee_mode 1
		.amdhsa_fp16_overflow 0
		.amdhsa_tg_split 0
		.amdhsa_exception_fp_ieee_invalid_op 0
		.amdhsa_exception_fp_denorm_src 0
		.amdhsa_exception_fp_ieee_div_zero 0
		.amdhsa_exception_fp_ieee_overflow 0
		.amdhsa_exception_fp_ieee_underflow 0
		.amdhsa_exception_fp_ieee_inexact 0
		.amdhsa_exception_int_div_zero 0
	.end_amdhsa_kernel
	.section	.text._ZN7rocprim17ROCPRIM_400000_NS6detail17trampoline_kernelINS0_14default_configENS1_22reduce_config_selectorIdEEZNS1_11reduce_implILb1ES3_N6thrust23THRUST_200600_302600_NS6detail15normal_iteratorINS8_10device_ptrIdEEEEPddNS8_4plusIdEEEE10hipError_tPvRmT1_T2_T3_mT4_P12ihipStream_tbEUlT_E0_NS1_11comp_targetILNS1_3genE3ELNS1_11target_archE908ELNS1_3gpuE7ELNS1_3repE0EEENS1_30default_config_static_selectorELNS0_4arch9wavefront6targetE1EEEvSK_,"axG",@progbits,_ZN7rocprim17ROCPRIM_400000_NS6detail17trampoline_kernelINS0_14default_configENS1_22reduce_config_selectorIdEEZNS1_11reduce_implILb1ES3_N6thrust23THRUST_200600_302600_NS6detail15normal_iteratorINS8_10device_ptrIdEEEEPddNS8_4plusIdEEEE10hipError_tPvRmT1_T2_T3_mT4_P12ihipStream_tbEUlT_E0_NS1_11comp_targetILNS1_3genE3ELNS1_11target_archE908ELNS1_3gpuE7ELNS1_3repE0EEENS1_30default_config_static_selectorELNS0_4arch9wavefront6targetE1EEEvSK_,comdat
.Lfunc_end23:
	.size	_ZN7rocprim17ROCPRIM_400000_NS6detail17trampoline_kernelINS0_14default_configENS1_22reduce_config_selectorIdEEZNS1_11reduce_implILb1ES3_N6thrust23THRUST_200600_302600_NS6detail15normal_iteratorINS8_10device_ptrIdEEEEPddNS8_4plusIdEEEE10hipError_tPvRmT1_T2_T3_mT4_P12ihipStream_tbEUlT_E0_NS1_11comp_targetILNS1_3genE3ELNS1_11target_archE908ELNS1_3gpuE7ELNS1_3repE0EEENS1_30default_config_static_selectorELNS0_4arch9wavefront6targetE1EEEvSK_, .Lfunc_end23-_ZN7rocprim17ROCPRIM_400000_NS6detail17trampoline_kernelINS0_14default_configENS1_22reduce_config_selectorIdEEZNS1_11reduce_implILb1ES3_N6thrust23THRUST_200600_302600_NS6detail15normal_iteratorINS8_10device_ptrIdEEEEPddNS8_4plusIdEEEE10hipError_tPvRmT1_T2_T3_mT4_P12ihipStream_tbEUlT_E0_NS1_11comp_targetILNS1_3genE3ELNS1_11target_archE908ELNS1_3gpuE7ELNS1_3repE0EEENS1_30default_config_static_selectorELNS0_4arch9wavefront6targetE1EEEvSK_
                                        ; -- End function
	.set _ZN7rocprim17ROCPRIM_400000_NS6detail17trampoline_kernelINS0_14default_configENS1_22reduce_config_selectorIdEEZNS1_11reduce_implILb1ES3_N6thrust23THRUST_200600_302600_NS6detail15normal_iteratorINS8_10device_ptrIdEEEEPddNS8_4plusIdEEEE10hipError_tPvRmT1_T2_T3_mT4_P12ihipStream_tbEUlT_E0_NS1_11comp_targetILNS1_3genE3ELNS1_11target_archE908ELNS1_3gpuE7ELNS1_3repE0EEENS1_30default_config_static_selectorELNS0_4arch9wavefront6targetE1EEEvSK_.num_vgpr, 0
	.set _ZN7rocprim17ROCPRIM_400000_NS6detail17trampoline_kernelINS0_14default_configENS1_22reduce_config_selectorIdEEZNS1_11reduce_implILb1ES3_N6thrust23THRUST_200600_302600_NS6detail15normal_iteratorINS8_10device_ptrIdEEEEPddNS8_4plusIdEEEE10hipError_tPvRmT1_T2_T3_mT4_P12ihipStream_tbEUlT_E0_NS1_11comp_targetILNS1_3genE3ELNS1_11target_archE908ELNS1_3gpuE7ELNS1_3repE0EEENS1_30default_config_static_selectorELNS0_4arch9wavefront6targetE1EEEvSK_.num_agpr, 0
	.set _ZN7rocprim17ROCPRIM_400000_NS6detail17trampoline_kernelINS0_14default_configENS1_22reduce_config_selectorIdEEZNS1_11reduce_implILb1ES3_N6thrust23THRUST_200600_302600_NS6detail15normal_iteratorINS8_10device_ptrIdEEEEPddNS8_4plusIdEEEE10hipError_tPvRmT1_T2_T3_mT4_P12ihipStream_tbEUlT_E0_NS1_11comp_targetILNS1_3genE3ELNS1_11target_archE908ELNS1_3gpuE7ELNS1_3repE0EEENS1_30default_config_static_selectorELNS0_4arch9wavefront6targetE1EEEvSK_.numbered_sgpr, 0
	.set _ZN7rocprim17ROCPRIM_400000_NS6detail17trampoline_kernelINS0_14default_configENS1_22reduce_config_selectorIdEEZNS1_11reduce_implILb1ES3_N6thrust23THRUST_200600_302600_NS6detail15normal_iteratorINS8_10device_ptrIdEEEEPddNS8_4plusIdEEEE10hipError_tPvRmT1_T2_T3_mT4_P12ihipStream_tbEUlT_E0_NS1_11comp_targetILNS1_3genE3ELNS1_11target_archE908ELNS1_3gpuE7ELNS1_3repE0EEENS1_30default_config_static_selectorELNS0_4arch9wavefront6targetE1EEEvSK_.num_named_barrier, 0
	.set _ZN7rocprim17ROCPRIM_400000_NS6detail17trampoline_kernelINS0_14default_configENS1_22reduce_config_selectorIdEEZNS1_11reduce_implILb1ES3_N6thrust23THRUST_200600_302600_NS6detail15normal_iteratorINS8_10device_ptrIdEEEEPddNS8_4plusIdEEEE10hipError_tPvRmT1_T2_T3_mT4_P12ihipStream_tbEUlT_E0_NS1_11comp_targetILNS1_3genE3ELNS1_11target_archE908ELNS1_3gpuE7ELNS1_3repE0EEENS1_30default_config_static_selectorELNS0_4arch9wavefront6targetE1EEEvSK_.private_seg_size, 0
	.set _ZN7rocprim17ROCPRIM_400000_NS6detail17trampoline_kernelINS0_14default_configENS1_22reduce_config_selectorIdEEZNS1_11reduce_implILb1ES3_N6thrust23THRUST_200600_302600_NS6detail15normal_iteratorINS8_10device_ptrIdEEEEPddNS8_4plusIdEEEE10hipError_tPvRmT1_T2_T3_mT4_P12ihipStream_tbEUlT_E0_NS1_11comp_targetILNS1_3genE3ELNS1_11target_archE908ELNS1_3gpuE7ELNS1_3repE0EEENS1_30default_config_static_selectorELNS0_4arch9wavefront6targetE1EEEvSK_.uses_vcc, 0
	.set _ZN7rocprim17ROCPRIM_400000_NS6detail17trampoline_kernelINS0_14default_configENS1_22reduce_config_selectorIdEEZNS1_11reduce_implILb1ES3_N6thrust23THRUST_200600_302600_NS6detail15normal_iteratorINS8_10device_ptrIdEEEEPddNS8_4plusIdEEEE10hipError_tPvRmT1_T2_T3_mT4_P12ihipStream_tbEUlT_E0_NS1_11comp_targetILNS1_3genE3ELNS1_11target_archE908ELNS1_3gpuE7ELNS1_3repE0EEENS1_30default_config_static_selectorELNS0_4arch9wavefront6targetE1EEEvSK_.uses_flat_scratch, 0
	.set _ZN7rocprim17ROCPRIM_400000_NS6detail17trampoline_kernelINS0_14default_configENS1_22reduce_config_selectorIdEEZNS1_11reduce_implILb1ES3_N6thrust23THRUST_200600_302600_NS6detail15normal_iteratorINS8_10device_ptrIdEEEEPddNS8_4plusIdEEEE10hipError_tPvRmT1_T2_T3_mT4_P12ihipStream_tbEUlT_E0_NS1_11comp_targetILNS1_3genE3ELNS1_11target_archE908ELNS1_3gpuE7ELNS1_3repE0EEENS1_30default_config_static_selectorELNS0_4arch9wavefront6targetE1EEEvSK_.has_dyn_sized_stack, 0
	.set _ZN7rocprim17ROCPRIM_400000_NS6detail17trampoline_kernelINS0_14default_configENS1_22reduce_config_selectorIdEEZNS1_11reduce_implILb1ES3_N6thrust23THRUST_200600_302600_NS6detail15normal_iteratorINS8_10device_ptrIdEEEEPddNS8_4plusIdEEEE10hipError_tPvRmT1_T2_T3_mT4_P12ihipStream_tbEUlT_E0_NS1_11comp_targetILNS1_3genE3ELNS1_11target_archE908ELNS1_3gpuE7ELNS1_3repE0EEENS1_30default_config_static_selectorELNS0_4arch9wavefront6targetE1EEEvSK_.has_recursion, 0
	.set _ZN7rocprim17ROCPRIM_400000_NS6detail17trampoline_kernelINS0_14default_configENS1_22reduce_config_selectorIdEEZNS1_11reduce_implILb1ES3_N6thrust23THRUST_200600_302600_NS6detail15normal_iteratorINS8_10device_ptrIdEEEEPddNS8_4plusIdEEEE10hipError_tPvRmT1_T2_T3_mT4_P12ihipStream_tbEUlT_E0_NS1_11comp_targetILNS1_3genE3ELNS1_11target_archE908ELNS1_3gpuE7ELNS1_3repE0EEENS1_30default_config_static_selectorELNS0_4arch9wavefront6targetE1EEEvSK_.has_indirect_call, 0
	.section	.AMDGPU.csdata,"",@progbits
; Kernel info:
; codeLenInByte = 0
; TotalNumSgprs: 6
; NumVgprs: 0
; NumAgprs: 0
; TotalNumVgprs: 0
; ScratchSize: 0
; MemoryBound: 0
; FloatMode: 240
; IeeeMode: 1
; LDSByteSize: 0 bytes/workgroup (compile time only)
; SGPRBlocks: 0
; VGPRBlocks: 0
; NumSGPRsForWavesPerEU: 6
; NumVGPRsForWavesPerEU: 1
; AccumOffset: 4
; Occupancy: 8
; WaveLimiterHint : 0
; COMPUTE_PGM_RSRC2:SCRATCH_EN: 0
; COMPUTE_PGM_RSRC2:USER_SGPR: 2
; COMPUTE_PGM_RSRC2:TRAP_HANDLER: 0
; COMPUTE_PGM_RSRC2:TGID_X_EN: 1
; COMPUTE_PGM_RSRC2:TGID_Y_EN: 0
; COMPUTE_PGM_RSRC2:TGID_Z_EN: 0
; COMPUTE_PGM_RSRC2:TIDIG_COMP_CNT: 0
; COMPUTE_PGM_RSRC3_GFX90A:ACCUM_OFFSET: 0
; COMPUTE_PGM_RSRC3_GFX90A:TG_SPLIT: 0
	.section	.text._ZN7rocprim17ROCPRIM_400000_NS6detail17trampoline_kernelINS0_14default_configENS1_22reduce_config_selectorIdEEZNS1_11reduce_implILb1ES3_N6thrust23THRUST_200600_302600_NS6detail15normal_iteratorINS8_10device_ptrIdEEEEPddNS8_4plusIdEEEE10hipError_tPvRmT1_T2_T3_mT4_P12ihipStream_tbEUlT_E0_NS1_11comp_targetILNS1_3genE2ELNS1_11target_archE906ELNS1_3gpuE6ELNS1_3repE0EEENS1_30default_config_static_selectorELNS0_4arch9wavefront6targetE1EEEvSK_,"axG",@progbits,_ZN7rocprim17ROCPRIM_400000_NS6detail17trampoline_kernelINS0_14default_configENS1_22reduce_config_selectorIdEEZNS1_11reduce_implILb1ES3_N6thrust23THRUST_200600_302600_NS6detail15normal_iteratorINS8_10device_ptrIdEEEEPddNS8_4plusIdEEEE10hipError_tPvRmT1_T2_T3_mT4_P12ihipStream_tbEUlT_E0_NS1_11comp_targetILNS1_3genE2ELNS1_11target_archE906ELNS1_3gpuE6ELNS1_3repE0EEENS1_30default_config_static_selectorELNS0_4arch9wavefront6targetE1EEEvSK_,comdat
	.protected	_ZN7rocprim17ROCPRIM_400000_NS6detail17trampoline_kernelINS0_14default_configENS1_22reduce_config_selectorIdEEZNS1_11reduce_implILb1ES3_N6thrust23THRUST_200600_302600_NS6detail15normal_iteratorINS8_10device_ptrIdEEEEPddNS8_4plusIdEEEE10hipError_tPvRmT1_T2_T3_mT4_P12ihipStream_tbEUlT_E0_NS1_11comp_targetILNS1_3genE2ELNS1_11target_archE906ELNS1_3gpuE6ELNS1_3repE0EEENS1_30default_config_static_selectorELNS0_4arch9wavefront6targetE1EEEvSK_ ; -- Begin function _ZN7rocprim17ROCPRIM_400000_NS6detail17trampoline_kernelINS0_14default_configENS1_22reduce_config_selectorIdEEZNS1_11reduce_implILb1ES3_N6thrust23THRUST_200600_302600_NS6detail15normal_iteratorINS8_10device_ptrIdEEEEPddNS8_4plusIdEEEE10hipError_tPvRmT1_T2_T3_mT4_P12ihipStream_tbEUlT_E0_NS1_11comp_targetILNS1_3genE2ELNS1_11target_archE906ELNS1_3gpuE6ELNS1_3repE0EEENS1_30default_config_static_selectorELNS0_4arch9wavefront6targetE1EEEvSK_
	.globl	_ZN7rocprim17ROCPRIM_400000_NS6detail17trampoline_kernelINS0_14default_configENS1_22reduce_config_selectorIdEEZNS1_11reduce_implILb1ES3_N6thrust23THRUST_200600_302600_NS6detail15normal_iteratorINS8_10device_ptrIdEEEEPddNS8_4plusIdEEEE10hipError_tPvRmT1_T2_T3_mT4_P12ihipStream_tbEUlT_E0_NS1_11comp_targetILNS1_3genE2ELNS1_11target_archE906ELNS1_3gpuE6ELNS1_3repE0EEENS1_30default_config_static_selectorELNS0_4arch9wavefront6targetE1EEEvSK_
	.p2align	8
	.type	_ZN7rocprim17ROCPRIM_400000_NS6detail17trampoline_kernelINS0_14default_configENS1_22reduce_config_selectorIdEEZNS1_11reduce_implILb1ES3_N6thrust23THRUST_200600_302600_NS6detail15normal_iteratorINS8_10device_ptrIdEEEEPddNS8_4plusIdEEEE10hipError_tPvRmT1_T2_T3_mT4_P12ihipStream_tbEUlT_E0_NS1_11comp_targetILNS1_3genE2ELNS1_11target_archE906ELNS1_3gpuE6ELNS1_3repE0EEENS1_30default_config_static_selectorELNS0_4arch9wavefront6targetE1EEEvSK_,@function
_ZN7rocprim17ROCPRIM_400000_NS6detail17trampoline_kernelINS0_14default_configENS1_22reduce_config_selectorIdEEZNS1_11reduce_implILb1ES3_N6thrust23THRUST_200600_302600_NS6detail15normal_iteratorINS8_10device_ptrIdEEEEPddNS8_4plusIdEEEE10hipError_tPvRmT1_T2_T3_mT4_P12ihipStream_tbEUlT_E0_NS1_11comp_targetILNS1_3genE2ELNS1_11target_archE906ELNS1_3gpuE6ELNS1_3repE0EEENS1_30default_config_static_selectorELNS0_4arch9wavefront6targetE1EEEvSK_: ; @_ZN7rocprim17ROCPRIM_400000_NS6detail17trampoline_kernelINS0_14default_configENS1_22reduce_config_selectorIdEEZNS1_11reduce_implILb1ES3_N6thrust23THRUST_200600_302600_NS6detail15normal_iteratorINS8_10device_ptrIdEEEEPddNS8_4plusIdEEEE10hipError_tPvRmT1_T2_T3_mT4_P12ihipStream_tbEUlT_E0_NS1_11comp_targetILNS1_3genE2ELNS1_11target_archE906ELNS1_3gpuE6ELNS1_3repE0EEENS1_30default_config_static_selectorELNS0_4arch9wavefront6targetE1EEEvSK_
; %bb.0:
	.section	.rodata,"a",@progbits
	.p2align	6, 0x0
	.amdhsa_kernel _ZN7rocprim17ROCPRIM_400000_NS6detail17trampoline_kernelINS0_14default_configENS1_22reduce_config_selectorIdEEZNS1_11reduce_implILb1ES3_N6thrust23THRUST_200600_302600_NS6detail15normal_iteratorINS8_10device_ptrIdEEEEPddNS8_4plusIdEEEE10hipError_tPvRmT1_T2_T3_mT4_P12ihipStream_tbEUlT_E0_NS1_11comp_targetILNS1_3genE2ELNS1_11target_archE906ELNS1_3gpuE6ELNS1_3repE0EEENS1_30default_config_static_selectorELNS0_4arch9wavefront6targetE1EEEvSK_
		.amdhsa_group_segment_fixed_size 0
		.amdhsa_private_segment_fixed_size 0
		.amdhsa_kernarg_size 64
		.amdhsa_user_sgpr_count 2
		.amdhsa_user_sgpr_dispatch_ptr 0
		.amdhsa_user_sgpr_queue_ptr 0
		.amdhsa_user_sgpr_kernarg_segment_ptr 1
		.amdhsa_user_sgpr_dispatch_id 0
		.amdhsa_user_sgpr_kernarg_preload_length 0
		.amdhsa_user_sgpr_kernarg_preload_offset 0
		.amdhsa_user_sgpr_private_segment_size 0
		.amdhsa_uses_dynamic_stack 0
		.amdhsa_enable_private_segment 0
		.amdhsa_system_sgpr_workgroup_id_x 1
		.amdhsa_system_sgpr_workgroup_id_y 0
		.amdhsa_system_sgpr_workgroup_id_z 0
		.amdhsa_system_sgpr_workgroup_info 0
		.amdhsa_system_vgpr_workitem_id 0
		.amdhsa_next_free_vgpr 1
		.amdhsa_next_free_sgpr 0
		.amdhsa_accum_offset 4
		.amdhsa_reserve_vcc 0
		.amdhsa_float_round_mode_32 0
		.amdhsa_float_round_mode_16_64 0
		.amdhsa_float_denorm_mode_32 3
		.amdhsa_float_denorm_mode_16_64 3
		.amdhsa_dx10_clamp 1
		.amdhsa_ieee_mode 1
		.amdhsa_fp16_overflow 0
		.amdhsa_tg_split 0
		.amdhsa_exception_fp_ieee_invalid_op 0
		.amdhsa_exception_fp_denorm_src 0
		.amdhsa_exception_fp_ieee_div_zero 0
		.amdhsa_exception_fp_ieee_overflow 0
		.amdhsa_exception_fp_ieee_underflow 0
		.amdhsa_exception_fp_ieee_inexact 0
		.amdhsa_exception_int_div_zero 0
	.end_amdhsa_kernel
	.section	.text._ZN7rocprim17ROCPRIM_400000_NS6detail17trampoline_kernelINS0_14default_configENS1_22reduce_config_selectorIdEEZNS1_11reduce_implILb1ES3_N6thrust23THRUST_200600_302600_NS6detail15normal_iteratorINS8_10device_ptrIdEEEEPddNS8_4plusIdEEEE10hipError_tPvRmT1_T2_T3_mT4_P12ihipStream_tbEUlT_E0_NS1_11comp_targetILNS1_3genE2ELNS1_11target_archE906ELNS1_3gpuE6ELNS1_3repE0EEENS1_30default_config_static_selectorELNS0_4arch9wavefront6targetE1EEEvSK_,"axG",@progbits,_ZN7rocprim17ROCPRIM_400000_NS6detail17trampoline_kernelINS0_14default_configENS1_22reduce_config_selectorIdEEZNS1_11reduce_implILb1ES3_N6thrust23THRUST_200600_302600_NS6detail15normal_iteratorINS8_10device_ptrIdEEEEPddNS8_4plusIdEEEE10hipError_tPvRmT1_T2_T3_mT4_P12ihipStream_tbEUlT_E0_NS1_11comp_targetILNS1_3genE2ELNS1_11target_archE906ELNS1_3gpuE6ELNS1_3repE0EEENS1_30default_config_static_selectorELNS0_4arch9wavefront6targetE1EEEvSK_,comdat
.Lfunc_end24:
	.size	_ZN7rocprim17ROCPRIM_400000_NS6detail17trampoline_kernelINS0_14default_configENS1_22reduce_config_selectorIdEEZNS1_11reduce_implILb1ES3_N6thrust23THRUST_200600_302600_NS6detail15normal_iteratorINS8_10device_ptrIdEEEEPddNS8_4plusIdEEEE10hipError_tPvRmT1_T2_T3_mT4_P12ihipStream_tbEUlT_E0_NS1_11comp_targetILNS1_3genE2ELNS1_11target_archE906ELNS1_3gpuE6ELNS1_3repE0EEENS1_30default_config_static_selectorELNS0_4arch9wavefront6targetE1EEEvSK_, .Lfunc_end24-_ZN7rocprim17ROCPRIM_400000_NS6detail17trampoline_kernelINS0_14default_configENS1_22reduce_config_selectorIdEEZNS1_11reduce_implILb1ES3_N6thrust23THRUST_200600_302600_NS6detail15normal_iteratorINS8_10device_ptrIdEEEEPddNS8_4plusIdEEEE10hipError_tPvRmT1_T2_T3_mT4_P12ihipStream_tbEUlT_E0_NS1_11comp_targetILNS1_3genE2ELNS1_11target_archE906ELNS1_3gpuE6ELNS1_3repE0EEENS1_30default_config_static_selectorELNS0_4arch9wavefront6targetE1EEEvSK_
                                        ; -- End function
	.set _ZN7rocprim17ROCPRIM_400000_NS6detail17trampoline_kernelINS0_14default_configENS1_22reduce_config_selectorIdEEZNS1_11reduce_implILb1ES3_N6thrust23THRUST_200600_302600_NS6detail15normal_iteratorINS8_10device_ptrIdEEEEPddNS8_4plusIdEEEE10hipError_tPvRmT1_T2_T3_mT4_P12ihipStream_tbEUlT_E0_NS1_11comp_targetILNS1_3genE2ELNS1_11target_archE906ELNS1_3gpuE6ELNS1_3repE0EEENS1_30default_config_static_selectorELNS0_4arch9wavefront6targetE1EEEvSK_.num_vgpr, 0
	.set _ZN7rocprim17ROCPRIM_400000_NS6detail17trampoline_kernelINS0_14default_configENS1_22reduce_config_selectorIdEEZNS1_11reduce_implILb1ES3_N6thrust23THRUST_200600_302600_NS6detail15normal_iteratorINS8_10device_ptrIdEEEEPddNS8_4plusIdEEEE10hipError_tPvRmT1_T2_T3_mT4_P12ihipStream_tbEUlT_E0_NS1_11comp_targetILNS1_3genE2ELNS1_11target_archE906ELNS1_3gpuE6ELNS1_3repE0EEENS1_30default_config_static_selectorELNS0_4arch9wavefront6targetE1EEEvSK_.num_agpr, 0
	.set _ZN7rocprim17ROCPRIM_400000_NS6detail17trampoline_kernelINS0_14default_configENS1_22reduce_config_selectorIdEEZNS1_11reduce_implILb1ES3_N6thrust23THRUST_200600_302600_NS6detail15normal_iteratorINS8_10device_ptrIdEEEEPddNS8_4plusIdEEEE10hipError_tPvRmT1_T2_T3_mT4_P12ihipStream_tbEUlT_E0_NS1_11comp_targetILNS1_3genE2ELNS1_11target_archE906ELNS1_3gpuE6ELNS1_3repE0EEENS1_30default_config_static_selectorELNS0_4arch9wavefront6targetE1EEEvSK_.numbered_sgpr, 0
	.set _ZN7rocprim17ROCPRIM_400000_NS6detail17trampoline_kernelINS0_14default_configENS1_22reduce_config_selectorIdEEZNS1_11reduce_implILb1ES3_N6thrust23THRUST_200600_302600_NS6detail15normal_iteratorINS8_10device_ptrIdEEEEPddNS8_4plusIdEEEE10hipError_tPvRmT1_T2_T3_mT4_P12ihipStream_tbEUlT_E0_NS1_11comp_targetILNS1_3genE2ELNS1_11target_archE906ELNS1_3gpuE6ELNS1_3repE0EEENS1_30default_config_static_selectorELNS0_4arch9wavefront6targetE1EEEvSK_.num_named_barrier, 0
	.set _ZN7rocprim17ROCPRIM_400000_NS6detail17trampoline_kernelINS0_14default_configENS1_22reduce_config_selectorIdEEZNS1_11reduce_implILb1ES3_N6thrust23THRUST_200600_302600_NS6detail15normal_iteratorINS8_10device_ptrIdEEEEPddNS8_4plusIdEEEE10hipError_tPvRmT1_T2_T3_mT4_P12ihipStream_tbEUlT_E0_NS1_11comp_targetILNS1_3genE2ELNS1_11target_archE906ELNS1_3gpuE6ELNS1_3repE0EEENS1_30default_config_static_selectorELNS0_4arch9wavefront6targetE1EEEvSK_.private_seg_size, 0
	.set _ZN7rocprim17ROCPRIM_400000_NS6detail17trampoline_kernelINS0_14default_configENS1_22reduce_config_selectorIdEEZNS1_11reduce_implILb1ES3_N6thrust23THRUST_200600_302600_NS6detail15normal_iteratorINS8_10device_ptrIdEEEEPddNS8_4plusIdEEEE10hipError_tPvRmT1_T2_T3_mT4_P12ihipStream_tbEUlT_E0_NS1_11comp_targetILNS1_3genE2ELNS1_11target_archE906ELNS1_3gpuE6ELNS1_3repE0EEENS1_30default_config_static_selectorELNS0_4arch9wavefront6targetE1EEEvSK_.uses_vcc, 0
	.set _ZN7rocprim17ROCPRIM_400000_NS6detail17trampoline_kernelINS0_14default_configENS1_22reduce_config_selectorIdEEZNS1_11reduce_implILb1ES3_N6thrust23THRUST_200600_302600_NS6detail15normal_iteratorINS8_10device_ptrIdEEEEPddNS8_4plusIdEEEE10hipError_tPvRmT1_T2_T3_mT4_P12ihipStream_tbEUlT_E0_NS1_11comp_targetILNS1_3genE2ELNS1_11target_archE906ELNS1_3gpuE6ELNS1_3repE0EEENS1_30default_config_static_selectorELNS0_4arch9wavefront6targetE1EEEvSK_.uses_flat_scratch, 0
	.set _ZN7rocprim17ROCPRIM_400000_NS6detail17trampoline_kernelINS0_14default_configENS1_22reduce_config_selectorIdEEZNS1_11reduce_implILb1ES3_N6thrust23THRUST_200600_302600_NS6detail15normal_iteratorINS8_10device_ptrIdEEEEPddNS8_4plusIdEEEE10hipError_tPvRmT1_T2_T3_mT4_P12ihipStream_tbEUlT_E0_NS1_11comp_targetILNS1_3genE2ELNS1_11target_archE906ELNS1_3gpuE6ELNS1_3repE0EEENS1_30default_config_static_selectorELNS0_4arch9wavefront6targetE1EEEvSK_.has_dyn_sized_stack, 0
	.set _ZN7rocprim17ROCPRIM_400000_NS6detail17trampoline_kernelINS0_14default_configENS1_22reduce_config_selectorIdEEZNS1_11reduce_implILb1ES3_N6thrust23THRUST_200600_302600_NS6detail15normal_iteratorINS8_10device_ptrIdEEEEPddNS8_4plusIdEEEE10hipError_tPvRmT1_T2_T3_mT4_P12ihipStream_tbEUlT_E0_NS1_11comp_targetILNS1_3genE2ELNS1_11target_archE906ELNS1_3gpuE6ELNS1_3repE0EEENS1_30default_config_static_selectorELNS0_4arch9wavefront6targetE1EEEvSK_.has_recursion, 0
	.set _ZN7rocprim17ROCPRIM_400000_NS6detail17trampoline_kernelINS0_14default_configENS1_22reduce_config_selectorIdEEZNS1_11reduce_implILb1ES3_N6thrust23THRUST_200600_302600_NS6detail15normal_iteratorINS8_10device_ptrIdEEEEPddNS8_4plusIdEEEE10hipError_tPvRmT1_T2_T3_mT4_P12ihipStream_tbEUlT_E0_NS1_11comp_targetILNS1_3genE2ELNS1_11target_archE906ELNS1_3gpuE6ELNS1_3repE0EEENS1_30default_config_static_selectorELNS0_4arch9wavefront6targetE1EEEvSK_.has_indirect_call, 0
	.section	.AMDGPU.csdata,"",@progbits
; Kernel info:
; codeLenInByte = 0
; TotalNumSgprs: 6
; NumVgprs: 0
; NumAgprs: 0
; TotalNumVgprs: 0
; ScratchSize: 0
; MemoryBound: 0
; FloatMode: 240
; IeeeMode: 1
; LDSByteSize: 0 bytes/workgroup (compile time only)
; SGPRBlocks: 0
; VGPRBlocks: 0
; NumSGPRsForWavesPerEU: 6
; NumVGPRsForWavesPerEU: 1
; AccumOffset: 4
; Occupancy: 8
; WaveLimiterHint : 0
; COMPUTE_PGM_RSRC2:SCRATCH_EN: 0
; COMPUTE_PGM_RSRC2:USER_SGPR: 2
; COMPUTE_PGM_RSRC2:TRAP_HANDLER: 0
; COMPUTE_PGM_RSRC2:TGID_X_EN: 1
; COMPUTE_PGM_RSRC2:TGID_Y_EN: 0
; COMPUTE_PGM_RSRC2:TGID_Z_EN: 0
; COMPUTE_PGM_RSRC2:TIDIG_COMP_CNT: 0
; COMPUTE_PGM_RSRC3_GFX90A:ACCUM_OFFSET: 0
; COMPUTE_PGM_RSRC3_GFX90A:TG_SPLIT: 0
	.section	.text._ZN7rocprim17ROCPRIM_400000_NS6detail17trampoline_kernelINS0_14default_configENS1_22reduce_config_selectorIdEEZNS1_11reduce_implILb1ES3_N6thrust23THRUST_200600_302600_NS6detail15normal_iteratorINS8_10device_ptrIdEEEEPddNS8_4plusIdEEEE10hipError_tPvRmT1_T2_T3_mT4_P12ihipStream_tbEUlT_E0_NS1_11comp_targetILNS1_3genE10ELNS1_11target_archE1201ELNS1_3gpuE5ELNS1_3repE0EEENS1_30default_config_static_selectorELNS0_4arch9wavefront6targetE1EEEvSK_,"axG",@progbits,_ZN7rocprim17ROCPRIM_400000_NS6detail17trampoline_kernelINS0_14default_configENS1_22reduce_config_selectorIdEEZNS1_11reduce_implILb1ES3_N6thrust23THRUST_200600_302600_NS6detail15normal_iteratorINS8_10device_ptrIdEEEEPddNS8_4plusIdEEEE10hipError_tPvRmT1_T2_T3_mT4_P12ihipStream_tbEUlT_E0_NS1_11comp_targetILNS1_3genE10ELNS1_11target_archE1201ELNS1_3gpuE5ELNS1_3repE0EEENS1_30default_config_static_selectorELNS0_4arch9wavefront6targetE1EEEvSK_,comdat
	.protected	_ZN7rocprim17ROCPRIM_400000_NS6detail17trampoline_kernelINS0_14default_configENS1_22reduce_config_selectorIdEEZNS1_11reduce_implILb1ES3_N6thrust23THRUST_200600_302600_NS6detail15normal_iteratorINS8_10device_ptrIdEEEEPddNS8_4plusIdEEEE10hipError_tPvRmT1_T2_T3_mT4_P12ihipStream_tbEUlT_E0_NS1_11comp_targetILNS1_3genE10ELNS1_11target_archE1201ELNS1_3gpuE5ELNS1_3repE0EEENS1_30default_config_static_selectorELNS0_4arch9wavefront6targetE1EEEvSK_ ; -- Begin function _ZN7rocprim17ROCPRIM_400000_NS6detail17trampoline_kernelINS0_14default_configENS1_22reduce_config_selectorIdEEZNS1_11reduce_implILb1ES3_N6thrust23THRUST_200600_302600_NS6detail15normal_iteratorINS8_10device_ptrIdEEEEPddNS8_4plusIdEEEE10hipError_tPvRmT1_T2_T3_mT4_P12ihipStream_tbEUlT_E0_NS1_11comp_targetILNS1_3genE10ELNS1_11target_archE1201ELNS1_3gpuE5ELNS1_3repE0EEENS1_30default_config_static_selectorELNS0_4arch9wavefront6targetE1EEEvSK_
	.globl	_ZN7rocprim17ROCPRIM_400000_NS6detail17trampoline_kernelINS0_14default_configENS1_22reduce_config_selectorIdEEZNS1_11reduce_implILb1ES3_N6thrust23THRUST_200600_302600_NS6detail15normal_iteratorINS8_10device_ptrIdEEEEPddNS8_4plusIdEEEE10hipError_tPvRmT1_T2_T3_mT4_P12ihipStream_tbEUlT_E0_NS1_11comp_targetILNS1_3genE10ELNS1_11target_archE1201ELNS1_3gpuE5ELNS1_3repE0EEENS1_30default_config_static_selectorELNS0_4arch9wavefront6targetE1EEEvSK_
	.p2align	8
	.type	_ZN7rocprim17ROCPRIM_400000_NS6detail17trampoline_kernelINS0_14default_configENS1_22reduce_config_selectorIdEEZNS1_11reduce_implILb1ES3_N6thrust23THRUST_200600_302600_NS6detail15normal_iteratorINS8_10device_ptrIdEEEEPddNS8_4plusIdEEEE10hipError_tPvRmT1_T2_T3_mT4_P12ihipStream_tbEUlT_E0_NS1_11comp_targetILNS1_3genE10ELNS1_11target_archE1201ELNS1_3gpuE5ELNS1_3repE0EEENS1_30default_config_static_selectorELNS0_4arch9wavefront6targetE1EEEvSK_,@function
_ZN7rocprim17ROCPRIM_400000_NS6detail17trampoline_kernelINS0_14default_configENS1_22reduce_config_selectorIdEEZNS1_11reduce_implILb1ES3_N6thrust23THRUST_200600_302600_NS6detail15normal_iteratorINS8_10device_ptrIdEEEEPddNS8_4plusIdEEEE10hipError_tPvRmT1_T2_T3_mT4_P12ihipStream_tbEUlT_E0_NS1_11comp_targetILNS1_3genE10ELNS1_11target_archE1201ELNS1_3gpuE5ELNS1_3repE0EEENS1_30default_config_static_selectorELNS0_4arch9wavefront6targetE1EEEvSK_: ; @_ZN7rocprim17ROCPRIM_400000_NS6detail17trampoline_kernelINS0_14default_configENS1_22reduce_config_selectorIdEEZNS1_11reduce_implILb1ES3_N6thrust23THRUST_200600_302600_NS6detail15normal_iteratorINS8_10device_ptrIdEEEEPddNS8_4plusIdEEEE10hipError_tPvRmT1_T2_T3_mT4_P12ihipStream_tbEUlT_E0_NS1_11comp_targetILNS1_3genE10ELNS1_11target_archE1201ELNS1_3gpuE5ELNS1_3repE0EEENS1_30default_config_static_selectorELNS0_4arch9wavefront6targetE1EEEvSK_
; %bb.0:
	.section	.rodata,"a",@progbits
	.p2align	6, 0x0
	.amdhsa_kernel _ZN7rocprim17ROCPRIM_400000_NS6detail17trampoline_kernelINS0_14default_configENS1_22reduce_config_selectorIdEEZNS1_11reduce_implILb1ES3_N6thrust23THRUST_200600_302600_NS6detail15normal_iteratorINS8_10device_ptrIdEEEEPddNS8_4plusIdEEEE10hipError_tPvRmT1_T2_T3_mT4_P12ihipStream_tbEUlT_E0_NS1_11comp_targetILNS1_3genE10ELNS1_11target_archE1201ELNS1_3gpuE5ELNS1_3repE0EEENS1_30default_config_static_selectorELNS0_4arch9wavefront6targetE1EEEvSK_
		.amdhsa_group_segment_fixed_size 0
		.amdhsa_private_segment_fixed_size 0
		.amdhsa_kernarg_size 64
		.amdhsa_user_sgpr_count 2
		.amdhsa_user_sgpr_dispatch_ptr 0
		.amdhsa_user_sgpr_queue_ptr 0
		.amdhsa_user_sgpr_kernarg_segment_ptr 1
		.amdhsa_user_sgpr_dispatch_id 0
		.amdhsa_user_sgpr_kernarg_preload_length 0
		.amdhsa_user_sgpr_kernarg_preload_offset 0
		.amdhsa_user_sgpr_private_segment_size 0
		.amdhsa_uses_dynamic_stack 0
		.amdhsa_enable_private_segment 0
		.amdhsa_system_sgpr_workgroup_id_x 1
		.amdhsa_system_sgpr_workgroup_id_y 0
		.amdhsa_system_sgpr_workgroup_id_z 0
		.amdhsa_system_sgpr_workgroup_info 0
		.amdhsa_system_vgpr_workitem_id 0
		.amdhsa_next_free_vgpr 1
		.amdhsa_next_free_sgpr 0
		.amdhsa_accum_offset 4
		.amdhsa_reserve_vcc 0
		.amdhsa_float_round_mode_32 0
		.amdhsa_float_round_mode_16_64 0
		.amdhsa_float_denorm_mode_32 3
		.amdhsa_float_denorm_mode_16_64 3
		.amdhsa_dx10_clamp 1
		.amdhsa_ieee_mode 1
		.amdhsa_fp16_overflow 0
		.amdhsa_tg_split 0
		.amdhsa_exception_fp_ieee_invalid_op 0
		.amdhsa_exception_fp_denorm_src 0
		.amdhsa_exception_fp_ieee_div_zero 0
		.amdhsa_exception_fp_ieee_overflow 0
		.amdhsa_exception_fp_ieee_underflow 0
		.amdhsa_exception_fp_ieee_inexact 0
		.amdhsa_exception_int_div_zero 0
	.end_amdhsa_kernel
	.section	.text._ZN7rocprim17ROCPRIM_400000_NS6detail17trampoline_kernelINS0_14default_configENS1_22reduce_config_selectorIdEEZNS1_11reduce_implILb1ES3_N6thrust23THRUST_200600_302600_NS6detail15normal_iteratorINS8_10device_ptrIdEEEEPddNS8_4plusIdEEEE10hipError_tPvRmT1_T2_T3_mT4_P12ihipStream_tbEUlT_E0_NS1_11comp_targetILNS1_3genE10ELNS1_11target_archE1201ELNS1_3gpuE5ELNS1_3repE0EEENS1_30default_config_static_selectorELNS0_4arch9wavefront6targetE1EEEvSK_,"axG",@progbits,_ZN7rocprim17ROCPRIM_400000_NS6detail17trampoline_kernelINS0_14default_configENS1_22reduce_config_selectorIdEEZNS1_11reduce_implILb1ES3_N6thrust23THRUST_200600_302600_NS6detail15normal_iteratorINS8_10device_ptrIdEEEEPddNS8_4plusIdEEEE10hipError_tPvRmT1_T2_T3_mT4_P12ihipStream_tbEUlT_E0_NS1_11comp_targetILNS1_3genE10ELNS1_11target_archE1201ELNS1_3gpuE5ELNS1_3repE0EEENS1_30default_config_static_selectorELNS0_4arch9wavefront6targetE1EEEvSK_,comdat
.Lfunc_end25:
	.size	_ZN7rocprim17ROCPRIM_400000_NS6detail17trampoline_kernelINS0_14default_configENS1_22reduce_config_selectorIdEEZNS1_11reduce_implILb1ES3_N6thrust23THRUST_200600_302600_NS6detail15normal_iteratorINS8_10device_ptrIdEEEEPddNS8_4plusIdEEEE10hipError_tPvRmT1_T2_T3_mT4_P12ihipStream_tbEUlT_E0_NS1_11comp_targetILNS1_3genE10ELNS1_11target_archE1201ELNS1_3gpuE5ELNS1_3repE0EEENS1_30default_config_static_selectorELNS0_4arch9wavefront6targetE1EEEvSK_, .Lfunc_end25-_ZN7rocprim17ROCPRIM_400000_NS6detail17trampoline_kernelINS0_14default_configENS1_22reduce_config_selectorIdEEZNS1_11reduce_implILb1ES3_N6thrust23THRUST_200600_302600_NS6detail15normal_iteratorINS8_10device_ptrIdEEEEPddNS8_4plusIdEEEE10hipError_tPvRmT1_T2_T3_mT4_P12ihipStream_tbEUlT_E0_NS1_11comp_targetILNS1_3genE10ELNS1_11target_archE1201ELNS1_3gpuE5ELNS1_3repE0EEENS1_30default_config_static_selectorELNS0_4arch9wavefront6targetE1EEEvSK_
                                        ; -- End function
	.set _ZN7rocprim17ROCPRIM_400000_NS6detail17trampoline_kernelINS0_14default_configENS1_22reduce_config_selectorIdEEZNS1_11reduce_implILb1ES3_N6thrust23THRUST_200600_302600_NS6detail15normal_iteratorINS8_10device_ptrIdEEEEPddNS8_4plusIdEEEE10hipError_tPvRmT1_T2_T3_mT4_P12ihipStream_tbEUlT_E0_NS1_11comp_targetILNS1_3genE10ELNS1_11target_archE1201ELNS1_3gpuE5ELNS1_3repE0EEENS1_30default_config_static_selectorELNS0_4arch9wavefront6targetE1EEEvSK_.num_vgpr, 0
	.set _ZN7rocprim17ROCPRIM_400000_NS6detail17trampoline_kernelINS0_14default_configENS1_22reduce_config_selectorIdEEZNS1_11reduce_implILb1ES3_N6thrust23THRUST_200600_302600_NS6detail15normal_iteratorINS8_10device_ptrIdEEEEPddNS8_4plusIdEEEE10hipError_tPvRmT1_T2_T3_mT4_P12ihipStream_tbEUlT_E0_NS1_11comp_targetILNS1_3genE10ELNS1_11target_archE1201ELNS1_3gpuE5ELNS1_3repE0EEENS1_30default_config_static_selectorELNS0_4arch9wavefront6targetE1EEEvSK_.num_agpr, 0
	.set _ZN7rocprim17ROCPRIM_400000_NS6detail17trampoline_kernelINS0_14default_configENS1_22reduce_config_selectorIdEEZNS1_11reduce_implILb1ES3_N6thrust23THRUST_200600_302600_NS6detail15normal_iteratorINS8_10device_ptrIdEEEEPddNS8_4plusIdEEEE10hipError_tPvRmT1_T2_T3_mT4_P12ihipStream_tbEUlT_E0_NS1_11comp_targetILNS1_3genE10ELNS1_11target_archE1201ELNS1_3gpuE5ELNS1_3repE0EEENS1_30default_config_static_selectorELNS0_4arch9wavefront6targetE1EEEvSK_.numbered_sgpr, 0
	.set _ZN7rocprim17ROCPRIM_400000_NS6detail17trampoline_kernelINS0_14default_configENS1_22reduce_config_selectorIdEEZNS1_11reduce_implILb1ES3_N6thrust23THRUST_200600_302600_NS6detail15normal_iteratorINS8_10device_ptrIdEEEEPddNS8_4plusIdEEEE10hipError_tPvRmT1_T2_T3_mT4_P12ihipStream_tbEUlT_E0_NS1_11comp_targetILNS1_3genE10ELNS1_11target_archE1201ELNS1_3gpuE5ELNS1_3repE0EEENS1_30default_config_static_selectorELNS0_4arch9wavefront6targetE1EEEvSK_.num_named_barrier, 0
	.set _ZN7rocprim17ROCPRIM_400000_NS6detail17trampoline_kernelINS0_14default_configENS1_22reduce_config_selectorIdEEZNS1_11reduce_implILb1ES3_N6thrust23THRUST_200600_302600_NS6detail15normal_iteratorINS8_10device_ptrIdEEEEPddNS8_4plusIdEEEE10hipError_tPvRmT1_T2_T3_mT4_P12ihipStream_tbEUlT_E0_NS1_11comp_targetILNS1_3genE10ELNS1_11target_archE1201ELNS1_3gpuE5ELNS1_3repE0EEENS1_30default_config_static_selectorELNS0_4arch9wavefront6targetE1EEEvSK_.private_seg_size, 0
	.set _ZN7rocprim17ROCPRIM_400000_NS6detail17trampoline_kernelINS0_14default_configENS1_22reduce_config_selectorIdEEZNS1_11reduce_implILb1ES3_N6thrust23THRUST_200600_302600_NS6detail15normal_iteratorINS8_10device_ptrIdEEEEPddNS8_4plusIdEEEE10hipError_tPvRmT1_T2_T3_mT4_P12ihipStream_tbEUlT_E0_NS1_11comp_targetILNS1_3genE10ELNS1_11target_archE1201ELNS1_3gpuE5ELNS1_3repE0EEENS1_30default_config_static_selectorELNS0_4arch9wavefront6targetE1EEEvSK_.uses_vcc, 0
	.set _ZN7rocprim17ROCPRIM_400000_NS6detail17trampoline_kernelINS0_14default_configENS1_22reduce_config_selectorIdEEZNS1_11reduce_implILb1ES3_N6thrust23THRUST_200600_302600_NS6detail15normal_iteratorINS8_10device_ptrIdEEEEPddNS8_4plusIdEEEE10hipError_tPvRmT1_T2_T3_mT4_P12ihipStream_tbEUlT_E0_NS1_11comp_targetILNS1_3genE10ELNS1_11target_archE1201ELNS1_3gpuE5ELNS1_3repE0EEENS1_30default_config_static_selectorELNS0_4arch9wavefront6targetE1EEEvSK_.uses_flat_scratch, 0
	.set _ZN7rocprim17ROCPRIM_400000_NS6detail17trampoline_kernelINS0_14default_configENS1_22reduce_config_selectorIdEEZNS1_11reduce_implILb1ES3_N6thrust23THRUST_200600_302600_NS6detail15normal_iteratorINS8_10device_ptrIdEEEEPddNS8_4plusIdEEEE10hipError_tPvRmT1_T2_T3_mT4_P12ihipStream_tbEUlT_E0_NS1_11comp_targetILNS1_3genE10ELNS1_11target_archE1201ELNS1_3gpuE5ELNS1_3repE0EEENS1_30default_config_static_selectorELNS0_4arch9wavefront6targetE1EEEvSK_.has_dyn_sized_stack, 0
	.set _ZN7rocprim17ROCPRIM_400000_NS6detail17trampoline_kernelINS0_14default_configENS1_22reduce_config_selectorIdEEZNS1_11reduce_implILb1ES3_N6thrust23THRUST_200600_302600_NS6detail15normal_iteratorINS8_10device_ptrIdEEEEPddNS8_4plusIdEEEE10hipError_tPvRmT1_T2_T3_mT4_P12ihipStream_tbEUlT_E0_NS1_11comp_targetILNS1_3genE10ELNS1_11target_archE1201ELNS1_3gpuE5ELNS1_3repE0EEENS1_30default_config_static_selectorELNS0_4arch9wavefront6targetE1EEEvSK_.has_recursion, 0
	.set _ZN7rocprim17ROCPRIM_400000_NS6detail17trampoline_kernelINS0_14default_configENS1_22reduce_config_selectorIdEEZNS1_11reduce_implILb1ES3_N6thrust23THRUST_200600_302600_NS6detail15normal_iteratorINS8_10device_ptrIdEEEEPddNS8_4plusIdEEEE10hipError_tPvRmT1_T2_T3_mT4_P12ihipStream_tbEUlT_E0_NS1_11comp_targetILNS1_3genE10ELNS1_11target_archE1201ELNS1_3gpuE5ELNS1_3repE0EEENS1_30default_config_static_selectorELNS0_4arch9wavefront6targetE1EEEvSK_.has_indirect_call, 0
	.section	.AMDGPU.csdata,"",@progbits
; Kernel info:
; codeLenInByte = 0
; TotalNumSgprs: 6
; NumVgprs: 0
; NumAgprs: 0
; TotalNumVgprs: 0
; ScratchSize: 0
; MemoryBound: 0
; FloatMode: 240
; IeeeMode: 1
; LDSByteSize: 0 bytes/workgroup (compile time only)
; SGPRBlocks: 0
; VGPRBlocks: 0
; NumSGPRsForWavesPerEU: 6
; NumVGPRsForWavesPerEU: 1
; AccumOffset: 4
; Occupancy: 8
; WaveLimiterHint : 0
; COMPUTE_PGM_RSRC2:SCRATCH_EN: 0
; COMPUTE_PGM_RSRC2:USER_SGPR: 2
; COMPUTE_PGM_RSRC2:TRAP_HANDLER: 0
; COMPUTE_PGM_RSRC2:TGID_X_EN: 1
; COMPUTE_PGM_RSRC2:TGID_Y_EN: 0
; COMPUTE_PGM_RSRC2:TGID_Z_EN: 0
; COMPUTE_PGM_RSRC2:TIDIG_COMP_CNT: 0
; COMPUTE_PGM_RSRC3_GFX90A:ACCUM_OFFSET: 0
; COMPUTE_PGM_RSRC3_GFX90A:TG_SPLIT: 0
	.section	.text._ZN7rocprim17ROCPRIM_400000_NS6detail17trampoline_kernelINS0_14default_configENS1_22reduce_config_selectorIdEEZNS1_11reduce_implILb1ES3_N6thrust23THRUST_200600_302600_NS6detail15normal_iteratorINS8_10device_ptrIdEEEEPddNS8_4plusIdEEEE10hipError_tPvRmT1_T2_T3_mT4_P12ihipStream_tbEUlT_E0_NS1_11comp_targetILNS1_3genE10ELNS1_11target_archE1200ELNS1_3gpuE4ELNS1_3repE0EEENS1_30default_config_static_selectorELNS0_4arch9wavefront6targetE1EEEvSK_,"axG",@progbits,_ZN7rocprim17ROCPRIM_400000_NS6detail17trampoline_kernelINS0_14default_configENS1_22reduce_config_selectorIdEEZNS1_11reduce_implILb1ES3_N6thrust23THRUST_200600_302600_NS6detail15normal_iteratorINS8_10device_ptrIdEEEEPddNS8_4plusIdEEEE10hipError_tPvRmT1_T2_T3_mT4_P12ihipStream_tbEUlT_E0_NS1_11comp_targetILNS1_3genE10ELNS1_11target_archE1200ELNS1_3gpuE4ELNS1_3repE0EEENS1_30default_config_static_selectorELNS0_4arch9wavefront6targetE1EEEvSK_,comdat
	.protected	_ZN7rocprim17ROCPRIM_400000_NS6detail17trampoline_kernelINS0_14default_configENS1_22reduce_config_selectorIdEEZNS1_11reduce_implILb1ES3_N6thrust23THRUST_200600_302600_NS6detail15normal_iteratorINS8_10device_ptrIdEEEEPddNS8_4plusIdEEEE10hipError_tPvRmT1_T2_T3_mT4_P12ihipStream_tbEUlT_E0_NS1_11comp_targetILNS1_3genE10ELNS1_11target_archE1200ELNS1_3gpuE4ELNS1_3repE0EEENS1_30default_config_static_selectorELNS0_4arch9wavefront6targetE1EEEvSK_ ; -- Begin function _ZN7rocprim17ROCPRIM_400000_NS6detail17trampoline_kernelINS0_14default_configENS1_22reduce_config_selectorIdEEZNS1_11reduce_implILb1ES3_N6thrust23THRUST_200600_302600_NS6detail15normal_iteratorINS8_10device_ptrIdEEEEPddNS8_4plusIdEEEE10hipError_tPvRmT1_T2_T3_mT4_P12ihipStream_tbEUlT_E0_NS1_11comp_targetILNS1_3genE10ELNS1_11target_archE1200ELNS1_3gpuE4ELNS1_3repE0EEENS1_30default_config_static_selectorELNS0_4arch9wavefront6targetE1EEEvSK_
	.globl	_ZN7rocprim17ROCPRIM_400000_NS6detail17trampoline_kernelINS0_14default_configENS1_22reduce_config_selectorIdEEZNS1_11reduce_implILb1ES3_N6thrust23THRUST_200600_302600_NS6detail15normal_iteratorINS8_10device_ptrIdEEEEPddNS8_4plusIdEEEE10hipError_tPvRmT1_T2_T3_mT4_P12ihipStream_tbEUlT_E0_NS1_11comp_targetILNS1_3genE10ELNS1_11target_archE1200ELNS1_3gpuE4ELNS1_3repE0EEENS1_30default_config_static_selectorELNS0_4arch9wavefront6targetE1EEEvSK_
	.p2align	8
	.type	_ZN7rocprim17ROCPRIM_400000_NS6detail17trampoline_kernelINS0_14default_configENS1_22reduce_config_selectorIdEEZNS1_11reduce_implILb1ES3_N6thrust23THRUST_200600_302600_NS6detail15normal_iteratorINS8_10device_ptrIdEEEEPddNS8_4plusIdEEEE10hipError_tPvRmT1_T2_T3_mT4_P12ihipStream_tbEUlT_E0_NS1_11comp_targetILNS1_3genE10ELNS1_11target_archE1200ELNS1_3gpuE4ELNS1_3repE0EEENS1_30default_config_static_selectorELNS0_4arch9wavefront6targetE1EEEvSK_,@function
_ZN7rocprim17ROCPRIM_400000_NS6detail17trampoline_kernelINS0_14default_configENS1_22reduce_config_selectorIdEEZNS1_11reduce_implILb1ES3_N6thrust23THRUST_200600_302600_NS6detail15normal_iteratorINS8_10device_ptrIdEEEEPddNS8_4plusIdEEEE10hipError_tPvRmT1_T2_T3_mT4_P12ihipStream_tbEUlT_E0_NS1_11comp_targetILNS1_3genE10ELNS1_11target_archE1200ELNS1_3gpuE4ELNS1_3repE0EEENS1_30default_config_static_selectorELNS0_4arch9wavefront6targetE1EEEvSK_: ; @_ZN7rocprim17ROCPRIM_400000_NS6detail17trampoline_kernelINS0_14default_configENS1_22reduce_config_selectorIdEEZNS1_11reduce_implILb1ES3_N6thrust23THRUST_200600_302600_NS6detail15normal_iteratorINS8_10device_ptrIdEEEEPddNS8_4plusIdEEEE10hipError_tPvRmT1_T2_T3_mT4_P12ihipStream_tbEUlT_E0_NS1_11comp_targetILNS1_3genE10ELNS1_11target_archE1200ELNS1_3gpuE4ELNS1_3repE0EEENS1_30default_config_static_selectorELNS0_4arch9wavefront6targetE1EEEvSK_
; %bb.0:
	.section	.rodata,"a",@progbits
	.p2align	6, 0x0
	.amdhsa_kernel _ZN7rocprim17ROCPRIM_400000_NS6detail17trampoline_kernelINS0_14default_configENS1_22reduce_config_selectorIdEEZNS1_11reduce_implILb1ES3_N6thrust23THRUST_200600_302600_NS6detail15normal_iteratorINS8_10device_ptrIdEEEEPddNS8_4plusIdEEEE10hipError_tPvRmT1_T2_T3_mT4_P12ihipStream_tbEUlT_E0_NS1_11comp_targetILNS1_3genE10ELNS1_11target_archE1200ELNS1_3gpuE4ELNS1_3repE0EEENS1_30default_config_static_selectorELNS0_4arch9wavefront6targetE1EEEvSK_
		.amdhsa_group_segment_fixed_size 0
		.amdhsa_private_segment_fixed_size 0
		.amdhsa_kernarg_size 64
		.amdhsa_user_sgpr_count 2
		.amdhsa_user_sgpr_dispatch_ptr 0
		.amdhsa_user_sgpr_queue_ptr 0
		.amdhsa_user_sgpr_kernarg_segment_ptr 1
		.amdhsa_user_sgpr_dispatch_id 0
		.amdhsa_user_sgpr_kernarg_preload_length 0
		.amdhsa_user_sgpr_kernarg_preload_offset 0
		.amdhsa_user_sgpr_private_segment_size 0
		.amdhsa_uses_dynamic_stack 0
		.amdhsa_enable_private_segment 0
		.amdhsa_system_sgpr_workgroup_id_x 1
		.amdhsa_system_sgpr_workgroup_id_y 0
		.amdhsa_system_sgpr_workgroup_id_z 0
		.amdhsa_system_sgpr_workgroup_info 0
		.amdhsa_system_vgpr_workitem_id 0
		.amdhsa_next_free_vgpr 1
		.amdhsa_next_free_sgpr 0
		.amdhsa_accum_offset 4
		.amdhsa_reserve_vcc 0
		.amdhsa_float_round_mode_32 0
		.amdhsa_float_round_mode_16_64 0
		.amdhsa_float_denorm_mode_32 3
		.amdhsa_float_denorm_mode_16_64 3
		.amdhsa_dx10_clamp 1
		.amdhsa_ieee_mode 1
		.amdhsa_fp16_overflow 0
		.amdhsa_tg_split 0
		.amdhsa_exception_fp_ieee_invalid_op 0
		.amdhsa_exception_fp_denorm_src 0
		.amdhsa_exception_fp_ieee_div_zero 0
		.amdhsa_exception_fp_ieee_overflow 0
		.amdhsa_exception_fp_ieee_underflow 0
		.amdhsa_exception_fp_ieee_inexact 0
		.amdhsa_exception_int_div_zero 0
	.end_amdhsa_kernel
	.section	.text._ZN7rocprim17ROCPRIM_400000_NS6detail17trampoline_kernelINS0_14default_configENS1_22reduce_config_selectorIdEEZNS1_11reduce_implILb1ES3_N6thrust23THRUST_200600_302600_NS6detail15normal_iteratorINS8_10device_ptrIdEEEEPddNS8_4plusIdEEEE10hipError_tPvRmT1_T2_T3_mT4_P12ihipStream_tbEUlT_E0_NS1_11comp_targetILNS1_3genE10ELNS1_11target_archE1200ELNS1_3gpuE4ELNS1_3repE0EEENS1_30default_config_static_selectorELNS0_4arch9wavefront6targetE1EEEvSK_,"axG",@progbits,_ZN7rocprim17ROCPRIM_400000_NS6detail17trampoline_kernelINS0_14default_configENS1_22reduce_config_selectorIdEEZNS1_11reduce_implILb1ES3_N6thrust23THRUST_200600_302600_NS6detail15normal_iteratorINS8_10device_ptrIdEEEEPddNS8_4plusIdEEEE10hipError_tPvRmT1_T2_T3_mT4_P12ihipStream_tbEUlT_E0_NS1_11comp_targetILNS1_3genE10ELNS1_11target_archE1200ELNS1_3gpuE4ELNS1_3repE0EEENS1_30default_config_static_selectorELNS0_4arch9wavefront6targetE1EEEvSK_,comdat
.Lfunc_end26:
	.size	_ZN7rocprim17ROCPRIM_400000_NS6detail17trampoline_kernelINS0_14default_configENS1_22reduce_config_selectorIdEEZNS1_11reduce_implILb1ES3_N6thrust23THRUST_200600_302600_NS6detail15normal_iteratorINS8_10device_ptrIdEEEEPddNS8_4plusIdEEEE10hipError_tPvRmT1_T2_T3_mT4_P12ihipStream_tbEUlT_E0_NS1_11comp_targetILNS1_3genE10ELNS1_11target_archE1200ELNS1_3gpuE4ELNS1_3repE0EEENS1_30default_config_static_selectorELNS0_4arch9wavefront6targetE1EEEvSK_, .Lfunc_end26-_ZN7rocprim17ROCPRIM_400000_NS6detail17trampoline_kernelINS0_14default_configENS1_22reduce_config_selectorIdEEZNS1_11reduce_implILb1ES3_N6thrust23THRUST_200600_302600_NS6detail15normal_iteratorINS8_10device_ptrIdEEEEPddNS8_4plusIdEEEE10hipError_tPvRmT1_T2_T3_mT4_P12ihipStream_tbEUlT_E0_NS1_11comp_targetILNS1_3genE10ELNS1_11target_archE1200ELNS1_3gpuE4ELNS1_3repE0EEENS1_30default_config_static_selectorELNS0_4arch9wavefront6targetE1EEEvSK_
                                        ; -- End function
	.set _ZN7rocprim17ROCPRIM_400000_NS6detail17trampoline_kernelINS0_14default_configENS1_22reduce_config_selectorIdEEZNS1_11reduce_implILb1ES3_N6thrust23THRUST_200600_302600_NS6detail15normal_iteratorINS8_10device_ptrIdEEEEPddNS8_4plusIdEEEE10hipError_tPvRmT1_T2_T3_mT4_P12ihipStream_tbEUlT_E0_NS1_11comp_targetILNS1_3genE10ELNS1_11target_archE1200ELNS1_3gpuE4ELNS1_3repE0EEENS1_30default_config_static_selectorELNS0_4arch9wavefront6targetE1EEEvSK_.num_vgpr, 0
	.set _ZN7rocprim17ROCPRIM_400000_NS6detail17trampoline_kernelINS0_14default_configENS1_22reduce_config_selectorIdEEZNS1_11reduce_implILb1ES3_N6thrust23THRUST_200600_302600_NS6detail15normal_iteratorINS8_10device_ptrIdEEEEPddNS8_4plusIdEEEE10hipError_tPvRmT1_T2_T3_mT4_P12ihipStream_tbEUlT_E0_NS1_11comp_targetILNS1_3genE10ELNS1_11target_archE1200ELNS1_3gpuE4ELNS1_3repE0EEENS1_30default_config_static_selectorELNS0_4arch9wavefront6targetE1EEEvSK_.num_agpr, 0
	.set _ZN7rocprim17ROCPRIM_400000_NS6detail17trampoline_kernelINS0_14default_configENS1_22reduce_config_selectorIdEEZNS1_11reduce_implILb1ES3_N6thrust23THRUST_200600_302600_NS6detail15normal_iteratorINS8_10device_ptrIdEEEEPddNS8_4plusIdEEEE10hipError_tPvRmT1_T2_T3_mT4_P12ihipStream_tbEUlT_E0_NS1_11comp_targetILNS1_3genE10ELNS1_11target_archE1200ELNS1_3gpuE4ELNS1_3repE0EEENS1_30default_config_static_selectorELNS0_4arch9wavefront6targetE1EEEvSK_.numbered_sgpr, 0
	.set _ZN7rocprim17ROCPRIM_400000_NS6detail17trampoline_kernelINS0_14default_configENS1_22reduce_config_selectorIdEEZNS1_11reduce_implILb1ES3_N6thrust23THRUST_200600_302600_NS6detail15normal_iteratorINS8_10device_ptrIdEEEEPddNS8_4plusIdEEEE10hipError_tPvRmT1_T2_T3_mT4_P12ihipStream_tbEUlT_E0_NS1_11comp_targetILNS1_3genE10ELNS1_11target_archE1200ELNS1_3gpuE4ELNS1_3repE0EEENS1_30default_config_static_selectorELNS0_4arch9wavefront6targetE1EEEvSK_.num_named_barrier, 0
	.set _ZN7rocprim17ROCPRIM_400000_NS6detail17trampoline_kernelINS0_14default_configENS1_22reduce_config_selectorIdEEZNS1_11reduce_implILb1ES3_N6thrust23THRUST_200600_302600_NS6detail15normal_iteratorINS8_10device_ptrIdEEEEPddNS8_4plusIdEEEE10hipError_tPvRmT1_T2_T3_mT4_P12ihipStream_tbEUlT_E0_NS1_11comp_targetILNS1_3genE10ELNS1_11target_archE1200ELNS1_3gpuE4ELNS1_3repE0EEENS1_30default_config_static_selectorELNS0_4arch9wavefront6targetE1EEEvSK_.private_seg_size, 0
	.set _ZN7rocprim17ROCPRIM_400000_NS6detail17trampoline_kernelINS0_14default_configENS1_22reduce_config_selectorIdEEZNS1_11reduce_implILb1ES3_N6thrust23THRUST_200600_302600_NS6detail15normal_iteratorINS8_10device_ptrIdEEEEPddNS8_4plusIdEEEE10hipError_tPvRmT1_T2_T3_mT4_P12ihipStream_tbEUlT_E0_NS1_11comp_targetILNS1_3genE10ELNS1_11target_archE1200ELNS1_3gpuE4ELNS1_3repE0EEENS1_30default_config_static_selectorELNS0_4arch9wavefront6targetE1EEEvSK_.uses_vcc, 0
	.set _ZN7rocprim17ROCPRIM_400000_NS6detail17trampoline_kernelINS0_14default_configENS1_22reduce_config_selectorIdEEZNS1_11reduce_implILb1ES3_N6thrust23THRUST_200600_302600_NS6detail15normal_iteratorINS8_10device_ptrIdEEEEPddNS8_4plusIdEEEE10hipError_tPvRmT1_T2_T3_mT4_P12ihipStream_tbEUlT_E0_NS1_11comp_targetILNS1_3genE10ELNS1_11target_archE1200ELNS1_3gpuE4ELNS1_3repE0EEENS1_30default_config_static_selectorELNS0_4arch9wavefront6targetE1EEEvSK_.uses_flat_scratch, 0
	.set _ZN7rocprim17ROCPRIM_400000_NS6detail17trampoline_kernelINS0_14default_configENS1_22reduce_config_selectorIdEEZNS1_11reduce_implILb1ES3_N6thrust23THRUST_200600_302600_NS6detail15normal_iteratorINS8_10device_ptrIdEEEEPddNS8_4plusIdEEEE10hipError_tPvRmT1_T2_T3_mT4_P12ihipStream_tbEUlT_E0_NS1_11comp_targetILNS1_3genE10ELNS1_11target_archE1200ELNS1_3gpuE4ELNS1_3repE0EEENS1_30default_config_static_selectorELNS0_4arch9wavefront6targetE1EEEvSK_.has_dyn_sized_stack, 0
	.set _ZN7rocprim17ROCPRIM_400000_NS6detail17trampoline_kernelINS0_14default_configENS1_22reduce_config_selectorIdEEZNS1_11reduce_implILb1ES3_N6thrust23THRUST_200600_302600_NS6detail15normal_iteratorINS8_10device_ptrIdEEEEPddNS8_4plusIdEEEE10hipError_tPvRmT1_T2_T3_mT4_P12ihipStream_tbEUlT_E0_NS1_11comp_targetILNS1_3genE10ELNS1_11target_archE1200ELNS1_3gpuE4ELNS1_3repE0EEENS1_30default_config_static_selectorELNS0_4arch9wavefront6targetE1EEEvSK_.has_recursion, 0
	.set _ZN7rocprim17ROCPRIM_400000_NS6detail17trampoline_kernelINS0_14default_configENS1_22reduce_config_selectorIdEEZNS1_11reduce_implILb1ES3_N6thrust23THRUST_200600_302600_NS6detail15normal_iteratorINS8_10device_ptrIdEEEEPddNS8_4plusIdEEEE10hipError_tPvRmT1_T2_T3_mT4_P12ihipStream_tbEUlT_E0_NS1_11comp_targetILNS1_3genE10ELNS1_11target_archE1200ELNS1_3gpuE4ELNS1_3repE0EEENS1_30default_config_static_selectorELNS0_4arch9wavefront6targetE1EEEvSK_.has_indirect_call, 0
	.section	.AMDGPU.csdata,"",@progbits
; Kernel info:
; codeLenInByte = 0
; TotalNumSgprs: 6
; NumVgprs: 0
; NumAgprs: 0
; TotalNumVgprs: 0
; ScratchSize: 0
; MemoryBound: 0
; FloatMode: 240
; IeeeMode: 1
; LDSByteSize: 0 bytes/workgroup (compile time only)
; SGPRBlocks: 0
; VGPRBlocks: 0
; NumSGPRsForWavesPerEU: 6
; NumVGPRsForWavesPerEU: 1
; AccumOffset: 4
; Occupancy: 8
; WaveLimiterHint : 0
; COMPUTE_PGM_RSRC2:SCRATCH_EN: 0
; COMPUTE_PGM_RSRC2:USER_SGPR: 2
; COMPUTE_PGM_RSRC2:TRAP_HANDLER: 0
; COMPUTE_PGM_RSRC2:TGID_X_EN: 1
; COMPUTE_PGM_RSRC2:TGID_Y_EN: 0
; COMPUTE_PGM_RSRC2:TGID_Z_EN: 0
; COMPUTE_PGM_RSRC2:TIDIG_COMP_CNT: 0
; COMPUTE_PGM_RSRC3_GFX90A:ACCUM_OFFSET: 0
; COMPUTE_PGM_RSRC3_GFX90A:TG_SPLIT: 0
	.section	.text._ZN7rocprim17ROCPRIM_400000_NS6detail17trampoline_kernelINS0_14default_configENS1_22reduce_config_selectorIdEEZNS1_11reduce_implILb1ES3_N6thrust23THRUST_200600_302600_NS6detail15normal_iteratorINS8_10device_ptrIdEEEEPddNS8_4plusIdEEEE10hipError_tPvRmT1_T2_T3_mT4_P12ihipStream_tbEUlT_E0_NS1_11comp_targetILNS1_3genE9ELNS1_11target_archE1100ELNS1_3gpuE3ELNS1_3repE0EEENS1_30default_config_static_selectorELNS0_4arch9wavefront6targetE1EEEvSK_,"axG",@progbits,_ZN7rocprim17ROCPRIM_400000_NS6detail17trampoline_kernelINS0_14default_configENS1_22reduce_config_selectorIdEEZNS1_11reduce_implILb1ES3_N6thrust23THRUST_200600_302600_NS6detail15normal_iteratorINS8_10device_ptrIdEEEEPddNS8_4plusIdEEEE10hipError_tPvRmT1_T2_T3_mT4_P12ihipStream_tbEUlT_E0_NS1_11comp_targetILNS1_3genE9ELNS1_11target_archE1100ELNS1_3gpuE3ELNS1_3repE0EEENS1_30default_config_static_selectorELNS0_4arch9wavefront6targetE1EEEvSK_,comdat
	.protected	_ZN7rocprim17ROCPRIM_400000_NS6detail17trampoline_kernelINS0_14default_configENS1_22reduce_config_selectorIdEEZNS1_11reduce_implILb1ES3_N6thrust23THRUST_200600_302600_NS6detail15normal_iteratorINS8_10device_ptrIdEEEEPddNS8_4plusIdEEEE10hipError_tPvRmT1_T2_T3_mT4_P12ihipStream_tbEUlT_E0_NS1_11comp_targetILNS1_3genE9ELNS1_11target_archE1100ELNS1_3gpuE3ELNS1_3repE0EEENS1_30default_config_static_selectorELNS0_4arch9wavefront6targetE1EEEvSK_ ; -- Begin function _ZN7rocprim17ROCPRIM_400000_NS6detail17trampoline_kernelINS0_14default_configENS1_22reduce_config_selectorIdEEZNS1_11reduce_implILb1ES3_N6thrust23THRUST_200600_302600_NS6detail15normal_iteratorINS8_10device_ptrIdEEEEPddNS8_4plusIdEEEE10hipError_tPvRmT1_T2_T3_mT4_P12ihipStream_tbEUlT_E0_NS1_11comp_targetILNS1_3genE9ELNS1_11target_archE1100ELNS1_3gpuE3ELNS1_3repE0EEENS1_30default_config_static_selectorELNS0_4arch9wavefront6targetE1EEEvSK_
	.globl	_ZN7rocprim17ROCPRIM_400000_NS6detail17trampoline_kernelINS0_14default_configENS1_22reduce_config_selectorIdEEZNS1_11reduce_implILb1ES3_N6thrust23THRUST_200600_302600_NS6detail15normal_iteratorINS8_10device_ptrIdEEEEPddNS8_4plusIdEEEE10hipError_tPvRmT1_T2_T3_mT4_P12ihipStream_tbEUlT_E0_NS1_11comp_targetILNS1_3genE9ELNS1_11target_archE1100ELNS1_3gpuE3ELNS1_3repE0EEENS1_30default_config_static_selectorELNS0_4arch9wavefront6targetE1EEEvSK_
	.p2align	8
	.type	_ZN7rocprim17ROCPRIM_400000_NS6detail17trampoline_kernelINS0_14default_configENS1_22reduce_config_selectorIdEEZNS1_11reduce_implILb1ES3_N6thrust23THRUST_200600_302600_NS6detail15normal_iteratorINS8_10device_ptrIdEEEEPddNS8_4plusIdEEEE10hipError_tPvRmT1_T2_T3_mT4_P12ihipStream_tbEUlT_E0_NS1_11comp_targetILNS1_3genE9ELNS1_11target_archE1100ELNS1_3gpuE3ELNS1_3repE0EEENS1_30default_config_static_selectorELNS0_4arch9wavefront6targetE1EEEvSK_,@function
_ZN7rocprim17ROCPRIM_400000_NS6detail17trampoline_kernelINS0_14default_configENS1_22reduce_config_selectorIdEEZNS1_11reduce_implILb1ES3_N6thrust23THRUST_200600_302600_NS6detail15normal_iteratorINS8_10device_ptrIdEEEEPddNS8_4plusIdEEEE10hipError_tPvRmT1_T2_T3_mT4_P12ihipStream_tbEUlT_E0_NS1_11comp_targetILNS1_3genE9ELNS1_11target_archE1100ELNS1_3gpuE3ELNS1_3repE0EEENS1_30default_config_static_selectorELNS0_4arch9wavefront6targetE1EEEvSK_: ; @_ZN7rocprim17ROCPRIM_400000_NS6detail17trampoline_kernelINS0_14default_configENS1_22reduce_config_selectorIdEEZNS1_11reduce_implILb1ES3_N6thrust23THRUST_200600_302600_NS6detail15normal_iteratorINS8_10device_ptrIdEEEEPddNS8_4plusIdEEEE10hipError_tPvRmT1_T2_T3_mT4_P12ihipStream_tbEUlT_E0_NS1_11comp_targetILNS1_3genE9ELNS1_11target_archE1100ELNS1_3gpuE3ELNS1_3repE0EEENS1_30default_config_static_selectorELNS0_4arch9wavefront6targetE1EEEvSK_
; %bb.0:
	.section	.rodata,"a",@progbits
	.p2align	6, 0x0
	.amdhsa_kernel _ZN7rocprim17ROCPRIM_400000_NS6detail17trampoline_kernelINS0_14default_configENS1_22reduce_config_selectorIdEEZNS1_11reduce_implILb1ES3_N6thrust23THRUST_200600_302600_NS6detail15normal_iteratorINS8_10device_ptrIdEEEEPddNS8_4plusIdEEEE10hipError_tPvRmT1_T2_T3_mT4_P12ihipStream_tbEUlT_E0_NS1_11comp_targetILNS1_3genE9ELNS1_11target_archE1100ELNS1_3gpuE3ELNS1_3repE0EEENS1_30default_config_static_selectorELNS0_4arch9wavefront6targetE1EEEvSK_
		.amdhsa_group_segment_fixed_size 0
		.amdhsa_private_segment_fixed_size 0
		.amdhsa_kernarg_size 64
		.amdhsa_user_sgpr_count 2
		.amdhsa_user_sgpr_dispatch_ptr 0
		.amdhsa_user_sgpr_queue_ptr 0
		.amdhsa_user_sgpr_kernarg_segment_ptr 1
		.amdhsa_user_sgpr_dispatch_id 0
		.amdhsa_user_sgpr_kernarg_preload_length 0
		.amdhsa_user_sgpr_kernarg_preload_offset 0
		.amdhsa_user_sgpr_private_segment_size 0
		.amdhsa_uses_dynamic_stack 0
		.amdhsa_enable_private_segment 0
		.amdhsa_system_sgpr_workgroup_id_x 1
		.amdhsa_system_sgpr_workgroup_id_y 0
		.amdhsa_system_sgpr_workgroup_id_z 0
		.amdhsa_system_sgpr_workgroup_info 0
		.amdhsa_system_vgpr_workitem_id 0
		.amdhsa_next_free_vgpr 1
		.amdhsa_next_free_sgpr 0
		.amdhsa_accum_offset 4
		.amdhsa_reserve_vcc 0
		.amdhsa_float_round_mode_32 0
		.amdhsa_float_round_mode_16_64 0
		.amdhsa_float_denorm_mode_32 3
		.amdhsa_float_denorm_mode_16_64 3
		.amdhsa_dx10_clamp 1
		.amdhsa_ieee_mode 1
		.amdhsa_fp16_overflow 0
		.amdhsa_tg_split 0
		.amdhsa_exception_fp_ieee_invalid_op 0
		.amdhsa_exception_fp_denorm_src 0
		.amdhsa_exception_fp_ieee_div_zero 0
		.amdhsa_exception_fp_ieee_overflow 0
		.amdhsa_exception_fp_ieee_underflow 0
		.amdhsa_exception_fp_ieee_inexact 0
		.amdhsa_exception_int_div_zero 0
	.end_amdhsa_kernel
	.section	.text._ZN7rocprim17ROCPRIM_400000_NS6detail17trampoline_kernelINS0_14default_configENS1_22reduce_config_selectorIdEEZNS1_11reduce_implILb1ES3_N6thrust23THRUST_200600_302600_NS6detail15normal_iteratorINS8_10device_ptrIdEEEEPddNS8_4plusIdEEEE10hipError_tPvRmT1_T2_T3_mT4_P12ihipStream_tbEUlT_E0_NS1_11comp_targetILNS1_3genE9ELNS1_11target_archE1100ELNS1_3gpuE3ELNS1_3repE0EEENS1_30default_config_static_selectorELNS0_4arch9wavefront6targetE1EEEvSK_,"axG",@progbits,_ZN7rocprim17ROCPRIM_400000_NS6detail17trampoline_kernelINS0_14default_configENS1_22reduce_config_selectorIdEEZNS1_11reduce_implILb1ES3_N6thrust23THRUST_200600_302600_NS6detail15normal_iteratorINS8_10device_ptrIdEEEEPddNS8_4plusIdEEEE10hipError_tPvRmT1_T2_T3_mT4_P12ihipStream_tbEUlT_E0_NS1_11comp_targetILNS1_3genE9ELNS1_11target_archE1100ELNS1_3gpuE3ELNS1_3repE0EEENS1_30default_config_static_selectorELNS0_4arch9wavefront6targetE1EEEvSK_,comdat
.Lfunc_end27:
	.size	_ZN7rocprim17ROCPRIM_400000_NS6detail17trampoline_kernelINS0_14default_configENS1_22reduce_config_selectorIdEEZNS1_11reduce_implILb1ES3_N6thrust23THRUST_200600_302600_NS6detail15normal_iteratorINS8_10device_ptrIdEEEEPddNS8_4plusIdEEEE10hipError_tPvRmT1_T2_T3_mT4_P12ihipStream_tbEUlT_E0_NS1_11comp_targetILNS1_3genE9ELNS1_11target_archE1100ELNS1_3gpuE3ELNS1_3repE0EEENS1_30default_config_static_selectorELNS0_4arch9wavefront6targetE1EEEvSK_, .Lfunc_end27-_ZN7rocprim17ROCPRIM_400000_NS6detail17trampoline_kernelINS0_14default_configENS1_22reduce_config_selectorIdEEZNS1_11reduce_implILb1ES3_N6thrust23THRUST_200600_302600_NS6detail15normal_iteratorINS8_10device_ptrIdEEEEPddNS8_4plusIdEEEE10hipError_tPvRmT1_T2_T3_mT4_P12ihipStream_tbEUlT_E0_NS1_11comp_targetILNS1_3genE9ELNS1_11target_archE1100ELNS1_3gpuE3ELNS1_3repE0EEENS1_30default_config_static_selectorELNS0_4arch9wavefront6targetE1EEEvSK_
                                        ; -- End function
	.set _ZN7rocprim17ROCPRIM_400000_NS6detail17trampoline_kernelINS0_14default_configENS1_22reduce_config_selectorIdEEZNS1_11reduce_implILb1ES3_N6thrust23THRUST_200600_302600_NS6detail15normal_iteratorINS8_10device_ptrIdEEEEPddNS8_4plusIdEEEE10hipError_tPvRmT1_T2_T3_mT4_P12ihipStream_tbEUlT_E0_NS1_11comp_targetILNS1_3genE9ELNS1_11target_archE1100ELNS1_3gpuE3ELNS1_3repE0EEENS1_30default_config_static_selectorELNS0_4arch9wavefront6targetE1EEEvSK_.num_vgpr, 0
	.set _ZN7rocprim17ROCPRIM_400000_NS6detail17trampoline_kernelINS0_14default_configENS1_22reduce_config_selectorIdEEZNS1_11reduce_implILb1ES3_N6thrust23THRUST_200600_302600_NS6detail15normal_iteratorINS8_10device_ptrIdEEEEPddNS8_4plusIdEEEE10hipError_tPvRmT1_T2_T3_mT4_P12ihipStream_tbEUlT_E0_NS1_11comp_targetILNS1_3genE9ELNS1_11target_archE1100ELNS1_3gpuE3ELNS1_3repE0EEENS1_30default_config_static_selectorELNS0_4arch9wavefront6targetE1EEEvSK_.num_agpr, 0
	.set _ZN7rocprim17ROCPRIM_400000_NS6detail17trampoline_kernelINS0_14default_configENS1_22reduce_config_selectorIdEEZNS1_11reduce_implILb1ES3_N6thrust23THRUST_200600_302600_NS6detail15normal_iteratorINS8_10device_ptrIdEEEEPddNS8_4plusIdEEEE10hipError_tPvRmT1_T2_T3_mT4_P12ihipStream_tbEUlT_E0_NS1_11comp_targetILNS1_3genE9ELNS1_11target_archE1100ELNS1_3gpuE3ELNS1_3repE0EEENS1_30default_config_static_selectorELNS0_4arch9wavefront6targetE1EEEvSK_.numbered_sgpr, 0
	.set _ZN7rocprim17ROCPRIM_400000_NS6detail17trampoline_kernelINS0_14default_configENS1_22reduce_config_selectorIdEEZNS1_11reduce_implILb1ES3_N6thrust23THRUST_200600_302600_NS6detail15normal_iteratorINS8_10device_ptrIdEEEEPddNS8_4plusIdEEEE10hipError_tPvRmT1_T2_T3_mT4_P12ihipStream_tbEUlT_E0_NS1_11comp_targetILNS1_3genE9ELNS1_11target_archE1100ELNS1_3gpuE3ELNS1_3repE0EEENS1_30default_config_static_selectorELNS0_4arch9wavefront6targetE1EEEvSK_.num_named_barrier, 0
	.set _ZN7rocprim17ROCPRIM_400000_NS6detail17trampoline_kernelINS0_14default_configENS1_22reduce_config_selectorIdEEZNS1_11reduce_implILb1ES3_N6thrust23THRUST_200600_302600_NS6detail15normal_iteratorINS8_10device_ptrIdEEEEPddNS8_4plusIdEEEE10hipError_tPvRmT1_T2_T3_mT4_P12ihipStream_tbEUlT_E0_NS1_11comp_targetILNS1_3genE9ELNS1_11target_archE1100ELNS1_3gpuE3ELNS1_3repE0EEENS1_30default_config_static_selectorELNS0_4arch9wavefront6targetE1EEEvSK_.private_seg_size, 0
	.set _ZN7rocprim17ROCPRIM_400000_NS6detail17trampoline_kernelINS0_14default_configENS1_22reduce_config_selectorIdEEZNS1_11reduce_implILb1ES3_N6thrust23THRUST_200600_302600_NS6detail15normal_iteratorINS8_10device_ptrIdEEEEPddNS8_4plusIdEEEE10hipError_tPvRmT1_T2_T3_mT4_P12ihipStream_tbEUlT_E0_NS1_11comp_targetILNS1_3genE9ELNS1_11target_archE1100ELNS1_3gpuE3ELNS1_3repE0EEENS1_30default_config_static_selectorELNS0_4arch9wavefront6targetE1EEEvSK_.uses_vcc, 0
	.set _ZN7rocprim17ROCPRIM_400000_NS6detail17trampoline_kernelINS0_14default_configENS1_22reduce_config_selectorIdEEZNS1_11reduce_implILb1ES3_N6thrust23THRUST_200600_302600_NS6detail15normal_iteratorINS8_10device_ptrIdEEEEPddNS8_4plusIdEEEE10hipError_tPvRmT1_T2_T3_mT4_P12ihipStream_tbEUlT_E0_NS1_11comp_targetILNS1_3genE9ELNS1_11target_archE1100ELNS1_3gpuE3ELNS1_3repE0EEENS1_30default_config_static_selectorELNS0_4arch9wavefront6targetE1EEEvSK_.uses_flat_scratch, 0
	.set _ZN7rocprim17ROCPRIM_400000_NS6detail17trampoline_kernelINS0_14default_configENS1_22reduce_config_selectorIdEEZNS1_11reduce_implILb1ES3_N6thrust23THRUST_200600_302600_NS6detail15normal_iteratorINS8_10device_ptrIdEEEEPddNS8_4plusIdEEEE10hipError_tPvRmT1_T2_T3_mT4_P12ihipStream_tbEUlT_E0_NS1_11comp_targetILNS1_3genE9ELNS1_11target_archE1100ELNS1_3gpuE3ELNS1_3repE0EEENS1_30default_config_static_selectorELNS0_4arch9wavefront6targetE1EEEvSK_.has_dyn_sized_stack, 0
	.set _ZN7rocprim17ROCPRIM_400000_NS6detail17trampoline_kernelINS0_14default_configENS1_22reduce_config_selectorIdEEZNS1_11reduce_implILb1ES3_N6thrust23THRUST_200600_302600_NS6detail15normal_iteratorINS8_10device_ptrIdEEEEPddNS8_4plusIdEEEE10hipError_tPvRmT1_T2_T3_mT4_P12ihipStream_tbEUlT_E0_NS1_11comp_targetILNS1_3genE9ELNS1_11target_archE1100ELNS1_3gpuE3ELNS1_3repE0EEENS1_30default_config_static_selectorELNS0_4arch9wavefront6targetE1EEEvSK_.has_recursion, 0
	.set _ZN7rocprim17ROCPRIM_400000_NS6detail17trampoline_kernelINS0_14default_configENS1_22reduce_config_selectorIdEEZNS1_11reduce_implILb1ES3_N6thrust23THRUST_200600_302600_NS6detail15normal_iteratorINS8_10device_ptrIdEEEEPddNS8_4plusIdEEEE10hipError_tPvRmT1_T2_T3_mT4_P12ihipStream_tbEUlT_E0_NS1_11comp_targetILNS1_3genE9ELNS1_11target_archE1100ELNS1_3gpuE3ELNS1_3repE0EEENS1_30default_config_static_selectorELNS0_4arch9wavefront6targetE1EEEvSK_.has_indirect_call, 0
	.section	.AMDGPU.csdata,"",@progbits
; Kernel info:
; codeLenInByte = 0
; TotalNumSgprs: 6
; NumVgprs: 0
; NumAgprs: 0
; TotalNumVgprs: 0
; ScratchSize: 0
; MemoryBound: 0
; FloatMode: 240
; IeeeMode: 1
; LDSByteSize: 0 bytes/workgroup (compile time only)
; SGPRBlocks: 0
; VGPRBlocks: 0
; NumSGPRsForWavesPerEU: 6
; NumVGPRsForWavesPerEU: 1
; AccumOffset: 4
; Occupancy: 8
; WaveLimiterHint : 0
; COMPUTE_PGM_RSRC2:SCRATCH_EN: 0
; COMPUTE_PGM_RSRC2:USER_SGPR: 2
; COMPUTE_PGM_RSRC2:TRAP_HANDLER: 0
; COMPUTE_PGM_RSRC2:TGID_X_EN: 1
; COMPUTE_PGM_RSRC2:TGID_Y_EN: 0
; COMPUTE_PGM_RSRC2:TGID_Z_EN: 0
; COMPUTE_PGM_RSRC2:TIDIG_COMP_CNT: 0
; COMPUTE_PGM_RSRC3_GFX90A:ACCUM_OFFSET: 0
; COMPUTE_PGM_RSRC3_GFX90A:TG_SPLIT: 0
	.section	.text._ZN7rocprim17ROCPRIM_400000_NS6detail17trampoline_kernelINS0_14default_configENS1_22reduce_config_selectorIdEEZNS1_11reduce_implILb1ES3_N6thrust23THRUST_200600_302600_NS6detail15normal_iteratorINS8_10device_ptrIdEEEEPddNS8_4plusIdEEEE10hipError_tPvRmT1_T2_T3_mT4_P12ihipStream_tbEUlT_E0_NS1_11comp_targetILNS1_3genE8ELNS1_11target_archE1030ELNS1_3gpuE2ELNS1_3repE0EEENS1_30default_config_static_selectorELNS0_4arch9wavefront6targetE1EEEvSK_,"axG",@progbits,_ZN7rocprim17ROCPRIM_400000_NS6detail17trampoline_kernelINS0_14default_configENS1_22reduce_config_selectorIdEEZNS1_11reduce_implILb1ES3_N6thrust23THRUST_200600_302600_NS6detail15normal_iteratorINS8_10device_ptrIdEEEEPddNS8_4plusIdEEEE10hipError_tPvRmT1_T2_T3_mT4_P12ihipStream_tbEUlT_E0_NS1_11comp_targetILNS1_3genE8ELNS1_11target_archE1030ELNS1_3gpuE2ELNS1_3repE0EEENS1_30default_config_static_selectorELNS0_4arch9wavefront6targetE1EEEvSK_,comdat
	.protected	_ZN7rocprim17ROCPRIM_400000_NS6detail17trampoline_kernelINS0_14default_configENS1_22reduce_config_selectorIdEEZNS1_11reduce_implILb1ES3_N6thrust23THRUST_200600_302600_NS6detail15normal_iteratorINS8_10device_ptrIdEEEEPddNS8_4plusIdEEEE10hipError_tPvRmT1_T2_T3_mT4_P12ihipStream_tbEUlT_E0_NS1_11comp_targetILNS1_3genE8ELNS1_11target_archE1030ELNS1_3gpuE2ELNS1_3repE0EEENS1_30default_config_static_selectorELNS0_4arch9wavefront6targetE1EEEvSK_ ; -- Begin function _ZN7rocprim17ROCPRIM_400000_NS6detail17trampoline_kernelINS0_14default_configENS1_22reduce_config_selectorIdEEZNS1_11reduce_implILb1ES3_N6thrust23THRUST_200600_302600_NS6detail15normal_iteratorINS8_10device_ptrIdEEEEPddNS8_4plusIdEEEE10hipError_tPvRmT1_T2_T3_mT4_P12ihipStream_tbEUlT_E0_NS1_11comp_targetILNS1_3genE8ELNS1_11target_archE1030ELNS1_3gpuE2ELNS1_3repE0EEENS1_30default_config_static_selectorELNS0_4arch9wavefront6targetE1EEEvSK_
	.globl	_ZN7rocprim17ROCPRIM_400000_NS6detail17trampoline_kernelINS0_14default_configENS1_22reduce_config_selectorIdEEZNS1_11reduce_implILb1ES3_N6thrust23THRUST_200600_302600_NS6detail15normal_iteratorINS8_10device_ptrIdEEEEPddNS8_4plusIdEEEE10hipError_tPvRmT1_T2_T3_mT4_P12ihipStream_tbEUlT_E0_NS1_11comp_targetILNS1_3genE8ELNS1_11target_archE1030ELNS1_3gpuE2ELNS1_3repE0EEENS1_30default_config_static_selectorELNS0_4arch9wavefront6targetE1EEEvSK_
	.p2align	8
	.type	_ZN7rocprim17ROCPRIM_400000_NS6detail17trampoline_kernelINS0_14default_configENS1_22reduce_config_selectorIdEEZNS1_11reduce_implILb1ES3_N6thrust23THRUST_200600_302600_NS6detail15normal_iteratorINS8_10device_ptrIdEEEEPddNS8_4plusIdEEEE10hipError_tPvRmT1_T2_T3_mT4_P12ihipStream_tbEUlT_E0_NS1_11comp_targetILNS1_3genE8ELNS1_11target_archE1030ELNS1_3gpuE2ELNS1_3repE0EEENS1_30default_config_static_selectorELNS0_4arch9wavefront6targetE1EEEvSK_,@function
_ZN7rocprim17ROCPRIM_400000_NS6detail17trampoline_kernelINS0_14default_configENS1_22reduce_config_selectorIdEEZNS1_11reduce_implILb1ES3_N6thrust23THRUST_200600_302600_NS6detail15normal_iteratorINS8_10device_ptrIdEEEEPddNS8_4plusIdEEEE10hipError_tPvRmT1_T2_T3_mT4_P12ihipStream_tbEUlT_E0_NS1_11comp_targetILNS1_3genE8ELNS1_11target_archE1030ELNS1_3gpuE2ELNS1_3repE0EEENS1_30default_config_static_selectorELNS0_4arch9wavefront6targetE1EEEvSK_: ; @_ZN7rocprim17ROCPRIM_400000_NS6detail17trampoline_kernelINS0_14default_configENS1_22reduce_config_selectorIdEEZNS1_11reduce_implILb1ES3_N6thrust23THRUST_200600_302600_NS6detail15normal_iteratorINS8_10device_ptrIdEEEEPddNS8_4plusIdEEEE10hipError_tPvRmT1_T2_T3_mT4_P12ihipStream_tbEUlT_E0_NS1_11comp_targetILNS1_3genE8ELNS1_11target_archE1030ELNS1_3gpuE2ELNS1_3repE0EEENS1_30default_config_static_selectorELNS0_4arch9wavefront6targetE1EEEvSK_
; %bb.0:
	.section	.rodata,"a",@progbits
	.p2align	6, 0x0
	.amdhsa_kernel _ZN7rocprim17ROCPRIM_400000_NS6detail17trampoline_kernelINS0_14default_configENS1_22reduce_config_selectorIdEEZNS1_11reduce_implILb1ES3_N6thrust23THRUST_200600_302600_NS6detail15normal_iteratorINS8_10device_ptrIdEEEEPddNS8_4plusIdEEEE10hipError_tPvRmT1_T2_T3_mT4_P12ihipStream_tbEUlT_E0_NS1_11comp_targetILNS1_3genE8ELNS1_11target_archE1030ELNS1_3gpuE2ELNS1_3repE0EEENS1_30default_config_static_selectorELNS0_4arch9wavefront6targetE1EEEvSK_
		.amdhsa_group_segment_fixed_size 0
		.amdhsa_private_segment_fixed_size 0
		.amdhsa_kernarg_size 64
		.amdhsa_user_sgpr_count 2
		.amdhsa_user_sgpr_dispatch_ptr 0
		.amdhsa_user_sgpr_queue_ptr 0
		.amdhsa_user_sgpr_kernarg_segment_ptr 1
		.amdhsa_user_sgpr_dispatch_id 0
		.amdhsa_user_sgpr_kernarg_preload_length 0
		.amdhsa_user_sgpr_kernarg_preload_offset 0
		.amdhsa_user_sgpr_private_segment_size 0
		.amdhsa_uses_dynamic_stack 0
		.amdhsa_enable_private_segment 0
		.amdhsa_system_sgpr_workgroup_id_x 1
		.amdhsa_system_sgpr_workgroup_id_y 0
		.amdhsa_system_sgpr_workgroup_id_z 0
		.amdhsa_system_sgpr_workgroup_info 0
		.amdhsa_system_vgpr_workitem_id 0
		.amdhsa_next_free_vgpr 1
		.amdhsa_next_free_sgpr 0
		.amdhsa_accum_offset 4
		.amdhsa_reserve_vcc 0
		.amdhsa_float_round_mode_32 0
		.amdhsa_float_round_mode_16_64 0
		.amdhsa_float_denorm_mode_32 3
		.amdhsa_float_denorm_mode_16_64 3
		.amdhsa_dx10_clamp 1
		.amdhsa_ieee_mode 1
		.amdhsa_fp16_overflow 0
		.amdhsa_tg_split 0
		.amdhsa_exception_fp_ieee_invalid_op 0
		.amdhsa_exception_fp_denorm_src 0
		.amdhsa_exception_fp_ieee_div_zero 0
		.amdhsa_exception_fp_ieee_overflow 0
		.amdhsa_exception_fp_ieee_underflow 0
		.amdhsa_exception_fp_ieee_inexact 0
		.amdhsa_exception_int_div_zero 0
	.end_amdhsa_kernel
	.section	.text._ZN7rocprim17ROCPRIM_400000_NS6detail17trampoline_kernelINS0_14default_configENS1_22reduce_config_selectorIdEEZNS1_11reduce_implILb1ES3_N6thrust23THRUST_200600_302600_NS6detail15normal_iteratorINS8_10device_ptrIdEEEEPddNS8_4plusIdEEEE10hipError_tPvRmT1_T2_T3_mT4_P12ihipStream_tbEUlT_E0_NS1_11comp_targetILNS1_3genE8ELNS1_11target_archE1030ELNS1_3gpuE2ELNS1_3repE0EEENS1_30default_config_static_selectorELNS0_4arch9wavefront6targetE1EEEvSK_,"axG",@progbits,_ZN7rocprim17ROCPRIM_400000_NS6detail17trampoline_kernelINS0_14default_configENS1_22reduce_config_selectorIdEEZNS1_11reduce_implILb1ES3_N6thrust23THRUST_200600_302600_NS6detail15normal_iteratorINS8_10device_ptrIdEEEEPddNS8_4plusIdEEEE10hipError_tPvRmT1_T2_T3_mT4_P12ihipStream_tbEUlT_E0_NS1_11comp_targetILNS1_3genE8ELNS1_11target_archE1030ELNS1_3gpuE2ELNS1_3repE0EEENS1_30default_config_static_selectorELNS0_4arch9wavefront6targetE1EEEvSK_,comdat
.Lfunc_end28:
	.size	_ZN7rocprim17ROCPRIM_400000_NS6detail17trampoline_kernelINS0_14default_configENS1_22reduce_config_selectorIdEEZNS1_11reduce_implILb1ES3_N6thrust23THRUST_200600_302600_NS6detail15normal_iteratorINS8_10device_ptrIdEEEEPddNS8_4plusIdEEEE10hipError_tPvRmT1_T2_T3_mT4_P12ihipStream_tbEUlT_E0_NS1_11comp_targetILNS1_3genE8ELNS1_11target_archE1030ELNS1_3gpuE2ELNS1_3repE0EEENS1_30default_config_static_selectorELNS0_4arch9wavefront6targetE1EEEvSK_, .Lfunc_end28-_ZN7rocprim17ROCPRIM_400000_NS6detail17trampoline_kernelINS0_14default_configENS1_22reduce_config_selectorIdEEZNS1_11reduce_implILb1ES3_N6thrust23THRUST_200600_302600_NS6detail15normal_iteratorINS8_10device_ptrIdEEEEPddNS8_4plusIdEEEE10hipError_tPvRmT1_T2_T3_mT4_P12ihipStream_tbEUlT_E0_NS1_11comp_targetILNS1_3genE8ELNS1_11target_archE1030ELNS1_3gpuE2ELNS1_3repE0EEENS1_30default_config_static_selectorELNS0_4arch9wavefront6targetE1EEEvSK_
                                        ; -- End function
	.set _ZN7rocprim17ROCPRIM_400000_NS6detail17trampoline_kernelINS0_14default_configENS1_22reduce_config_selectorIdEEZNS1_11reduce_implILb1ES3_N6thrust23THRUST_200600_302600_NS6detail15normal_iteratorINS8_10device_ptrIdEEEEPddNS8_4plusIdEEEE10hipError_tPvRmT1_T2_T3_mT4_P12ihipStream_tbEUlT_E0_NS1_11comp_targetILNS1_3genE8ELNS1_11target_archE1030ELNS1_3gpuE2ELNS1_3repE0EEENS1_30default_config_static_selectorELNS0_4arch9wavefront6targetE1EEEvSK_.num_vgpr, 0
	.set _ZN7rocprim17ROCPRIM_400000_NS6detail17trampoline_kernelINS0_14default_configENS1_22reduce_config_selectorIdEEZNS1_11reduce_implILb1ES3_N6thrust23THRUST_200600_302600_NS6detail15normal_iteratorINS8_10device_ptrIdEEEEPddNS8_4plusIdEEEE10hipError_tPvRmT1_T2_T3_mT4_P12ihipStream_tbEUlT_E0_NS1_11comp_targetILNS1_3genE8ELNS1_11target_archE1030ELNS1_3gpuE2ELNS1_3repE0EEENS1_30default_config_static_selectorELNS0_4arch9wavefront6targetE1EEEvSK_.num_agpr, 0
	.set _ZN7rocprim17ROCPRIM_400000_NS6detail17trampoline_kernelINS0_14default_configENS1_22reduce_config_selectorIdEEZNS1_11reduce_implILb1ES3_N6thrust23THRUST_200600_302600_NS6detail15normal_iteratorINS8_10device_ptrIdEEEEPddNS8_4plusIdEEEE10hipError_tPvRmT1_T2_T3_mT4_P12ihipStream_tbEUlT_E0_NS1_11comp_targetILNS1_3genE8ELNS1_11target_archE1030ELNS1_3gpuE2ELNS1_3repE0EEENS1_30default_config_static_selectorELNS0_4arch9wavefront6targetE1EEEvSK_.numbered_sgpr, 0
	.set _ZN7rocprim17ROCPRIM_400000_NS6detail17trampoline_kernelINS0_14default_configENS1_22reduce_config_selectorIdEEZNS1_11reduce_implILb1ES3_N6thrust23THRUST_200600_302600_NS6detail15normal_iteratorINS8_10device_ptrIdEEEEPddNS8_4plusIdEEEE10hipError_tPvRmT1_T2_T3_mT4_P12ihipStream_tbEUlT_E0_NS1_11comp_targetILNS1_3genE8ELNS1_11target_archE1030ELNS1_3gpuE2ELNS1_3repE0EEENS1_30default_config_static_selectorELNS0_4arch9wavefront6targetE1EEEvSK_.num_named_barrier, 0
	.set _ZN7rocprim17ROCPRIM_400000_NS6detail17trampoline_kernelINS0_14default_configENS1_22reduce_config_selectorIdEEZNS1_11reduce_implILb1ES3_N6thrust23THRUST_200600_302600_NS6detail15normal_iteratorINS8_10device_ptrIdEEEEPddNS8_4plusIdEEEE10hipError_tPvRmT1_T2_T3_mT4_P12ihipStream_tbEUlT_E0_NS1_11comp_targetILNS1_3genE8ELNS1_11target_archE1030ELNS1_3gpuE2ELNS1_3repE0EEENS1_30default_config_static_selectorELNS0_4arch9wavefront6targetE1EEEvSK_.private_seg_size, 0
	.set _ZN7rocprim17ROCPRIM_400000_NS6detail17trampoline_kernelINS0_14default_configENS1_22reduce_config_selectorIdEEZNS1_11reduce_implILb1ES3_N6thrust23THRUST_200600_302600_NS6detail15normal_iteratorINS8_10device_ptrIdEEEEPddNS8_4plusIdEEEE10hipError_tPvRmT1_T2_T3_mT4_P12ihipStream_tbEUlT_E0_NS1_11comp_targetILNS1_3genE8ELNS1_11target_archE1030ELNS1_3gpuE2ELNS1_3repE0EEENS1_30default_config_static_selectorELNS0_4arch9wavefront6targetE1EEEvSK_.uses_vcc, 0
	.set _ZN7rocprim17ROCPRIM_400000_NS6detail17trampoline_kernelINS0_14default_configENS1_22reduce_config_selectorIdEEZNS1_11reduce_implILb1ES3_N6thrust23THRUST_200600_302600_NS6detail15normal_iteratorINS8_10device_ptrIdEEEEPddNS8_4plusIdEEEE10hipError_tPvRmT1_T2_T3_mT4_P12ihipStream_tbEUlT_E0_NS1_11comp_targetILNS1_3genE8ELNS1_11target_archE1030ELNS1_3gpuE2ELNS1_3repE0EEENS1_30default_config_static_selectorELNS0_4arch9wavefront6targetE1EEEvSK_.uses_flat_scratch, 0
	.set _ZN7rocprim17ROCPRIM_400000_NS6detail17trampoline_kernelINS0_14default_configENS1_22reduce_config_selectorIdEEZNS1_11reduce_implILb1ES3_N6thrust23THRUST_200600_302600_NS6detail15normal_iteratorINS8_10device_ptrIdEEEEPddNS8_4plusIdEEEE10hipError_tPvRmT1_T2_T3_mT4_P12ihipStream_tbEUlT_E0_NS1_11comp_targetILNS1_3genE8ELNS1_11target_archE1030ELNS1_3gpuE2ELNS1_3repE0EEENS1_30default_config_static_selectorELNS0_4arch9wavefront6targetE1EEEvSK_.has_dyn_sized_stack, 0
	.set _ZN7rocprim17ROCPRIM_400000_NS6detail17trampoline_kernelINS0_14default_configENS1_22reduce_config_selectorIdEEZNS1_11reduce_implILb1ES3_N6thrust23THRUST_200600_302600_NS6detail15normal_iteratorINS8_10device_ptrIdEEEEPddNS8_4plusIdEEEE10hipError_tPvRmT1_T2_T3_mT4_P12ihipStream_tbEUlT_E0_NS1_11comp_targetILNS1_3genE8ELNS1_11target_archE1030ELNS1_3gpuE2ELNS1_3repE0EEENS1_30default_config_static_selectorELNS0_4arch9wavefront6targetE1EEEvSK_.has_recursion, 0
	.set _ZN7rocprim17ROCPRIM_400000_NS6detail17trampoline_kernelINS0_14default_configENS1_22reduce_config_selectorIdEEZNS1_11reduce_implILb1ES3_N6thrust23THRUST_200600_302600_NS6detail15normal_iteratorINS8_10device_ptrIdEEEEPddNS8_4plusIdEEEE10hipError_tPvRmT1_T2_T3_mT4_P12ihipStream_tbEUlT_E0_NS1_11comp_targetILNS1_3genE8ELNS1_11target_archE1030ELNS1_3gpuE2ELNS1_3repE0EEENS1_30default_config_static_selectorELNS0_4arch9wavefront6targetE1EEEvSK_.has_indirect_call, 0
	.section	.AMDGPU.csdata,"",@progbits
; Kernel info:
; codeLenInByte = 0
; TotalNumSgprs: 6
; NumVgprs: 0
; NumAgprs: 0
; TotalNumVgprs: 0
; ScratchSize: 0
; MemoryBound: 0
; FloatMode: 240
; IeeeMode: 1
; LDSByteSize: 0 bytes/workgroup (compile time only)
; SGPRBlocks: 0
; VGPRBlocks: 0
; NumSGPRsForWavesPerEU: 6
; NumVGPRsForWavesPerEU: 1
; AccumOffset: 4
; Occupancy: 8
; WaveLimiterHint : 0
; COMPUTE_PGM_RSRC2:SCRATCH_EN: 0
; COMPUTE_PGM_RSRC2:USER_SGPR: 2
; COMPUTE_PGM_RSRC2:TRAP_HANDLER: 0
; COMPUTE_PGM_RSRC2:TGID_X_EN: 1
; COMPUTE_PGM_RSRC2:TGID_Y_EN: 0
; COMPUTE_PGM_RSRC2:TGID_Z_EN: 0
; COMPUTE_PGM_RSRC2:TIDIG_COMP_CNT: 0
; COMPUTE_PGM_RSRC3_GFX90A:ACCUM_OFFSET: 0
; COMPUTE_PGM_RSRC3_GFX90A:TG_SPLIT: 0
	.section	.text._ZN7rocprim17ROCPRIM_400000_NS6detail17trampoline_kernelINS0_14default_configENS1_22reduce_config_selectorIdEEZNS1_11reduce_implILb1ES3_N6thrust23THRUST_200600_302600_NS6detail15normal_iteratorINS8_10device_ptrIdEEEEPddNS8_4plusIdEEEE10hipError_tPvRmT1_T2_T3_mT4_P12ihipStream_tbEUlT_E1_NS1_11comp_targetILNS1_3genE0ELNS1_11target_archE4294967295ELNS1_3gpuE0ELNS1_3repE0EEENS1_30default_config_static_selectorELNS0_4arch9wavefront6targetE1EEEvSK_,"axG",@progbits,_ZN7rocprim17ROCPRIM_400000_NS6detail17trampoline_kernelINS0_14default_configENS1_22reduce_config_selectorIdEEZNS1_11reduce_implILb1ES3_N6thrust23THRUST_200600_302600_NS6detail15normal_iteratorINS8_10device_ptrIdEEEEPddNS8_4plusIdEEEE10hipError_tPvRmT1_T2_T3_mT4_P12ihipStream_tbEUlT_E1_NS1_11comp_targetILNS1_3genE0ELNS1_11target_archE4294967295ELNS1_3gpuE0ELNS1_3repE0EEENS1_30default_config_static_selectorELNS0_4arch9wavefront6targetE1EEEvSK_,comdat
	.protected	_ZN7rocprim17ROCPRIM_400000_NS6detail17trampoline_kernelINS0_14default_configENS1_22reduce_config_selectorIdEEZNS1_11reduce_implILb1ES3_N6thrust23THRUST_200600_302600_NS6detail15normal_iteratorINS8_10device_ptrIdEEEEPddNS8_4plusIdEEEE10hipError_tPvRmT1_T2_T3_mT4_P12ihipStream_tbEUlT_E1_NS1_11comp_targetILNS1_3genE0ELNS1_11target_archE4294967295ELNS1_3gpuE0ELNS1_3repE0EEENS1_30default_config_static_selectorELNS0_4arch9wavefront6targetE1EEEvSK_ ; -- Begin function _ZN7rocprim17ROCPRIM_400000_NS6detail17trampoline_kernelINS0_14default_configENS1_22reduce_config_selectorIdEEZNS1_11reduce_implILb1ES3_N6thrust23THRUST_200600_302600_NS6detail15normal_iteratorINS8_10device_ptrIdEEEEPddNS8_4plusIdEEEE10hipError_tPvRmT1_T2_T3_mT4_P12ihipStream_tbEUlT_E1_NS1_11comp_targetILNS1_3genE0ELNS1_11target_archE4294967295ELNS1_3gpuE0ELNS1_3repE0EEENS1_30default_config_static_selectorELNS0_4arch9wavefront6targetE1EEEvSK_
	.globl	_ZN7rocprim17ROCPRIM_400000_NS6detail17trampoline_kernelINS0_14default_configENS1_22reduce_config_selectorIdEEZNS1_11reduce_implILb1ES3_N6thrust23THRUST_200600_302600_NS6detail15normal_iteratorINS8_10device_ptrIdEEEEPddNS8_4plusIdEEEE10hipError_tPvRmT1_T2_T3_mT4_P12ihipStream_tbEUlT_E1_NS1_11comp_targetILNS1_3genE0ELNS1_11target_archE4294967295ELNS1_3gpuE0ELNS1_3repE0EEENS1_30default_config_static_selectorELNS0_4arch9wavefront6targetE1EEEvSK_
	.p2align	8
	.type	_ZN7rocprim17ROCPRIM_400000_NS6detail17trampoline_kernelINS0_14default_configENS1_22reduce_config_selectorIdEEZNS1_11reduce_implILb1ES3_N6thrust23THRUST_200600_302600_NS6detail15normal_iteratorINS8_10device_ptrIdEEEEPddNS8_4plusIdEEEE10hipError_tPvRmT1_T2_T3_mT4_P12ihipStream_tbEUlT_E1_NS1_11comp_targetILNS1_3genE0ELNS1_11target_archE4294967295ELNS1_3gpuE0ELNS1_3repE0EEENS1_30default_config_static_selectorELNS0_4arch9wavefront6targetE1EEEvSK_,@function
_ZN7rocprim17ROCPRIM_400000_NS6detail17trampoline_kernelINS0_14default_configENS1_22reduce_config_selectorIdEEZNS1_11reduce_implILb1ES3_N6thrust23THRUST_200600_302600_NS6detail15normal_iteratorINS8_10device_ptrIdEEEEPddNS8_4plusIdEEEE10hipError_tPvRmT1_T2_T3_mT4_P12ihipStream_tbEUlT_E1_NS1_11comp_targetILNS1_3genE0ELNS1_11target_archE4294967295ELNS1_3gpuE0ELNS1_3repE0EEENS1_30default_config_static_selectorELNS0_4arch9wavefront6targetE1EEEvSK_: ; @_ZN7rocprim17ROCPRIM_400000_NS6detail17trampoline_kernelINS0_14default_configENS1_22reduce_config_selectorIdEEZNS1_11reduce_implILb1ES3_N6thrust23THRUST_200600_302600_NS6detail15normal_iteratorINS8_10device_ptrIdEEEEPddNS8_4plusIdEEEE10hipError_tPvRmT1_T2_T3_mT4_P12ihipStream_tbEUlT_E1_NS1_11comp_targetILNS1_3genE0ELNS1_11target_archE4294967295ELNS1_3gpuE0ELNS1_3repE0EEENS1_30default_config_static_selectorELNS0_4arch9wavefront6targetE1EEEvSK_
; %bb.0:
	s_load_dword s33, s[0:1], 0x4
	s_load_dwordx8 s[36:43], s[0:1], 0x8
	s_waitcnt lgkmcnt(0)
	s_cmp_lt_i32 s33, 4
	s_cbranch_scc1 .LBB29_11
; %bb.1:
	s_cmp_gt_i32 s33, 7
	s_cbranch_scc0 .LBB29_12
; %bb.2:
	s_cmp_gt_i32 s33, 15
	s_cbranch_scc0 .LBB29_13
; %bb.3:
	s_cmp_eq_u32 s33, 16
	s_mov_b64 s[30:31], 0
	s_cbranch_scc0 .LBB29_14
; %bb.4:
	s_mov_b32 s3, 0
	s_lshl_b32 s0, s2, 12
	s_mov_b32 s1, s3
	s_lshr_b64 s[4:5], s[38:39], 12
	s_lshl_b64 s[6:7], s[0:1], 3
	s_add_u32 s34, s36, s6
	s_addc_u32 s35, s37, s7
	s_cmp_lg_u64 s[4:5], s[2:3]
	s_cbranch_scc0 .LBB29_23
; %bb.5:
	v_lshlrev_b32_e32 v2, 3, v0
	v_mov_b32_e32 v3, 0
	v_lshl_add_u64 v[4:5], s[34:35], 0, v[2:3]
	global_load_dwordx2 v[6:7], v2, s[34:35]
	global_load_dwordx2 v[8:9], v2, s[34:35] offset:2048
	v_add_co_u32_e32 v2, vcc, 0x1000, v4
	v_mbcnt_lo_u32_b32 v1, -1, 0
	s_nop 0
	v_addc_co_u32_e32 v3, vcc, 0, v5, vcc
	v_add_co_u32_e32 v10, vcc, 0x2000, v4
	v_mbcnt_hi_u32_b32 v1, -1, v1
	s_nop 0
	v_addc_co_u32_e32 v11, vcc, 0, v5, vcc
	global_load_dwordx2 v[12:13], v[2:3], off
	global_load_dwordx2 v[14:15], v[2:3], off offset:2048
	global_load_dwordx2 v[16:17], v[10:11], off
	global_load_dwordx2 v[18:19], v[10:11], off offset:2048
	v_add_co_u32_e32 v2, vcc, 0x3000, v4
	s_nop 1
	v_addc_co_u32_e32 v3, vcc, 0, v5, vcc
	v_add_co_u32_e32 v10, vcc, 0x4000, v4
	s_nop 1
	v_addc_co_u32_e32 v11, vcc, 0, v5, vcc
	global_load_dwordx2 v[20:21], v[2:3], off
	global_load_dwordx2 v[22:23], v[2:3], off offset:2048
	global_load_dwordx2 v[24:25], v[10:11], off
	global_load_dwordx2 v[26:27], v[10:11], off offset:2048
	v_add_co_u32_e32 v2, vcc, 0x5000, v4
	s_nop 1
	v_addc_co_u32_e32 v3, vcc, 0, v5, vcc
	v_add_co_u32_e32 v10, vcc, 0x6000, v4
	s_nop 1
	v_addc_co_u32_e32 v11, vcc, 0, v5, vcc
	global_load_dwordx2 v[28:29], v[2:3], off
	global_load_dwordx2 v[30:31], v[2:3], off offset:2048
	global_load_dwordx2 v[32:33], v[10:11], off
	global_load_dwordx2 v[34:35], v[10:11], off offset:2048
	v_add_co_u32_e32 v2, vcc, 0x7000, v4
	v_lshlrev_b32_e32 v4, 2, v1
	s_nop 0
	v_addc_co_u32_e32 v3, vcc, 0, v5, vcc
	global_load_dwordx2 v[10:11], v[2:3], off
	global_load_dwordx2 v[36:37], v[2:3], off offset:2048
	v_or_b32_e32 v5, 0xfc, v4
	v_cmp_eq_u32_e32 vcc, 0, v1
	s_waitcnt vmcnt(14)
	v_add_f64 v[2:3], v[6:7], v[8:9]
	s_waitcnt vmcnt(13)
	v_add_f64 v[2:3], v[2:3], v[12:13]
	s_waitcnt vmcnt(12)
	v_add_f64 v[2:3], v[2:3], v[14:15]
	s_waitcnt vmcnt(11)
	v_add_f64 v[2:3], v[2:3], v[16:17]
	s_waitcnt vmcnt(10)
	v_add_f64 v[2:3], v[2:3], v[18:19]
	s_waitcnt vmcnt(9)
	v_add_f64 v[2:3], v[2:3], v[20:21]
	s_waitcnt vmcnt(8)
	v_add_f64 v[2:3], v[2:3], v[22:23]
	s_waitcnt vmcnt(7)
	v_add_f64 v[2:3], v[2:3], v[24:25]
	s_waitcnt vmcnt(6)
	v_add_f64 v[2:3], v[2:3], v[26:27]
	s_waitcnt vmcnt(5)
	v_add_f64 v[2:3], v[2:3], v[28:29]
	s_waitcnt vmcnt(4)
	v_add_f64 v[2:3], v[2:3], v[30:31]
	s_waitcnt vmcnt(3)
	v_add_f64 v[2:3], v[2:3], v[32:33]
	s_waitcnt vmcnt(2)
	v_add_f64 v[2:3], v[2:3], v[34:35]
	s_waitcnt vmcnt(1)
	v_add_f64 v[2:3], v[2:3], v[10:11]
	s_waitcnt vmcnt(0)
	v_add_f64 v[2:3], v[2:3], v[36:37]
	s_nop 1
	v_mov_b32_dpp v6, v2 quad_perm:[1,0,3,2] row_mask:0xf bank_mask:0xf bound_ctrl:1
	v_mov_b32_dpp v7, v3 quad_perm:[1,0,3,2] row_mask:0xf bank_mask:0xf bound_ctrl:1
	v_add_f64 v[2:3], v[2:3], v[6:7]
	s_nop 1
	v_mov_b32_dpp v6, v2 quad_perm:[2,3,0,1] row_mask:0xf bank_mask:0xf bound_ctrl:1
	v_mov_b32_dpp v7, v3 quad_perm:[2,3,0,1] row_mask:0xf bank_mask:0xf bound_ctrl:1
	v_add_f64 v[2:3], v[2:3], v[6:7]
	s_nop 1
	v_mov_b32_dpp v6, v2 row_ror:4 row_mask:0xf bank_mask:0xf bound_ctrl:1
	v_mov_b32_dpp v7, v3 row_ror:4 row_mask:0xf bank_mask:0xf bound_ctrl:1
	v_add_f64 v[2:3], v[2:3], v[6:7]
	s_nop 1
	v_mov_b32_dpp v6, v2 row_ror:8 row_mask:0xf bank_mask:0xf bound_ctrl:1
	v_mov_b32_dpp v7, v3 row_ror:8 row_mask:0xf bank_mask:0xf bound_ctrl:1
	v_add_f64 v[2:3], v[2:3], v[6:7]
	s_nop 1
	v_mov_b32_dpp v6, v2 row_bcast:15 row_mask:0xf bank_mask:0xf bound_ctrl:1
	v_mov_b32_dpp v7, v3 row_bcast:15 row_mask:0xf bank_mask:0xf bound_ctrl:1
	v_add_f64 v[2:3], v[2:3], v[6:7]
	s_nop 1
	v_mov_b32_dpp v6, v2 row_bcast:31 row_mask:0xf bank_mask:0xf bound_ctrl:1
	v_mov_b32_dpp v7, v3 row_bcast:31 row_mask:0xf bank_mask:0xf bound_ctrl:1
	v_add_f64 v[2:3], v[2:3], v[6:7]
	ds_bpermute_b32 v2, v5, v2
	ds_bpermute_b32 v3, v5, v3
	s_and_saveexec_b64 s[4:5], vcc
	s_cbranch_execz .LBB29_7
; %bb.6:
	v_lshrrev_b32_e32 v5, 3, v0
	v_and_b32_e32 v5, 24, v5
	s_waitcnt lgkmcnt(0)
	ds_write_b64 v5, v[2:3]
.LBB29_7:
	s_or_b64 exec, exec, s[4:5]
	v_cmp_gt_u32_e32 vcc, 64, v0
	s_waitcnt lgkmcnt(0)
	s_barrier
	s_and_saveexec_b64 s[4:5], vcc
	s_cbranch_execz .LBB29_9
; %bb.8:
	v_and_b32_e32 v5, 3, v1
	v_lshlrev_b32_e32 v2, 3, v5
	ds_read_b64 v[2:3], v2
	v_cmp_ne_u32_e32 vcc, 3, v5
	s_nop 1
	v_addc_co_u32_e32 v1, vcc, 0, v1, vcc
	v_lshlrev_b32_e32 v1, 2, v1
	s_waitcnt lgkmcnt(0)
	ds_bpermute_b32 v6, v1, v2
	ds_bpermute_b32 v7, v1, v3
	v_or_b32_e32 v1, 8, v4
	s_waitcnt lgkmcnt(0)
	v_add_f64 v[2:3], v[2:3], v[6:7]
	ds_bpermute_b32 v4, v1, v2
	ds_bpermute_b32 v5, v1, v3
	s_waitcnt lgkmcnt(0)
	v_add_f64 v[2:3], v[2:3], v[4:5]
.LBB29_9:
	s_or_b64 exec, exec, s[4:5]
.LBB29_10:
	v_cmp_eq_u32_e64 s[0:1], 0, v0
	s_and_b64 vcc, exec, s[30:31]
	s_cbranch_vccnz .LBB29_15
	s_branch .LBB29_65
.LBB29_11:
	s_mov_b64 s[0:1], 0
                                        ; implicit-def: $vgpr2_vgpr3
	s_cbranch_execnz .LBB29_122
	s_branch .LBB29_156
.LBB29_12:
	s_mov_b64 s[0:1], 0
                                        ; implicit-def: $vgpr2_vgpr3
	s_cbranch_execnz .LBB29_94
	s_branch .LBB29_102
.LBB29_13:
	s_mov_b64 s[30:31], -1
.LBB29_14:
	s_mov_b64 s[0:1], 0
                                        ; implicit-def: $vgpr2_vgpr3
	s_and_b64 vcc, exec, s[30:31]
	s_cbranch_vccz .LBB29_65
.LBB29_15:
	s_cmp_eq_u32 s33, 8
	s_cbranch_scc0 .LBB29_22
; %bb.16:
	s_mov_b32 s3, 0
	s_lshl_b32 s0, s2, 11
	s_mov_b32 s1, s3
	s_lshr_b64 s[4:5], s[38:39], 11
	s_lshl_b64 s[6:7], s[0:1], 3
	s_add_u32 s14, s36, s6
	s_addc_u32 s15, s37, s7
	s_cmp_lg_u64 s[4:5], s[2:3]
	s_cbranch_scc0 .LBB29_66
; %bb.17:
	v_lshlrev_b32_e32 v2, 3, v0
	v_mov_b32_e32 v3, 0
	v_lshl_add_u64 v[4:5], s[14:15], 0, v[2:3]
	s_waitcnt lgkmcnt(0)
	global_load_dwordx2 v[6:7], v2, s[14:15]
	global_load_dwordx2 v[8:9], v2, s[14:15] offset:2048
	v_add_co_u32_e32 v2, vcc, 0x1000, v4
	v_mbcnt_lo_u32_b32 v1, -1, 0
	s_nop 0
	v_addc_co_u32_e32 v3, vcc, 0, v5, vcc
	v_add_co_u32_e32 v10, vcc, 0x2000, v4
	v_mbcnt_hi_u32_b32 v1, -1, v1
	s_nop 0
	v_addc_co_u32_e32 v11, vcc, 0, v5, vcc
	global_load_dwordx2 v[12:13], v[2:3], off
	global_load_dwordx2 v[14:15], v[2:3], off offset:2048
	global_load_dwordx2 v[16:17], v[10:11], off
	global_load_dwordx2 v[18:19], v[10:11], off offset:2048
	v_add_co_u32_e32 v2, vcc, 0x3000, v4
	v_lshlrev_b32_e32 v4, 2, v1
	s_nop 0
	v_addc_co_u32_e32 v3, vcc, 0, v5, vcc
	global_load_dwordx2 v[10:11], v[2:3], off
	global_load_dwordx2 v[20:21], v[2:3], off offset:2048
	v_or_b32_e32 v5, 0xfc, v4
	v_cmp_eq_u32_e32 vcc, 0, v1
	s_waitcnt vmcnt(6)
	v_add_f64 v[2:3], v[6:7], v[8:9]
	s_waitcnt vmcnt(5)
	v_add_f64 v[2:3], v[2:3], v[12:13]
	;; [unrolled: 2-line block ×7, first 2 shown]
	s_nop 1
	v_mov_b32_dpp v6, v2 quad_perm:[1,0,3,2] row_mask:0xf bank_mask:0xf bound_ctrl:1
	v_mov_b32_dpp v7, v3 quad_perm:[1,0,3,2] row_mask:0xf bank_mask:0xf bound_ctrl:1
	v_add_f64 v[2:3], v[2:3], v[6:7]
	s_nop 1
	v_mov_b32_dpp v6, v2 quad_perm:[2,3,0,1] row_mask:0xf bank_mask:0xf bound_ctrl:1
	v_mov_b32_dpp v7, v3 quad_perm:[2,3,0,1] row_mask:0xf bank_mask:0xf bound_ctrl:1
	v_add_f64 v[2:3], v[2:3], v[6:7]
	s_nop 1
	v_mov_b32_dpp v6, v2 row_ror:4 row_mask:0xf bank_mask:0xf bound_ctrl:1
	v_mov_b32_dpp v7, v3 row_ror:4 row_mask:0xf bank_mask:0xf bound_ctrl:1
	v_add_f64 v[2:3], v[2:3], v[6:7]
	s_nop 1
	v_mov_b32_dpp v6, v2 row_ror:8 row_mask:0xf bank_mask:0xf bound_ctrl:1
	v_mov_b32_dpp v7, v3 row_ror:8 row_mask:0xf bank_mask:0xf bound_ctrl:1
	v_add_f64 v[2:3], v[2:3], v[6:7]
	s_nop 1
	v_mov_b32_dpp v6, v2 row_bcast:15 row_mask:0xf bank_mask:0xf bound_ctrl:1
	v_mov_b32_dpp v7, v3 row_bcast:15 row_mask:0xf bank_mask:0xf bound_ctrl:1
	v_add_f64 v[2:3], v[2:3], v[6:7]
	s_nop 1
	v_mov_b32_dpp v6, v2 row_bcast:31 row_mask:0xf bank_mask:0xf bound_ctrl:1
	v_mov_b32_dpp v7, v3 row_bcast:31 row_mask:0xf bank_mask:0xf bound_ctrl:1
	v_add_f64 v[2:3], v[2:3], v[6:7]
	ds_bpermute_b32 v2, v5, v2
	ds_bpermute_b32 v3, v5, v3
	s_and_saveexec_b64 s[4:5], vcc
	s_cbranch_execz .LBB29_19
; %bb.18:
	v_lshrrev_b32_e32 v5, 3, v0
	v_and_b32_e32 v5, 24, v5
	s_waitcnt lgkmcnt(0)
	ds_write_b64 v5, v[2:3] offset:128
.LBB29_19:
	s_or_b64 exec, exec, s[4:5]
	v_cmp_gt_u32_e32 vcc, 64, v0
	s_waitcnt lgkmcnt(0)
	s_barrier
	s_and_saveexec_b64 s[4:5], vcc
	s_cbranch_execz .LBB29_21
; %bb.20:
	v_and_b32_e32 v5, 3, v1
	v_lshlrev_b32_e32 v2, 3, v5
	ds_read_b64 v[2:3], v2 offset:128
	v_cmp_ne_u32_e32 vcc, 3, v5
	s_nop 1
	v_addc_co_u32_e32 v1, vcc, 0, v1, vcc
	v_lshlrev_b32_e32 v1, 2, v1
	s_waitcnt lgkmcnt(0)
	ds_bpermute_b32 v6, v1, v2
	ds_bpermute_b32 v7, v1, v3
	v_or_b32_e32 v1, 8, v4
	s_waitcnt lgkmcnt(0)
	v_add_f64 v[2:3], v[2:3], v[6:7]
	ds_bpermute_b32 v4, v1, v2
	ds_bpermute_b32 v5, v1, v3
	s_waitcnt lgkmcnt(0)
	v_add_f64 v[2:3], v[2:3], v[4:5]
.LBB29_21:
	s_or_b64 exec, exec, s[4:5]
	s_mov_b64 s[4:5], 0
	s_branch .LBB29_67
.LBB29_22:
                                        ; implicit-def: $vgpr2_vgpr3
	s_branch .LBB29_102
.LBB29_23:
                                        ; implicit-def: $vgpr2_vgpr3
	s_cbranch_execz .LBB29_10
; %bb.24:
	s_sub_i32 s46, s38, s0
	v_mov_b32_e32 v2, 0
	v_cmp_gt_u32_e32 vcc, s46, v0
	v_mov_b32_e32 v3, v2
	v_mov_b32_e32 v4, v2
	;; [unrolled: 1-line block ×31, first 2 shown]
	s_and_saveexec_b64 s[0:1], vcc
	s_cbranch_execz .LBB29_26
; %bb.25:
	v_lshlrev_b32_e32 v1, 3, v0
	global_load_dwordx2 v[4:5], v1, s[34:35]
	v_mov_b32_e32 v6, v2
	v_mov_b32_e32 v7, v2
	;; [unrolled: 1-line block ×30, first 2 shown]
	s_waitcnt vmcnt(0)
	v_mov_b64_e32 v[2:3], v[4:5]
	v_mov_b64_e32 v[4:5], v[6:7]
	;; [unrolled: 1-line block ×16, first 2 shown]
.LBB29_26:
	s_or_b64 exec, exec, s[0:1]
	v_or_b32_e32 v1, 0x100, v0
	v_cmp_gt_u32_e32 vcc, s46, v1
	s_and_saveexec_b64 s[0:1], vcc
	s_cbranch_execz .LBB29_28
; %bb.27:
	v_lshlrev_b32_e32 v1, 3, v0
	global_load_dwordx2 v[4:5], v1, s[34:35] offset:2048
.LBB29_28:
	s_or_b64 exec, exec, s[0:1]
	v_or_b32_e32 v1, 0x200, v0
	v_cmp_gt_u32_e64 s[0:1], s46, v1
	s_and_saveexec_b64 s[4:5], s[0:1]
	s_cbranch_execz .LBB29_30
; %bb.29:
	v_lshlrev_b32_e32 v1, 3, v1
	global_load_dwordx2 v[6:7], v1, s[34:35]
.LBB29_30:
	s_or_b64 exec, exec, s[4:5]
	v_or_b32_e32 v1, 0x300, v0
	v_cmp_gt_u32_e64 s[4:5], s46, v1
	s_and_saveexec_b64 s[6:7], s[4:5]
	s_cbranch_execz .LBB29_32
; %bb.31:
	v_lshlrev_b32_e32 v1, 3, v1
	global_load_dwordx2 v[8:9], v1, s[34:35]
.LBB29_32:
	;; [unrolled: 9-line block ×14, first 2 shown]
	s_or_b64 exec, exec, s[44:45]
	s_waitcnt vmcnt(0)
	v_add_f64 v[4:5], v[2:3], v[4:5]
	v_cndmask_b32_e32 v3, v3, v5, vcc
	v_cndmask_b32_e32 v2, v2, v4, vcc
	v_add_f64 v[4:5], v[6:7], v[2:3]
	v_cndmask_b32_e64 v3, v3, v5, s[0:1]
	v_cndmask_b32_e64 v2, v2, v4, s[0:1]
	v_add_f64 v[4:5], v[8:9], v[2:3]
	v_cndmask_b32_e64 v3, v3, v5, s[4:5]
	v_cndmask_b32_e64 v2, v2, v4, s[4:5]
	;; [unrolled: 3-line block ×12, first 2 shown]
	v_mbcnt_lo_u32_b32 v1, -1, 0
	v_add_f64 v[4:5], v[30:31], v[2:3]
	v_mbcnt_hi_u32_b32 v1, -1, v1
	v_cndmask_b32_e64 v3, v3, v5, s[26:27]
	v_cndmask_b32_e64 v2, v2, v4, s[26:27]
	v_and_b32_e32 v11, 63, v1
	v_add_f64 v[4:5], v[32:33], v[2:3]
	v_cmp_ne_u32_e32 vcc, 63, v11
	v_cndmask_b32_e64 v2, v2, v4, s[28:29]
	v_cndmask_b32_e64 v3, v3, v5, s[28:29]
	v_addc_co_u32_e32 v4, vcc, 0, v1, vcc
	v_lshlrev_b32_e32 v5, 2, v4
	ds_bpermute_b32 v4, v5, v2
	ds_bpermute_b32 v5, v5, v3
	s_min_u32 s6, s46, 0x100
	v_and_b32_e32 v6, 0xc0, v0
	v_sub_u32_e64 v10, s6, v6 clamp
	v_add_u32_e32 v6, 1, v11
	v_cmp_gt_u32_e32 vcc, 62, v11
	s_waitcnt lgkmcnt(0)
	v_add_f64 v[4:5], v[2:3], v[4:5]
	v_cmp_lt_u32_e64 s[0:1], v6, v10
	v_cndmask_b32_e64 v6, 0, 2, vcc
	v_add_lshl_u32 v7, v6, v1, 2
	v_cndmask_b32_e64 v4, v2, v4, s[0:1]
	v_cndmask_b32_e64 v5, v3, v5, s[0:1]
	ds_bpermute_b32 v6, v7, v4
	ds_bpermute_b32 v7, v7, v5
	v_add_u32_e32 v8, 2, v11
	v_cmp_lt_u32_e32 vcc, v8, v10
	v_add_u32_e32 v8, 4, v11
	v_lshlrev_b32_e32 v12, 2, v1
	s_waitcnt lgkmcnt(0)
	v_add_f64 v[6:7], v[4:5], v[6:7]
	v_cndmask_b32_e32 v4, v4, v6, vcc
	v_cndmask_b32_e32 v5, v5, v7, vcc
	v_cmp_gt_u32_e32 vcc, 60, v11
	v_or_b32_e32 v13, 0x80, v12
	s_nop 0
	v_cndmask_b32_e64 v6, 0, 4, vcc
	v_add_lshl_u32 v7, v6, v1, 2
	ds_bpermute_b32 v6, v7, v4
	ds_bpermute_b32 v7, v7, v5
	v_cmp_lt_u32_e32 vcc, v8, v10
	v_add_u32_e32 v8, 8, v11
	s_waitcnt lgkmcnt(0)
	v_add_f64 v[6:7], v[4:5], v[6:7]
	v_cndmask_b32_e32 v4, v4, v6, vcc
	v_cndmask_b32_e32 v5, v5, v7, vcc
	v_cmp_gt_u32_e32 vcc, 56, v11
	s_nop 1
	v_cndmask_b32_e64 v6, 0, 8, vcc
	v_add_lshl_u32 v7, v6, v1, 2
	ds_bpermute_b32 v6, v7, v4
	ds_bpermute_b32 v7, v7, v5
	v_cmp_lt_u32_e32 vcc, v8, v10
	v_add_u32_e32 v8, 16, v11
	s_waitcnt lgkmcnt(0)
	v_add_f64 v[6:7], v[4:5], v[6:7]
	v_cndmask_b32_e32 v4, v4, v6, vcc
	v_cndmask_b32_e32 v5, v5, v7, vcc
	v_cmp_gt_u32_e32 vcc, 48, v11
	s_nop 1
	v_cndmask_b32_e64 v6, 0, 16, vcc
	v_add_lshl_u32 v7, v6, v1, 2
	ds_bpermute_b32 v6, v7, v4
	ds_bpermute_b32 v7, v7, v5
	v_cmp_lt_u32_e32 vcc, v8, v10
	s_waitcnt lgkmcnt(0)
	v_add_f64 v[6:7], v[4:5], v[6:7]
	v_cndmask_b32_e32 v9, v5, v7, vcc
	v_cndmask_b32_e32 v8, v4, v6, vcc
	ds_bpermute_b32 v8, v13, v8
	ds_bpermute_b32 v9, v13, v9
	s_and_saveexec_b64 s[4:5], s[0:1]
	s_cbranch_execz .LBB29_58
; %bb.57:
	v_add_u32_e32 v11, 32, v11
	v_cndmask_b32_e32 v3, v5, v7, vcc
	v_cndmask_b32_e32 v2, v4, v6, vcc
	s_waitcnt lgkmcnt(0)
	v_add_f64 v[4:5], v[2:3], v[8:9]
	v_cmp_lt_u32_e32 vcc, v11, v10
	s_nop 1
	v_cndmask_b32_e32 v3, v3, v5, vcc
	v_cndmask_b32_e32 v2, v2, v4, vcc
.LBB29_58:
	s_or_b64 exec, exec, s[4:5]
	v_cmp_eq_u32_e32 vcc, 0, v1
	s_and_saveexec_b64 s[0:1], vcc
; %bb.59:
	v_lshrrev_b32_e32 v4, 3, v0
	v_and_b32_e32 v4, 24, v4
	ds_write_b64 v4, v[2:3] offset:160
; %bb.60:
	s_or_b64 exec, exec, s[0:1]
	v_cmp_gt_u32_e32 vcc, 4, v0
	s_waitcnt lgkmcnt(0)
	s_barrier
	s_and_saveexec_b64 s[0:1], vcc
	s_cbranch_execz .LBB29_64
; %bb.61:
	v_lshlrev_b32_e32 v2, 3, v1
	ds_read_b64 v[2:3], v2 offset:160
	v_and_b32_e32 v8, 3, v1
	v_cmp_ne_u32_e32 vcc, 3, v8
	s_add_i32 s6, s6, 63
	s_lshr_b32 s6, s6, 6
	v_addc_co_u32_e32 v1, vcc, 0, v1, vcc
	v_lshlrev_b32_e32 v1, 2, v1
	s_waitcnt lgkmcnt(0)
	ds_bpermute_b32 v4, v1, v2
	ds_bpermute_b32 v5, v1, v3
	v_add_u32_e32 v1, 1, v8
	v_cmp_gt_u32_e32 vcc, s6, v1
	v_or_b32_e32 v7, 8, v12
	s_waitcnt lgkmcnt(0)
	v_add_f64 v[4:5], v[2:3], v[4:5]
	v_cndmask_b32_e32 v1, v3, v5, vcc
	v_cndmask_b32_e32 v6, v2, v4, vcc
	ds_bpermute_b32 v6, v7, v6
	ds_bpermute_b32 v7, v7, v1
	s_and_saveexec_b64 s[4:5], vcc
	s_cbranch_execz .LBB29_63
; %bb.62:
	v_add_u32_e32 v1, 2, v8
	s_waitcnt lgkmcnt(0)
	v_add_f64 v[2:3], v[4:5], v[6:7]
	v_cmp_gt_u32_e32 vcc, s6, v1
	s_nop 1
	v_cndmask_b32_e32 v3, v5, v3, vcc
	v_cndmask_b32_e32 v2, v4, v2, vcc
.LBB29_63:
	s_or_b64 exec, exec, s[4:5]
.LBB29_64:
	s_or_b64 exec, exec, s[0:1]
	v_cmp_eq_u32_e64 s[0:1], 0, v0
	s_and_b64 vcc, exec, s[30:31]
	s_cbranch_vccnz .LBB29_15
.LBB29_65:
	s_branch .LBB29_102
.LBB29_66:
	s_mov_b64 s[4:5], -1
                                        ; implicit-def: $vgpr2_vgpr3
.LBB29_67:
	s_and_b64 vcc, exec, s[4:5]
	s_cbranch_vccz .LBB29_93
; %bb.68:
	s_sub_i32 s18, s38, s0
	v_mov_b32_e32 v2, 0
	v_cmp_gt_u32_e32 vcc, s18, v0
	v_mov_b32_e32 v3, v2
	v_mov_b32_e32 v4, v2
	;; [unrolled: 1-line block ×3, first 2 shown]
	s_waitcnt lgkmcnt(1)
	v_mov_b32_e32 v6, v2
	s_waitcnt lgkmcnt(0)
	v_mov_b32_e32 v7, v2
	v_mov_b32_e32 v8, v2
	;; [unrolled: 1-line block ×11, first 2 shown]
	s_and_saveexec_b64 s[0:1], vcc
	s_cbranch_execz .LBB29_70
; %bb.69:
	v_lshlrev_b32_e32 v1, 3, v0
	global_load_dwordx2 v[4:5], v1, s[14:15]
	v_mov_b32_e32 v6, v2
	v_mov_b32_e32 v7, v2
	;; [unrolled: 1-line block ×14, first 2 shown]
	s_waitcnt vmcnt(0)
	v_mov_b64_e32 v[2:3], v[4:5]
	v_mov_b64_e32 v[4:5], v[6:7]
	;; [unrolled: 1-line block ×8, first 2 shown]
.LBB29_70:
	s_or_b64 exec, exec, s[0:1]
	v_or_b32_e32 v1, 0x100, v0
	v_cmp_gt_u32_e32 vcc, s18, v1
	s_and_saveexec_b64 s[0:1], vcc
	s_cbranch_execz .LBB29_72
; %bb.71:
	v_lshlrev_b32_e32 v1, 3, v0
	global_load_dwordx2 v[4:5], v1, s[14:15] offset:2048
.LBB29_72:
	s_or_b64 exec, exec, s[0:1]
	v_or_b32_e32 v1, 0x200, v0
	v_cmp_gt_u32_e64 s[0:1], s18, v1
	s_and_saveexec_b64 s[4:5], s[0:1]
	s_cbranch_execz .LBB29_74
; %bb.73:
	v_lshlrev_b32_e32 v1, 3, v1
	global_load_dwordx2 v[6:7], v1, s[14:15]
.LBB29_74:
	s_or_b64 exec, exec, s[4:5]
	v_or_b32_e32 v1, 0x300, v0
	v_cmp_gt_u32_e64 s[4:5], s18, v1
	s_and_saveexec_b64 s[6:7], s[4:5]
	s_cbranch_execz .LBB29_76
; %bb.75:
	v_lshlrev_b32_e32 v1, 3, v1
	global_load_dwordx2 v[8:9], v1, s[14:15]
.LBB29_76:
	;; [unrolled: 9-line block ×6, first 2 shown]
	s_or_b64 exec, exec, s[16:17]
	s_waitcnt vmcnt(0)
	v_add_f64 v[4:5], v[2:3], v[4:5]
	v_cndmask_b32_e32 v3, v3, v5, vcc
	v_cndmask_b32_e32 v2, v2, v4, vcc
	v_add_f64 v[4:5], v[6:7], v[2:3]
	v_cndmask_b32_e64 v3, v3, v5, s[0:1]
	v_cndmask_b32_e64 v2, v2, v4, s[0:1]
	v_add_f64 v[4:5], v[8:9], v[2:3]
	v_cndmask_b32_e64 v3, v3, v5, s[4:5]
	v_cndmask_b32_e64 v2, v2, v4, s[4:5]
	;; [unrolled: 3-line block ×4, first 2 shown]
	v_mbcnt_lo_u32_b32 v1, -1, 0
	v_add_f64 v[4:5], v[14:15], v[2:3]
	v_mbcnt_hi_u32_b32 v1, -1, v1
	v_cndmask_b32_e64 v3, v3, v5, s[10:11]
	v_cndmask_b32_e64 v2, v2, v4, s[10:11]
	v_and_b32_e32 v11, 63, v1
	v_add_f64 v[4:5], v[16:17], v[2:3]
	v_cmp_ne_u32_e32 vcc, 63, v11
	v_cndmask_b32_e64 v2, v2, v4, s[12:13]
	v_cndmask_b32_e64 v3, v3, v5, s[12:13]
	v_addc_co_u32_e32 v4, vcc, 0, v1, vcc
	v_lshlrev_b32_e32 v5, 2, v4
	ds_bpermute_b32 v4, v5, v2
	ds_bpermute_b32 v5, v5, v3
	s_min_u32 s6, s18, 0x100
	v_and_b32_e32 v6, 0xc0, v0
	v_sub_u32_e64 v10, s6, v6 clamp
	v_add_u32_e32 v6, 1, v11
	v_cmp_gt_u32_e32 vcc, 62, v11
	s_waitcnt lgkmcnt(0)
	v_add_f64 v[4:5], v[2:3], v[4:5]
	v_cmp_lt_u32_e64 s[0:1], v6, v10
	v_cndmask_b32_e64 v6, 0, 2, vcc
	v_add_lshl_u32 v7, v6, v1, 2
	v_cndmask_b32_e64 v4, v2, v4, s[0:1]
	v_cndmask_b32_e64 v5, v3, v5, s[0:1]
	ds_bpermute_b32 v6, v7, v4
	ds_bpermute_b32 v7, v7, v5
	v_add_u32_e32 v8, 2, v11
	v_cmp_lt_u32_e32 vcc, v8, v10
	v_add_u32_e32 v8, 4, v11
	v_lshlrev_b32_e32 v12, 2, v1
	s_waitcnt lgkmcnt(0)
	v_add_f64 v[6:7], v[4:5], v[6:7]
	v_cndmask_b32_e32 v4, v4, v6, vcc
	v_cndmask_b32_e32 v5, v5, v7, vcc
	v_cmp_gt_u32_e32 vcc, 60, v11
	v_or_b32_e32 v13, 0x80, v12
	s_nop 0
	v_cndmask_b32_e64 v6, 0, 4, vcc
	v_add_lshl_u32 v7, v6, v1, 2
	ds_bpermute_b32 v6, v7, v4
	ds_bpermute_b32 v7, v7, v5
	v_cmp_lt_u32_e32 vcc, v8, v10
	v_add_u32_e32 v8, 8, v11
	s_waitcnt lgkmcnt(0)
	v_add_f64 v[6:7], v[4:5], v[6:7]
	v_cndmask_b32_e32 v4, v4, v6, vcc
	v_cndmask_b32_e32 v5, v5, v7, vcc
	v_cmp_gt_u32_e32 vcc, 56, v11
	s_nop 1
	v_cndmask_b32_e64 v6, 0, 8, vcc
	v_add_lshl_u32 v7, v6, v1, 2
	ds_bpermute_b32 v6, v7, v4
	ds_bpermute_b32 v7, v7, v5
	v_cmp_lt_u32_e32 vcc, v8, v10
	v_add_u32_e32 v8, 16, v11
	s_waitcnt lgkmcnt(0)
	v_add_f64 v[6:7], v[4:5], v[6:7]
	v_cndmask_b32_e32 v4, v4, v6, vcc
	v_cndmask_b32_e32 v5, v5, v7, vcc
	v_cmp_gt_u32_e32 vcc, 48, v11
	s_nop 1
	v_cndmask_b32_e64 v6, 0, 16, vcc
	v_add_lshl_u32 v7, v6, v1, 2
	ds_bpermute_b32 v6, v7, v4
	ds_bpermute_b32 v7, v7, v5
	v_cmp_lt_u32_e32 vcc, v8, v10
	s_waitcnt lgkmcnt(0)
	v_add_f64 v[6:7], v[4:5], v[6:7]
	v_cndmask_b32_e32 v9, v5, v7, vcc
	v_cndmask_b32_e32 v8, v4, v6, vcc
	ds_bpermute_b32 v8, v13, v8
	ds_bpermute_b32 v9, v13, v9
	s_and_saveexec_b64 s[4:5], s[0:1]
	s_cbranch_execz .LBB29_86
; %bb.85:
	v_add_u32_e32 v11, 32, v11
	v_cndmask_b32_e32 v3, v5, v7, vcc
	v_cndmask_b32_e32 v2, v4, v6, vcc
	s_waitcnt lgkmcnt(0)
	v_add_f64 v[4:5], v[2:3], v[8:9]
	v_cmp_lt_u32_e32 vcc, v11, v10
	s_nop 1
	v_cndmask_b32_e32 v3, v3, v5, vcc
	v_cndmask_b32_e32 v2, v2, v4, vcc
.LBB29_86:
	s_or_b64 exec, exec, s[4:5]
	v_cmp_eq_u32_e32 vcc, 0, v1
	s_and_saveexec_b64 s[0:1], vcc
; %bb.87:
	v_lshrrev_b32_e32 v4, 3, v0
	v_and_b32_e32 v4, 24, v4
	ds_write_b64 v4, v[2:3] offset:160
; %bb.88:
	s_or_b64 exec, exec, s[0:1]
	v_cmp_gt_u32_e32 vcc, 4, v0
	s_waitcnt lgkmcnt(0)
	s_barrier
	s_and_saveexec_b64 s[0:1], vcc
	s_cbranch_execz .LBB29_92
; %bb.89:
	v_lshlrev_b32_e32 v2, 3, v1
	ds_read_b64 v[2:3], v2 offset:160
	v_and_b32_e32 v8, 3, v1
	v_cmp_ne_u32_e32 vcc, 3, v8
	s_add_i32 s6, s6, 63
	s_lshr_b32 s6, s6, 6
	v_addc_co_u32_e32 v1, vcc, 0, v1, vcc
	v_lshlrev_b32_e32 v1, 2, v1
	s_waitcnt lgkmcnt(0)
	ds_bpermute_b32 v4, v1, v2
	ds_bpermute_b32 v5, v1, v3
	v_add_u32_e32 v1, 1, v8
	v_cmp_gt_u32_e32 vcc, s6, v1
	v_or_b32_e32 v7, 8, v12
	s_waitcnt lgkmcnt(0)
	v_add_f64 v[4:5], v[2:3], v[4:5]
	v_cndmask_b32_e32 v1, v3, v5, vcc
	v_cndmask_b32_e32 v6, v2, v4, vcc
	ds_bpermute_b32 v6, v7, v6
	ds_bpermute_b32 v7, v7, v1
	s_and_saveexec_b64 s[4:5], vcc
	s_cbranch_execz .LBB29_91
; %bb.90:
	v_add_u32_e32 v1, 2, v8
	s_waitcnt lgkmcnt(0)
	v_add_f64 v[2:3], v[4:5], v[6:7]
	v_cmp_gt_u32_e32 vcc, s6, v1
	s_nop 1
	v_cndmask_b32_e32 v3, v5, v3, vcc
	v_cndmask_b32_e32 v2, v4, v2, vcc
.LBB29_91:
	s_or_b64 exec, exec, s[4:5]
.LBB29_92:
	s_or_b64 exec, exec, s[0:1]
.LBB29_93:
	v_cmp_eq_u32_e64 s[0:1], 0, v0
	s_branch .LBB29_102
.LBB29_94:
	s_cmp_eq_u32 s33, 4
	s_cbranch_scc0 .LBB29_101
; %bb.95:
	s_mov_b32 s3, 0
	s_lshl_b32 s0, s2, 10
	s_mov_b32 s1, s3
	s_lshr_b64 s[4:5], s[38:39], 10
	s_lshl_b64 s[6:7], s[0:1], 3
	s_add_u32 s6, s36, s6
	s_addc_u32 s7, s37, s7
	s_cmp_lg_u64 s[4:5], s[2:3]
	s_cbranch_scc0 .LBB29_103
; %bb.96:
	v_lshlrev_b32_e32 v2, 3, v0
	v_mov_b32_e32 v3, 0
	v_lshl_add_u64 v[4:5], s[6:7], 0, v[2:3]
	v_add_co_u32_e32 v4, vcc, 0x1000, v4
	v_mbcnt_lo_u32_b32 v1, -1, 0
	s_nop 0
	v_addc_co_u32_e32 v5, vcc, 0, v5, vcc
	s_waitcnt lgkmcnt(0)
	global_load_dwordx2 v[6:7], v2, s[6:7]
	global_load_dwordx2 v[8:9], v2, s[6:7] offset:2048
	global_load_dwordx2 v[10:11], v[4:5], off
	global_load_dwordx2 v[12:13], v[4:5], off offset:2048
	v_mbcnt_hi_u32_b32 v1, -1, v1
	v_lshlrev_b32_e32 v4, 2, v1
	v_or_b32_e32 v5, 0xfc, v4
	v_cmp_eq_u32_e32 vcc, 0, v1
	s_waitcnt vmcnt(2)
	v_add_f64 v[2:3], v[6:7], v[8:9]
	s_waitcnt vmcnt(1)
	v_add_f64 v[2:3], v[2:3], v[10:11]
	;; [unrolled: 2-line block ×3, first 2 shown]
	s_nop 1
	v_mov_b32_dpp v6, v2 quad_perm:[1,0,3,2] row_mask:0xf bank_mask:0xf bound_ctrl:1
	v_mov_b32_dpp v7, v3 quad_perm:[1,0,3,2] row_mask:0xf bank_mask:0xf bound_ctrl:1
	v_add_f64 v[2:3], v[2:3], v[6:7]
	s_nop 1
	v_mov_b32_dpp v6, v2 quad_perm:[2,3,0,1] row_mask:0xf bank_mask:0xf bound_ctrl:1
	v_mov_b32_dpp v7, v3 quad_perm:[2,3,0,1] row_mask:0xf bank_mask:0xf bound_ctrl:1
	v_add_f64 v[2:3], v[2:3], v[6:7]
	s_nop 1
	v_mov_b32_dpp v6, v2 row_ror:4 row_mask:0xf bank_mask:0xf bound_ctrl:1
	v_mov_b32_dpp v7, v3 row_ror:4 row_mask:0xf bank_mask:0xf bound_ctrl:1
	v_add_f64 v[2:3], v[2:3], v[6:7]
	s_nop 1
	v_mov_b32_dpp v6, v2 row_ror:8 row_mask:0xf bank_mask:0xf bound_ctrl:1
	v_mov_b32_dpp v7, v3 row_ror:8 row_mask:0xf bank_mask:0xf bound_ctrl:1
	v_add_f64 v[2:3], v[2:3], v[6:7]
	s_nop 1
	v_mov_b32_dpp v6, v2 row_bcast:15 row_mask:0xf bank_mask:0xf bound_ctrl:1
	v_mov_b32_dpp v7, v3 row_bcast:15 row_mask:0xf bank_mask:0xf bound_ctrl:1
	v_add_f64 v[2:3], v[2:3], v[6:7]
	s_nop 1
	v_mov_b32_dpp v6, v2 row_bcast:31 row_mask:0xf bank_mask:0xf bound_ctrl:1
	v_mov_b32_dpp v7, v3 row_bcast:31 row_mask:0xf bank_mask:0xf bound_ctrl:1
	v_add_f64 v[2:3], v[2:3], v[6:7]
	ds_bpermute_b32 v2, v5, v2
	ds_bpermute_b32 v3, v5, v3
	s_and_saveexec_b64 s[4:5], vcc
	s_cbranch_execz .LBB29_98
; %bb.97:
	v_lshrrev_b32_e32 v5, 3, v0
	v_and_b32_e32 v5, 24, v5
	s_waitcnt lgkmcnt(0)
	ds_write_b64 v5, v[2:3] offset:96
.LBB29_98:
	s_or_b64 exec, exec, s[4:5]
	v_cmp_gt_u32_e32 vcc, 64, v0
	s_waitcnt lgkmcnt(0)
	s_barrier
	s_and_saveexec_b64 s[4:5], vcc
	s_cbranch_execz .LBB29_100
; %bb.99:
	v_and_b32_e32 v5, 3, v1
	v_lshlrev_b32_e32 v2, 3, v5
	ds_read_b64 v[2:3], v2 offset:96
	v_cmp_ne_u32_e32 vcc, 3, v5
	s_nop 1
	v_addc_co_u32_e32 v1, vcc, 0, v1, vcc
	v_lshlrev_b32_e32 v1, 2, v1
	s_waitcnt lgkmcnt(0)
	ds_bpermute_b32 v6, v1, v2
	ds_bpermute_b32 v7, v1, v3
	v_or_b32_e32 v1, 8, v4
	s_waitcnt lgkmcnt(0)
	v_add_f64 v[2:3], v[2:3], v[6:7]
	ds_bpermute_b32 v4, v1, v2
	ds_bpermute_b32 v5, v1, v3
	s_waitcnt lgkmcnt(0)
	v_add_f64 v[2:3], v[2:3], v[4:5]
.LBB29_100:
	s_or_b64 exec, exec, s[4:5]
	s_branch .LBB29_121
.LBB29_101:
                                        ; implicit-def: $vgpr2_vgpr3
.LBB29_102:
	s_branch .LBB29_156
.LBB29_103:
                                        ; implicit-def: $vgpr2_vgpr3
	s_cbranch_execz .LBB29_121
; %bb.104:
	s_sub_i32 s10, s38, s0
	v_mov_b32_e32 v2, 0
	v_cmp_gt_u32_e32 vcc, s10, v0
	v_mov_b32_e32 v3, v2
	v_mov_b32_e32 v4, v2
	;; [unrolled: 1-line block ×3, first 2 shown]
	s_waitcnt lgkmcnt(1)
	v_mov_b32_e32 v6, v2
	s_waitcnt lgkmcnt(0)
	v_mov_b32_e32 v7, v2
	v_mov_b32_e32 v8, v2
	;; [unrolled: 1-line block ×3, first 2 shown]
	s_and_saveexec_b64 s[0:1], vcc
	s_cbranch_execz .LBB29_106
; %bb.105:
	v_lshlrev_b32_e32 v1, 3, v0
	global_load_dwordx2 v[4:5], v1, s[6:7]
	v_mov_b32_e32 v6, v2
	v_mov_b32_e32 v7, v2
	;; [unrolled: 1-line block ×6, first 2 shown]
	s_waitcnt vmcnt(0)
	v_mov_b64_e32 v[2:3], v[4:5]
	v_mov_b64_e32 v[4:5], v[6:7]
	v_mov_b64_e32 v[6:7], v[8:9]
	v_mov_b64_e32 v[8:9], v[10:11]
.LBB29_106:
	s_or_b64 exec, exec, s[0:1]
	v_or_b32_e32 v1, 0x100, v0
	v_cmp_gt_u32_e32 vcc, s10, v1
	s_and_saveexec_b64 s[0:1], vcc
	s_cbranch_execz .LBB29_108
; %bb.107:
	v_lshlrev_b32_e32 v1, 3, v0
	global_load_dwordx2 v[4:5], v1, s[6:7] offset:2048
.LBB29_108:
	s_or_b64 exec, exec, s[0:1]
	v_or_b32_e32 v1, 0x200, v0
	v_cmp_gt_u32_e64 s[0:1], s10, v1
	s_and_saveexec_b64 s[4:5], s[0:1]
	s_cbranch_execz .LBB29_110
; %bb.109:
	v_lshlrev_b32_e32 v1, 3, v1
	global_load_dwordx2 v[6:7], v1, s[6:7]
.LBB29_110:
	s_or_b64 exec, exec, s[4:5]
	v_or_b32_e32 v1, 0x300, v0
	v_cmp_gt_u32_e64 s[4:5], s10, v1
	s_and_saveexec_b64 s[8:9], s[4:5]
	s_cbranch_execz .LBB29_112
; %bb.111:
	v_lshlrev_b32_e32 v1, 3, v1
	global_load_dwordx2 v[8:9], v1, s[6:7]
.LBB29_112:
	s_or_b64 exec, exec, s[8:9]
	s_waitcnt vmcnt(0)
	v_add_f64 v[4:5], v[2:3], v[4:5]
	v_cndmask_b32_e32 v3, v3, v5, vcc
	v_cndmask_b32_e32 v2, v2, v4, vcc
	v_mbcnt_lo_u32_b32 v1, -1, 0
	v_add_f64 v[4:5], v[6:7], v[2:3]
	v_mbcnt_hi_u32_b32 v1, -1, v1
	v_cndmask_b32_e64 v3, v3, v5, s[0:1]
	v_cndmask_b32_e64 v2, v2, v4, s[0:1]
	v_and_b32_e32 v11, 63, v1
	v_add_f64 v[4:5], v[8:9], v[2:3]
	v_cmp_ne_u32_e32 vcc, 63, v11
	v_cndmask_b32_e64 v2, v2, v4, s[4:5]
	v_cndmask_b32_e64 v3, v3, v5, s[4:5]
	v_addc_co_u32_e32 v4, vcc, 0, v1, vcc
	v_lshlrev_b32_e32 v5, 2, v4
	ds_bpermute_b32 v4, v5, v2
	ds_bpermute_b32 v5, v5, v3
	s_min_u32 s6, s10, 0x100
	v_and_b32_e32 v6, 0xc0, v0
	v_sub_u32_e64 v10, s6, v6 clamp
	v_add_u32_e32 v6, 1, v11
	v_cmp_gt_u32_e32 vcc, 62, v11
	s_waitcnt lgkmcnt(0)
	v_add_f64 v[4:5], v[2:3], v[4:5]
	v_cmp_lt_u32_e64 s[0:1], v6, v10
	v_cndmask_b32_e64 v6, 0, 2, vcc
	v_add_lshl_u32 v7, v6, v1, 2
	v_cndmask_b32_e64 v4, v2, v4, s[0:1]
	v_cndmask_b32_e64 v5, v3, v5, s[0:1]
	ds_bpermute_b32 v6, v7, v4
	ds_bpermute_b32 v7, v7, v5
	v_add_u32_e32 v8, 2, v11
	v_cmp_lt_u32_e32 vcc, v8, v10
	v_add_u32_e32 v8, 4, v11
	v_lshlrev_b32_e32 v12, 2, v1
	s_waitcnt lgkmcnt(0)
	v_add_f64 v[6:7], v[4:5], v[6:7]
	v_cndmask_b32_e32 v4, v4, v6, vcc
	v_cndmask_b32_e32 v5, v5, v7, vcc
	v_cmp_gt_u32_e32 vcc, 60, v11
	v_or_b32_e32 v13, 0x80, v12
	s_nop 0
	v_cndmask_b32_e64 v6, 0, 4, vcc
	v_add_lshl_u32 v7, v6, v1, 2
	ds_bpermute_b32 v6, v7, v4
	ds_bpermute_b32 v7, v7, v5
	v_cmp_lt_u32_e32 vcc, v8, v10
	v_add_u32_e32 v8, 8, v11
	s_waitcnt lgkmcnt(0)
	v_add_f64 v[6:7], v[4:5], v[6:7]
	v_cndmask_b32_e32 v4, v4, v6, vcc
	v_cndmask_b32_e32 v5, v5, v7, vcc
	v_cmp_gt_u32_e32 vcc, 56, v11
	s_nop 1
	v_cndmask_b32_e64 v6, 0, 8, vcc
	v_add_lshl_u32 v7, v6, v1, 2
	ds_bpermute_b32 v6, v7, v4
	ds_bpermute_b32 v7, v7, v5
	v_cmp_lt_u32_e32 vcc, v8, v10
	v_add_u32_e32 v8, 16, v11
	s_waitcnt lgkmcnt(0)
	v_add_f64 v[6:7], v[4:5], v[6:7]
	v_cndmask_b32_e32 v4, v4, v6, vcc
	v_cndmask_b32_e32 v5, v5, v7, vcc
	v_cmp_gt_u32_e32 vcc, 48, v11
	s_nop 1
	v_cndmask_b32_e64 v6, 0, 16, vcc
	v_add_lshl_u32 v7, v6, v1, 2
	ds_bpermute_b32 v6, v7, v4
	ds_bpermute_b32 v7, v7, v5
	v_cmp_lt_u32_e32 vcc, v8, v10
	s_waitcnt lgkmcnt(0)
	v_add_f64 v[6:7], v[4:5], v[6:7]
	v_cndmask_b32_e32 v9, v5, v7, vcc
	v_cndmask_b32_e32 v8, v4, v6, vcc
	ds_bpermute_b32 v8, v13, v8
	ds_bpermute_b32 v9, v13, v9
	s_and_saveexec_b64 s[4:5], s[0:1]
	s_cbranch_execz .LBB29_114
; %bb.113:
	v_add_u32_e32 v11, 32, v11
	v_cndmask_b32_e32 v3, v5, v7, vcc
	v_cndmask_b32_e32 v2, v4, v6, vcc
	s_waitcnt lgkmcnt(0)
	v_add_f64 v[4:5], v[2:3], v[8:9]
	v_cmp_lt_u32_e32 vcc, v11, v10
	s_nop 1
	v_cndmask_b32_e32 v3, v3, v5, vcc
	v_cndmask_b32_e32 v2, v2, v4, vcc
.LBB29_114:
	s_or_b64 exec, exec, s[4:5]
	v_cmp_eq_u32_e32 vcc, 0, v1
	s_and_saveexec_b64 s[0:1], vcc
; %bb.115:
	v_lshrrev_b32_e32 v4, 3, v0
	v_and_b32_e32 v4, 24, v4
	ds_write_b64 v4, v[2:3] offset:160
; %bb.116:
	s_or_b64 exec, exec, s[0:1]
	v_cmp_gt_u32_e32 vcc, 4, v0
	s_waitcnt lgkmcnt(0)
	s_barrier
	s_and_saveexec_b64 s[0:1], vcc
	s_cbranch_execz .LBB29_120
; %bb.117:
	v_lshlrev_b32_e32 v2, 3, v1
	ds_read_b64 v[2:3], v2 offset:160
	v_and_b32_e32 v8, 3, v1
	v_cmp_ne_u32_e32 vcc, 3, v8
	s_add_i32 s6, s6, 63
	s_lshr_b32 s6, s6, 6
	v_addc_co_u32_e32 v1, vcc, 0, v1, vcc
	v_lshlrev_b32_e32 v1, 2, v1
	s_waitcnt lgkmcnt(0)
	ds_bpermute_b32 v4, v1, v2
	ds_bpermute_b32 v5, v1, v3
	v_add_u32_e32 v1, 1, v8
	v_cmp_gt_u32_e32 vcc, s6, v1
	v_or_b32_e32 v7, 8, v12
	s_waitcnt lgkmcnt(0)
	v_add_f64 v[4:5], v[2:3], v[4:5]
	v_cndmask_b32_e32 v1, v3, v5, vcc
	v_cndmask_b32_e32 v6, v2, v4, vcc
	ds_bpermute_b32 v6, v7, v6
	ds_bpermute_b32 v7, v7, v1
	s_and_saveexec_b64 s[4:5], vcc
	s_cbranch_execz .LBB29_119
; %bb.118:
	v_add_u32_e32 v1, 2, v8
	s_waitcnt lgkmcnt(0)
	v_add_f64 v[2:3], v[4:5], v[6:7]
	v_cmp_gt_u32_e32 vcc, s6, v1
	s_nop 1
	v_cndmask_b32_e32 v3, v5, v3, vcc
	v_cndmask_b32_e32 v2, v4, v2, vcc
.LBB29_119:
	s_or_b64 exec, exec, s[4:5]
.LBB29_120:
	s_or_b64 exec, exec, s[0:1]
.LBB29_121:
	v_cmp_eq_u32_e64 s[0:1], 0, v0
	s_branch .LBB29_156
.LBB29_122:
	s_cmp_gt_i32 s33, 1
	s_cbranch_scc0 .LBB29_130
; %bb.123:
	s_cmp_eq_u32 s33, 2
	s_cbranch_scc0 .LBB29_131
; %bb.124:
	s_mov_b32 s3, 0
	s_lshl_b32 s4, s2, 9
	s_mov_b32 s5, s3
	s_lshr_b64 s[6:7], s[38:39], 9
	s_lshl_b64 s[0:1], s[4:5], 3
	s_add_u32 s0, s36, s0
	s_addc_u32 s1, s37, s1
	s_cmp_lg_u64 s[6:7], s[2:3]
	s_cbranch_scc0 .LBB29_132
; %bb.125:
	v_lshlrev_b32_e32 v1, 3, v0
	global_load_dwordx2 v[2:3], v1, s[0:1]
	s_waitcnt lgkmcnt(0)
	global_load_dwordx2 v[6:7], v1, s[0:1] offset:2048
	v_mbcnt_lo_u32_b32 v1, -1, 0
	v_mbcnt_hi_u32_b32 v1, -1, v1
	v_lshlrev_b32_e32 v4, 2, v1
	v_or_b32_e32 v5, 0xfc, v4
	v_cmp_eq_u32_e32 vcc, 0, v1
	s_waitcnt vmcnt(0)
	v_add_f64 v[2:3], v[2:3], v[6:7]
	s_nop 1
	v_mov_b32_dpp v6, v2 quad_perm:[1,0,3,2] row_mask:0xf bank_mask:0xf bound_ctrl:1
	v_mov_b32_dpp v7, v3 quad_perm:[1,0,3,2] row_mask:0xf bank_mask:0xf bound_ctrl:1
	v_add_f64 v[2:3], v[2:3], v[6:7]
	s_nop 1
	v_mov_b32_dpp v6, v2 quad_perm:[2,3,0,1] row_mask:0xf bank_mask:0xf bound_ctrl:1
	v_mov_b32_dpp v7, v3 quad_perm:[2,3,0,1] row_mask:0xf bank_mask:0xf bound_ctrl:1
	v_add_f64 v[2:3], v[2:3], v[6:7]
	s_nop 1
	v_mov_b32_dpp v6, v2 row_ror:4 row_mask:0xf bank_mask:0xf bound_ctrl:1
	v_mov_b32_dpp v7, v3 row_ror:4 row_mask:0xf bank_mask:0xf bound_ctrl:1
	v_add_f64 v[2:3], v[2:3], v[6:7]
	s_nop 1
	v_mov_b32_dpp v6, v2 row_ror:8 row_mask:0xf bank_mask:0xf bound_ctrl:1
	v_mov_b32_dpp v7, v3 row_ror:8 row_mask:0xf bank_mask:0xf bound_ctrl:1
	v_add_f64 v[2:3], v[2:3], v[6:7]
	s_nop 1
	v_mov_b32_dpp v6, v2 row_bcast:15 row_mask:0xf bank_mask:0xf bound_ctrl:1
	v_mov_b32_dpp v7, v3 row_bcast:15 row_mask:0xf bank_mask:0xf bound_ctrl:1
	v_add_f64 v[2:3], v[2:3], v[6:7]
	s_nop 1
	v_mov_b32_dpp v6, v2 row_bcast:31 row_mask:0xf bank_mask:0xf bound_ctrl:1
	v_mov_b32_dpp v7, v3 row_bcast:31 row_mask:0xf bank_mask:0xf bound_ctrl:1
	v_add_f64 v[2:3], v[2:3], v[6:7]
	ds_bpermute_b32 v2, v5, v2
	ds_bpermute_b32 v3, v5, v3
	s_and_saveexec_b64 s[6:7], vcc
	s_cbranch_execz .LBB29_127
; %bb.126:
	v_lshrrev_b32_e32 v5, 3, v0
	v_and_b32_e32 v5, 24, v5
	s_waitcnt lgkmcnt(0)
	ds_write_b64 v5, v[2:3] offset:64
.LBB29_127:
	s_or_b64 exec, exec, s[6:7]
	v_cmp_gt_u32_e32 vcc, 64, v0
	s_waitcnt lgkmcnt(0)
	s_barrier
	s_and_saveexec_b64 s[6:7], vcc
	s_cbranch_execz .LBB29_129
; %bb.128:
	v_and_b32_e32 v5, 3, v1
	v_lshlrev_b32_e32 v2, 3, v5
	ds_read_b64 v[2:3], v2 offset:64
	v_cmp_ne_u32_e32 vcc, 3, v5
	s_nop 1
	v_addc_co_u32_e32 v1, vcc, 0, v1, vcc
	v_lshlrev_b32_e32 v1, 2, v1
	s_waitcnt lgkmcnt(0)
	ds_bpermute_b32 v6, v1, v2
	ds_bpermute_b32 v7, v1, v3
	v_or_b32_e32 v1, 8, v4
	s_waitcnt lgkmcnt(0)
	v_add_f64 v[2:3], v[2:3], v[6:7]
	ds_bpermute_b32 v4, v1, v2
	ds_bpermute_b32 v5, v1, v3
	s_waitcnt lgkmcnt(0)
	v_add_f64 v[2:3], v[2:3], v[4:5]
.LBB29_129:
	s_or_b64 exec, exec, s[6:7]
	s_branch .LBB29_146
.LBB29_130:
                                        ; implicit-def: $vgpr2_vgpr3
	s_cbranch_execnz .LBB29_147
	s_branch .LBB29_156
.LBB29_131:
                                        ; implicit-def: $vgpr2_vgpr3
	s_branch .LBB29_156
.LBB29_132:
                                        ; implicit-def: $vgpr2_vgpr3
	s_cbranch_execz .LBB29_146
; %bb.133:
	s_sub_i32 s6, s38, s4
	v_mov_b32_e32 v2, 0
	v_cmp_gt_u32_e32 vcc, s6, v0
	v_mov_b32_e32 v3, v2
	v_mov_b32_e32 v4, v2
	;; [unrolled: 1-line block ×3, first 2 shown]
	s_and_saveexec_b64 s[4:5], vcc
	s_cbranch_execz .LBB29_135
; %bb.134:
	v_lshlrev_b32_e32 v1, 3, v0
	global_load_dwordx2 v[4:5], v1, s[0:1]
	s_waitcnt lgkmcnt(1)
	v_mov_b32_e32 v6, v2
	s_waitcnt lgkmcnt(0)
	v_mov_b32_e32 v7, v2
	s_waitcnt vmcnt(0)
	v_mov_b64_e32 v[2:3], v[4:5]
	v_mov_b64_e32 v[4:5], v[6:7]
.LBB29_135:
	s_or_b64 exec, exec, s[4:5]
	v_or_b32_e32 v1, 0x100, v0
	v_cmp_gt_u32_e32 vcc, s6, v1
	s_and_saveexec_b64 s[4:5], vcc
	s_cbranch_execz .LBB29_137
; %bb.136:
	v_lshlrev_b32_e32 v1, 3, v0
	global_load_dwordx2 v[4:5], v1, s[0:1] offset:2048
.LBB29_137:
	s_or_b64 exec, exec, s[4:5]
	v_mbcnt_lo_u32_b32 v1, -1, 0
	v_mbcnt_hi_u32_b32 v1, -1, v1
	s_waitcnt vmcnt(0)
	v_add_f64 v[4:5], v[4:5], v[2:3]
	v_and_b32_e32 v11, 63, v1
	v_cndmask_b32_e32 v3, v3, v5, vcc
	v_cndmask_b32_e32 v2, v2, v4, vcc
	v_cmp_ne_u32_e32 vcc, 63, v11
	s_min_u32 s6, s6, 0x100
	s_waitcnt lgkmcnt(1)
	v_and_b32_e32 v6, 0xc0, v0
	v_addc_co_u32_e32 v4, vcc, 0, v1, vcc
	v_lshlrev_b32_e32 v5, 2, v4
	ds_bpermute_b32 v4, v5, v2
	ds_bpermute_b32 v5, v5, v3
	v_sub_u32_e64 v10, s6, v6 clamp
	v_add_u32_e32 v6, 1, v11
	v_cmp_gt_u32_e32 vcc, 62, v11
	v_cmp_lt_u32_e64 s[0:1], v6, v10
	s_waitcnt lgkmcnt(0)
	v_add_f64 v[4:5], v[2:3], v[4:5]
	v_cndmask_b32_e64 v6, 0, 2, vcc
	v_cndmask_b32_e64 v4, v2, v4, s[0:1]
	v_cndmask_b32_e64 v5, v3, v5, s[0:1]
	v_add_lshl_u32 v7, v6, v1, 2
	ds_bpermute_b32 v6, v7, v4
	ds_bpermute_b32 v7, v7, v5
	v_add_u32_e32 v8, 2, v11
	v_cmp_lt_u32_e32 vcc, v8, v10
	v_add_u32_e32 v8, 4, v11
	v_lshlrev_b32_e32 v12, 2, v1
	s_waitcnt lgkmcnt(0)
	v_add_f64 v[6:7], v[4:5], v[6:7]
	v_cndmask_b32_e32 v4, v4, v6, vcc
	v_cndmask_b32_e32 v5, v5, v7, vcc
	v_cmp_gt_u32_e32 vcc, 60, v11
	v_or_b32_e32 v13, 0x80, v12
	s_nop 0
	v_cndmask_b32_e64 v6, 0, 4, vcc
	v_add_lshl_u32 v7, v6, v1, 2
	ds_bpermute_b32 v6, v7, v4
	ds_bpermute_b32 v7, v7, v5
	v_cmp_lt_u32_e32 vcc, v8, v10
	v_add_u32_e32 v8, 8, v11
	s_waitcnt lgkmcnt(0)
	v_add_f64 v[6:7], v[4:5], v[6:7]
	v_cndmask_b32_e32 v4, v4, v6, vcc
	v_cndmask_b32_e32 v5, v5, v7, vcc
	v_cmp_gt_u32_e32 vcc, 56, v11
	s_nop 1
	v_cndmask_b32_e64 v6, 0, 8, vcc
	v_add_lshl_u32 v7, v6, v1, 2
	ds_bpermute_b32 v6, v7, v4
	ds_bpermute_b32 v7, v7, v5
	v_cmp_lt_u32_e32 vcc, v8, v10
	v_add_u32_e32 v8, 16, v11
	s_waitcnt lgkmcnt(0)
	v_add_f64 v[6:7], v[4:5], v[6:7]
	v_cndmask_b32_e32 v4, v4, v6, vcc
	v_cndmask_b32_e32 v5, v5, v7, vcc
	v_cmp_gt_u32_e32 vcc, 48, v11
	s_nop 1
	v_cndmask_b32_e64 v6, 0, 16, vcc
	v_add_lshl_u32 v7, v6, v1, 2
	ds_bpermute_b32 v6, v7, v4
	ds_bpermute_b32 v7, v7, v5
	v_cmp_lt_u32_e32 vcc, v8, v10
	s_waitcnt lgkmcnt(0)
	v_add_f64 v[6:7], v[4:5], v[6:7]
	v_cndmask_b32_e32 v9, v5, v7, vcc
	v_cndmask_b32_e32 v8, v4, v6, vcc
	ds_bpermute_b32 v8, v13, v8
	ds_bpermute_b32 v9, v13, v9
	s_and_saveexec_b64 s[4:5], s[0:1]
	s_cbranch_execz .LBB29_139
; %bb.138:
	v_add_u32_e32 v11, 32, v11
	v_cndmask_b32_e32 v3, v5, v7, vcc
	v_cndmask_b32_e32 v2, v4, v6, vcc
	s_waitcnt lgkmcnt(0)
	v_add_f64 v[4:5], v[2:3], v[8:9]
	v_cmp_lt_u32_e32 vcc, v11, v10
	s_nop 1
	v_cndmask_b32_e32 v3, v3, v5, vcc
	v_cndmask_b32_e32 v2, v2, v4, vcc
.LBB29_139:
	s_or_b64 exec, exec, s[4:5]
	v_cmp_eq_u32_e32 vcc, 0, v1
	s_and_saveexec_b64 s[0:1], vcc
; %bb.140:
	v_lshrrev_b32_e32 v4, 3, v0
	v_and_b32_e32 v4, 24, v4
	ds_write_b64 v4, v[2:3] offset:160
; %bb.141:
	s_or_b64 exec, exec, s[0:1]
	v_cmp_gt_u32_e32 vcc, 4, v0
	s_waitcnt lgkmcnt(0)
	s_barrier
	s_and_saveexec_b64 s[0:1], vcc
	s_cbranch_execz .LBB29_145
; %bb.142:
	v_lshlrev_b32_e32 v2, 3, v1
	ds_read_b64 v[2:3], v2 offset:160
	v_and_b32_e32 v8, 3, v1
	v_cmp_ne_u32_e32 vcc, 3, v8
	s_add_i32 s6, s6, 63
	s_lshr_b32 s6, s6, 6
	v_addc_co_u32_e32 v1, vcc, 0, v1, vcc
	v_lshlrev_b32_e32 v1, 2, v1
	s_waitcnt lgkmcnt(0)
	ds_bpermute_b32 v4, v1, v2
	ds_bpermute_b32 v5, v1, v3
	v_add_u32_e32 v1, 1, v8
	v_cmp_gt_u32_e32 vcc, s6, v1
	v_or_b32_e32 v7, 8, v12
	s_waitcnt lgkmcnt(0)
	v_add_f64 v[4:5], v[2:3], v[4:5]
	v_cndmask_b32_e32 v1, v3, v5, vcc
	v_cndmask_b32_e32 v6, v2, v4, vcc
	ds_bpermute_b32 v6, v7, v6
	ds_bpermute_b32 v7, v7, v1
	s_and_saveexec_b64 s[4:5], vcc
	s_cbranch_execz .LBB29_144
; %bb.143:
	v_add_u32_e32 v1, 2, v8
	s_waitcnt lgkmcnt(0)
	v_add_f64 v[2:3], v[4:5], v[6:7]
	v_cmp_gt_u32_e32 vcc, s6, v1
	s_nop 1
	v_cndmask_b32_e32 v3, v5, v3, vcc
	v_cndmask_b32_e32 v2, v4, v2, vcc
.LBB29_144:
	s_or_b64 exec, exec, s[4:5]
.LBB29_145:
	s_or_b64 exec, exec, s[0:1]
.LBB29_146:
	v_cmp_eq_u32_e64 s[0:1], 0, v0
	s_branch .LBB29_156
.LBB29_147:
	s_cmp_eq_u32 s33, 1
	s_cbranch_scc0 .LBB29_155
; %bb.148:
	s_mov_b32 s1, 0
	s_lshl_b32 s0, s2, 8
	s_mov_b32 s3, s1
	s_lshr_b64 s[4:5], s[38:39], 8
	s_cmp_lg_u64 s[4:5], s[2:3]
	v_mbcnt_lo_u32_b32 v1, -1, 0
	s_cbranch_scc0 .LBB29_159
; %bb.149:
	s_lshl_b64 s[4:5], s[0:1], 3
	s_add_u32 s4, s36, s4
	s_addc_u32 s5, s37, s5
	v_lshlrev_b32_e32 v2, 3, v0
	global_load_dwordx2 v[2:3], v2, s[4:5]
	v_mbcnt_hi_u32_b32 v4, -1, v1
	v_lshlrev_b32_e32 v5, 2, v4
	v_or_b32_e32 v8, 0xfc, v5
	v_cmp_eq_u32_e32 vcc, 0, v4
	s_waitcnt vmcnt(0) lgkmcnt(1)
	v_mov_b32_dpp v6, v2 quad_perm:[1,0,3,2] row_mask:0xf bank_mask:0xf bound_ctrl:1
	s_waitcnt lgkmcnt(0)
	v_mov_b32_dpp v7, v3 quad_perm:[1,0,3,2] row_mask:0xf bank_mask:0xf bound_ctrl:1
	v_add_f64 v[2:3], v[2:3], v[6:7]
	s_nop 1
	v_mov_b32_dpp v6, v2 quad_perm:[2,3,0,1] row_mask:0xf bank_mask:0xf bound_ctrl:1
	v_mov_b32_dpp v7, v3 quad_perm:[2,3,0,1] row_mask:0xf bank_mask:0xf bound_ctrl:1
	v_add_f64 v[2:3], v[2:3], v[6:7]
	s_nop 1
	v_mov_b32_dpp v6, v2 row_ror:4 row_mask:0xf bank_mask:0xf bound_ctrl:1
	v_mov_b32_dpp v7, v3 row_ror:4 row_mask:0xf bank_mask:0xf bound_ctrl:1
	v_add_f64 v[2:3], v[2:3], v[6:7]
	s_nop 1
	v_mov_b32_dpp v6, v2 row_ror:8 row_mask:0xf bank_mask:0xf bound_ctrl:1
	v_mov_b32_dpp v7, v3 row_ror:8 row_mask:0xf bank_mask:0xf bound_ctrl:1
	v_add_f64 v[2:3], v[2:3], v[6:7]
	s_nop 1
	v_mov_b32_dpp v6, v2 row_bcast:15 row_mask:0xf bank_mask:0xf bound_ctrl:1
	v_mov_b32_dpp v7, v3 row_bcast:15 row_mask:0xf bank_mask:0xf bound_ctrl:1
	v_add_f64 v[2:3], v[2:3], v[6:7]
	s_nop 1
	v_mov_b32_dpp v6, v2 row_bcast:31 row_mask:0xf bank_mask:0xf bound_ctrl:1
	v_mov_b32_dpp v7, v3 row_bcast:31 row_mask:0xf bank_mask:0xf bound_ctrl:1
	v_add_f64 v[2:3], v[2:3], v[6:7]
	ds_bpermute_b32 v2, v8, v2
	ds_bpermute_b32 v3, v8, v3
	s_and_saveexec_b64 s[4:5], vcc
	s_cbranch_execz .LBB29_151
; %bb.150:
	v_lshrrev_b32_e32 v6, 3, v0
	v_and_b32_e32 v6, 24, v6
	s_waitcnt lgkmcnt(0)
	ds_write_b64 v6, v[2:3] offset:32
.LBB29_151:
	s_or_b64 exec, exec, s[4:5]
	v_cmp_gt_u32_e32 vcc, 64, v0
	s_waitcnt lgkmcnt(0)
	s_barrier
	s_and_saveexec_b64 s[4:5], vcc
	s_cbranch_execz .LBB29_153
; %bb.152:
	v_and_b32_e32 v6, 3, v4
	v_lshlrev_b32_e32 v2, 3, v6
	ds_read_b64 v[2:3], v2 offset:32
	v_cmp_ne_u32_e32 vcc, 3, v6
	v_or_b32_e32 v5, 8, v5
	s_nop 0
	v_addc_co_u32_e32 v4, vcc, 0, v4, vcc
	v_lshlrev_b32_e32 v4, 2, v4
	s_waitcnt lgkmcnt(0)
	ds_bpermute_b32 v6, v4, v2
	ds_bpermute_b32 v7, v4, v3
	s_waitcnt lgkmcnt(0)
	v_add_f64 v[2:3], v[2:3], v[6:7]
	ds_bpermute_b32 v4, v5, v2
	ds_bpermute_b32 v5, v5, v3
	s_waitcnt lgkmcnt(0)
	v_add_f64 v[2:3], v[2:3], v[4:5]
.LBB29_153:
	s_or_b64 exec, exec, s[4:5]
.LBB29_154:
	v_cmp_eq_u32_e64 s[0:1], 0, v0
	s_and_saveexec_b64 s[4:5], s[0:1]
	s_cbranch_execnz .LBB29_157
	s_branch .LBB29_158
.LBB29_155:
                                        ; implicit-def: $vgpr2_vgpr3
                                        ; implicit-def: $sgpr2_sgpr3
.LBB29_156:
	s_and_saveexec_b64 s[4:5], s[0:1]
	s_cbranch_execz .LBB29_158
.LBB29_157:
	s_lshl_b64 s[0:1], s[2:3], 3
	s_add_u32 s0, s40, s0
	s_addc_u32 s1, s41, s1
	s_cmp_eq_u64 s[38:39], 0
	v_add_f64 v[0:1], s[42:43], v[2:3]
	v_mov_b32_e32 v2, s43
	s_cselect_b64 vcc, -1, 0
	v_cndmask_b32_e32 v1, v1, v2, vcc
	v_mov_b32_e32 v2, s42
	v_mov_b32_e32 v4, 0
	v_cndmask_b32_e32 v0, v0, v2, vcc
	global_store_dwordx2 v4, v[0:1], s[0:1]
.LBB29_158:
	s_endpgm
.LBB29_159:
                                        ; implicit-def: $vgpr2_vgpr3
	s_cbranch_execz .LBB29_154
; %bb.160:
	s_sub_i32 s6, s38, s0
	v_cmp_gt_u32_e32 vcc, s6, v0
                                        ; implicit-def: $vgpr2_vgpr3
	s_and_saveexec_b64 s[4:5], vcc
	s_cbranch_execz .LBB29_162
; %bb.161:
	s_lshl_b64 s[0:1], s[0:1], 3
	s_add_u32 s0, s36, s0
	s_addc_u32 s1, s37, s1
	v_lshlrev_b32_e32 v2, 3, v0
	global_load_dwordx2 v[2:3], v2, s[0:1]
.LBB29_162:
	s_or_b64 exec, exec, s[4:5]
	v_mbcnt_hi_u32_b32 v1, -1, v1
	v_and_b32_e32 v11, 63, v1
	v_cmp_ne_u32_e32 vcc, 63, v11
	s_min_u32 s6, s6, 0x100
	s_waitcnt lgkmcnt(1)
	v_and_b32_e32 v6, 0xc0, v0
	v_addc_co_u32_e32 v4, vcc, 0, v1, vcc
	v_lshlrev_b32_e32 v5, 2, v4
	s_waitcnt vmcnt(0)
	ds_bpermute_b32 v4, v5, v2
	ds_bpermute_b32 v5, v5, v3
	v_sub_u32_e64 v10, s6, v6 clamp
	v_add_u32_e32 v6, 1, v11
	v_cmp_gt_u32_e32 vcc, 62, v11
	v_cmp_lt_u32_e64 s[0:1], v6, v10
	s_waitcnt lgkmcnt(0)
	v_add_f64 v[4:5], v[2:3], v[4:5]
	v_cndmask_b32_e64 v6, 0, 2, vcc
	v_cndmask_b32_e64 v4, v2, v4, s[0:1]
	v_cndmask_b32_e64 v5, v3, v5, s[0:1]
	v_add_lshl_u32 v7, v6, v1, 2
	ds_bpermute_b32 v6, v7, v4
	ds_bpermute_b32 v7, v7, v5
	v_add_u32_e32 v8, 2, v11
	v_cmp_lt_u32_e32 vcc, v8, v10
	v_add_u32_e32 v8, 4, v11
	v_lshlrev_b32_e32 v12, 2, v1
	s_waitcnt lgkmcnt(0)
	v_add_f64 v[6:7], v[4:5], v[6:7]
	v_cndmask_b32_e32 v4, v4, v6, vcc
	v_cndmask_b32_e32 v5, v5, v7, vcc
	v_cmp_gt_u32_e32 vcc, 60, v11
	v_or_b32_e32 v13, 0x80, v12
	s_nop 0
	v_cndmask_b32_e64 v6, 0, 4, vcc
	v_add_lshl_u32 v7, v6, v1, 2
	ds_bpermute_b32 v6, v7, v4
	ds_bpermute_b32 v7, v7, v5
	v_cmp_lt_u32_e32 vcc, v8, v10
	v_add_u32_e32 v8, 8, v11
	s_waitcnt lgkmcnt(0)
	v_add_f64 v[6:7], v[4:5], v[6:7]
	v_cndmask_b32_e32 v4, v4, v6, vcc
	v_cndmask_b32_e32 v5, v5, v7, vcc
	v_cmp_gt_u32_e32 vcc, 56, v11
	s_nop 1
	v_cndmask_b32_e64 v6, 0, 8, vcc
	v_add_lshl_u32 v7, v6, v1, 2
	ds_bpermute_b32 v6, v7, v4
	ds_bpermute_b32 v7, v7, v5
	v_cmp_lt_u32_e32 vcc, v8, v10
	v_add_u32_e32 v8, 16, v11
	s_waitcnt lgkmcnt(0)
	v_add_f64 v[6:7], v[4:5], v[6:7]
	v_cndmask_b32_e32 v4, v4, v6, vcc
	v_cndmask_b32_e32 v5, v5, v7, vcc
	v_cmp_gt_u32_e32 vcc, 48, v11
	s_nop 1
	v_cndmask_b32_e64 v6, 0, 16, vcc
	v_add_lshl_u32 v7, v6, v1, 2
	ds_bpermute_b32 v6, v7, v4
	ds_bpermute_b32 v7, v7, v5
	v_cmp_lt_u32_e32 vcc, v8, v10
	s_waitcnt lgkmcnt(0)
	v_add_f64 v[6:7], v[4:5], v[6:7]
	v_cndmask_b32_e32 v9, v5, v7, vcc
	v_cndmask_b32_e32 v8, v4, v6, vcc
	ds_bpermute_b32 v8, v13, v8
	ds_bpermute_b32 v9, v13, v9
	s_and_saveexec_b64 s[4:5], s[0:1]
	s_cbranch_execz .LBB29_164
; %bb.163:
	v_add_u32_e32 v11, 32, v11
	v_cndmask_b32_e32 v3, v5, v7, vcc
	v_cndmask_b32_e32 v2, v4, v6, vcc
	s_waitcnt lgkmcnt(0)
	v_add_f64 v[4:5], v[2:3], v[8:9]
	v_cmp_lt_u32_e32 vcc, v11, v10
	s_nop 1
	v_cndmask_b32_e32 v3, v3, v5, vcc
	v_cndmask_b32_e32 v2, v2, v4, vcc
.LBB29_164:
	s_or_b64 exec, exec, s[4:5]
	v_cmp_eq_u32_e32 vcc, 0, v1
	s_and_saveexec_b64 s[0:1], vcc
; %bb.165:
	v_lshrrev_b32_e32 v4, 3, v0
	v_and_b32_e32 v4, 24, v4
	ds_write_b64 v4, v[2:3] offset:160
; %bb.166:
	s_or_b64 exec, exec, s[0:1]
	v_cmp_gt_u32_e32 vcc, 4, v0
	s_waitcnt lgkmcnt(0)
	s_barrier
	s_and_saveexec_b64 s[0:1], vcc
	s_cbranch_execz .LBB29_170
; %bb.167:
	v_lshlrev_b32_e32 v2, 3, v1
	ds_read_b64 v[2:3], v2 offset:160
	v_and_b32_e32 v8, 3, v1
	v_cmp_ne_u32_e32 vcc, 3, v8
	s_add_i32 s6, s6, 63
	s_lshr_b32 s6, s6, 6
	v_addc_co_u32_e32 v1, vcc, 0, v1, vcc
	v_lshlrev_b32_e32 v1, 2, v1
	s_waitcnt lgkmcnt(0)
	ds_bpermute_b32 v4, v1, v2
	ds_bpermute_b32 v5, v1, v3
	v_add_u32_e32 v1, 1, v8
	v_cmp_gt_u32_e32 vcc, s6, v1
	v_or_b32_e32 v7, 8, v12
	s_waitcnt lgkmcnt(0)
	v_add_f64 v[4:5], v[2:3], v[4:5]
	v_cndmask_b32_e32 v1, v3, v5, vcc
	v_cndmask_b32_e32 v6, v2, v4, vcc
	ds_bpermute_b32 v6, v7, v6
	ds_bpermute_b32 v7, v7, v1
	s_and_saveexec_b64 s[4:5], vcc
	s_cbranch_execz .LBB29_169
; %bb.168:
	v_add_u32_e32 v1, 2, v8
	s_waitcnt lgkmcnt(0)
	v_add_f64 v[2:3], v[4:5], v[6:7]
	v_cmp_gt_u32_e32 vcc, s6, v1
	s_nop 1
	v_cndmask_b32_e32 v3, v5, v3, vcc
	v_cndmask_b32_e32 v2, v4, v2, vcc
.LBB29_169:
	s_or_b64 exec, exec, s[4:5]
.LBB29_170:
	s_or_b64 exec, exec, s[0:1]
	v_cmp_eq_u32_e64 s[0:1], 0, v0
	s_and_saveexec_b64 s[4:5], s[0:1]
	s_cbranch_execnz .LBB29_157
	s_branch .LBB29_158
	.section	.rodata,"a",@progbits
	.p2align	6, 0x0
	.amdhsa_kernel _ZN7rocprim17ROCPRIM_400000_NS6detail17trampoline_kernelINS0_14default_configENS1_22reduce_config_selectorIdEEZNS1_11reduce_implILb1ES3_N6thrust23THRUST_200600_302600_NS6detail15normal_iteratorINS8_10device_ptrIdEEEEPddNS8_4plusIdEEEE10hipError_tPvRmT1_T2_T3_mT4_P12ihipStream_tbEUlT_E1_NS1_11comp_targetILNS1_3genE0ELNS1_11target_archE4294967295ELNS1_3gpuE0ELNS1_3repE0EEENS1_30default_config_static_selectorELNS0_4arch9wavefront6targetE1EEEvSK_
		.amdhsa_group_segment_fixed_size 192
		.amdhsa_private_segment_fixed_size 0
		.amdhsa_kernarg_size 48
		.amdhsa_user_sgpr_count 2
		.amdhsa_user_sgpr_dispatch_ptr 0
		.amdhsa_user_sgpr_queue_ptr 0
		.amdhsa_user_sgpr_kernarg_segment_ptr 1
		.amdhsa_user_sgpr_dispatch_id 0
		.amdhsa_user_sgpr_kernarg_preload_length 0
		.amdhsa_user_sgpr_kernarg_preload_offset 0
		.amdhsa_user_sgpr_private_segment_size 0
		.amdhsa_uses_dynamic_stack 0
		.amdhsa_enable_private_segment 0
		.amdhsa_system_sgpr_workgroup_id_x 1
		.amdhsa_system_sgpr_workgroup_id_y 0
		.amdhsa_system_sgpr_workgroup_id_z 0
		.amdhsa_system_sgpr_workgroup_info 0
		.amdhsa_system_vgpr_workitem_id 0
		.amdhsa_next_free_vgpr 38
		.amdhsa_next_free_sgpr 47
		.amdhsa_accum_offset 40
		.amdhsa_reserve_vcc 1
		.amdhsa_float_round_mode_32 0
		.amdhsa_float_round_mode_16_64 0
		.amdhsa_float_denorm_mode_32 3
		.amdhsa_float_denorm_mode_16_64 3
		.amdhsa_dx10_clamp 1
		.amdhsa_ieee_mode 1
		.amdhsa_fp16_overflow 0
		.amdhsa_tg_split 0
		.amdhsa_exception_fp_ieee_invalid_op 0
		.amdhsa_exception_fp_denorm_src 0
		.amdhsa_exception_fp_ieee_div_zero 0
		.amdhsa_exception_fp_ieee_overflow 0
		.amdhsa_exception_fp_ieee_underflow 0
		.amdhsa_exception_fp_ieee_inexact 0
		.amdhsa_exception_int_div_zero 0
	.end_amdhsa_kernel
	.section	.text._ZN7rocprim17ROCPRIM_400000_NS6detail17trampoline_kernelINS0_14default_configENS1_22reduce_config_selectorIdEEZNS1_11reduce_implILb1ES3_N6thrust23THRUST_200600_302600_NS6detail15normal_iteratorINS8_10device_ptrIdEEEEPddNS8_4plusIdEEEE10hipError_tPvRmT1_T2_T3_mT4_P12ihipStream_tbEUlT_E1_NS1_11comp_targetILNS1_3genE0ELNS1_11target_archE4294967295ELNS1_3gpuE0ELNS1_3repE0EEENS1_30default_config_static_selectorELNS0_4arch9wavefront6targetE1EEEvSK_,"axG",@progbits,_ZN7rocprim17ROCPRIM_400000_NS6detail17trampoline_kernelINS0_14default_configENS1_22reduce_config_selectorIdEEZNS1_11reduce_implILb1ES3_N6thrust23THRUST_200600_302600_NS6detail15normal_iteratorINS8_10device_ptrIdEEEEPddNS8_4plusIdEEEE10hipError_tPvRmT1_T2_T3_mT4_P12ihipStream_tbEUlT_E1_NS1_11comp_targetILNS1_3genE0ELNS1_11target_archE4294967295ELNS1_3gpuE0ELNS1_3repE0EEENS1_30default_config_static_selectorELNS0_4arch9wavefront6targetE1EEEvSK_,comdat
.Lfunc_end29:
	.size	_ZN7rocprim17ROCPRIM_400000_NS6detail17trampoline_kernelINS0_14default_configENS1_22reduce_config_selectorIdEEZNS1_11reduce_implILb1ES3_N6thrust23THRUST_200600_302600_NS6detail15normal_iteratorINS8_10device_ptrIdEEEEPddNS8_4plusIdEEEE10hipError_tPvRmT1_T2_T3_mT4_P12ihipStream_tbEUlT_E1_NS1_11comp_targetILNS1_3genE0ELNS1_11target_archE4294967295ELNS1_3gpuE0ELNS1_3repE0EEENS1_30default_config_static_selectorELNS0_4arch9wavefront6targetE1EEEvSK_, .Lfunc_end29-_ZN7rocprim17ROCPRIM_400000_NS6detail17trampoline_kernelINS0_14default_configENS1_22reduce_config_selectorIdEEZNS1_11reduce_implILb1ES3_N6thrust23THRUST_200600_302600_NS6detail15normal_iteratorINS8_10device_ptrIdEEEEPddNS8_4plusIdEEEE10hipError_tPvRmT1_T2_T3_mT4_P12ihipStream_tbEUlT_E1_NS1_11comp_targetILNS1_3genE0ELNS1_11target_archE4294967295ELNS1_3gpuE0ELNS1_3repE0EEENS1_30default_config_static_selectorELNS0_4arch9wavefront6targetE1EEEvSK_
                                        ; -- End function
	.set _ZN7rocprim17ROCPRIM_400000_NS6detail17trampoline_kernelINS0_14default_configENS1_22reduce_config_selectorIdEEZNS1_11reduce_implILb1ES3_N6thrust23THRUST_200600_302600_NS6detail15normal_iteratorINS8_10device_ptrIdEEEEPddNS8_4plusIdEEEE10hipError_tPvRmT1_T2_T3_mT4_P12ihipStream_tbEUlT_E1_NS1_11comp_targetILNS1_3genE0ELNS1_11target_archE4294967295ELNS1_3gpuE0ELNS1_3repE0EEENS1_30default_config_static_selectorELNS0_4arch9wavefront6targetE1EEEvSK_.num_vgpr, 38
	.set _ZN7rocprim17ROCPRIM_400000_NS6detail17trampoline_kernelINS0_14default_configENS1_22reduce_config_selectorIdEEZNS1_11reduce_implILb1ES3_N6thrust23THRUST_200600_302600_NS6detail15normal_iteratorINS8_10device_ptrIdEEEEPddNS8_4plusIdEEEE10hipError_tPvRmT1_T2_T3_mT4_P12ihipStream_tbEUlT_E1_NS1_11comp_targetILNS1_3genE0ELNS1_11target_archE4294967295ELNS1_3gpuE0ELNS1_3repE0EEENS1_30default_config_static_selectorELNS0_4arch9wavefront6targetE1EEEvSK_.num_agpr, 0
	.set _ZN7rocprim17ROCPRIM_400000_NS6detail17trampoline_kernelINS0_14default_configENS1_22reduce_config_selectorIdEEZNS1_11reduce_implILb1ES3_N6thrust23THRUST_200600_302600_NS6detail15normal_iteratorINS8_10device_ptrIdEEEEPddNS8_4plusIdEEEE10hipError_tPvRmT1_T2_T3_mT4_P12ihipStream_tbEUlT_E1_NS1_11comp_targetILNS1_3genE0ELNS1_11target_archE4294967295ELNS1_3gpuE0ELNS1_3repE0EEENS1_30default_config_static_selectorELNS0_4arch9wavefront6targetE1EEEvSK_.numbered_sgpr, 47
	.set _ZN7rocprim17ROCPRIM_400000_NS6detail17trampoline_kernelINS0_14default_configENS1_22reduce_config_selectorIdEEZNS1_11reduce_implILb1ES3_N6thrust23THRUST_200600_302600_NS6detail15normal_iteratorINS8_10device_ptrIdEEEEPddNS8_4plusIdEEEE10hipError_tPvRmT1_T2_T3_mT4_P12ihipStream_tbEUlT_E1_NS1_11comp_targetILNS1_3genE0ELNS1_11target_archE4294967295ELNS1_3gpuE0ELNS1_3repE0EEENS1_30default_config_static_selectorELNS0_4arch9wavefront6targetE1EEEvSK_.num_named_barrier, 0
	.set _ZN7rocprim17ROCPRIM_400000_NS6detail17trampoline_kernelINS0_14default_configENS1_22reduce_config_selectorIdEEZNS1_11reduce_implILb1ES3_N6thrust23THRUST_200600_302600_NS6detail15normal_iteratorINS8_10device_ptrIdEEEEPddNS8_4plusIdEEEE10hipError_tPvRmT1_T2_T3_mT4_P12ihipStream_tbEUlT_E1_NS1_11comp_targetILNS1_3genE0ELNS1_11target_archE4294967295ELNS1_3gpuE0ELNS1_3repE0EEENS1_30default_config_static_selectorELNS0_4arch9wavefront6targetE1EEEvSK_.private_seg_size, 0
	.set _ZN7rocprim17ROCPRIM_400000_NS6detail17trampoline_kernelINS0_14default_configENS1_22reduce_config_selectorIdEEZNS1_11reduce_implILb1ES3_N6thrust23THRUST_200600_302600_NS6detail15normal_iteratorINS8_10device_ptrIdEEEEPddNS8_4plusIdEEEE10hipError_tPvRmT1_T2_T3_mT4_P12ihipStream_tbEUlT_E1_NS1_11comp_targetILNS1_3genE0ELNS1_11target_archE4294967295ELNS1_3gpuE0ELNS1_3repE0EEENS1_30default_config_static_selectorELNS0_4arch9wavefront6targetE1EEEvSK_.uses_vcc, 1
	.set _ZN7rocprim17ROCPRIM_400000_NS6detail17trampoline_kernelINS0_14default_configENS1_22reduce_config_selectorIdEEZNS1_11reduce_implILb1ES3_N6thrust23THRUST_200600_302600_NS6detail15normal_iteratorINS8_10device_ptrIdEEEEPddNS8_4plusIdEEEE10hipError_tPvRmT1_T2_T3_mT4_P12ihipStream_tbEUlT_E1_NS1_11comp_targetILNS1_3genE0ELNS1_11target_archE4294967295ELNS1_3gpuE0ELNS1_3repE0EEENS1_30default_config_static_selectorELNS0_4arch9wavefront6targetE1EEEvSK_.uses_flat_scratch, 0
	.set _ZN7rocprim17ROCPRIM_400000_NS6detail17trampoline_kernelINS0_14default_configENS1_22reduce_config_selectorIdEEZNS1_11reduce_implILb1ES3_N6thrust23THRUST_200600_302600_NS6detail15normal_iteratorINS8_10device_ptrIdEEEEPddNS8_4plusIdEEEE10hipError_tPvRmT1_T2_T3_mT4_P12ihipStream_tbEUlT_E1_NS1_11comp_targetILNS1_3genE0ELNS1_11target_archE4294967295ELNS1_3gpuE0ELNS1_3repE0EEENS1_30default_config_static_selectorELNS0_4arch9wavefront6targetE1EEEvSK_.has_dyn_sized_stack, 0
	.set _ZN7rocprim17ROCPRIM_400000_NS6detail17trampoline_kernelINS0_14default_configENS1_22reduce_config_selectorIdEEZNS1_11reduce_implILb1ES3_N6thrust23THRUST_200600_302600_NS6detail15normal_iteratorINS8_10device_ptrIdEEEEPddNS8_4plusIdEEEE10hipError_tPvRmT1_T2_T3_mT4_P12ihipStream_tbEUlT_E1_NS1_11comp_targetILNS1_3genE0ELNS1_11target_archE4294967295ELNS1_3gpuE0ELNS1_3repE0EEENS1_30default_config_static_selectorELNS0_4arch9wavefront6targetE1EEEvSK_.has_recursion, 0
	.set _ZN7rocprim17ROCPRIM_400000_NS6detail17trampoline_kernelINS0_14default_configENS1_22reduce_config_selectorIdEEZNS1_11reduce_implILb1ES3_N6thrust23THRUST_200600_302600_NS6detail15normal_iteratorINS8_10device_ptrIdEEEEPddNS8_4plusIdEEEE10hipError_tPvRmT1_T2_T3_mT4_P12ihipStream_tbEUlT_E1_NS1_11comp_targetILNS1_3genE0ELNS1_11target_archE4294967295ELNS1_3gpuE0ELNS1_3repE0EEENS1_30default_config_static_selectorELNS0_4arch9wavefront6targetE1EEEvSK_.has_indirect_call, 0
	.section	.AMDGPU.csdata,"",@progbits
; Kernel info:
; codeLenInByte = 8928
; TotalNumSgprs: 53
; NumVgprs: 38
; NumAgprs: 0
; TotalNumVgprs: 38
; ScratchSize: 0
; MemoryBound: 0
; FloatMode: 240
; IeeeMode: 1
; LDSByteSize: 192 bytes/workgroup (compile time only)
; SGPRBlocks: 6
; VGPRBlocks: 4
; NumSGPRsForWavesPerEU: 53
; NumVGPRsForWavesPerEU: 38
; AccumOffset: 40
; Occupancy: 8
; WaveLimiterHint : 1
; COMPUTE_PGM_RSRC2:SCRATCH_EN: 0
; COMPUTE_PGM_RSRC2:USER_SGPR: 2
; COMPUTE_PGM_RSRC2:TRAP_HANDLER: 0
; COMPUTE_PGM_RSRC2:TGID_X_EN: 1
; COMPUTE_PGM_RSRC2:TGID_Y_EN: 0
; COMPUTE_PGM_RSRC2:TGID_Z_EN: 0
; COMPUTE_PGM_RSRC2:TIDIG_COMP_CNT: 0
; COMPUTE_PGM_RSRC3_GFX90A:ACCUM_OFFSET: 9
; COMPUTE_PGM_RSRC3_GFX90A:TG_SPLIT: 0
	.section	.text._ZN7rocprim17ROCPRIM_400000_NS6detail17trampoline_kernelINS0_14default_configENS1_22reduce_config_selectorIdEEZNS1_11reduce_implILb1ES3_N6thrust23THRUST_200600_302600_NS6detail15normal_iteratorINS8_10device_ptrIdEEEEPddNS8_4plusIdEEEE10hipError_tPvRmT1_T2_T3_mT4_P12ihipStream_tbEUlT_E1_NS1_11comp_targetILNS1_3genE5ELNS1_11target_archE942ELNS1_3gpuE9ELNS1_3repE0EEENS1_30default_config_static_selectorELNS0_4arch9wavefront6targetE1EEEvSK_,"axG",@progbits,_ZN7rocprim17ROCPRIM_400000_NS6detail17trampoline_kernelINS0_14default_configENS1_22reduce_config_selectorIdEEZNS1_11reduce_implILb1ES3_N6thrust23THRUST_200600_302600_NS6detail15normal_iteratorINS8_10device_ptrIdEEEEPddNS8_4plusIdEEEE10hipError_tPvRmT1_T2_T3_mT4_P12ihipStream_tbEUlT_E1_NS1_11comp_targetILNS1_3genE5ELNS1_11target_archE942ELNS1_3gpuE9ELNS1_3repE0EEENS1_30default_config_static_selectorELNS0_4arch9wavefront6targetE1EEEvSK_,comdat
	.protected	_ZN7rocprim17ROCPRIM_400000_NS6detail17trampoline_kernelINS0_14default_configENS1_22reduce_config_selectorIdEEZNS1_11reduce_implILb1ES3_N6thrust23THRUST_200600_302600_NS6detail15normal_iteratorINS8_10device_ptrIdEEEEPddNS8_4plusIdEEEE10hipError_tPvRmT1_T2_T3_mT4_P12ihipStream_tbEUlT_E1_NS1_11comp_targetILNS1_3genE5ELNS1_11target_archE942ELNS1_3gpuE9ELNS1_3repE0EEENS1_30default_config_static_selectorELNS0_4arch9wavefront6targetE1EEEvSK_ ; -- Begin function _ZN7rocprim17ROCPRIM_400000_NS6detail17trampoline_kernelINS0_14default_configENS1_22reduce_config_selectorIdEEZNS1_11reduce_implILb1ES3_N6thrust23THRUST_200600_302600_NS6detail15normal_iteratorINS8_10device_ptrIdEEEEPddNS8_4plusIdEEEE10hipError_tPvRmT1_T2_T3_mT4_P12ihipStream_tbEUlT_E1_NS1_11comp_targetILNS1_3genE5ELNS1_11target_archE942ELNS1_3gpuE9ELNS1_3repE0EEENS1_30default_config_static_selectorELNS0_4arch9wavefront6targetE1EEEvSK_
	.globl	_ZN7rocprim17ROCPRIM_400000_NS6detail17trampoline_kernelINS0_14default_configENS1_22reduce_config_selectorIdEEZNS1_11reduce_implILb1ES3_N6thrust23THRUST_200600_302600_NS6detail15normal_iteratorINS8_10device_ptrIdEEEEPddNS8_4plusIdEEEE10hipError_tPvRmT1_T2_T3_mT4_P12ihipStream_tbEUlT_E1_NS1_11comp_targetILNS1_3genE5ELNS1_11target_archE942ELNS1_3gpuE9ELNS1_3repE0EEENS1_30default_config_static_selectorELNS0_4arch9wavefront6targetE1EEEvSK_
	.p2align	8
	.type	_ZN7rocprim17ROCPRIM_400000_NS6detail17trampoline_kernelINS0_14default_configENS1_22reduce_config_selectorIdEEZNS1_11reduce_implILb1ES3_N6thrust23THRUST_200600_302600_NS6detail15normal_iteratorINS8_10device_ptrIdEEEEPddNS8_4plusIdEEEE10hipError_tPvRmT1_T2_T3_mT4_P12ihipStream_tbEUlT_E1_NS1_11comp_targetILNS1_3genE5ELNS1_11target_archE942ELNS1_3gpuE9ELNS1_3repE0EEENS1_30default_config_static_selectorELNS0_4arch9wavefront6targetE1EEEvSK_,@function
_ZN7rocprim17ROCPRIM_400000_NS6detail17trampoline_kernelINS0_14default_configENS1_22reduce_config_selectorIdEEZNS1_11reduce_implILb1ES3_N6thrust23THRUST_200600_302600_NS6detail15normal_iteratorINS8_10device_ptrIdEEEEPddNS8_4plusIdEEEE10hipError_tPvRmT1_T2_T3_mT4_P12ihipStream_tbEUlT_E1_NS1_11comp_targetILNS1_3genE5ELNS1_11target_archE942ELNS1_3gpuE9ELNS1_3repE0EEENS1_30default_config_static_selectorELNS0_4arch9wavefront6targetE1EEEvSK_: ; @_ZN7rocprim17ROCPRIM_400000_NS6detail17trampoline_kernelINS0_14default_configENS1_22reduce_config_selectorIdEEZNS1_11reduce_implILb1ES3_N6thrust23THRUST_200600_302600_NS6detail15normal_iteratorINS8_10device_ptrIdEEEEPddNS8_4plusIdEEEE10hipError_tPvRmT1_T2_T3_mT4_P12ihipStream_tbEUlT_E1_NS1_11comp_targetILNS1_3genE5ELNS1_11target_archE942ELNS1_3gpuE9ELNS1_3repE0EEENS1_30default_config_static_selectorELNS0_4arch9wavefront6targetE1EEEvSK_
; %bb.0:
	.section	.rodata,"a",@progbits
	.p2align	6, 0x0
	.amdhsa_kernel _ZN7rocprim17ROCPRIM_400000_NS6detail17trampoline_kernelINS0_14default_configENS1_22reduce_config_selectorIdEEZNS1_11reduce_implILb1ES3_N6thrust23THRUST_200600_302600_NS6detail15normal_iteratorINS8_10device_ptrIdEEEEPddNS8_4plusIdEEEE10hipError_tPvRmT1_T2_T3_mT4_P12ihipStream_tbEUlT_E1_NS1_11comp_targetILNS1_3genE5ELNS1_11target_archE942ELNS1_3gpuE9ELNS1_3repE0EEENS1_30default_config_static_selectorELNS0_4arch9wavefront6targetE1EEEvSK_
		.amdhsa_group_segment_fixed_size 0
		.amdhsa_private_segment_fixed_size 0
		.amdhsa_kernarg_size 48
		.amdhsa_user_sgpr_count 2
		.amdhsa_user_sgpr_dispatch_ptr 0
		.amdhsa_user_sgpr_queue_ptr 0
		.amdhsa_user_sgpr_kernarg_segment_ptr 1
		.amdhsa_user_sgpr_dispatch_id 0
		.amdhsa_user_sgpr_kernarg_preload_length 0
		.amdhsa_user_sgpr_kernarg_preload_offset 0
		.amdhsa_user_sgpr_private_segment_size 0
		.amdhsa_uses_dynamic_stack 0
		.amdhsa_enable_private_segment 0
		.amdhsa_system_sgpr_workgroup_id_x 1
		.amdhsa_system_sgpr_workgroup_id_y 0
		.amdhsa_system_sgpr_workgroup_id_z 0
		.amdhsa_system_sgpr_workgroup_info 0
		.amdhsa_system_vgpr_workitem_id 0
		.amdhsa_next_free_vgpr 1
		.amdhsa_next_free_sgpr 0
		.amdhsa_accum_offset 4
		.amdhsa_reserve_vcc 0
		.amdhsa_float_round_mode_32 0
		.amdhsa_float_round_mode_16_64 0
		.amdhsa_float_denorm_mode_32 3
		.amdhsa_float_denorm_mode_16_64 3
		.amdhsa_dx10_clamp 1
		.amdhsa_ieee_mode 1
		.amdhsa_fp16_overflow 0
		.amdhsa_tg_split 0
		.amdhsa_exception_fp_ieee_invalid_op 0
		.amdhsa_exception_fp_denorm_src 0
		.amdhsa_exception_fp_ieee_div_zero 0
		.amdhsa_exception_fp_ieee_overflow 0
		.amdhsa_exception_fp_ieee_underflow 0
		.amdhsa_exception_fp_ieee_inexact 0
		.amdhsa_exception_int_div_zero 0
	.end_amdhsa_kernel
	.section	.text._ZN7rocprim17ROCPRIM_400000_NS6detail17trampoline_kernelINS0_14default_configENS1_22reduce_config_selectorIdEEZNS1_11reduce_implILb1ES3_N6thrust23THRUST_200600_302600_NS6detail15normal_iteratorINS8_10device_ptrIdEEEEPddNS8_4plusIdEEEE10hipError_tPvRmT1_T2_T3_mT4_P12ihipStream_tbEUlT_E1_NS1_11comp_targetILNS1_3genE5ELNS1_11target_archE942ELNS1_3gpuE9ELNS1_3repE0EEENS1_30default_config_static_selectorELNS0_4arch9wavefront6targetE1EEEvSK_,"axG",@progbits,_ZN7rocprim17ROCPRIM_400000_NS6detail17trampoline_kernelINS0_14default_configENS1_22reduce_config_selectorIdEEZNS1_11reduce_implILb1ES3_N6thrust23THRUST_200600_302600_NS6detail15normal_iteratorINS8_10device_ptrIdEEEEPddNS8_4plusIdEEEE10hipError_tPvRmT1_T2_T3_mT4_P12ihipStream_tbEUlT_E1_NS1_11comp_targetILNS1_3genE5ELNS1_11target_archE942ELNS1_3gpuE9ELNS1_3repE0EEENS1_30default_config_static_selectorELNS0_4arch9wavefront6targetE1EEEvSK_,comdat
.Lfunc_end30:
	.size	_ZN7rocprim17ROCPRIM_400000_NS6detail17trampoline_kernelINS0_14default_configENS1_22reduce_config_selectorIdEEZNS1_11reduce_implILb1ES3_N6thrust23THRUST_200600_302600_NS6detail15normal_iteratorINS8_10device_ptrIdEEEEPddNS8_4plusIdEEEE10hipError_tPvRmT1_T2_T3_mT4_P12ihipStream_tbEUlT_E1_NS1_11comp_targetILNS1_3genE5ELNS1_11target_archE942ELNS1_3gpuE9ELNS1_3repE0EEENS1_30default_config_static_selectorELNS0_4arch9wavefront6targetE1EEEvSK_, .Lfunc_end30-_ZN7rocprim17ROCPRIM_400000_NS6detail17trampoline_kernelINS0_14default_configENS1_22reduce_config_selectorIdEEZNS1_11reduce_implILb1ES3_N6thrust23THRUST_200600_302600_NS6detail15normal_iteratorINS8_10device_ptrIdEEEEPddNS8_4plusIdEEEE10hipError_tPvRmT1_T2_T3_mT4_P12ihipStream_tbEUlT_E1_NS1_11comp_targetILNS1_3genE5ELNS1_11target_archE942ELNS1_3gpuE9ELNS1_3repE0EEENS1_30default_config_static_selectorELNS0_4arch9wavefront6targetE1EEEvSK_
                                        ; -- End function
	.set _ZN7rocprim17ROCPRIM_400000_NS6detail17trampoline_kernelINS0_14default_configENS1_22reduce_config_selectorIdEEZNS1_11reduce_implILb1ES3_N6thrust23THRUST_200600_302600_NS6detail15normal_iteratorINS8_10device_ptrIdEEEEPddNS8_4plusIdEEEE10hipError_tPvRmT1_T2_T3_mT4_P12ihipStream_tbEUlT_E1_NS1_11comp_targetILNS1_3genE5ELNS1_11target_archE942ELNS1_3gpuE9ELNS1_3repE0EEENS1_30default_config_static_selectorELNS0_4arch9wavefront6targetE1EEEvSK_.num_vgpr, 0
	.set _ZN7rocprim17ROCPRIM_400000_NS6detail17trampoline_kernelINS0_14default_configENS1_22reduce_config_selectorIdEEZNS1_11reduce_implILb1ES3_N6thrust23THRUST_200600_302600_NS6detail15normal_iteratorINS8_10device_ptrIdEEEEPddNS8_4plusIdEEEE10hipError_tPvRmT1_T2_T3_mT4_P12ihipStream_tbEUlT_E1_NS1_11comp_targetILNS1_3genE5ELNS1_11target_archE942ELNS1_3gpuE9ELNS1_3repE0EEENS1_30default_config_static_selectorELNS0_4arch9wavefront6targetE1EEEvSK_.num_agpr, 0
	.set _ZN7rocprim17ROCPRIM_400000_NS6detail17trampoline_kernelINS0_14default_configENS1_22reduce_config_selectorIdEEZNS1_11reduce_implILb1ES3_N6thrust23THRUST_200600_302600_NS6detail15normal_iteratorINS8_10device_ptrIdEEEEPddNS8_4plusIdEEEE10hipError_tPvRmT1_T2_T3_mT4_P12ihipStream_tbEUlT_E1_NS1_11comp_targetILNS1_3genE5ELNS1_11target_archE942ELNS1_3gpuE9ELNS1_3repE0EEENS1_30default_config_static_selectorELNS0_4arch9wavefront6targetE1EEEvSK_.numbered_sgpr, 0
	.set _ZN7rocprim17ROCPRIM_400000_NS6detail17trampoline_kernelINS0_14default_configENS1_22reduce_config_selectorIdEEZNS1_11reduce_implILb1ES3_N6thrust23THRUST_200600_302600_NS6detail15normal_iteratorINS8_10device_ptrIdEEEEPddNS8_4plusIdEEEE10hipError_tPvRmT1_T2_T3_mT4_P12ihipStream_tbEUlT_E1_NS1_11comp_targetILNS1_3genE5ELNS1_11target_archE942ELNS1_3gpuE9ELNS1_3repE0EEENS1_30default_config_static_selectorELNS0_4arch9wavefront6targetE1EEEvSK_.num_named_barrier, 0
	.set _ZN7rocprim17ROCPRIM_400000_NS6detail17trampoline_kernelINS0_14default_configENS1_22reduce_config_selectorIdEEZNS1_11reduce_implILb1ES3_N6thrust23THRUST_200600_302600_NS6detail15normal_iteratorINS8_10device_ptrIdEEEEPddNS8_4plusIdEEEE10hipError_tPvRmT1_T2_T3_mT4_P12ihipStream_tbEUlT_E1_NS1_11comp_targetILNS1_3genE5ELNS1_11target_archE942ELNS1_3gpuE9ELNS1_3repE0EEENS1_30default_config_static_selectorELNS0_4arch9wavefront6targetE1EEEvSK_.private_seg_size, 0
	.set _ZN7rocprim17ROCPRIM_400000_NS6detail17trampoline_kernelINS0_14default_configENS1_22reduce_config_selectorIdEEZNS1_11reduce_implILb1ES3_N6thrust23THRUST_200600_302600_NS6detail15normal_iteratorINS8_10device_ptrIdEEEEPddNS8_4plusIdEEEE10hipError_tPvRmT1_T2_T3_mT4_P12ihipStream_tbEUlT_E1_NS1_11comp_targetILNS1_3genE5ELNS1_11target_archE942ELNS1_3gpuE9ELNS1_3repE0EEENS1_30default_config_static_selectorELNS0_4arch9wavefront6targetE1EEEvSK_.uses_vcc, 0
	.set _ZN7rocprim17ROCPRIM_400000_NS6detail17trampoline_kernelINS0_14default_configENS1_22reduce_config_selectorIdEEZNS1_11reduce_implILb1ES3_N6thrust23THRUST_200600_302600_NS6detail15normal_iteratorINS8_10device_ptrIdEEEEPddNS8_4plusIdEEEE10hipError_tPvRmT1_T2_T3_mT4_P12ihipStream_tbEUlT_E1_NS1_11comp_targetILNS1_3genE5ELNS1_11target_archE942ELNS1_3gpuE9ELNS1_3repE0EEENS1_30default_config_static_selectorELNS0_4arch9wavefront6targetE1EEEvSK_.uses_flat_scratch, 0
	.set _ZN7rocprim17ROCPRIM_400000_NS6detail17trampoline_kernelINS0_14default_configENS1_22reduce_config_selectorIdEEZNS1_11reduce_implILb1ES3_N6thrust23THRUST_200600_302600_NS6detail15normal_iteratorINS8_10device_ptrIdEEEEPddNS8_4plusIdEEEE10hipError_tPvRmT1_T2_T3_mT4_P12ihipStream_tbEUlT_E1_NS1_11comp_targetILNS1_3genE5ELNS1_11target_archE942ELNS1_3gpuE9ELNS1_3repE0EEENS1_30default_config_static_selectorELNS0_4arch9wavefront6targetE1EEEvSK_.has_dyn_sized_stack, 0
	.set _ZN7rocprim17ROCPRIM_400000_NS6detail17trampoline_kernelINS0_14default_configENS1_22reduce_config_selectorIdEEZNS1_11reduce_implILb1ES3_N6thrust23THRUST_200600_302600_NS6detail15normal_iteratorINS8_10device_ptrIdEEEEPddNS8_4plusIdEEEE10hipError_tPvRmT1_T2_T3_mT4_P12ihipStream_tbEUlT_E1_NS1_11comp_targetILNS1_3genE5ELNS1_11target_archE942ELNS1_3gpuE9ELNS1_3repE0EEENS1_30default_config_static_selectorELNS0_4arch9wavefront6targetE1EEEvSK_.has_recursion, 0
	.set _ZN7rocprim17ROCPRIM_400000_NS6detail17trampoline_kernelINS0_14default_configENS1_22reduce_config_selectorIdEEZNS1_11reduce_implILb1ES3_N6thrust23THRUST_200600_302600_NS6detail15normal_iteratorINS8_10device_ptrIdEEEEPddNS8_4plusIdEEEE10hipError_tPvRmT1_T2_T3_mT4_P12ihipStream_tbEUlT_E1_NS1_11comp_targetILNS1_3genE5ELNS1_11target_archE942ELNS1_3gpuE9ELNS1_3repE0EEENS1_30default_config_static_selectorELNS0_4arch9wavefront6targetE1EEEvSK_.has_indirect_call, 0
	.section	.AMDGPU.csdata,"",@progbits
; Kernel info:
; codeLenInByte = 0
; TotalNumSgprs: 6
; NumVgprs: 0
; NumAgprs: 0
; TotalNumVgprs: 0
; ScratchSize: 0
; MemoryBound: 0
; FloatMode: 240
; IeeeMode: 1
; LDSByteSize: 0 bytes/workgroup (compile time only)
; SGPRBlocks: 0
; VGPRBlocks: 0
; NumSGPRsForWavesPerEU: 6
; NumVGPRsForWavesPerEU: 1
; AccumOffset: 4
; Occupancy: 8
; WaveLimiterHint : 0
; COMPUTE_PGM_RSRC2:SCRATCH_EN: 0
; COMPUTE_PGM_RSRC2:USER_SGPR: 2
; COMPUTE_PGM_RSRC2:TRAP_HANDLER: 0
; COMPUTE_PGM_RSRC2:TGID_X_EN: 1
; COMPUTE_PGM_RSRC2:TGID_Y_EN: 0
; COMPUTE_PGM_RSRC2:TGID_Z_EN: 0
; COMPUTE_PGM_RSRC2:TIDIG_COMP_CNT: 0
; COMPUTE_PGM_RSRC3_GFX90A:ACCUM_OFFSET: 0
; COMPUTE_PGM_RSRC3_GFX90A:TG_SPLIT: 0
	.section	.text._ZN7rocprim17ROCPRIM_400000_NS6detail17trampoline_kernelINS0_14default_configENS1_22reduce_config_selectorIdEEZNS1_11reduce_implILb1ES3_N6thrust23THRUST_200600_302600_NS6detail15normal_iteratorINS8_10device_ptrIdEEEEPddNS8_4plusIdEEEE10hipError_tPvRmT1_T2_T3_mT4_P12ihipStream_tbEUlT_E1_NS1_11comp_targetILNS1_3genE4ELNS1_11target_archE910ELNS1_3gpuE8ELNS1_3repE0EEENS1_30default_config_static_selectorELNS0_4arch9wavefront6targetE1EEEvSK_,"axG",@progbits,_ZN7rocprim17ROCPRIM_400000_NS6detail17trampoline_kernelINS0_14default_configENS1_22reduce_config_selectorIdEEZNS1_11reduce_implILb1ES3_N6thrust23THRUST_200600_302600_NS6detail15normal_iteratorINS8_10device_ptrIdEEEEPddNS8_4plusIdEEEE10hipError_tPvRmT1_T2_T3_mT4_P12ihipStream_tbEUlT_E1_NS1_11comp_targetILNS1_3genE4ELNS1_11target_archE910ELNS1_3gpuE8ELNS1_3repE0EEENS1_30default_config_static_selectorELNS0_4arch9wavefront6targetE1EEEvSK_,comdat
	.protected	_ZN7rocprim17ROCPRIM_400000_NS6detail17trampoline_kernelINS0_14default_configENS1_22reduce_config_selectorIdEEZNS1_11reduce_implILb1ES3_N6thrust23THRUST_200600_302600_NS6detail15normal_iteratorINS8_10device_ptrIdEEEEPddNS8_4plusIdEEEE10hipError_tPvRmT1_T2_T3_mT4_P12ihipStream_tbEUlT_E1_NS1_11comp_targetILNS1_3genE4ELNS1_11target_archE910ELNS1_3gpuE8ELNS1_3repE0EEENS1_30default_config_static_selectorELNS0_4arch9wavefront6targetE1EEEvSK_ ; -- Begin function _ZN7rocprim17ROCPRIM_400000_NS6detail17trampoline_kernelINS0_14default_configENS1_22reduce_config_selectorIdEEZNS1_11reduce_implILb1ES3_N6thrust23THRUST_200600_302600_NS6detail15normal_iteratorINS8_10device_ptrIdEEEEPddNS8_4plusIdEEEE10hipError_tPvRmT1_T2_T3_mT4_P12ihipStream_tbEUlT_E1_NS1_11comp_targetILNS1_3genE4ELNS1_11target_archE910ELNS1_3gpuE8ELNS1_3repE0EEENS1_30default_config_static_selectorELNS0_4arch9wavefront6targetE1EEEvSK_
	.globl	_ZN7rocprim17ROCPRIM_400000_NS6detail17trampoline_kernelINS0_14default_configENS1_22reduce_config_selectorIdEEZNS1_11reduce_implILb1ES3_N6thrust23THRUST_200600_302600_NS6detail15normal_iteratorINS8_10device_ptrIdEEEEPddNS8_4plusIdEEEE10hipError_tPvRmT1_T2_T3_mT4_P12ihipStream_tbEUlT_E1_NS1_11comp_targetILNS1_3genE4ELNS1_11target_archE910ELNS1_3gpuE8ELNS1_3repE0EEENS1_30default_config_static_selectorELNS0_4arch9wavefront6targetE1EEEvSK_
	.p2align	8
	.type	_ZN7rocprim17ROCPRIM_400000_NS6detail17trampoline_kernelINS0_14default_configENS1_22reduce_config_selectorIdEEZNS1_11reduce_implILb1ES3_N6thrust23THRUST_200600_302600_NS6detail15normal_iteratorINS8_10device_ptrIdEEEEPddNS8_4plusIdEEEE10hipError_tPvRmT1_T2_T3_mT4_P12ihipStream_tbEUlT_E1_NS1_11comp_targetILNS1_3genE4ELNS1_11target_archE910ELNS1_3gpuE8ELNS1_3repE0EEENS1_30default_config_static_selectorELNS0_4arch9wavefront6targetE1EEEvSK_,@function
_ZN7rocprim17ROCPRIM_400000_NS6detail17trampoline_kernelINS0_14default_configENS1_22reduce_config_selectorIdEEZNS1_11reduce_implILb1ES3_N6thrust23THRUST_200600_302600_NS6detail15normal_iteratorINS8_10device_ptrIdEEEEPddNS8_4plusIdEEEE10hipError_tPvRmT1_T2_T3_mT4_P12ihipStream_tbEUlT_E1_NS1_11comp_targetILNS1_3genE4ELNS1_11target_archE910ELNS1_3gpuE8ELNS1_3repE0EEENS1_30default_config_static_selectorELNS0_4arch9wavefront6targetE1EEEvSK_: ; @_ZN7rocprim17ROCPRIM_400000_NS6detail17trampoline_kernelINS0_14default_configENS1_22reduce_config_selectorIdEEZNS1_11reduce_implILb1ES3_N6thrust23THRUST_200600_302600_NS6detail15normal_iteratorINS8_10device_ptrIdEEEEPddNS8_4plusIdEEEE10hipError_tPvRmT1_T2_T3_mT4_P12ihipStream_tbEUlT_E1_NS1_11comp_targetILNS1_3genE4ELNS1_11target_archE910ELNS1_3gpuE8ELNS1_3repE0EEENS1_30default_config_static_selectorELNS0_4arch9wavefront6targetE1EEEvSK_
; %bb.0:
	.section	.rodata,"a",@progbits
	.p2align	6, 0x0
	.amdhsa_kernel _ZN7rocprim17ROCPRIM_400000_NS6detail17trampoline_kernelINS0_14default_configENS1_22reduce_config_selectorIdEEZNS1_11reduce_implILb1ES3_N6thrust23THRUST_200600_302600_NS6detail15normal_iteratorINS8_10device_ptrIdEEEEPddNS8_4plusIdEEEE10hipError_tPvRmT1_T2_T3_mT4_P12ihipStream_tbEUlT_E1_NS1_11comp_targetILNS1_3genE4ELNS1_11target_archE910ELNS1_3gpuE8ELNS1_3repE0EEENS1_30default_config_static_selectorELNS0_4arch9wavefront6targetE1EEEvSK_
		.amdhsa_group_segment_fixed_size 0
		.amdhsa_private_segment_fixed_size 0
		.amdhsa_kernarg_size 48
		.amdhsa_user_sgpr_count 2
		.amdhsa_user_sgpr_dispatch_ptr 0
		.amdhsa_user_sgpr_queue_ptr 0
		.amdhsa_user_sgpr_kernarg_segment_ptr 1
		.amdhsa_user_sgpr_dispatch_id 0
		.amdhsa_user_sgpr_kernarg_preload_length 0
		.amdhsa_user_sgpr_kernarg_preload_offset 0
		.amdhsa_user_sgpr_private_segment_size 0
		.amdhsa_uses_dynamic_stack 0
		.amdhsa_enable_private_segment 0
		.amdhsa_system_sgpr_workgroup_id_x 1
		.amdhsa_system_sgpr_workgroup_id_y 0
		.amdhsa_system_sgpr_workgroup_id_z 0
		.amdhsa_system_sgpr_workgroup_info 0
		.amdhsa_system_vgpr_workitem_id 0
		.amdhsa_next_free_vgpr 1
		.amdhsa_next_free_sgpr 0
		.amdhsa_accum_offset 4
		.amdhsa_reserve_vcc 0
		.amdhsa_float_round_mode_32 0
		.amdhsa_float_round_mode_16_64 0
		.amdhsa_float_denorm_mode_32 3
		.amdhsa_float_denorm_mode_16_64 3
		.amdhsa_dx10_clamp 1
		.amdhsa_ieee_mode 1
		.amdhsa_fp16_overflow 0
		.amdhsa_tg_split 0
		.amdhsa_exception_fp_ieee_invalid_op 0
		.amdhsa_exception_fp_denorm_src 0
		.amdhsa_exception_fp_ieee_div_zero 0
		.amdhsa_exception_fp_ieee_overflow 0
		.amdhsa_exception_fp_ieee_underflow 0
		.amdhsa_exception_fp_ieee_inexact 0
		.amdhsa_exception_int_div_zero 0
	.end_amdhsa_kernel
	.section	.text._ZN7rocprim17ROCPRIM_400000_NS6detail17trampoline_kernelINS0_14default_configENS1_22reduce_config_selectorIdEEZNS1_11reduce_implILb1ES3_N6thrust23THRUST_200600_302600_NS6detail15normal_iteratorINS8_10device_ptrIdEEEEPddNS8_4plusIdEEEE10hipError_tPvRmT1_T2_T3_mT4_P12ihipStream_tbEUlT_E1_NS1_11comp_targetILNS1_3genE4ELNS1_11target_archE910ELNS1_3gpuE8ELNS1_3repE0EEENS1_30default_config_static_selectorELNS0_4arch9wavefront6targetE1EEEvSK_,"axG",@progbits,_ZN7rocprim17ROCPRIM_400000_NS6detail17trampoline_kernelINS0_14default_configENS1_22reduce_config_selectorIdEEZNS1_11reduce_implILb1ES3_N6thrust23THRUST_200600_302600_NS6detail15normal_iteratorINS8_10device_ptrIdEEEEPddNS8_4plusIdEEEE10hipError_tPvRmT1_T2_T3_mT4_P12ihipStream_tbEUlT_E1_NS1_11comp_targetILNS1_3genE4ELNS1_11target_archE910ELNS1_3gpuE8ELNS1_3repE0EEENS1_30default_config_static_selectorELNS0_4arch9wavefront6targetE1EEEvSK_,comdat
.Lfunc_end31:
	.size	_ZN7rocprim17ROCPRIM_400000_NS6detail17trampoline_kernelINS0_14default_configENS1_22reduce_config_selectorIdEEZNS1_11reduce_implILb1ES3_N6thrust23THRUST_200600_302600_NS6detail15normal_iteratorINS8_10device_ptrIdEEEEPddNS8_4plusIdEEEE10hipError_tPvRmT1_T2_T3_mT4_P12ihipStream_tbEUlT_E1_NS1_11comp_targetILNS1_3genE4ELNS1_11target_archE910ELNS1_3gpuE8ELNS1_3repE0EEENS1_30default_config_static_selectorELNS0_4arch9wavefront6targetE1EEEvSK_, .Lfunc_end31-_ZN7rocprim17ROCPRIM_400000_NS6detail17trampoline_kernelINS0_14default_configENS1_22reduce_config_selectorIdEEZNS1_11reduce_implILb1ES3_N6thrust23THRUST_200600_302600_NS6detail15normal_iteratorINS8_10device_ptrIdEEEEPddNS8_4plusIdEEEE10hipError_tPvRmT1_T2_T3_mT4_P12ihipStream_tbEUlT_E1_NS1_11comp_targetILNS1_3genE4ELNS1_11target_archE910ELNS1_3gpuE8ELNS1_3repE0EEENS1_30default_config_static_selectorELNS0_4arch9wavefront6targetE1EEEvSK_
                                        ; -- End function
	.set _ZN7rocprim17ROCPRIM_400000_NS6detail17trampoline_kernelINS0_14default_configENS1_22reduce_config_selectorIdEEZNS1_11reduce_implILb1ES3_N6thrust23THRUST_200600_302600_NS6detail15normal_iteratorINS8_10device_ptrIdEEEEPddNS8_4plusIdEEEE10hipError_tPvRmT1_T2_T3_mT4_P12ihipStream_tbEUlT_E1_NS1_11comp_targetILNS1_3genE4ELNS1_11target_archE910ELNS1_3gpuE8ELNS1_3repE0EEENS1_30default_config_static_selectorELNS0_4arch9wavefront6targetE1EEEvSK_.num_vgpr, 0
	.set _ZN7rocprim17ROCPRIM_400000_NS6detail17trampoline_kernelINS0_14default_configENS1_22reduce_config_selectorIdEEZNS1_11reduce_implILb1ES3_N6thrust23THRUST_200600_302600_NS6detail15normal_iteratorINS8_10device_ptrIdEEEEPddNS8_4plusIdEEEE10hipError_tPvRmT1_T2_T3_mT4_P12ihipStream_tbEUlT_E1_NS1_11comp_targetILNS1_3genE4ELNS1_11target_archE910ELNS1_3gpuE8ELNS1_3repE0EEENS1_30default_config_static_selectorELNS0_4arch9wavefront6targetE1EEEvSK_.num_agpr, 0
	.set _ZN7rocprim17ROCPRIM_400000_NS6detail17trampoline_kernelINS0_14default_configENS1_22reduce_config_selectorIdEEZNS1_11reduce_implILb1ES3_N6thrust23THRUST_200600_302600_NS6detail15normal_iteratorINS8_10device_ptrIdEEEEPddNS8_4plusIdEEEE10hipError_tPvRmT1_T2_T3_mT4_P12ihipStream_tbEUlT_E1_NS1_11comp_targetILNS1_3genE4ELNS1_11target_archE910ELNS1_3gpuE8ELNS1_3repE0EEENS1_30default_config_static_selectorELNS0_4arch9wavefront6targetE1EEEvSK_.numbered_sgpr, 0
	.set _ZN7rocprim17ROCPRIM_400000_NS6detail17trampoline_kernelINS0_14default_configENS1_22reduce_config_selectorIdEEZNS1_11reduce_implILb1ES3_N6thrust23THRUST_200600_302600_NS6detail15normal_iteratorINS8_10device_ptrIdEEEEPddNS8_4plusIdEEEE10hipError_tPvRmT1_T2_T3_mT4_P12ihipStream_tbEUlT_E1_NS1_11comp_targetILNS1_3genE4ELNS1_11target_archE910ELNS1_3gpuE8ELNS1_3repE0EEENS1_30default_config_static_selectorELNS0_4arch9wavefront6targetE1EEEvSK_.num_named_barrier, 0
	.set _ZN7rocprim17ROCPRIM_400000_NS6detail17trampoline_kernelINS0_14default_configENS1_22reduce_config_selectorIdEEZNS1_11reduce_implILb1ES3_N6thrust23THRUST_200600_302600_NS6detail15normal_iteratorINS8_10device_ptrIdEEEEPddNS8_4plusIdEEEE10hipError_tPvRmT1_T2_T3_mT4_P12ihipStream_tbEUlT_E1_NS1_11comp_targetILNS1_3genE4ELNS1_11target_archE910ELNS1_3gpuE8ELNS1_3repE0EEENS1_30default_config_static_selectorELNS0_4arch9wavefront6targetE1EEEvSK_.private_seg_size, 0
	.set _ZN7rocprim17ROCPRIM_400000_NS6detail17trampoline_kernelINS0_14default_configENS1_22reduce_config_selectorIdEEZNS1_11reduce_implILb1ES3_N6thrust23THRUST_200600_302600_NS6detail15normal_iteratorINS8_10device_ptrIdEEEEPddNS8_4plusIdEEEE10hipError_tPvRmT1_T2_T3_mT4_P12ihipStream_tbEUlT_E1_NS1_11comp_targetILNS1_3genE4ELNS1_11target_archE910ELNS1_3gpuE8ELNS1_3repE0EEENS1_30default_config_static_selectorELNS0_4arch9wavefront6targetE1EEEvSK_.uses_vcc, 0
	.set _ZN7rocprim17ROCPRIM_400000_NS6detail17trampoline_kernelINS0_14default_configENS1_22reduce_config_selectorIdEEZNS1_11reduce_implILb1ES3_N6thrust23THRUST_200600_302600_NS6detail15normal_iteratorINS8_10device_ptrIdEEEEPddNS8_4plusIdEEEE10hipError_tPvRmT1_T2_T3_mT4_P12ihipStream_tbEUlT_E1_NS1_11comp_targetILNS1_3genE4ELNS1_11target_archE910ELNS1_3gpuE8ELNS1_3repE0EEENS1_30default_config_static_selectorELNS0_4arch9wavefront6targetE1EEEvSK_.uses_flat_scratch, 0
	.set _ZN7rocprim17ROCPRIM_400000_NS6detail17trampoline_kernelINS0_14default_configENS1_22reduce_config_selectorIdEEZNS1_11reduce_implILb1ES3_N6thrust23THRUST_200600_302600_NS6detail15normal_iteratorINS8_10device_ptrIdEEEEPddNS8_4plusIdEEEE10hipError_tPvRmT1_T2_T3_mT4_P12ihipStream_tbEUlT_E1_NS1_11comp_targetILNS1_3genE4ELNS1_11target_archE910ELNS1_3gpuE8ELNS1_3repE0EEENS1_30default_config_static_selectorELNS0_4arch9wavefront6targetE1EEEvSK_.has_dyn_sized_stack, 0
	.set _ZN7rocprim17ROCPRIM_400000_NS6detail17trampoline_kernelINS0_14default_configENS1_22reduce_config_selectorIdEEZNS1_11reduce_implILb1ES3_N6thrust23THRUST_200600_302600_NS6detail15normal_iteratorINS8_10device_ptrIdEEEEPddNS8_4plusIdEEEE10hipError_tPvRmT1_T2_T3_mT4_P12ihipStream_tbEUlT_E1_NS1_11comp_targetILNS1_3genE4ELNS1_11target_archE910ELNS1_3gpuE8ELNS1_3repE0EEENS1_30default_config_static_selectorELNS0_4arch9wavefront6targetE1EEEvSK_.has_recursion, 0
	.set _ZN7rocprim17ROCPRIM_400000_NS6detail17trampoline_kernelINS0_14default_configENS1_22reduce_config_selectorIdEEZNS1_11reduce_implILb1ES3_N6thrust23THRUST_200600_302600_NS6detail15normal_iteratorINS8_10device_ptrIdEEEEPddNS8_4plusIdEEEE10hipError_tPvRmT1_T2_T3_mT4_P12ihipStream_tbEUlT_E1_NS1_11comp_targetILNS1_3genE4ELNS1_11target_archE910ELNS1_3gpuE8ELNS1_3repE0EEENS1_30default_config_static_selectorELNS0_4arch9wavefront6targetE1EEEvSK_.has_indirect_call, 0
	.section	.AMDGPU.csdata,"",@progbits
; Kernel info:
; codeLenInByte = 0
; TotalNumSgprs: 6
; NumVgprs: 0
; NumAgprs: 0
; TotalNumVgprs: 0
; ScratchSize: 0
; MemoryBound: 0
; FloatMode: 240
; IeeeMode: 1
; LDSByteSize: 0 bytes/workgroup (compile time only)
; SGPRBlocks: 0
; VGPRBlocks: 0
; NumSGPRsForWavesPerEU: 6
; NumVGPRsForWavesPerEU: 1
; AccumOffset: 4
; Occupancy: 8
; WaveLimiterHint : 0
; COMPUTE_PGM_RSRC2:SCRATCH_EN: 0
; COMPUTE_PGM_RSRC2:USER_SGPR: 2
; COMPUTE_PGM_RSRC2:TRAP_HANDLER: 0
; COMPUTE_PGM_RSRC2:TGID_X_EN: 1
; COMPUTE_PGM_RSRC2:TGID_Y_EN: 0
; COMPUTE_PGM_RSRC2:TGID_Z_EN: 0
; COMPUTE_PGM_RSRC2:TIDIG_COMP_CNT: 0
; COMPUTE_PGM_RSRC3_GFX90A:ACCUM_OFFSET: 0
; COMPUTE_PGM_RSRC3_GFX90A:TG_SPLIT: 0
	.section	.text._ZN7rocprim17ROCPRIM_400000_NS6detail17trampoline_kernelINS0_14default_configENS1_22reduce_config_selectorIdEEZNS1_11reduce_implILb1ES3_N6thrust23THRUST_200600_302600_NS6detail15normal_iteratorINS8_10device_ptrIdEEEEPddNS8_4plusIdEEEE10hipError_tPvRmT1_T2_T3_mT4_P12ihipStream_tbEUlT_E1_NS1_11comp_targetILNS1_3genE3ELNS1_11target_archE908ELNS1_3gpuE7ELNS1_3repE0EEENS1_30default_config_static_selectorELNS0_4arch9wavefront6targetE1EEEvSK_,"axG",@progbits,_ZN7rocprim17ROCPRIM_400000_NS6detail17trampoline_kernelINS0_14default_configENS1_22reduce_config_selectorIdEEZNS1_11reduce_implILb1ES3_N6thrust23THRUST_200600_302600_NS6detail15normal_iteratorINS8_10device_ptrIdEEEEPddNS8_4plusIdEEEE10hipError_tPvRmT1_T2_T3_mT4_P12ihipStream_tbEUlT_E1_NS1_11comp_targetILNS1_3genE3ELNS1_11target_archE908ELNS1_3gpuE7ELNS1_3repE0EEENS1_30default_config_static_selectorELNS0_4arch9wavefront6targetE1EEEvSK_,comdat
	.protected	_ZN7rocprim17ROCPRIM_400000_NS6detail17trampoline_kernelINS0_14default_configENS1_22reduce_config_selectorIdEEZNS1_11reduce_implILb1ES3_N6thrust23THRUST_200600_302600_NS6detail15normal_iteratorINS8_10device_ptrIdEEEEPddNS8_4plusIdEEEE10hipError_tPvRmT1_T2_T3_mT4_P12ihipStream_tbEUlT_E1_NS1_11comp_targetILNS1_3genE3ELNS1_11target_archE908ELNS1_3gpuE7ELNS1_3repE0EEENS1_30default_config_static_selectorELNS0_4arch9wavefront6targetE1EEEvSK_ ; -- Begin function _ZN7rocprim17ROCPRIM_400000_NS6detail17trampoline_kernelINS0_14default_configENS1_22reduce_config_selectorIdEEZNS1_11reduce_implILb1ES3_N6thrust23THRUST_200600_302600_NS6detail15normal_iteratorINS8_10device_ptrIdEEEEPddNS8_4plusIdEEEE10hipError_tPvRmT1_T2_T3_mT4_P12ihipStream_tbEUlT_E1_NS1_11comp_targetILNS1_3genE3ELNS1_11target_archE908ELNS1_3gpuE7ELNS1_3repE0EEENS1_30default_config_static_selectorELNS0_4arch9wavefront6targetE1EEEvSK_
	.globl	_ZN7rocprim17ROCPRIM_400000_NS6detail17trampoline_kernelINS0_14default_configENS1_22reduce_config_selectorIdEEZNS1_11reduce_implILb1ES3_N6thrust23THRUST_200600_302600_NS6detail15normal_iteratorINS8_10device_ptrIdEEEEPddNS8_4plusIdEEEE10hipError_tPvRmT1_T2_T3_mT4_P12ihipStream_tbEUlT_E1_NS1_11comp_targetILNS1_3genE3ELNS1_11target_archE908ELNS1_3gpuE7ELNS1_3repE0EEENS1_30default_config_static_selectorELNS0_4arch9wavefront6targetE1EEEvSK_
	.p2align	8
	.type	_ZN7rocprim17ROCPRIM_400000_NS6detail17trampoline_kernelINS0_14default_configENS1_22reduce_config_selectorIdEEZNS1_11reduce_implILb1ES3_N6thrust23THRUST_200600_302600_NS6detail15normal_iteratorINS8_10device_ptrIdEEEEPddNS8_4plusIdEEEE10hipError_tPvRmT1_T2_T3_mT4_P12ihipStream_tbEUlT_E1_NS1_11comp_targetILNS1_3genE3ELNS1_11target_archE908ELNS1_3gpuE7ELNS1_3repE0EEENS1_30default_config_static_selectorELNS0_4arch9wavefront6targetE1EEEvSK_,@function
_ZN7rocprim17ROCPRIM_400000_NS6detail17trampoline_kernelINS0_14default_configENS1_22reduce_config_selectorIdEEZNS1_11reduce_implILb1ES3_N6thrust23THRUST_200600_302600_NS6detail15normal_iteratorINS8_10device_ptrIdEEEEPddNS8_4plusIdEEEE10hipError_tPvRmT1_T2_T3_mT4_P12ihipStream_tbEUlT_E1_NS1_11comp_targetILNS1_3genE3ELNS1_11target_archE908ELNS1_3gpuE7ELNS1_3repE0EEENS1_30default_config_static_selectorELNS0_4arch9wavefront6targetE1EEEvSK_: ; @_ZN7rocprim17ROCPRIM_400000_NS6detail17trampoline_kernelINS0_14default_configENS1_22reduce_config_selectorIdEEZNS1_11reduce_implILb1ES3_N6thrust23THRUST_200600_302600_NS6detail15normal_iteratorINS8_10device_ptrIdEEEEPddNS8_4plusIdEEEE10hipError_tPvRmT1_T2_T3_mT4_P12ihipStream_tbEUlT_E1_NS1_11comp_targetILNS1_3genE3ELNS1_11target_archE908ELNS1_3gpuE7ELNS1_3repE0EEENS1_30default_config_static_selectorELNS0_4arch9wavefront6targetE1EEEvSK_
; %bb.0:
	.section	.rodata,"a",@progbits
	.p2align	6, 0x0
	.amdhsa_kernel _ZN7rocprim17ROCPRIM_400000_NS6detail17trampoline_kernelINS0_14default_configENS1_22reduce_config_selectorIdEEZNS1_11reduce_implILb1ES3_N6thrust23THRUST_200600_302600_NS6detail15normal_iteratorINS8_10device_ptrIdEEEEPddNS8_4plusIdEEEE10hipError_tPvRmT1_T2_T3_mT4_P12ihipStream_tbEUlT_E1_NS1_11comp_targetILNS1_3genE3ELNS1_11target_archE908ELNS1_3gpuE7ELNS1_3repE0EEENS1_30default_config_static_selectorELNS0_4arch9wavefront6targetE1EEEvSK_
		.amdhsa_group_segment_fixed_size 0
		.amdhsa_private_segment_fixed_size 0
		.amdhsa_kernarg_size 48
		.amdhsa_user_sgpr_count 2
		.amdhsa_user_sgpr_dispatch_ptr 0
		.amdhsa_user_sgpr_queue_ptr 0
		.amdhsa_user_sgpr_kernarg_segment_ptr 1
		.amdhsa_user_sgpr_dispatch_id 0
		.amdhsa_user_sgpr_kernarg_preload_length 0
		.amdhsa_user_sgpr_kernarg_preload_offset 0
		.amdhsa_user_sgpr_private_segment_size 0
		.amdhsa_uses_dynamic_stack 0
		.amdhsa_enable_private_segment 0
		.amdhsa_system_sgpr_workgroup_id_x 1
		.amdhsa_system_sgpr_workgroup_id_y 0
		.amdhsa_system_sgpr_workgroup_id_z 0
		.amdhsa_system_sgpr_workgroup_info 0
		.amdhsa_system_vgpr_workitem_id 0
		.amdhsa_next_free_vgpr 1
		.amdhsa_next_free_sgpr 0
		.amdhsa_accum_offset 4
		.amdhsa_reserve_vcc 0
		.amdhsa_float_round_mode_32 0
		.amdhsa_float_round_mode_16_64 0
		.amdhsa_float_denorm_mode_32 3
		.amdhsa_float_denorm_mode_16_64 3
		.amdhsa_dx10_clamp 1
		.amdhsa_ieee_mode 1
		.amdhsa_fp16_overflow 0
		.amdhsa_tg_split 0
		.amdhsa_exception_fp_ieee_invalid_op 0
		.amdhsa_exception_fp_denorm_src 0
		.amdhsa_exception_fp_ieee_div_zero 0
		.amdhsa_exception_fp_ieee_overflow 0
		.amdhsa_exception_fp_ieee_underflow 0
		.amdhsa_exception_fp_ieee_inexact 0
		.amdhsa_exception_int_div_zero 0
	.end_amdhsa_kernel
	.section	.text._ZN7rocprim17ROCPRIM_400000_NS6detail17trampoline_kernelINS0_14default_configENS1_22reduce_config_selectorIdEEZNS1_11reduce_implILb1ES3_N6thrust23THRUST_200600_302600_NS6detail15normal_iteratorINS8_10device_ptrIdEEEEPddNS8_4plusIdEEEE10hipError_tPvRmT1_T2_T3_mT4_P12ihipStream_tbEUlT_E1_NS1_11comp_targetILNS1_3genE3ELNS1_11target_archE908ELNS1_3gpuE7ELNS1_3repE0EEENS1_30default_config_static_selectorELNS0_4arch9wavefront6targetE1EEEvSK_,"axG",@progbits,_ZN7rocprim17ROCPRIM_400000_NS6detail17trampoline_kernelINS0_14default_configENS1_22reduce_config_selectorIdEEZNS1_11reduce_implILb1ES3_N6thrust23THRUST_200600_302600_NS6detail15normal_iteratorINS8_10device_ptrIdEEEEPddNS8_4plusIdEEEE10hipError_tPvRmT1_T2_T3_mT4_P12ihipStream_tbEUlT_E1_NS1_11comp_targetILNS1_3genE3ELNS1_11target_archE908ELNS1_3gpuE7ELNS1_3repE0EEENS1_30default_config_static_selectorELNS0_4arch9wavefront6targetE1EEEvSK_,comdat
.Lfunc_end32:
	.size	_ZN7rocprim17ROCPRIM_400000_NS6detail17trampoline_kernelINS0_14default_configENS1_22reduce_config_selectorIdEEZNS1_11reduce_implILb1ES3_N6thrust23THRUST_200600_302600_NS6detail15normal_iteratorINS8_10device_ptrIdEEEEPddNS8_4plusIdEEEE10hipError_tPvRmT1_T2_T3_mT4_P12ihipStream_tbEUlT_E1_NS1_11comp_targetILNS1_3genE3ELNS1_11target_archE908ELNS1_3gpuE7ELNS1_3repE0EEENS1_30default_config_static_selectorELNS0_4arch9wavefront6targetE1EEEvSK_, .Lfunc_end32-_ZN7rocprim17ROCPRIM_400000_NS6detail17trampoline_kernelINS0_14default_configENS1_22reduce_config_selectorIdEEZNS1_11reduce_implILb1ES3_N6thrust23THRUST_200600_302600_NS6detail15normal_iteratorINS8_10device_ptrIdEEEEPddNS8_4plusIdEEEE10hipError_tPvRmT1_T2_T3_mT4_P12ihipStream_tbEUlT_E1_NS1_11comp_targetILNS1_3genE3ELNS1_11target_archE908ELNS1_3gpuE7ELNS1_3repE0EEENS1_30default_config_static_selectorELNS0_4arch9wavefront6targetE1EEEvSK_
                                        ; -- End function
	.set _ZN7rocprim17ROCPRIM_400000_NS6detail17trampoline_kernelINS0_14default_configENS1_22reduce_config_selectorIdEEZNS1_11reduce_implILb1ES3_N6thrust23THRUST_200600_302600_NS6detail15normal_iteratorINS8_10device_ptrIdEEEEPddNS8_4plusIdEEEE10hipError_tPvRmT1_T2_T3_mT4_P12ihipStream_tbEUlT_E1_NS1_11comp_targetILNS1_3genE3ELNS1_11target_archE908ELNS1_3gpuE7ELNS1_3repE0EEENS1_30default_config_static_selectorELNS0_4arch9wavefront6targetE1EEEvSK_.num_vgpr, 0
	.set _ZN7rocprim17ROCPRIM_400000_NS6detail17trampoline_kernelINS0_14default_configENS1_22reduce_config_selectorIdEEZNS1_11reduce_implILb1ES3_N6thrust23THRUST_200600_302600_NS6detail15normal_iteratorINS8_10device_ptrIdEEEEPddNS8_4plusIdEEEE10hipError_tPvRmT1_T2_T3_mT4_P12ihipStream_tbEUlT_E1_NS1_11comp_targetILNS1_3genE3ELNS1_11target_archE908ELNS1_3gpuE7ELNS1_3repE0EEENS1_30default_config_static_selectorELNS0_4arch9wavefront6targetE1EEEvSK_.num_agpr, 0
	.set _ZN7rocprim17ROCPRIM_400000_NS6detail17trampoline_kernelINS0_14default_configENS1_22reduce_config_selectorIdEEZNS1_11reduce_implILb1ES3_N6thrust23THRUST_200600_302600_NS6detail15normal_iteratorINS8_10device_ptrIdEEEEPddNS8_4plusIdEEEE10hipError_tPvRmT1_T2_T3_mT4_P12ihipStream_tbEUlT_E1_NS1_11comp_targetILNS1_3genE3ELNS1_11target_archE908ELNS1_3gpuE7ELNS1_3repE0EEENS1_30default_config_static_selectorELNS0_4arch9wavefront6targetE1EEEvSK_.numbered_sgpr, 0
	.set _ZN7rocprim17ROCPRIM_400000_NS6detail17trampoline_kernelINS0_14default_configENS1_22reduce_config_selectorIdEEZNS1_11reduce_implILb1ES3_N6thrust23THRUST_200600_302600_NS6detail15normal_iteratorINS8_10device_ptrIdEEEEPddNS8_4plusIdEEEE10hipError_tPvRmT1_T2_T3_mT4_P12ihipStream_tbEUlT_E1_NS1_11comp_targetILNS1_3genE3ELNS1_11target_archE908ELNS1_3gpuE7ELNS1_3repE0EEENS1_30default_config_static_selectorELNS0_4arch9wavefront6targetE1EEEvSK_.num_named_barrier, 0
	.set _ZN7rocprim17ROCPRIM_400000_NS6detail17trampoline_kernelINS0_14default_configENS1_22reduce_config_selectorIdEEZNS1_11reduce_implILb1ES3_N6thrust23THRUST_200600_302600_NS6detail15normal_iteratorINS8_10device_ptrIdEEEEPddNS8_4plusIdEEEE10hipError_tPvRmT1_T2_T3_mT4_P12ihipStream_tbEUlT_E1_NS1_11comp_targetILNS1_3genE3ELNS1_11target_archE908ELNS1_3gpuE7ELNS1_3repE0EEENS1_30default_config_static_selectorELNS0_4arch9wavefront6targetE1EEEvSK_.private_seg_size, 0
	.set _ZN7rocprim17ROCPRIM_400000_NS6detail17trampoline_kernelINS0_14default_configENS1_22reduce_config_selectorIdEEZNS1_11reduce_implILb1ES3_N6thrust23THRUST_200600_302600_NS6detail15normal_iteratorINS8_10device_ptrIdEEEEPddNS8_4plusIdEEEE10hipError_tPvRmT1_T2_T3_mT4_P12ihipStream_tbEUlT_E1_NS1_11comp_targetILNS1_3genE3ELNS1_11target_archE908ELNS1_3gpuE7ELNS1_3repE0EEENS1_30default_config_static_selectorELNS0_4arch9wavefront6targetE1EEEvSK_.uses_vcc, 0
	.set _ZN7rocprim17ROCPRIM_400000_NS6detail17trampoline_kernelINS0_14default_configENS1_22reduce_config_selectorIdEEZNS1_11reduce_implILb1ES3_N6thrust23THRUST_200600_302600_NS6detail15normal_iteratorINS8_10device_ptrIdEEEEPddNS8_4plusIdEEEE10hipError_tPvRmT1_T2_T3_mT4_P12ihipStream_tbEUlT_E1_NS1_11comp_targetILNS1_3genE3ELNS1_11target_archE908ELNS1_3gpuE7ELNS1_3repE0EEENS1_30default_config_static_selectorELNS0_4arch9wavefront6targetE1EEEvSK_.uses_flat_scratch, 0
	.set _ZN7rocprim17ROCPRIM_400000_NS6detail17trampoline_kernelINS0_14default_configENS1_22reduce_config_selectorIdEEZNS1_11reduce_implILb1ES3_N6thrust23THRUST_200600_302600_NS6detail15normal_iteratorINS8_10device_ptrIdEEEEPddNS8_4plusIdEEEE10hipError_tPvRmT1_T2_T3_mT4_P12ihipStream_tbEUlT_E1_NS1_11comp_targetILNS1_3genE3ELNS1_11target_archE908ELNS1_3gpuE7ELNS1_3repE0EEENS1_30default_config_static_selectorELNS0_4arch9wavefront6targetE1EEEvSK_.has_dyn_sized_stack, 0
	.set _ZN7rocprim17ROCPRIM_400000_NS6detail17trampoline_kernelINS0_14default_configENS1_22reduce_config_selectorIdEEZNS1_11reduce_implILb1ES3_N6thrust23THRUST_200600_302600_NS6detail15normal_iteratorINS8_10device_ptrIdEEEEPddNS8_4plusIdEEEE10hipError_tPvRmT1_T2_T3_mT4_P12ihipStream_tbEUlT_E1_NS1_11comp_targetILNS1_3genE3ELNS1_11target_archE908ELNS1_3gpuE7ELNS1_3repE0EEENS1_30default_config_static_selectorELNS0_4arch9wavefront6targetE1EEEvSK_.has_recursion, 0
	.set _ZN7rocprim17ROCPRIM_400000_NS6detail17trampoline_kernelINS0_14default_configENS1_22reduce_config_selectorIdEEZNS1_11reduce_implILb1ES3_N6thrust23THRUST_200600_302600_NS6detail15normal_iteratorINS8_10device_ptrIdEEEEPddNS8_4plusIdEEEE10hipError_tPvRmT1_T2_T3_mT4_P12ihipStream_tbEUlT_E1_NS1_11comp_targetILNS1_3genE3ELNS1_11target_archE908ELNS1_3gpuE7ELNS1_3repE0EEENS1_30default_config_static_selectorELNS0_4arch9wavefront6targetE1EEEvSK_.has_indirect_call, 0
	.section	.AMDGPU.csdata,"",@progbits
; Kernel info:
; codeLenInByte = 0
; TotalNumSgprs: 6
; NumVgprs: 0
; NumAgprs: 0
; TotalNumVgprs: 0
; ScratchSize: 0
; MemoryBound: 0
; FloatMode: 240
; IeeeMode: 1
; LDSByteSize: 0 bytes/workgroup (compile time only)
; SGPRBlocks: 0
; VGPRBlocks: 0
; NumSGPRsForWavesPerEU: 6
; NumVGPRsForWavesPerEU: 1
; AccumOffset: 4
; Occupancy: 8
; WaveLimiterHint : 0
; COMPUTE_PGM_RSRC2:SCRATCH_EN: 0
; COMPUTE_PGM_RSRC2:USER_SGPR: 2
; COMPUTE_PGM_RSRC2:TRAP_HANDLER: 0
; COMPUTE_PGM_RSRC2:TGID_X_EN: 1
; COMPUTE_PGM_RSRC2:TGID_Y_EN: 0
; COMPUTE_PGM_RSRC2:TGID_Z_EN: 0
; COMPUTE_PGM_RSRC2:TIDIG_COMP_CNT: 0
; COMPUTE_PGM_RSRC3_GFX90A:ACCUM_OFFSET: 0
; COMPUTE_PGM_RSRC3_GFX90A:TG_SPLIT: 0
	.section	.text._ZN7rocprim17ROCPRIM_400000_NS6detail17trampoline_kernelINS0_14default_configENS1_22reduce_config_selectorIdEEZNS1_11reduce_implILb1ES3_N6thrust23THRUST_200600_302600_NS6detail15normal_iteratorINS8_10device_ptrIdEEEEPddNS8_4plusIdEEEE10hipError_tPvRmT1_T2_T3_mT4_P12ihipStream_tbEUlT_E1_NS1_11comp_targetILNS1_3genE2ELNS1_11target_archE906ELNS1_3gpuE6ELNS1_3repE0EEENS1_30default_config_static_selectorELNS0_4arch9wavefront6targetE1EEEvSK_,"axG",@progbits,_ZN7rocprim17ROCPRIM_400000_NS6detail17trampoline_kernelINS0_14default_configENS1_22reduce_config_selectorIdEEZNS1_11reduce_implILb1ES3_N6thrust23THRUST_200600_302600_NS6detail15normal_iteratorINS8_10device_ptrIdEEEEPddNS8_4plusIdEEEE10hipError_tPvRmT1_T2_T3_mT4_P12ihipStream_tbEUlT_E1_NS1_11comp_targetILNS1_3genE2ELNS1_11target_archE906ELNS1_3gpuE6ELNS1_3repE0EEENS1_30default_config_static_selectorELNS0_4arch9wavefront6targetE1EEEvSK_,comdat
	.protected	_ZN7rocprim17ROCPRIM_400000_NS6detail17trampoline_kernelINS0_14default_configENS1_22reduce_config_selectorIdEEZNS1_11reduce_implILb1ES3_N6thrust23THRUST_200600_302600_NS6detail15normal_iteratorINS8_10device_ptrIdEEEEPddNS8_4plusIdEEEE10hipError_tPvRmT1_T2_T3_mT4_P12ihipStream_tbEUlT_E1_NS1_11comp_targetILNS1_3genE2ELNS1_11target_archE906ELNS1_3gpuE6ELNS1_3repE0EEENS1_30default_config_static_selectorELNS0_4arch9wavefront6targetE1EEEvSK_ ; -- Begin function _ZN7rocprim17ROCPRIM_400000_NS6detail17trampoline_kernelINS0_14default_configENS1_22reduce_config_selectorIdEEZNS1_11reduce_implILb1ES3_N6thrust23THRUST_200600_302600_NS6detail15normal_iteratorINS8_10device_ptrIdEEEEPddNS8_4plusIdEEEE10hipError_tPvRmT1_T2_T3_mT4_P12ihipStream_tbEUlT_E1_NS1_11comp_targetILNS1_3genE2ELNS1_11target_archE906ELNS1_3gpuE6ELNS1_3repE0EEENS1_30default_config_static_selectorELNS0_4arch9wavefront6targetE1EEEvSK_
	.globl	_ZN7rocprim17ROCPRIM_400000_NS6detail17trampoline_kernelINS0_14default_configENS1_22reduce_config_selectorIdEEZNS1_11reduce_implILb1ES3_N6thrust23THRUST_200600_302600_NS6detail15normal_iteratorINS8_10device_ptrIdEEEEPddNS8_4plusIdEEEE10hipError_tPvRmT1_T2_T3_mT4_P12ihipStream_tbEUlT_E1_NS1_11comp_targetILNS1_3genE2ELNS1_11target_archE906ELNS1_3gpuE6ELNS1_3repE0EEENS1_30default_config_static_selectorELNS0_4arch9wavefront6targetE1EEEvSK_
	.p2align	8
	.type	_ZN7rocprim17ROCPRIM_400000_NS6detail17trampoline_kernelINS0_14default_configENS1_22reduce_config_selectorIdEEZNS1_11reduce_implILb1ES3_N6thrust23THRUST_200600_302600_NS6detail15normal_iteratorINS8_10device_ptrIdEEEEPddNS8_4plusIdEEEE10hipError_tPvRmT1_T2_T3_mT4_P12ihipStream_tbEUlT_E1_NS1_11comp_targetILNS1_3genE2ELNS1_11target_archE906ELNS1_3gpuE6ELNS1_3repE0EEENS1_30default_config_static_selectorELNS0_4arch9wavefront6targetE1EEEvSK_,@function
_ZN7rocprim17ROCPRIM_400000_NS6detail17trampoline_kernelINS0_14default_configENS1_22reduce_config_selectorIdEEZNS1_11reduce_implILb1ES3_N6thrust23THRUST_200600_302600_NS6detail15normal_iteratorINS8_10device_ptrIdEEEEPddNS8_4plusIdEEEE10hipError_tPvRmT1_T2_T3_mT4_P12ihipStream_tbEUlT_E1_NS1_11comp_targetILNS1_3genE2ELNS1_11target_archE906ELNS1_3gpuE6ELNS1_3repE0EEENS1_30default_config_static_selectorELNS0_4arch9wavefront6targetE1EEEvSK_: ; @_ZN7rocprim17ROCPRIM_400000_NS6detail17trampoline_kernelINS0_14default_configENS1_22reduce_config_selectorIdEEZNS1_11reduce_implILb1ES3_N6thrust23THRUST_200600_302600_NS6detail15normal_iteratorINS8_10device_ptrIdEEEEPddNS8_4plusIdEEEE10hipError_tPvRmT1_T2_T3_mT4_P12ihipStream_tbEUlT_E1_NS1_11comp_targetILNS1_3genE2ELNS1_11target_archE906ELNS1_3gpuE6ELNS1_3repE0EEENS1_30default_config_static_selectorELNS0_4arch9wavefront6targetE1EEEvSK_
; %bb.0:
	.section	.rodata,"a",@progbits
	.p2align	6, 0x0
	.amdhsa_kernel _ZN7rocprim17ROCPRIM_400000_NS6detail17trampoline_kernelINS0_14default_configENS1_22reduce_config_selectorIdEEZNS1_11reduce_implILb1ES3_N6thrust23THRUST_200600_302600_NS6detail15normal_iteratorINS8_10device_ptrIdEEEEPddNS8_4plusIdEEEE10hipError_tPvRmT1_T2_T3_mT4_P12ihipStream_tbEUlT_E1_NS1_11comp_targetILNS1_3genE2ELNS1_11target_archE906ELNS1_3gpuE6ELNS1_3repE0EEENS1_30default_config_static_selectorELNS0_4arch9wavefront6targetE1EEEvSK_
		.amdhsa_group_segment_fixed_size 0
		.amdhsa_private_segment_fixed_size 0
		.amdhsa_kernarg_size 48
		.amdhsa_user_sgpr_count 2
		.amdhsa_user_sgpr_dispatch_ptr 0
		.amdhsa_user_sgpr_queue_ptr 0
		.amdhsa_user_sgpr_kernarg_segment_ptr 1
		.amdhsa_user_sgpr_dispatch_id 0
		.amdhsa_user_sgpr_kernarg_preload_length 0
		.amdhsa_user_sgpr_kernarg_preload_offset 0
		.amdhsa_user_sgpr_private_segment_size 0
		.amdhsa_uses_dynamic_stack 0
		.amdhsa_enable_private_segment 0
		.amdhsa_system_sgpr_workgroup_id_x 1
		.amdhsa_system_sgpr_workgroup_id_y 0
		.amdhsa_system_sgpr_workgroup_id_z 0
		.amdhsa_system_sgpr_workgroup_info 0
		.amdhsa_system_vgpr_workitem_id 0
		.amdhsa_next_free_vgpr 1
		.amdhsa_next_free_sgpr 0
		.amdhsa_accum_offset 4
		.amdhsa_reserve_vcc 0
		.amdhsa_float_round_mode_32 0
		.amdhsa_float_round_mode_16_64 0
		.amdhsa_float_denorm_mode_32 3
		.amdhsa_float_denorm_mode_16_64 3
		.amdhsa_dx10_clamp 1
		.amdhsa_ieee_mode 1
		.amdhsa_fp16_overflow 0
		.amdhsa_tg_split 0
		.amdhsa_exception_fp_ieee_invalid_op 0
		.amdhsa_exception_fp_denorm_src 0
		.amdhsa_exception_fp_ieee_div_zero 0
		.amdhsa_exception_fp_ieee_overflow 0
		.amdhsa_exception_fp_ieee_underflow 0
		.amdhsa_exception_fp_ieee_inexact 0
		.amdhsa_exception_int_div_zero 0
	.end_amdhsa_kernel
	.section	.text._ZN7rocprim17ROCPRIM_400000_NS6detail17trampoline_kernelINS0_14default_configENS1_22reduce_config_selectorIdEEZNS1_11reduce_implILb1ES3_N6thrust23THRUST_200600_302600_NS6detail15normal_iteratorINS8_10device_ptrIdEEEEPddNS8_4plusIdEEEE10hipError_tPvRmT1_T2_T3_mT4_P12ihipStream_tbEUlT_E1_NS1_11comp_targetILNS1_3genE2ELNS1_11target_archE906ELNS1_3gpuE6ELNS1_3repE0EEENS1_30default_config_static_selectorELNS0_4arch9wavefront6targetE1EEEvSK_,"axG",@progbits,_ZN7rocprim17ROCPRIM_400000_NS6detail17trampoline_kernelINS0_14default_configENS1_22reduce_config_selectorIdEEZNS1_11reduce_implILb1ES3_N6thrust23THRUST_200600_302600_NS6detail15normal_iteratorINS8_10device_ptrIdEEEEPddNS8_4plusIdEEEE10hipError_tPvRmT1_T2_T3_mT4_P12ihipStream_tbEUlT_E1_NS1_11comp_targetILNS1_3genE2ELNS1_11target_archE906ELNS1_3gpuE6ELNS1_3repE0EEENS1_30default_config_static_selectorELNS0_4arch9wavefront6targetE1EEEvSK_,comdat
.Lfunc_end33:
	.size	_ZN7rocprim17ROCPRIM_400000_NS6detail17trampoline_kernelINS0_14default_configENS1_22reduce_config_selectorIdEEZNS1_11reduce_implILb1ES3_N6thrust23THRUST_200600_302600_NS6detail15normal_iteratorINS8_10device_ptrIdEEEEPddNS8_4plusIdEEEE10hipError_tPvRmT1_T2_T3_mT4_P12ihipStream_tbEUlT_E1_NS1_11comp_targetILNS1_3genE2ELNS1_11target_archE906ELNS1_3gpuE6ELNS1_3repE0EEENS1_30default_config_static_selectorELNS0_4arch9wavefront6targetE1EEEvSK_, .Lfunc_end33-_ZN7rocprim17ROCPRIM_400000_NS6detail17trampoline_kernelINS0_14default_configENS1_22reduce_config_selectorIdEEZNS1_11reduce_implILb1ES3_N6thrust23THRUST_200600_302600_NS6detail15normal_iteratorINS8_10device_ptrIdEEEEPddNS8_4plusIdEEEE10hipError_tPvRmT1_T2_T3_mT4_P12ihipStream_tbEUlT_E1_NS1_11comp_targetILNS1_3genE2ELNS1_11target_archE906ELNS1_3gpuE6ELNS1_3repE0EEENS1_30default_config_static_selectorELNS0_4arch9wavefront6targetE1EEEvSK_
                                        ; -- End function
	.set _ZN7rocprim17ROCPRIM_400000_NS6detail17trampoline_kernelINS0_14default_configENS1_22reduce_config_selectorIdEEZNS1_11reduce_implILb1ES3_N6thrust23THRUST_200600_302600_NS6detail15normal_iteratorINS8_10device_ptrIdEEEEPddNS8_4plusIdEEEE10hipError_tPvRmT1_T2_T3_mT4_P12ihipStream_tbEUlT_E1_NS1_11comp_targetILNS1_3genE2ELNS1_11target_archE906ELNS1_3gpuE6ELNS1_3repE0EEENS1_30default_config_static_selectorELNS0_4arch9wavefront6targetE1EEEvSK_.num_vgpr, 0
	.set _ZN7rocprim17ROCPRIM_400000_NS6detail17trampoline_kernelINS0_14default_configENS1_22reduce_config_selectorIdEEZNS1_11reduce_implILb1ES3_N6thrust23THRUST_200600_302600_NS6detail15normal_iteratorINS8_10device_ptrIdEEEEPddNS8_4plusIdEEEE10hipError_tPvRmT1_T2_T3_mT4_P12ihipStream_tbEUlT_E1_NS1_11comp_targetILNS1_3genE2ELNS1_11target_archE906ELNS1_3gpuE6ELNS1_3repE0EEENS1_30default_config_static_selectorELNS0_4arch9wavefront6targetE1EEEvSK_.num_agpr, 0
	.set _ZN7rocprim17ROCPRIM_400000_NS6detail17trampoline_kernelINS0_14default_configENS1_22reduce_config_selectorIdEEZNS1_11reduce_implILb1ES3_N6thrust23THRUST_200600_302600_NS6detail15normal_iteratorINS8_10device_ptrIdEEEEPddNS8_4plusIdEEEE10hipError_tPvRmT1_T2_T3_mT4_P12ihipStream_tbEUlT_E1_NS1_11comp_targetILNS1_3genE2ELNS1_11target_archE906ELNS1_3gpuE6ELNS1_3repE0EEENS1_30default_config_static_selectorELNS0_4arch9wavefront6targetE1EEEvSK_.numbered_sgpr, 0
	.set _ZN7rocprim17ROCPRIM_400000_NS6detail17trampoline_kernelINS0_14default_configENS1_22reduce_config_selectorIdEEZNS1_11reduce_implILb1ES3_N6thrust23THRUST_200600_302600_NS6detail15normal_iteratorINS8_10device_ptrIdEEEEPddNS8_4plusIdEEEE10hipError_tPvRmT1_T2_T3_mT4_P12ihipStream_tbEUlT_E1_NS1_11comp_targetILNS1_3genE2ELNS1_11target_archE906ELNS1_3gpuE6ELNS1_3repE0EEENS1_30default_config_static_selectorELNS0_4arch9wavefront6targetE1EEEvSK_.num_named_barrier, 0
	.set _ZN7rocprim17ROCPRIM_400000_NS6detail17trampoline_kernelINS0_14default_configENS1_22reduce_config_selectorIdEEZNS1_11reduce_implILb1ES3_N6thrust23THRUST_200600_302600_NS6detail15normal_iteratorINS8_10device_ptrIdEEEEPddNS8_4plusIdEEEE10hipError_tPvRmT1_T2_T3_mT4_P12ihipStream_tbEUlT_E1_NS1_11comp_targetILNS1_3genE2ELNS1_11target_archE906ELNS1_3gpuE6ELNS1_3repE0EEENS1_30default_config_static_selectorELNS0_4arch9wavefront6targetE1EEEvSK_.private_seg_size, 0
	.set _ZN7rocprim17ROCPRIM_400000_NS6detail17trampoline_kernelINS0_14default_configENS1_22reduce_config_selectorIdEEZNS1_11reduce_implILb1ES3_N6thrust23THRUST_200600_302600_NS6detail15normal_iteratorINS8_10device_ptrIdEEEEPddNS8_4plusIdEEEE10hipError_tPvRmT1_T2_T3_mT4_P12ihipStream_tbEUlT_E1_NS1_11comp_targetILNS1_3genE2ELNS1_11target_archE906ELNS1_3gpuE6ELNS1_3repE0EEENS1_30default_config_static_selectorELNS0_4arch9wavefront6targetE1EEEvSK_.uses_vcc, 0
	.set _ZN7rocprim17ROCPRIM_400000_NS6detail17trampoline_kernelINS0_14default_configENS1_22reduce_config_selectorIdEEZNS1_11reduce_implILb1ES3_N6thrust23THRUST_200600_302600_NS6detail15normal_iteratorINS8_10device_ptrIdEEEEPddNS8_4plusIdEEEE10hipError_tPvRmT1_T2_T3_mT4_P12ihipStream_tbEUlT_E1_NS1_11comp_targetILNS1_3genE2ELNS1_11target_archE906ELNS1_3gpuE6ELNS1_3repE0EEENS1_30default_config_static_selectorELNS0_4arch9wavefront6targetE1EEEvSK_.uses_flat_scratch, 0
	.set _ZN7rocprim17ROCPRIM_400000_NS6detail17trampoline_kernelINS0_14default_configENS1_22reduce_config_selectorIdEEZNS1_11reduce_implILb1ES3_N6thrust23THRUST_200600_302600_NS6detail15normal_iteratorINS8_10device_ptrIdEEEEPddNS8_4plusIdEEEE10hipError_tPvRmT1_T2_T3_mT4_P12ihipStream_tbEUlT_E1_NS1_11comp_targetILNS1_3genE2ELNS1_11target_archE906ELNS1_3gpuE6ELNS1_3repE0EEENS1_30default_config_static_selectorELNS0_4arch9wavefront6targetE1EEEvSK_.has_dyn_sized_stack, 0
	.set _ZN7rocprim17ROCPRIM_400000_NS6detail17trampoline_kernelINS0_14default_configENS1_22reduce_config_selectorIdEEZNS1_11reduce_implILb1ES3_N6thrust23THRUST_200600_302600_NS6detail15normal_iteratorINS8_10device_ptrIdEEEEPddNS8_4plusIdEEEE10hipError_tPvRmT1_T2_T3_mT4_P12ihipStream_tbEUlT_E1_NS1_11comp_targetILNS1_3genE2ELNS1_11target_archE906ELNS1_3gpuE6ELNS1_3repE0EEENS1_30default_config_static_selectorELNS0_4arch9wavefront6targetE1EEEvSK_.has_recursion, 0
	.set _ZN7rocprim17ROCPRIM_400000_NS6detail17trampoline_kernelINS0_14default_configENS1_22reduce_config_selectorIdEEZNS1_11reduce_implILb1ES3_N6thrust23THRUST_200600_302600_NS6detail15normal_iteratorINS8_10device_ptrIdEEEEPddNS8_4plusIdEEEE10hipError_tPvRmT1_T2_T3_mT4_P12ihipStream_tbEUlT_E1_NS1_11comp_targetILNS1_3genE2ELNS1_11target_archE906ELNS1_3gpuE6ELNS1_3repE0EEENS1_30default_config_static_selectorELNS0_4arch9wavefront6targetE1EEEvSK_.has_indirect_call, 0
	.section	.AMDGPU.csdata,"",@progbits
; Kernel info:
; codeLenInByte = 0
; TotalNumSgprs: 6
; NumVgprs: 0
; NumAgprs: 0
; TotalNumVgprs: 0
; ScratchSize: 0
; MemoryBound: 0
; FloatMode: 240
; IeeeMode: 1
; LDSByteSize: 0 bytes/workgroup (compile time only)
; SGPRBlocks: 0
; VGPRBlocks: 0
; NumSGPRsForWavesPerEU: 6
; NumVGPRsForWavesPerEU: 1
; AccumOffset: 4
; Occupancy: 8
; WaveLimiterHint : 0
; COMPUTE_PGM_RSRC2:SCRATCH_EN: 0
; COMPUTE_PGM_RSRC2:USER_SGPR: 2
; COMPUTE_PGM_RSRC2:TRAP_HANDLER: 0
; COMPUTE_PGM_RSRC2:TGID_X_EN: 1
; COMPUTE_PGM_RSRC2:TGID_Y_EN: 0
; COMPUTE_PGM_RSRC2:TGID_Z_EN: 0
; COMPUTE_PGM_RSRC2:TIDIG_COMP_CNT: 0
; COMPUTE_PGM_RSRC3_GFX90A:ACCUM_OFFSET: 0
; COMPUTE_PGM_RSRC3_GFX90A:TG_SPLIT: 0
	.section	.text._ZN7rocprim17ROCPRIM_400000_NS6detail17trampoline_kernelINS0_14default_configENS1_22reduce_config_selectorIdEEZNS1_11reduce_implILb1ES3_N6thrust23THRUST_200600_302600_NS6detail15normal_iteratorINS8_10device_ptrIdEEEEPddNS8_4plusIdEEEE10hipError_tPvRmT1_T2_T3_mT4_P12ihipStream_tbEUlT_E1_NS1_11comp_targetILNS1_3genE10ELNS1_11target_archE1201ELNS1_3gpuE5ELNS1_3repE0EEENS1_30default_config_static_selectorELNS0_4arch9wavefront6targetE1EEEvSK_,"axG",@progbits,_ZN7rocprim17ROCPRIM_400000_NS6detail17trampoline_kernelINS0_14default_configENS1_22reduce_config_selectorIdEEZNS1_11reduce_implILb1ES3_N6thrust23THRUST_200600_302600_NS6detail15normal_iteratorINS8_10device_ptrIdEEEEPddNS8_4plusIdEEEE10hipError_tPvRmT1_T2_T3_mT4_P12ihipStream_tbEUlT_E1_NS1_11comp_targetILNS1_3genE10ELNS1_11target_archE1201ELNS1_3gpuE5ELNS1_3repE0EEENS1_30default_config_static_selectorELNS0_4arch9wavefront6targetE1EEEvSK_,comdat
	.protected	_ZN7rocprim17ROCPRIM_400000_NS6detail17trampoline_kernelINS0_14default_configENS1_22reduce_config_selectorIdEEZNS1_11reduce_implILb1ES3_N6thrust23THRUST_200600_302600_NS6detail15normal_iteratorINS8_10device_ptrIdEEEEPddNS8_4plusIdEEEE10hipError_tPvRmT1_T2_T3_mT4_P12ihipStream_tbEUlT_E1_NS1_11comp_targetILNS1_3genE10ELNS1_11target_archE1201ELNS1_3gpuE5ELNS1_3repE0EEENS1_30default_config_static_selectorELNS0_4arch9wavefront6targetE1EEEvSK_ ; -- Begin function _ZN7rocprim17ROCPRIM_400000_NS6detail17trampoline_kernelINS0_14default_configENS1_22reduce_config_selectorIdEEZNS1_11reduce_implILb1ES3_N6thrust23THRUST_200600_302600_NS6detail15normal_iteratorINS8_10device_ptrIdEEEEPddNS8_4plusIdEEEE10hipError_tPvRmT1_T2_T3_mT4_P12ihipStream_tbEUlT_E1_NS1_11comp_targetILNS1_3genE10ELNS1_11target_archE1201ELNS1_3gpuE5ELNS1_3repE0EEENS1_30default_config_static_selectorELNS0_4arch9wavefront6targetE1EEEvSK_
	.globl	_ZN7rocprim17ROCPRIM_400000_NS6detail17trampoline_kernelINS0_14default_configENS1_22reduce_config_selectorIdEEZNS1_11reduce_implILb1ES3_N6thrust23THRUST_200600_302600_NS6detail15normal_iteratorINS8_10device_ptrIdEEEEPddNS8_4plusIdEEEE10hipError_tPvRmT1_T2_T3_mT4_P12ihipStream_tbEUlT_E1_NS1_11comp_targetILNS1_3genE10ELNS1_11target_archE1201ELNS1_3gpuE5ELNS1_3repE0EEENS1_30default_config_static_selectorELNS0_4arch9wavefront6targetE1EEEvSK_
	.p2align	8
	.type	_ZN7rocprim17ROCPRIM_400000_NS6detail17trampoline_kernelINS0_14default_configENS1_22reduce_config_selectorIdEEZNS1_11reduce_implILb1ES3_N6thrust23THRUST_200600_302600_NS6detail15normal_iteratorINS8_10device_ptrIdEEEEPddNS8_4plusIdEEEE10hipError_tPvRmT1_T2_T3_mT4_P12ihipStream_tbEUlT_E1_NS1_11comp_targetILNS1_3genE10ELNS1_11target_archE1201ELNS1_3gpuE5ELNS1_3repE0EEENS1_30default_config_static_selectorELNS0_4arch9wavefront6targetE1EEEvSK_,@function
_ZN7rocprim17ROCPRIM_400000_NS6detail17trampoline_kernelINS0_14default_configENS1_22reduce_config_selectorIdEEZNS1_11reduce_implILb1ES3_N6thrust23THRUST_200600_302600_NS6detail15normal_iteratorINS8_10device_ptrIdEEEEPddNS8_4plusIdEEEE10hipError_tPvRmT1_T2_T3_mT4_P12ihipStream_tbEUlT_E1_NS1_11comp_targetILNS1_3genE10ELNS1_11target_archE1201ELNS1_3gpuE5ELNS1_3repE0EEENS1_30default_config_static_selectorELNS0_4arch9wavefront6targetE1EEEvSK_: ; @_ZN7rocprim17ROCPRIM_400000_NS6detail17trampoline_kernelINS0_14default_configENS1_22reduce_config_selectorIdEEZNS1_11reduce_implILb1ES3_N6thrust23THRUST_200600_302600_NS6detail15normal_iteratorINS8_10device_ptrIdEEEEPddNS8_4plusIdEEEE10hipError_tPvRmT1_T2_T3_mT4_P12ihipStream_tbEUlT_E1_NS1_11comp_targetILNS1_3genE10ELNS1_11target_archE1201ELNS1_3gpuE5ELNS1_3repE0EEENS1_30default_config_static_selectorELNS0_4arch9wavefront6targetE1EEEvSK_
; %bb.0:
	.section	.rodata,"a",@progbits
	.p2align	6, 0x0
	.amdhsa_kernel _ZN7rocprim17ROCPRIM_400000_NS6detail17trampoline_kernelINS0_14default_configENS1_22reduce_config_selectorIdEEZNS1_11reduce_implILb1ES3_N6thrust23THRUST_200600_302600_NS6detail15normal_iteratorINS8_10device_ptrIdEEEEPddNS8_4plusIdEEEE10hipError_tPvRmT1_T2_T3_mT4_P12ihipStream_tbEUlT_E1_NS1_11comp_targetILNS1_3genE10ELNS1_11target_archE1201ELNS1_3gpuE5ELNS1_3repE0EEENS1_30default_config_static_selectorELNS0_4arch9wavefront6targetE1EEEvSK_
		.amdhsa_group_segment_fixed_size 0
		.amdhsa_private_segment_fixed_size 0
		.amdhsa_kernarg_size 48
		.amdhsa_user_sgpr_count 2
		.amdhsa_user_sgpr_dispatch_ptr 0
		.amdhsa_user_sgpr_queue_ptr 0
		.amdhsa_user_sgpr_kernarg_segment_ptr 1
		.amdhsa_user_sgpr_dispatch_id 0
		.amdhsa_user_sgpr_kernarg_preload_length 0
		.amdhsa_user_sgpr_kernarg_preload_offset 0
		.amdhsa_user_sgpr_private_segment_size 0
		.amdhsa_uses_dynamic_stack 0
		.amdhsa_enable_private_segment 0
		.amdhsa_system_sgpr_workgroup_id_x 1
		.amdhsa_system_sgpr_workgroup_id_y 0
		.amdhsa_system_sgpr_workgroup_id_z 0
		.amdhsa_system_sgpr_workgroup_info 0
		.amdhsa_system_vgpr_workitem_id 0
		.amdhsa_next_free_vgpr 1
		.amdhsa_next_free_sgpr 0
		.amdhsa_accum_offset 4
		.amdhsa_reserve_vcc 0
		.amdhsa_float_round_mode_32 0
		.amdhsa_float_round_mode_16_64 0
		.amdhsa_float_denorm_mode_32 3
		.amdhsa_float_denorm_mode_16_64 3
		.amdhsa_dx10_clamp 1
		.amdhsa_ieee_mode 1
		.amdhsa_fp16_overflow 0
		.amdhsa_tg_split 0
		.amdhsa_exception_fp_ieee_invalid_op 0
		.amdhsa_exception_fp_denorm_src 0
		.amdhsa_exception_fp_ieee_div_zero 0
		.amdhsa_exception_fp_ieee_overflow 0
		.amdhsa_exception_fp_ieee_underflow 0
		.amdhsa_exception_fp_ieee_inexact 0
		.amdhsa_exception_int_div_zero 0
	.end_amdhsa_kernel
	.section	.text._ZN7rocprim17ROCPRIM_400000_NS6detail17trampoline_kernelINS0_14default_configENS1_22reduce_config_selectorIdEEZNS1_11reduce_implILb1ES3_N6thrust23THRUST_200600_302600_NS6detail15normal_iteratorINS8_10device_ptrIdEEEEPddNS8_4plusIdEEEE10hipError_tPvRmT1_T2_T3_mT4_P12ihipStream_tbEUlT_E1_NS1_11comp_targetILNS1_3genE10ELNS1_11target_archE1201ELNS1_3gpuE5ELNS1_3repE0EEENS1_30default_config_static_selectorELNS0_4arch9wavefront6targetE1EEEvSK_,"axG",@progbits,_ZN7rocprim17ROCPRIM_400000_NS6detail17trampoline_kernelINS0_14default_configENS1_22reduce_config_selectorIdEEZNS1_11reduce_implILb1ES3_N6thrust23THRUST_200600_302600_NS6detail15normal_iteratorINS8_10device_ptrIdEEEEPddNS8_4plusIdEEEE10hipError_tPvRmT1_T2_T3_mT4_P12ihipStream_tbEUlT_E1_NS1_11comp_targetILNS1_3genE10ELNS1_11target_archE1201ELNS1_3gpuE5ELNS1_3repE0EEENS1_30default_config_static_selectorELNS0_4arch9wavefront6targetE1EEEvSK_,comdat
.Lfunc_end34:
	.size	_ZN7rocprim17ROCPRIM_400000_NS6detail17trampoline_kernelINS0_14default_configENS1_22reduce_config_selectorIdEEZNS1_11reduce_implILb1ES3_N6thrust23THRUST_200600_302600_NS6detail15normal_iteratorINS8_10device_ptrIdEEEEPddNS8_4plusIdEEEE10hipError_tPvRmT1_T2_T3_mT4_P12ihipStream_tbEUlT_E1_NS1_11comp_targetILNS1_3genE10ELNS1_11target_archE1201ELNS1_3gpuE5ELNS1_3repE0EEENS1_30default_config_static_selectorELNS0_4arch9wavefront6targetE1EEEvSK_, .Lfunc_end34-_ZN7rocprim17ROCPRIM_400000_NS6detail17trampoline_kernelINS0_14default_configENS1_22reduce_config_selectorIdEEZNS1_11reduce_implILb1ES3_N6thrust23THRUST_200600_302600_NS6detail15normal_iteratorINS8_10device_ptrIdEEEEPddNS8_4plusIdEEEE10hipError_tPvRmT1_T2_T3_mT4_P12ihipStream_tbEUlT_E1_NS1_11comp_targetILNS1_3genE10ELNS1_11target_archE1201ELNS1_3gpuE5ELNS1_3repE0EEENS1_30default_config_static_selectorELNS0_4arch9wavefront6targetE1EEEvSK_
                                        ; -- End function
	.set _ZN7rocprim17ROCPRIM_400000_NS6detail17trampoline_kernelINS0_14default_configENS1_22reduce_config_selectorIdEEZNS1_11reduce_implILb1ES3_N6thrust23THRUST_200600_302600_NS6detail15normal_iteratorINS8_10device_ptrIdEEEEPddNS8_4plusIdEEEE10hipError_tPvRmT1_T2_T3_mT4_P12ihipStream_tbEUlT_E1_NS1_11comp_targetILNS1_3genE10ELNS1_11target_archE1201ELNS1_3gpuE5ELNS1_3repE0EEENS1_30default_config_static_selectorELNS0_4arch9wavefront6targetE1EEEvSK_.num_vgpr, 0
	.set _ZN7rocprim17ROCPRIM_400000_NS6detail17trampoline_kernelINS0_14default_configENS1_22reduce_config_selectorIdEEZNS1_11reduce_implILb1ES3_N6thrust23THRUST_200600_302600_NS6detail15normal_iteratorINS8_10device_ptrIdEEEEPddNS8_4plusIdEEEE10hipError_tPvRmT1_T2_T3_mT4_P12ihipStream_tbEUlT_E1_NS1_11comp_targetILNS1_3genE10ELNS1_11target_archE1201ELNS1_3gpuE5ELNS1_3repE0EEENS1_30default_config_static_selectorELNS0_4arch9wavefront6targetE1EEEvSK_.num_agpr, 0
	.set _ZN7rocprim17ROCPRIM_400000_NS6detail17trampoline_kernelINS0_14default_configENS1_22reduce_config_selectorIdEEZNS1_11reduce_implILb1ES3_N6thrust23THRUST_200600_302600_NS6detail15normal_iteratorINS8_10device_ptrIdEEEEPddNS8_4plusIdEEEE10hipError_tPvRmT1_T2_T3_mT4_P12ihipStream_tbEUlT_E1_NS1_11comp_targetILNS1_3genE10ELNS1_11target_archE1201ELNS1_3gpuE5ELNS1_3repE0EEENS1_30default_config_static_selectorELNS0_4arch9wavefront6targetE1EEEvSK_.numbered_sgpr, 0
	.set _ZN7rocprim17ROCPRIM_400000_NS6detail17trampoline_kernelINS0_14default_configENS1_22reduce_config_selectorIdEEZNS1_11reduce_implILb1ES3_N6thrust23THRUST_200600_302600_NS6detail15normal_iteratorINS8_10device_ptrIdEEEEPddNS8_4plusIdEEEE10hipError_tPvRmT1_T2_T3_mT4_P12ihipStream_tbEUlT_E1_NS1_11comp_targetILNS1_3genE10ELNS1_11target_archE1201ELNS1_3gpuE5ELNS1_3repE0EEENS1_30default_config_static_selectorELNS0_4arch9wavefront6targetE1EEEvSK_.num_named_barrier, 0
	.set _ZN7rocprim17ROCPRIM_400000_NS6detail17trampoline_kernelINS0_14default_configENS1_22reduce_config_selectorIdEEZNS1_11reduce_implILb1ES3_N6thrust23THRUST_200600_302600_NS6detail15normal_iteratorINS8_10device_ptrIdEEEEPddNS8_4plusIdEEEE10hipError_tPvRmT1_T2_T3_mT4_P12ihipStream_tbEUlT_E1_NS1_11comp_targetILNS1_3genE10ELNS1_11target_archE1201ELNS1_3gpuE5ELNS1_3repE0EEENS1_30default_config_static_selectorELNS0_4arch9wavefront6targetE1EEEvSK_.private_seg_size, 0
	.set _ZN7rocprim17ROCPRIM_400000_NS6detail17trampoline_kernelINS0_14default_configENS1_22reduce_config_selectorIdEEZNS1_11reduce_implILb1ES3_N6thrust23THRUST_200600_302600_NS6detail15normal_iteratorINS8_10device_ptrIdEEEEPddNS8_4plusIdEEEE10hipError_tPvRmT1_T2_T3_mT4_P12ihipStream_tbEUlT_E1_NS1_11comp_targetILNS1_3genE10ELNS1_11target_archE1201ELNS1_3gpuE5ELNS1_3repE0EEENS1_30default_config_static_selectorELNS0_4arch9wavefront6targetE1EEEvSK_.uses_vcc, 0
	.set _ZN7rocprim17ROCPRIM_400000_NS6detail17trampoline_kernelINS0_14default_configENS1_22reduce_config_selectorIdEEZNS1_11reduce_implILb1ES3_N6thrust23THRUST_200600_302600_NS6detail15normal_iteratorINS8_10device_ptrIdEEEEPddNS8_4plusIdEEEE10hipError_tPvRmT1_T2_T3_mT4_P12ihipStream_tbEUlT_E1_NS1_11comp_targetILNS1_3genE10ELNS1_11target_archE1201ELNS1_3gpuE5ELNS1_3repE0EEENS1_30default_config_static_selectorELNS0_4arch9wavefront6targetE1EEEvSK_.uses_flat_scratch, 0
	.set _ZN7rocprim17ROCPRIM_400000_NS6detail17trampoline_kernelINS0_14default_configENS1_22reduce_config_selectorIdEEZNS1_11reduce_implILb1ES3_N6thrust23THRUST_200600_302600_NS6detail15normal_iteratorINS8_10device_ptrIdEEEEPddNS8_4plusIdEEEE10hipError_tPvRmT1_T2_T3_mT4_P12ihipStream_tbEUlT_E1_NS1_11comp_targetILNS1_3genE10ELNS1_11target_archE1201ELNS1_3gpuE5ELNS1_3repE0EEENS1_30default_config_static_selectorELNS0_4arch9wavefront6targetE1EEEvSK_.has_dyn_sized_stack, 0
	.set _ZN7rocprim17ROCPRIM_400000_NS6detail17trampoline_kernelINS0_14default_configENS1_22reduce_config_selectorIdEEZNS1_11reduce_implILb1ES3_N6thrust23THRUST_200600_302600_NS6detail15normal_iteratorINS8_10device_ptrIdEEEEPddNS8_4plusIdEEEE10hipError_tPvRmT1_T2_T3_mT4_P12ihipStream_tbEUlT_E1_NS1_11comp_targetILNS1_3genE10ELNS1_11target_archE1201ELNS1_3gpuE5ELNS1_3repE0EEENS1_30default_config_static_selectorELNS0_4arch9wavefront6targetE1EEEvSK_.has_recursion, 0
	.set _ZN7rocprim17ROCPRIM_400000_NS6detail17trampoline_kernelINS0_14default_configENS1_22reduce_config_selectorIdEEZNS1_11reduce_implILb1ES3_N6thrust23THRUST_200600_302600_NS6detail15normal_iteratorINS8_10device_ptrIdEEEEPddNS8_4plusIdEEEE10hipError_tPvRmT1_T2_T3_mT4_P12ihipStream_tbEUlT_E1_NS1_11comp_targetILNS1_3genE10ELNS1_11target_archE1201ELNS1_3gpuE5ELNS1_3repE0EEENS1_30default_config_static_selectorELNS0_4arch9wavefront6targetE1EEEvSK_.has_indirect_call, 0
	.section	.AMDGPU.csdata,"",@progbits
; Kernel info:
; codeLenInByte = 0
; TotalNumSgprs: 6
; NumVgprs: 0
; NumAgprs: 0
; TotalNumVgprs: 0
; ScratchSize: 0
; MemoryBound: 0
; FloatMode: 240
; IeeeMode: 1
; LDSByteSize: 0 bytes/workgroup (compile time only)
; SGPRBlocks: 0
; VGPRBlocks: 0
; NumSGPRsForWavesPerEU: 6
; NumVGPRsForWavesPerEU: 1
; AccumOffset: 4
; Occupancy: 8
; WaveLimiterHint : 0
; COMPUTE_PGM_RSRC2:SCRATCH_EN: 0
; COMPUTE_PGM_RSRC2:USER_SGPR: 2
; COMPUTE_PGM_RSRC2:TRAP_HANDLER: 0
; COMPUTE_PGM_RSRC2:TGID_X_EN: 1
; COMPUTE_PGM_RSRC2:TGID_Y_EN: 0
; COMPUTE_PGM_RSRC2:TGID_Z_EN: 0
; COMPUTE_PGM_RSRC2:TIDIG_COMP_CNT: 0
; COMPUTE_PGM_RSRC3_GFX90A:ACCUM_OFFSET: 0
; COMPUTE_PGM_RSRC3_GFX90A:TG_SPLIT: 0
	.section	.text._ZN7rocprim17ROCPRIM_400000_NS6detail17trampoline_kernelINS0_14default_configENS1_22reduce_config_selectorIdEEZNS1_11reduce_implILb1ES3_N6thrust23THRUST_200600_302600_NS6detail15normal_iteratorINS8_10device_ptrIdEEEEPddNS8_4plusIdEEEE10hipError_tPvRmT1_T2_T3_mT4_P12ihipStream_tbEUlT_E1_NS1_11comp_targetILNS1_3genE10ELNS1_11target_archE1200ELNS1_3gpuE4ELNS1_3repE0EEENS1_30default_config_static_selectorELNS0_4arch9wavefront6targetE1EEEvSK_,"axG",@progbits,_ZN7rocprim17ROCPRIM_400000_NS6detail17trampoline_kernelINS0_14default_configENS1_22reduce_config_selectorIdEEZNS1_11reduce_implILb1ES3_N6thrust23THRUST_200600_302600_NS6detail15normal_iteratorINS8_10device_ptrIdEEEEPddNS8_4plusIdEEEE10hipError_tPvRmT1_T2_T3_mT4_P12ihipStream_tbEUlT_E1_NS1_11comp_targetILNS1_3genE10ELNS1_11target_archE1200ELNS1_3gpuE4ELNS1_3repE0EEENS1_30default_config_static_selectorELNS0_4arch9wavefront6targetE1EEEvSK_,comdat
	.protected	_ZN7rocprim17ROCPRIM_400000_NS6detail17trampoline_kernelINS0_14default_configENS1_22reduce_config_selectorIdEEZNS1_11reduce_implILb1ES3_N6thrust23THRUST_200600_302600_NS6detail15normal_iteratorINS8_10device_ptrIdEEEEPddNS8_4plusIdEEEE10hipError_tPvRmT1_T2_T3_mT4_P12ihipStream_tbEUlT_E1_NS1_11comp_targetILNS1_3genE10ELNS1_11target_archE1200ELNS1_3gpuE4ELNS1_3repE0EEENS1_30default_config_static_selectorELNS0_4arch9wavefront6targetE1EEEvSK_ ; -- Begin function _ZN7rocprim17ROCPRIM_400000_NS6detail17trampoline_kernelINS0_14default_configENS1_22reduce_config_selectorIdEEZNS1_11reduce_implILb1ES3_N6thrust23THRUST_200600_302600_NS6detail15normal_iteratorINS8_10device_ptrIdEEEEPddNS8_4plusIdEEEE10hipError_tPvRmT1_T2_T3_mT4_P12ihipStream_tbEUlT_E1_NS1_11comp_targetILNS1_3genE10ELNS1_11target_archE1200ELNS1_3gpuE4ELNS1_3repE0EEENS1_30default_config_static_selectorELNS0_4arch9wavefront6targetE1EEEvSK_
	.globl	_ZN7rocprim17ROCPRIM_400000_NS6detail17trampoline_kernelINS0_14default_configENS1_22reduce_config_selectorIdEEZNS1_11reduce_implILb1ES3_N6thrust23THRUST_200600_302600_NS6detail15normal_iteratorINS8_10device_ptrIdEEEEPddNS8_4plusIdEEEE10hipError_tPvRmT1_T2_T3_mT4_P12ihipStream_tbEUlT_E1_NS1_11comp_targetILNS1_3genE10ELNS1_11target_archE1200ELNS1_3gpuE4ELNS1_3repE0EEENS1_30default_config_static_selectorELNS0_4arch9wavefront6targetE1EEEvSK_
	.p2align	8
	.type	_ZN7rocprim17ROCPRIM_400000_NS6detail17trampoline_kernelINS0_14default_configENS1_22reduce_config_selectorIdEEZNS1_11reduce_implILb1ES3_N6thrust23THRUST_200600_302600_NS6detail15normal_iteratorINS8_10device_ptrIdEEEEPddNS8_4plusIdEEEE10hipError_tPvRmT1_T2_T3_mT4_P12ihipStream_tbEUlT_E1_NS1_11comp_targetILNS1_3genE10ELNS1_11target_archE1200ELNS1_3gpuE4ELNS1_3repE0EEENS1_30default_config_static_selectorELNS0_4arch9wavefront6targetE1EEEvSK_,@function
_ZN7rocprim17ROCPRIM_400000_NS6detail17trampoline_kernelINS0_14default_configENS1_22reduce_config_selectorIdEEZNS1_11reduce_implILb1ES3_N6thrust23THRUST_200600_302600_NS6detail15normal_iteratorINS8_10device_ptrIdEEEEPddNS8_4plusIdEEEE10hipError_tPvRmT1_T2_T3_mT4_P12ihipStream_tbEUlT_E1_NS1_11comp_targetILNS1_3genE10ELNS1_11target_archE1200ELNS1_3gpuE4ELNS1_3repE0EEENS1_30default_config_static_selectorELNS0_4arch9wavefront6targetE1EEEvSK_: ; @_ZN7rocprim17ROCPRIM_400000_NS6detail17trampoline_kernelINS0_14default_configENS1_22reduce_config_selectorIdEEZNS1_11reduce_implILb1ES3_N6thrust23THRUST_200600_302600_NS6detail15normal_iteratorINS8_10device_ptrIdEEEEPddNS8_4plusIdEEEE10hipError_tPvRmT1_T2_T3_mT4_P12ihipStream_tbEUlT_E1_NS1_11comp_targetILNS1_3genE10ELNS1_11target_archE1200ELNS1_3gpuE4ELNS1_3repE0EEENS1_30default_config_static_selectorELNS0_4arch9wavefront6targetE1EEEvSK_
; %bb.0:
	.section	.rodata,"a",@progbits
	.p2align	6, 0x0
	.amdhsa_kernel _ZN7rocprim17ROCPRIM_400000_NS6detail17trampoline_kernelINS0_14default_configENS1_22reduce_config_selectorIdEEZNS1_11reduce_implILb1ES3_N6thrust23THRUST_200600_302600_NS6detail15normal_iteratorINS8_10device_ptrIdEEEEPddNS8_4plusIdEEEE10hipError_tPvRmT1_T2_T3_mT4_P12ihipStream_tbEUlT_E1_NS1_11comp_targetILNS1_3genE10ELNS1_11target_archE1200ELNS1_3gpuE4ELNS1_3repE0EEENS1_30default_config_static_selectorELNS0_4arch9wavefront6targetE1EEEvSK_
		.amdhsa_group_segment_fixed_size 0
		.amdhsa_private_segment_fixed_size 0
		.amdhsa_kernarg_size 48
		.amdhsa_user_sgpr_count 2
		.amdhsa_user_sgpr_dispatch_ptr 0
		.amdhsa_user_sgpr_queue_ptr 0
		.amdhsa_user_sgpr_kernarg_segment_ptr 1
		.amdhsa_user_sgpr_dispatch_id 0
		.amdhsa_user_sgpr_kernarg_preload_length 0
		.amdhsa_user_sgpr_kernarg_preload_offset 0
		.amdhsa_user_sgpr_private_segment_size 0
		.amdhsa_uses_dynamic_stack 0
		.amdhsa_enable_private_segment 0
		.amdhsa_system_sgpr_workgroup_id_x 1
		.amdhsa_system_sgpr_workgroup_id_y 0
		.amdhsa_system_sgpr_workgroup_id_z 0
		.amdhsa_system_sgpr_workgroup_info 0
		.amdhsa_system_vgpr_workitem_id 0
		.amdhsa_next_free_vgpr 1
		.amdhsa_next_free_sgpr 0
		.amdhsa_accum_offset 4
		.amdhsa_reserve_vcc 0
		.amdhsa_float_round_mode_32 0
		.amdhsa_float_round_mode_16_64 0
		.amdhsa_float_denorm_mode_32 3
		.amdhsa_float_denorm_mode_16_64 3
		.amdhsa_dx10_clamp 1
		.amdhsa_ieee_mode 1
		.amdhsa_fp16_overflow 0
		.amdhsa_tg_split 0
		.amdhsa_exception_fp_ieee_invalid_op 0
		.amdhsa_exception_fp_denorm_src 0
		.amdhsa_exception_fp_ieee_div_zero 0
		.amdhsa_exception_fp_ieee_overflow 0
		.amdhsa_exception_fp_ieee_underflow 0
		.amdhsa_exception_fp_ieee_inexact 0
		.amdhsa_exception_int_div_zero 0
	.end_amdhsa_kernel
	.section	.text._ZN7rocprim17ROCPRIM_400000_NS6detail17trampoline_kernelINS0_14default_configENS1_22reduce_config_selectorIdEEZNS1_11reduce_implILb1ES3_N6thrust23THRUST_200600_302600_NS6detail15normal_iteratorINS8_10device_ptrIdEEEEPddNS8_4plusIdEEEE10hipError_tPvRmT1_T2_T3_mT4_P12ihipStream_tbEUlT_E1_NS1_11comp_targetILNS1_3genE10ELNS1_11target_archE1200ELNS1_3gpuE4ELNS1_3repE0EEENS1_30default_config_static_selectorELNS0_4arch9wavefront6targetE1EEEvSK_,"axG",@progbits,_ZN7rocprim17ROCPRIM_400000_NS6detail17trampoline_kernelINS0_14default_configENS1_22reduce_config_selectorIdEEZNS1_11reduce_implILb1ES3_N6thrust23THRUST_200600_302600_NS6detail15normal_iteratorINS8_10device_ptrIdEEEEPddNS8_4plusIdEEEE10hipError_tPvRmT1_T2_T3_mT4_P12ihipStream_tbEUlT_E1_NS1_11comp_targetILNS1_3genE10ELNS1_11target_archE1200ELNS1_3gpuE4ELNS1_3repE0EEENS1_30default_config_static_selectorELNS0_4arch9wavefront6targetE1EEEvSK_,comdat
.Lfunc_end35:
	.size	_ZN7rocprim17ROCPRIM_400000_NS6detail17trampoline_kernelINS0_14default_configENS1_22reduce_config_selectorIdEEZNS1_11reduce_implILb1ES3_N6thrust23THRUST_200600_302600_NS6detail15normal_iteratorINS8_10device_ptrIdEEEEPddNS8_4plusIdEEEE10hipError_tPvRmT1_T2_T3_mT4_P12ihipStream_tbEUlT_E1_NS1_11comp_targetILNS1_3genE10ELNS1_11target_archE1200ELNS1_3gpuE4ELNS1_3repE0EEENS1_30default_config_static_selectorELNS0_4arch9wavefront6targetE1EEEvSK_, .Lfunc_end35-_ZN7rocprim17ROCPRIM_400000_NS6detail17trampoline_kernelINS0_14default_configENS1_22reduce_config_selectorIdEEZNS1_11reduce_implILb1ES3_N6thrust23THRUST_200600_302600_NS6detail15normal_iteratorINS8_10device_ptrIdEEEEPddNS8_4plusIdEEEE10hipError_tPvRmT1_T2_T3_mT4_P12ihipStream_tbEUlT_E1_NS1_11comp_targetILNS1_3genE10ELNS1_11target_archE1200ELNS1_3gpuE4ELNS1_3repE0EEENS1_30default_config_static_selectorELNS0_4arch9wavefront6targetE1EEEvSK_
                                        ; -- End function
	.set _ZN7rocprim17ROCPRIM_400000_NS6detail17trampoline_kernelINS0_14default_configENS1_22reduce_config_selectorIdEEZNS1_11reduce_implILb1ES3_N6thrust23THRUST_200600_302600_NS6detail15normal_iteratorINS8_10device_ptrIdEEEEPddNS8_4plusIdEEEE10hipError_tPvRmT1_T2_T3_mT4_P12ihipStream_tbEUlT_E1_NS1_11comp_targetILNS1_3genE10ELNS1_11target_archE1200ELNS1_3gpuE4ELNS1_3repE0EEENS1_30default_config_static_selectorELNS0_4arch9wavefront6targetE1EEEvSK_.num_vgpr, 0
	.set _ZN7rocprim17ROCPRIM_400000_NS6detail17trampoline_kernelINS0_14default_configENS1_22reduce_config_selectorIdEEZNS1_11reduce_implILb1ES3_N6thrust23THRUST_200600_302600_NS6detail15normal_iteratorINS8_10device_ptrIdEEEEPddNS8_4plusIdEEEE10hipError_tPvRmT1_T2_T3_mT4_P12ihipStream_tbEUlT_E1_NS1_11comp_targetILNS1_3genE10ELNS1_11target_archE1200ELNS1_3gpuE4ELNS1_3repE0EEENS1_30default_config_static_selectorELNS0_4arch9wavefront6targetE1EEEvSK_.num_agpr, 0
	.set _ZN7rocprim17ROCPRIM_400000_NS6detail17trampoline_kernelINS0_14default_configENS1_22reduce_config_selectorIdEEZNS1_11reduce_implILb1ES3_N6thrust23THRUST_200600_302600_NS6detail15normal_iteratorINS8_10device_ptrIdEEEEPddNS8_4plusIdEEEE10hipError_tPvRmT1_T2_T3_mT4_P12ihipStream_tbEUlT_E1_NS1_11comp_targetILNS1_3genE10ELNS1_11target_archE1200ELNS1_3gpuE4ELNS1_3repE0EEENS1_30default_config_static_selectorELNS0_4arch9wavefront6targetE1EEEvSK_.numbered_sgpr, 0
	.set _ZN7rocprim17ROCPRIM_400000_NS6detail17trampoline_kernelINS0_14default_configENS1_22reduce_config_selectorIdEEZNS1_11reduce_implILb1ES3_N6thrust23THRUST_200600_302600_NS6detail15normal_iteratorINS8_10device_ptrIdEEEEPddNS8_4plusIdEEEE10hipError_tPvRmT1_T2_T3_mT4_P12ihipStream_tbEUlT_E1_NS1_11comp_targetILNS1_3genE10ELNS1_11target_archE1200ELNS1_3gpuE4ELNS1_3repE0EEENS1_30default_config_static_selectorELNS0_4arch9wavefront6targetE1EEEvSK_.num_named_barrier, 0
	.set _ZN7rocprim17ROCPRIM_400000_NS6detail17trampoline_kernelINS0_14default_configENS1_22reduce_config_selectorIdEEZNS1_11reduce_implILb1ES3_N6thrust23THRUST_200600_302600_NS6detail15normal_iteratorINS8_10device_ptrIdEEEEPddNS8_4plusIdEEEE10hipError_tPvRmT1_T2_T3_mT4_P12ihipStream_tbEUlT_E1_NS1_11comp_targetILNS1_3genE10ELNS1_11target_archE1200ELNS1_3gpuE4ELNS1_3repE0EEENS1_30default_config_static_selectorELNS0_4arch9wavefront6targetE1EEEvSK_.private_seg_size, 0
	.set _ZN7rocprim17ROCPRIM_400000_NS6detail17trampoline_kernelINS0_14default_configENS1_22reduce_config_selectorIdEEZNS1_11reduce_implILb1ES3_N6thrust23THRUST_200600_302600_NS6detail15normal_iteratorINS8_10device_ptrIdEEEEPddNS8_4plusIdEEEE10hipError_tPvRmT1_T2_T3_mT4_P12ihipStream_tbEUlT_E1_NS1_11comp_targetILNS1_3genE10ELNS1_11target_archE1200ELNS1_3gpuE4ELNS1_3repE0EEENS1_30default_config_static_selectorELNS0_4arch9wavefront6targetE1EEEvSK_.uses_vcc, 0
	.set _ZN7rocprim17ROCPRIM_400000_NS6detail17trampoline_kernelINS0_14default_configENS1_22reduce_config_selectorIdEEZNS1_11reduce_implILb1ES3_N6thrust23THRUST_200600_302600_NS6detail15normal_iteratorINS8_10device_ptrIdEEEEPddNS8_4plusIdEEEE10hipError_tPvRmT1_T2_T3_mT4_P12ihipStream_tbEUlT_E1_NS1_11comp_targetILNS1_3genE10ELNS1_11target_archE1200ELNS1_3gpuE4ELNS1_3repE0EEENS1_30default_config_static_selectorELNS0_4arch9wavefront6targetE1EEEvSK_.uses_flat_scratch, 0
	.set _ZN7rocprim17ROCPRIM_400000_NS6detail17trampoline_kernelINS0_14default_configENS1_22reduce_config_selectorIdEEZNS1_11reduce_implILb1ES3_N6thrust23THRUST_200600_302600_NS6detail15normal_iteratorINS8_10device_ptrIdEEEEPddNS8_4plusIdEEEE10hipError_tPvRmT1_T2_T3_mT4_P12ihipStream_tbEUlT_E1_NS1_11comp_targetILNS1_3genE10ELNS1_11target_archE1200ELNS1_3gpuE4ELNS1_3repE0EEENS1_30default_config_static_selectorELNS0_4arch9wavefront6targetE1EEEvSK_.has_dyn_sized_stack, 0
	.set _ZN7rocprim17ROCPRIM_400000_NS6detail17trampoline_kernelINS0_14default_configENS1_22reduce_config_selectorIdEEZNS1_11reduce_implILb1ES3_N6thrust23THRUST_200600_302600_NS6detail15normal_iteratorINS8_10device_ptrIdEEEEPddNS8_4plusIdEEEE10hipError_tPvRmT1_T2_T3_mT4_P12ihipStream_tbEUlT_E1_NS1_11comp_targetILNS1_3genE10ELNS1_11target_archE1200ELNS1_3gpuE4ELNS1_3repE0EEENS1_30default_config_static_selectorELNS0_4arch9wavefront6targetE1EEEvSK_.has_recursion, 0
	.set _ZN7rocprim17ROCPRIM_400000_NS6detail17trampoline_kernelINS0_14default_configENS1_22reduce_config_selectorIdEEZNS1_11reduce_implILb1ES3_N6thrust23THRUST_200600_302600_NS6detail15normal_iteratorINS8_10device_ptrIdEEEEPddNS8_4plusIdEEEE10hipError_tPvRmT1_T2_T3_mT4_P12ihipStream_tbEUlT_E1_NS1_11comp_targetILNS1_3genE10ELNS1_11target_archE1200ELNS1_3gpuE4ELNS1_3repE0EEENS1_30default_config_static_selectorELNS0_4arch9wavefront6targetE1EEEvSK_.has_indirect_call, 0
	.section	.AMDGPU.csdata,"",@progbits
; Kernel info:
; codeLenInByte = 0
; TotalNumSgprs: 6
; NumVgprs: 0
; NumAgprs: 0
; TotalNumVgprs: 0
; ScratchSize: 0
; MemoryBound: 0
; FloatMode: 240
; IeeeMode: 1
; LDSByteSize: 0 bytes/workgroup (compile time only)
; SGPRBlocks: 0
; VGPRBlocks: 0
; NumSGPRsForWavesPerEU: 6
; NumVGPRsForWavesPerEU: 1
; AccumOffset: 4
; Occupancy: 8
; WaveLimiterHint : 0
; COMPUTE_PGM_RSRC2:SCRATCH_EN: 0
; COMPUTE_PGM_RSRC2:USER_SGPR: 2
; COMPUTE_PGM_RSRC2:TRAP_HANDLER: 0
; COMPUTE_PGM_RSRC2:TGID_X_EN: 1
; COMPUTE_PGM_RSRC2:TGID_Y_EN: 0
; COMPUTE_PGM_RSRC2:TGID_Z_EN: 0
; COMPUTE_PGM_RSRC2:TIDIG_COMP_CNT: 0
; COMPUTE_PGM_RSRC3_GFX90A:ACCUM_OFFSET: 0
; COMPUTE_PGM_RSRC3_GFX90A:TG_SPLIT: 0
	.section	.text._ZN7rocprim17ROCPRIM_400000_NS6detail17trampoline_kernelINS0_14default_configENS1_22reduce_config_selectorIdEEZNS1_11reduce_implILb1ES3_N6thrust23THRUST_200600_302600_NS6detail15normal_iteratorINS8_10device_ptrIdEEEEPddNS8_4plusIdEEEE10hipError_tPvRmT1_T2_T3_mT4_P12ihipStream_tbEUlT_E1_NS1_11comp_targetILNS1_3genE9ELNS1_11target_archE1100ELNS1_3gpuE3ELNS1_3repE0EEENS1_30default_config_static_selectorELNS0_4arch9wavefront6targetE1EEEvSK_,"axG",@progbits,_ZN7rocprim17ROCPRIM_400000_NS6detail17trampoline_kernelINS0_14default_configENS1_22reduce_config_selectorIdEEZNS1_11reduce_implILb1ES3_N6thrust23THRUST_200600_302600_NS6detail15normal_iteratorINS8_10device_ptrIdEEEEPddNS8_4plusIdEEEE10hipError_tPvRmT1_T2_T3_mT4_P12ihipStream_tbEUlT_E1_NS1_11comp_targetILNS1_3genE9ELNS1_11target_archE1100ELNS1_3gpuE3ELNS1_3repE0EEENS1_30default_config_static_selectorELNS0_4arch9wavefront6targetE1EEEvSK_,comdat
	.protected	_ZN7rocprim17ROCPRIM_400000_NS6detail17trampoline_kernelINS0_14default_configENS1_22reduce_config_selectorIdEEZNS1_11reduce_implILb1ES3_N6thrust23THRUST_200600_302600_NS6detail15normal_iteratorINS8_10device_ptrIdEEEEPddNS8_4plusIdEEEE10hipError_tPvRmT1_T2_T3_mT4_P12ihipStream_tbEUlT_E1_NS1_11comp_targetILNS1_3genE9ELNS1_11target_archE1100ELNS1_3gpuE3ELNS1_3repE0EEENS1_30default_config_static_selectorELNS0_4arch9wavefront6targetE1EEEvSK_ ; -- Begin function _ZN7rocprim17ROCPRIM_400000_NS6detail17trampoline_kernelINS0_14default_configENS1_22reduce_config_selectorIdEEZNS1_11reduce_implILb1ES3_N6thrust23THRUST_200600_302600_NS6detail15normal_iteratorINS8_10device_ptrIdEEEEPddNS8_4plusIdEEEE10hipError_tPvRmT1_T2_T3_mT4_P12ihipStream_tbEUlT_E1_NS1_11comp_targetILNS1_3genE9ELNS1_11target_archE1100ELNS1_3gpuE3ELNS1_3repE0EEENS1_30default_config_static_selectorELNS0_4arch9wavefront6targetE1EEEvSK_
	.globl	_ZN7rocprim17ROCPRIM_400000_NS6detail17trampoline_kernelINS0_14default_configENS1_22reduce_config_selectorIdEEZNS1_11reduce_implILb1ES3_N6thrust23THRUST_200600_302600_NS6detail15normal_iteratorINS8_10device_ptrIdEEEEPddNS8_4plusIdEEEE10hipError_tPvRmT1_T2_T3_mT4_P12ihipStream_tbEUlT_E1_NS1_11comp_targetILNS1_3genE9ELNS1_11target_archE1100ELNS1_3gpuE3ELNS1_3repE0EEENS1_30default_config_static_selectorELNS0_4arch9wavefront6targetE1EEEvSK_
	.p2align	8
	.type	_ZN7rocprim17ROCPRIM_400000_NS6detail17trampoline_kernelINS0_14default_configENS1_22reduce_config_selectorIdEEZNS1_11reduce_implILb1ES3_N6thrust23THRUST_200600_302600_NS6detail15normal_iteratorINS8_10device_ptrIdEEEEPddNS8_4plusIdEEEE10hipError_tPvRmT1_T2_T3_mT4_P12ihipStream_tbEUlT_E1_NS1_11comp_targetILNS1_3genE9ELNS1_11target_archE1100ELNS1_3gpuE3ELNS1_3repE0EEENS1_30default_config_static_selectorELNS0_4arch9wavefront6targetE1EEEvSK_,@function
_ZN7rocprim17ROCPRIM_400000_NS6detail17trampoline_kernelINS0_14default_configENS1_22reduce_config_selectorIdEEZNS1_11reduce_implILb1ES3_N6thrust23THRUST_200600_302600_NS6detail15normal_iteratorINS8_10device_ptrIdEEEEPddNS8_4plusIdEEEE10hipError_tPvRmT1_T2_T3_mT4_P12ihipStream_tbEUlT_E1_NS1_11comp_targetILNS1_3genE9ELNS1_11target_archE1100ELNS1_3gpuE3ELNS1_3repE0EEENS1_30default_config_static_selectorELNS0_4arch9wavefront6targetE1EEEvSK_: ; @_ZN7rocprim17ROCPRIM_400000_NS6detail17trampoline_kernelINS0_14default_configENS1_22reduce_config_selectorIdEEZNS1_11reduce_implILb1ES3_N6thrust23THRUST_200600_302600_NS6detail15normal_iteratorINS8_10device_ptrIdEEEEPddNS8_4plusIdEEEE10hipError_tPvRmT1_T2_T3_mT4_P12ihipStream_tbEUlT_E1_NS1_11comp_targetILNS1_3genE9ELNS1_11target_archE1100ELNS1_3gpuE3ELNS1_3repE0EEENS1_30default_config_static_selectorELNS0_4arch9wavefront6targetE1EEEvSK_
; %bb.0:
	.section	.rodata,"a",@progbits
	.p2align	6, 0x0
	.amdhsa_kernel _ZN7rocprim17ROCPRIM_400000_NS6detail17trampoline_kernelINS0_14default_configENS1_22reduce_config_selectorIdEEZNS1_11reduce_implILb1ES3_N6thrust23THRUST_200600_302600_NS6detail15normal_iteratorINS8_10device_ptrIdEEEEPddNS8_4plusIdEEEE10hipError_tPvRmT1_T2_T3_mT4_P12ihipStream_tbEUlT_E1_NS1_11comp_targetILNS1_3genE9ELNS1_11target_archE1100ELNS1_3gpuE3ELNS1_3repE0EEENS1_30default_config_static_selectorELNS0_4arch9wavefront6targetE1EEEvSK_
		.amdhsa_group_segment_fixed_size 0
		.amdhsa_private_segment_fixed_size 0
		.amdhsa_kernarg_size 48
		.amdhsa_user_sgpr_count 2
		.amdhsa_user_sgpr_dispatch_ptr 0
		.amdhsa_user_sgpr_queue_ptr 0
		.amdhsa_user_sgpr_kernarg_segment_ptr 1
		.amdhsa_user_sgpr_dispatch_id 0
		.amdhsa_user_sgpr_kernarg_preload_length 0
		.amdhsa_user_sgpr_kernarg_preload_offset 0
		.amdhsa_user_sgpr_private_segment_size 0
		.amdhsa_uses_dynamic_stack 0
		.amdhsa_enable_private_segment 0
		.amdhsa_system_sgpr_workgroup_id_x 1
		.amdhsa_system_sgpr_workgroup_id_y 0
		.amdhsa_system_sgpr_workgroup_id_z 0
		.amdhsa_system_sgpr_workgroup_info 0
		.amdhsa_system_vgpr_workitem_id 0
		.amdhsa_next_free_vgpr 1
		.amdhsa_next_free_sgpr 0
		.amdhsa_accum_offset 4
		.amdhsa_reserve_vcc 0
		.amdhsa_float_round_mode_32 0
		.amdhsa_float_round_mode_16_64 0
		.amdhsa_float_denorm_mode_32 3
		.amdhsa_float_denorm_mode_16_64 3
		.amdhsa_dx10_clamp 1
		.amdhsa_ieee_mode 1
		.amdhsa_fp16_overflow 0
		.amdhsa_tg_split 0
		.amdhsa_exception_fp_ieee_invalid_op 0
		.amdhsa_exception_fp_denorm_src 0
		.amdhsa_exception_fp_ieee_div_zero 0
		.amdhsa_exception_fp_ieee_overflow 0
		.amdhsa_exception_fp_ieee_underflow 0
		.amdhsa_exception_fp_ieee_inexact 0
		.amdhsa_exception_int_div_zero 0
	.end_amdhsa_kernel
	.section	.text._ZN7rocprim17ROCPRIM_400000_NS6detail17trampoline_kernelINS0_14default_configENS1_22reduce_config_selectorIdEEZNS1_11reduce_implILb1ES3_N6thrust23THRUST_200600_302600_NS6detail15normal_iteratorINS8_10device_ptrIdEEEEPddNS8_4plusIdEEEE10hipError_tPvRmT1_T2_T3_mT4_P12ihipStream_tbEUlT_E1_NS1_11comp_targetILNS1_3genE9ELNS1_11target_archE1100ELNS1_3gpuE3ELNS1_3repE0EEENS1_30default_config_static_selectorELNS0_4arch9wavefront6targetE1EEEvSK_,"axG",@progbits,_ZN7rocprim17ROCPRIM_400000_NS6detail17trampoline_kernelINS0_14default_configENS1_22reduce_config_selectorIdEEZNS1_11reduce_implILb1ES3_N6thrust23THRUST_200600_302600_NS6detail15normal_iteratorINS8_10device_ptrIdEEEEPddNS8_4plusIdEEEE10hipError_tPvRmT1_T2_T3_mT4_P12ihipStream_tbEUlT_E1_NS1_11comp_targetILNS1_3genE9ELNS1_11target_archE1100ELNS1_3gpuE3ELNS1_3repE0EEENS1_30default_config_static_selectorELNS0_4arch9wavefront6targetE1EEEvSK_,comdat
.Lfunc_end36:
	.size	_ZN7rocprim17ROCPRIM_400000_NS6detail17trampoline_kernelINS0_14default_configENS1_22reduce_config_selectorIdEEZNS1_11reduce_implILb1ES3_N6thrust23THRUST_200600_302600_NS6detail15normal_iteratorINS8_10device_ptrIdEEEEPddNS8_4plusIdEEEE10hipError_tPvRmT1_T2_T3_mT4_P12ihipStream_tbEUlT_E1_NS1_11comp_targetILNS1_3genE9ELNS1_11target_archE1100ELNS1_3gpuE3ELNS1_3repE0EEENS1_30default_config_static_selectorELNS0_4arch9wavefront6targetE1EEEvSK_, .Lfunc_end36-_ZN7rocprim17ROCPRIM_400000_NS6detail17trampoline_kernelINS0_14default_configENS1_22reduce_config_selectorIdEEZNS1_11reduce_implILb1ES3_N6thrust23THRUST_200600_302600_NS6detail15normal_iteratorINS8_10device_ptrIdEEEEPddNS8_4plusIdEEEE10hipError_tPvRmT1_T2_T3_mT4_P12ihipStream_tbEUlT_E1_NS1_11comp_targetILNS1_3genE9ELNS1_11target_archE1100ELNS1_3gpuE3ELNS1_3repE0EEENS1_30default_config_static_selectorELNS0_4arch9wavefront6targetE1EEEvSK_
                                        ; -- End function
	.set _ZN7rocprim17ROCPRIM_400000_NS6detail17trampoline_kernelINS0_14default_configENS1_22reduce_config_selectorIdEEZNS1_11reduce_implILb1ES3_N6thrust23THRUST_200600_302600_NS6detail15normal_iteratorINS8_10device_ptrIdEEEEPddNS8_4plusIdEEEE10hipError_tPvRmT1_T2_T3_mT4_P12ihipStream_tbEUlT_E1_NS1_11comp_targetILNS1_3genE9ELNS1_11target_archE1100ELNS1_3gpuE3ELNS1_3repE0EEENS1_30default_config_static_selectorELNS0_4arch9wavefront6targetE1EEEvSK_.num_vgpr, 0
	.set _ZN7rocprim17ROCPRIM_400000_NS6detail17trampoline_kernelINS0_14default_configENS1_22reduce_config_selectorIdEEZNS1_11reduce_implILb1ES3_N6thrust23THRUST_200600_302600_NS6detail15normal_iteratorINS8_10device_ptrIdEEEEPddNS8_4plusIdEEEE10hipError_tPvRmT1_T2_T3_mT4_P12ihipStream_tbEUlT_E1_NS1_11comp_targetILNS1_3genE9ELNS1_11target_archE1100ELNS1_3gpuE3ELNS1_3repE0EEENS1_30default_config_static_selectorELNS0_4arch9wavefront6targetE1EEEvSK_.num_agpr, 0
	.set _ZN7rocprim17ROCPRIM_400000_NS6detail17trampoline_kernelINS0_14default_configENS1_22reduce_config_selectorIdEEZNS1_11reduce_implILb1ES3_N6thrust23THRUST_200600_302600_NS6detail15normal_iteratorINS8_10device_ptrIdEEEEPddNS8_4plusIdEEEE10hipError_tPvRmT1_T2_T3_mT4_P12ihipStream_tbEUlT_E1_NS1_11comp_targetILNS1_3genE9ELNS1_11target_archE1100ELNS1_3gpuE3ELNS1_3repE0EEENS1_30default_config_static_selectorELNS0_4arch9wavefront6targetE1EEEvSK_.numbered_sgpr, 0
	.set _ZN7rocprim17ROCPRIM_400000_NS6detail17trampoline_kernelINS0_14default_configENS1_22reduce_config_selectorIdEEZNS1_11reduce_implILb1ES3_N6thrust23THRUST_200600_302600_NS6detail15normal_iteratorINS8_10device_ptrIdEEEEPddNS8_4plusIdEEEE10hipError_tPvRmT1_T2_T3_mT4_P12ihipStream_tbEUlT_E1_NS1_11comp_targetILNS1_3genE9ELNS1_11target_archE1100ELNS1_3gpuE3ELNS1_3repE0EEENS1_30default_config_static_selectorELNS0_4arch9wavefront6targetE1EEEvSK_.num_named_barrier, 0
	.set _ZN7rocprim17ROCPRIM_400000_NS6detail17trampoline_kernelINS0_14default_configENS1_22reduce_config_selectorIdEEZNS1_11reduce_implILb1ES3_N6thrust23THRUST_200600_302600_NS6detail15normal_iteratorINS8_10device_ptrIdEEEEPddNS8_4plusIdEEEE10hipError_tPvRmT1_T2_T3_mT4_P12ihipStream_tbEUlT_E1_NS1_11comp_targetILNS1_3genE9ELNS1_11target_archE1100ELNS1_3gpuE3ELNS1_3repE0EEENS1_30default_config_static_selectorELNS0_4arch9wavefront6targetE1EEEvSK_.private_seg_size, 0
	.set _ZN7rocprim17ROCPRIM_400000_NS6detail17trampoline_kernelINS0_14default_configENS1_22reduce_config_selectorIdEEZNS1_11reduce_implILb1ES3_N6thrust23THRUST_200600_302600_NS6detail15normal_iteratorINS8_10device_ptrIdEEEEPddNS8_4plusIdEEEE10hipError_tPvRmT1_T2_T3_mT4_P12ihipStream_tbEUlT_E1_NS1_11comp_targetILNS1_3genE9ELNS1_11target_archE1100ELNS1_3gpuE3ELNS1_3repE0EEENS1_30default_config_static_selectorELNS0_4arch9wavefront6targetE1EEEvSK_.uses_vcc, 0
	.set _ZN7rocprim17ROCPRIM_400000_NS6detail17trampoline_kernelINS0_14default_configENS1_22reduce_config_selectorIdEEZNS1_11reduce_implILb1ES3_N6thrust23THRUST_200600_302600_NS6detail15normal_iteratorINS8_10device_ptrIdEEEEPddNS8_4plusIdEEEE10hipError_tPvRmT1_T2_T3_mT4_P12ihipStream_tbEUlT_E1_NS1_11comp_targetILNS1_3genE9ELNS1_11target_archE1100ELNS1_3gpuE3ELNS1_3repE0EEENS1_30default_config_static_selectorELNS0_4arch9wavefront6targetE1EEEvSK_.uses_flat_scratch, 0
	.set _ZN7rocprim17ROCPRIM_400000_NS6detail17trampoline_kernelINS0_14default_configENS1_22reduce_config_selectorIdEEZNS1_11reduce_implILb1ES3_N6thrust23THRUST_200600_302600_NS6detail15normal_iteratorINS8_10device_ptrIdEEEEPddNS8_4plusIdEEEE10hipError_tPvRmT1_T2_T3_mT4_P12ihipStream_tbEUlT_E1_NS1_11comp_targetILNS1_3genE9ELNS1_11target_archE1100ELNS1_3gpuE3ELNS1_3repE0EEENS1_30default_config_static_selectorELNS0_4arch9wavefront6targetE1EEEvSK_.has_dyn_sized_stack, 0
	.set _ZN7rocprim17ROCPRIM_400000_NS6detail17trampoline_kernelINS0_14default_configENS1_22reduce_config_selectorIdEEZNS1_11reduce_implILb1ES3_N6thrust23THRUST_200600_302600_NS6detail15normal_iteratorINS8_10device_ptrIdEEEEPddNS8_4plusIdEEEE10hipError_tPvRmT1_T2_T3_mT4_P12ihipStream_tbEUlT_E1_NS1_11comp_targetILNS1_3genE9ELNS1_11target_archE1100ELNS1_3gpuE3ELNS1_3repE0EEENS1_30default_config_static_selectorELNS0_4arch9wavefront6targetE1EEEvSK_.has_recursion, 0
	.set _ZN7rocprim17ROCPRIM_400000_NS6detail17trampoline_kernelINS0_14default_configENS1_22reduce_config_selectorIdEEZNS1_11reduce_implILb1ES3_N6thrust23THRUST_200600_302600_NS6detail15normal_iteratorINS8_10device_ptrIdEEEEPddNS8_4plusIdEEEE10hipError_tPvRmT1_T2_T3_mT4_P12ihipStream_tbEUlT_E1_NS1_11comp_targetILNS1_3genE9ELNS1_11target_archE1100ELNS1_3gpuE3ELNS1_3repE0EEENS1_30default_config_static_selectorELNS0_4arch9wavefront6targetE1EEEvSK_.has_indirect_call, 0
	.section	.AMDGPU.csdata,"",@progbits
; Kernel info:
; codeLenInByte = 0
; TotalNumSgprs: 6
; NumVgprs: 0
; NumAgprs: 0
; TotalNumVgprs: 0
; ScratchSize: 0
; MemoryBound: 0
; FloatMode: 240
; IeeeMode: 1
; LDSByteSize: 0 bytes/workgroup (compile time only)
; SGPRBlocks: 0
; VGPRBlocks: 0
; NumSGPRsForWavesPerEU: 6
; NumVGPRsForWavesPerEU: 1
; AccumOffset: 4
; Occupancy: 8
; WaveLimiterHint : 0
; COMPUTE_PGM_RSRC2:SCRATCH_EN: 0
; COMPUTE_PGM_RSRC2:USER_SGPR: 2
; COMPUTE_PGM_RSRC2:TRAP_HANDLER: 0
; COMPUTE_PGM_RSRC2:TGID_X_EN: 1
; COMPUTE_PGM_RSRC2:TGID_Y_EN: 0
; COMPUTE_PGM_RSRC2:TGID_Z_EN: 0
; COMPUTE_PGM_RSRC2:TIDIG_COMP_CNT: 0
; COMPUTE_PGM_RSRC3_GFX90A:ACCUM_OFFSET: 0
; COMPUTE_PGM_RSRC3_GFX90A:TG_SPLIT: 0
	.section	.text._ZN7rocprim17ROCPRIM_400000_NS6detail17trampoline_kernelINS0_14default_configENS1_22reduce_config_selectorIdEEZNS1_11reduce_implILb1ES3_N6thrust23THRUST_200600_302600_NS6detail15normal_iteratorINS8_10device_ptrIdEEEEPddNS8_4plusIdEEEE10hipError_tPvRmT1_T2_T3_mT4_P12ihipStream_tbEUlT_E1_NS1_11comp_targetILNS1_3genE8ELNS1_11target_archE1030ELNS1_3gpuE2ELNS1_3repE0EEENS1_30default_config_static_selectorELNS0_4arch9wavefront6targetE1EEEvSK_,"axG",@progbits,_ZN7rocprim17ROCPRIM_400000_NS6detail17trampoline_kernelINS0_14default_configENS1_22reduce_config_selectorIdEEZNS1_11reduce_implILb1ES3_N6thrust23THRUST_200600_302600_NS6detail15normal_iteratorINS8_10device_ptrIdEEEEPddNS8_4plusIdEEEE10hipError_tPvRmT1_T2_T3_mT4_P12ihipStream_tbEUlT_E1_NS1_11comp_targetILNS1_3genE8ELNS1_11target_archE1030ELNS1_3gpuE2ELNS1_3repE0EEENS1_30default_config_static_selectorELNS0_4arch9wavefront6targetE1EEEvSK_,comdat
	.protected	_ZN7rocprim17ROCPRIM_400000_NS6detail17trampoline_kernelINS0_14default_configENS1_22reduce_config_selectorIdEEZNS1_11reduce_implILb1ES3_N6thrust23THRUST_200600_302600_NS6detail15normal_iteratorINS8_10device_ptrIdEEEEPddNS8_4plusIdEEEE10hipError_tPvRmT1_T2_T3_mT4_P12ihipStream_tbEUlT_E1_NS1_11comp_targetILNS1_3genE8ELNS1_11target_archE1030ELNS1_3gpuE2ELNS1_3repE0EEENS1_30default_config_static_selectorELNS0_4arch9wavefront6targetE1EEEvSK_ ; -- Begin function _ZN7rocprim17ROCPRIM_400000_NS6detail17trampoline_kernelINS0_14default_configENS1_22reduce_config_selectorIdEEZNS1_11reduce_implILb1ES3_N6thrust23THRUST_200600_302600_NS6detail15normal_iteratorINS8_10device_ptrIdEEEEPddNS8_4plusIdEEEE10hipError_tPvRmT1_T2_T3_mT4_P12ihipStream_tbEUlT_E1_NS1_11comp_targetILNS1_3genE8ELNS1_11target_archE1030ELNS1_3gpuE2ELNS1_3repE0EEENS1_30default_config_static_selectorELNS0_4arch9wavefront6targetE1EEEvSK_
	.globl	_ZN7rocprim17ROCPRIM_400000_NS6detail17trampoline_kernelINS0_14default_configENS1_22reduce_config_selectorIdEEZNS1_11reduce_implILb1ES3_N6thrust23THRUST_200600_302600_NS6detail15normal_iteratorINS8_10device_ptrIdEEEEPddNS8_4plusIdEEEE10hipError_tPvRmT1_T2_T3_mT4_P12ihipStream_tbEUlT_E1_NS1_11comp_targetILNS1_3genE8ELNS1_11target_archE1030ELNS1_3gpuE2ELNS1_3repE0EEENS1_30default_config_static_selectorELNS0_4arch9wavefront6targetE1EEEvSK_
	.p2align	8
	.type	_ZN7rocprim17ROCPRIM_400000_NS6detail17trampoline_kernelINS0_14default_configENS1_22reduce_config_selectorIdEEZNS1_11reduce_implILb1ES3_N6thrust23THRUST_200600_302600_NS6detail15normal_iteratorINS8_10device_ptrIdEEEEPddNS8_4plusIdEEEE10hipError_tPvRmT1_T2_T3_mT4_P12ihipStream_tbEUlT_E1_NS1_11comp_targetILNS1_3genE8ELNS1_11target_archE1030ELNS1_3gpuE2ELNS1_3repE0EEENS1_30default_config_static_selectorELNS0_4arch9wavefront6targetE1EEEvSK_,@function
_ZN7rocprim17ROCPRIM_400000_NS6detail17trampoline_kernelINS0_14default_configENS1_22reduce_config_selectorIdEEZNS1_11reduce_implILb1ES3_N6thrust23THRUST_200600_302600_NS6detail15normal_iteratorINS8_10device_ptrIdEEEEPddNS8_4plusIdEEEE10hipError_tPvRmT1_T2_T3_mT4_P12ihipStream_tbEUlT_E1_NS1_11comp_targetILNS1_3genE8ELNS1_11target_archE1030ELNS1_3gpuE2ELNS1_3repE0EEENS1_30default_config_static_selectorELNS0_4arch9wavefront6targetE1EEEvSK_: ; @_ZN7rocprim17ROCPRIM_400000_NS6detail17trampoline_kernelINS0_14default_configENS1_22reduce_config_selectorIdEEZNS1_11reduce_implILb1ES3_N6thrust23THRUST_200600_302600_NS6detail15normal_iteratorINS8_10device_ptrIdEEEEPddNS8_4plusIdEEEE10hipError_tPvRmT1_T2_T3_mT4_P12ihipStream_tbEUlT_E1_NS1_11comp_targetILNS1_3genE8ELNS1_11target_archE1030ELNS1_3gpuE2ELNS1_3repE0EEENS1_30default_config_static_selectorELNS0_4arch9wavefront6targetE1EEEvSK_
; %bb.0:
	.section	.rodata,"a",@progbits
	.p2align	6, 0x0
	.amdhsa_kernel _ZN7rocprim17ROCPRIM_400000_NS6detail17trampoline_kernelINS0_14default_configENS1_22reduce_config_selectorIdEEZNS1_11reduce_implILb1ES3_N6thrust23THRUST_200600_302600_NS6detail15normal_iteratorINS8_10device_ptrIdEEEEPddNS8_4plusIdEEEE10hipError_tPvRmT1_T2_T3_mT4_P12ihipStream_tbEUlT_E1_NS1_11comp_targetILNS1_3genE8ELNS1_11target_archE1030ELNS1_3gpuE2ELNS1_3repE0EEENS1_30default_config_static_selectorELNS0_4arch9wavefront6targetE1EEEvSK_
		.amdhsa_group_segment_fixed_size 0
		.amdhsa_private_segment_fixed_size 0
		.amdhsa_kernarg_size 48
		.amdhsa_user_sgpr_count 2
		.amdhsa_user_sgpr_dispatch_ptr 0
		.amdhsa_user_sgpr_queue_ptr 0
		.amdhsa_user_sgpr_kernarg_segment_ptr 1
		.amdhsa_user_sgpr_dispatch_id 0
		.amdhsa_user_sgpr_kernarg_preload_length 0
		.amdhsa_user_sgpr_kernarg_preload_offset 0
		.amdhsa_user_sgpr_private_segment_size 0
		.amdhsa_uses_dynamic_stack 0
		.amdhsa_enable_private_segment 0
		.amdhsa_system_sgpr_workgroup_id_x 1
		.amdhsa_system_sgpr_workgroup_id_y 0
		.amdhsa_system_sgpr_workgroup_id_z 0
		.amdhsa_system_sgpr_workgroup_info 0
		.amdhsa_system_vgpr_workitem_id 0
		.amdhsa_next_free_vgpr 1
		.amdhsa_next_free_sgpr 0
		.amdhsa_accum_offset 4
		.amdhsa_reserve_vcc 0
		.amdhsa_float_round_mode_32 0
		.amdhsa_float_round_mode_16_64 0
		.amdhsa_float_denorm_mode_32 3
		.amdhsa_float_denorm_mode_16_64 3
		.amdhsa_dx10_clamp 1
		.amdhsa_ieee_mode 1
		.amdhsa_fp16_overflow 0
		.amdhsa_tg_split 0
		.amdhsa_exception_fp_ieee_invalid_op 0
		.amdhsa_exception_fp_denorm_src 0
		.amdhsa_exception_fp_ieee_div_zero 0
		.amdhsa_exception_fp_ieee_overflow 0
		.amdhsa_exception_fp_ieee_underflow 0
		.amdhsa_exception_fp_ieee_inexact 0
		.amdhsa_exception_int_div_zero 0
	.end_amdhsa_kernel
	.section	.text._ZN7rocprim17ROCPRIM_400000_NS6detail17trampoline_kernelINS0_14default_configENS1_22reduce_config_selectorIdEEZNS1_11reduce_implILb1ES3_N6thrust23THRUST_200600_302600_NS6detail15normal_iteratorINS8_10device_ptrIdEEEEPddNS8_4plusIdEEEE10hipError_tPvRmT1_T2_T3_mT4_P12ihipStream_tbEUlT_E1_NS1_11comp_targetILNS1_3genE8ELNS1_11target_archE1030ELNS1_3gpuE2ELNS1_3repE0EEENS1_30default_config_static_selectorELNS0_4arch9wavefront6targetE1EEEvSK_,"axG",@progbits,_ZN7rocprim17ROCPRIM_400000_NS6detail17trampoline_kernelINS0_14default_configENS1_22reduce_config_selectorIdEEZNS1_11reduce_implILb1ES3_N6thrust23THRUST_200600_302600_NS6detail15normal_iteratorINS8_10device_ptrIdEEEEPddNS8_4plusIdEEEE10hipError_tPvRmT1_T2_T3_mT4_P12ihipStream_tbEUlT_E1_NS1_11comp_targetILNS1_3genE8ELNS1_11target_archE1030ELNS1_3gpuE2ELNS1_3repE0EEENS1_30default_config_static_selectorELNS0_4arch9wavefront6targetE1EEEvSK_,comdat
.Lfunc_end37:
	.size	_ZN7rocprim17ROCPRIM_400000_NS6detail17trampoline_kernelINS0_14default_configENS1_22reduce_config_selectorIdEEZNS1_11reduce_implILb1ES3_N6thrust23THRUST_200600_302600_NS6detail15normal_iteratorINS8_10device_ptrIdEEEEPddNS8_4plusIdEEEE10hipError_tPvRmT1_T2_T3_mT4_P12ihipStream_tbEUlT_E1_NS1_11comp_targetILNS1_3genE8ELNS1_11target_archE1030ELNS1_3gpuE2ELNS1_3repE0EEENS1_30default_config_static_selectorELNS0_4arch9wavefront6targetE1EEEvSK_, .Lfunc_end37-_ZN7rocprim17ROCPRIM_400000_NS6detail17trampoline_kernelINS0_14default_configENS1_22reduce_config_selectorIdEEZNS1_11reduce_implILb1ES3_N6thrust23THRUST_200600_302600_NS6detail15normal_iteratorINS8_10device_ptrIdEEEEPddNS8_4plusIdEEEE10hipError_tPvRmT1_T2_T3_mT4_P12ihipStream_tbEUlT_E1_NS1_11comp_targetILNS1_3genE8ELNS1_11target_archE1030ELNS1_3gpuE2ELNS1_3repE0EEENS1_30default_config_static_selectorELNS0_4arch9wavefront6targetE1EEEvSK_
                                        ; -- End function
	.set _ZN7rocprim17ROCPRIM_400000_NS6detail17trampoline_kernelINS0_14default_configENS1_22reduce_config_selectorIdEEZNS1_11reduce_implILb1ES3_N6thrust23THRUST_200600_302600_NS6detail15normal_iteratorINS8_10device_ptrIdEEEEPddNS8_4plusIdEEEE10hipError_tPvRmT1_T2_T3_mT4_P12ihipStream_tbEUlT_E1_NS1_11comp_targetILNS1_3genE8ELNS1_11target_archE1030ELNS1_3gpuE2ELNS1_3repE0EEENS1_30default_config_static_selectorELNS0_4arch9wavefront6targetE1EEEvSK_.num_vgpr, 0
	.set _ZN7rocprim17ROCPRIM_400000_NS6detail17trampoline_kernelINS0_14default_configENS1_22reduce_config_selectorIdEEZNS1_11reduce_implILb1ES3_N6thrust23THRUST_200600_302600_NS6detail15normal_iteratorINS8_10device_ptrIdEEEEPddNS8_4plusIdEEEE10hipError_tPvRmT1_T2_T3_mT4_P12ihipStream_tbEUlT_E1_NS1_11comp_targetILNS1_3genE8ELNS1_11target_archE1030ELNS1_3gpuE2ELNS1_3repE0EEENS1_30default_config_static_selectorELNS0_4arch9wavefront6targetE1EEEvSK_.num_agpr, 0
	.set _ZN7rocprim17ROCPRIM_400000_NS6detail17trampoline_kernelINS0_14default_configENS1_22reduce_config_selectorIdEEZNS1_11reduce_implILb1ES3_N6thrust23THRUST_200600_302600_NS6detail15normal_iteratorINS8_10device_ptrIdEEEEPddNS8_4plusIdEEEE10hipError_tPvRmT1_T2_T3_mT4_P12ihipStream_tbEUlT_E1_NS1_11comp_targetILNS1_3genE8ELNS1_11target_archE1030ELNS1_3gpuE2ELNS1_3repE0EEENS1_30default_config_static_selectorELNS0_4arch9wavefront6targetE1EEEvSK_.numbered_sgpr, 0
	.set _ZN7rocprim17ROCPRIM_400000_NS6detail17trampoline_kernelINS0_14default_configENS1_22reduce_config_selectorIdEEZNS1_11reduce_implILb1ES3_N6thrust23THRUST_200600_302600_NS6detail15normal_iteratorINS8_10device_ptrIdEEEEPddNS8_4plusIdEEEE10hipError_tPvRmT1_T2_T3_mT4_P12ihipStream_tbEUlT_E1_NS1_11comp_targetILNS1_3genE8ELNS1_11target_archE1030ELNS1_3gpuE2ELNS1_3repE0EEENS1_30default_config_static_selectorELNS0_4arch9wavefront6targetE1EEEvSK_.num_named_barrier, 0
	.set _ZN7rocprim17ROCPRIM_400000_NS6detail17trampoline_kernelINS0_14default_configENS1_22reduce_config_selectorIdEEZNS1_11reduce_implILb1ES3_N6thrust23THRUST_200600_302600_NS6detail15normal_iteratorINS8_10device_ptrIdEEEEPddNS8_4plusIdEEEE10hipError_tPvRmT1_T2_T3_mT4_P12ihipStream_tbEUlT_E1_NS1_11comp_targetILNS1_3genE8ELNS1_11target_archE1030ELNS1_3gpuE2ELNS1_3repE0EEENS1_30default_config_static_selectorELNS0_4arch9wavefront6targetE1EEEvSK_.private_seg_size, 0
	.set _ZN7rocprim17ROCPRIM_400000_NS6detail17trampoline_kernelINS0_14default_configENS1_22reduce_config_selectorIdEEZNS1_11reduce_implILb1ES3_N6thrust23THRUST_200600_302600_NS6detail15normal_iteratorINS8_10device_ptrIdEEEEPddNS8_4plusIdEEEE10hipError_tPvRmT1_T2_T3_mT4_P12ihipStream_tbEUlT_E1_NS1_11comp_targetILNS1_3genE8ELNS1_11target_archE1030ELNS1_3gpuE2ELNS1_3repE0EEENS1_30default_config_static_selectorELNS0_4arch9wavefront6targetE1EEEvSK_.uses_vcc, 0
	.set _ZN7rocprim17ROCPRIM_400000_NS6detail17trampoline_kernelINS0_14default_configENS1_22reduce_config_selectorIdEEZNS1_11reduce_implILb1ES3_N6thrust23THRUST_200600_302600_NS6detail15normal_iteratorINS8_10device_ptrIdEEEEPddNS8_4plusIdEEEE10hipError_tPvRmT1_T2_T3_mT4_P12ihipStream_tbEUlT_E1_NS1_11comp_targetILNS1_3genE8ELNS1_11target_archE1030ELNS1_3gpuE2ELNS1_3repE0EEENS1_30default_config_static_selectorELNS0_4arch9wavefront6targetE1EEEvSK_.uses_flat_scratch, 0
	.set _ZN7rocprim17ROCPRIM_400000_NS6detail17trampoline_kernelINS0_14default_configENS1_22reduce_config_selectorIdEEZNS1_11reduce_implILb1ES3_N6thrust23THRUST_200600_302600_NS6detail15normal_iteratorINS8_10device_ptrIdEEEEPddNS8_4plusIdEEEE10hipError_tPvRmT1_T2_T3_mT4_P12ihipStream_tbEUlT_E1_NS1_11comp_targetILNS1_3genE8ELNS1_11target_archE1030ELNS1_3gpuE2ELNS1_3repE0EEENS1_30default_config_static_selectorELNS0_4arch9wavefront6targetE1EEEvSK_.has_dyn_sized_stack, 0
	.set _ZN7rocprim17ROCPRIM_400000_NS6detail17trampoline_kernelINS0_14default_configENS1_22reduce_config_selectorIdEEZNS1_11reduce_implILb1ES3_N6thrust23THRUST_200600_302600_NS6detail15normal_iteratorINS8_10device_ptrIdEEEEPddNS8_4plusIdEEEE10hipError_tPvRmT1_T2_T3_mT4_P12ihipStream_tbEUlT_E1_NS1_11comp_targetILNS1_3genE8ELNS1_11target_archE1030ELNS1_3gpuE2ELNS1_3repE0EEENS1_30default_config_static_selectorELNS0_4arch9wavefront6targetE1EEEvSK_.has_recursion, 0
	.set _ZN7rocprim17ROCPRIM_400000_NS6detail17trampoline_kernelINS0_14default_configENS1_22reduce_config_selectorIdEEZNS1_11reduce_implILb1ES3_N6thrust23THRUST_200600_302600_NS6detail15normal_iteratorINS8_10device_ptrIdEEEEPddNS8_4plusIdEEEE10hipError_tPvRmT1_T2_T3_mT4_P12ihipStream_tbEUlT_E1_NS1_11comp_targetILNS1_3genE8ELNS1_11target_archE1030ELNS1_3gpuE2ELNS1_3repE0EEENS1_30default_config_static_selectorELNS0_4arch9wavefront6targetE1EEEvSK_.has_indirect_call, 0
	.section	.AMDGPU.csdata,"",@progbits
; Kernel info:
; codeLenInByte = 0
; TotalNumSgprs: 6
; NumVgprs: 0
; NumAgprs: 0
; TotalNumVgprs: 0
; ScratchSize: 0
; MemoryBound: 0
; FloatMode: 240
; IeeeMode: 1
; LDSByteSize: 0 bytes/workgroup (compile time only)
; SGPRBlocks: 0
; VGPRBlocks: 0
; NumSGPRsForWavesPerEU: 6
; NumVGPRsForWavesPerEU: 1
; AccumOffset: 4
; Occupancy: 8
; WaveLimiterHint : 0
; COMPUTE_PGM_RSRC2:SCRATCH_EN: 0
; COMPUTE_PGM_RSRC2:USER_SGPR: 2
; COMPUTE_PGM_RSRC2:TRAP_HANDLER: 0
; COMPUTE_PGM_RSRC2:TGID_X_EN: 1
; COMPUTE_PGM_RSRC2:TGID_Y_EN: 0
; COMPUTE_PGM_RSRC2:TGID_Z_EN: 0
; COMPUTE_PGM_RSRC2:TIDIG_COMP_CNT: 0
; COMPUTE_PGM_RSRC3_GFX90A:ACCUM_OFFSET: 0
; COMPUTE_PGM_RSRC3_GFX90A:TG_SPLIT: 0
	.section	.text._ZN6thrust23THRUST_200600_302600_NS11hip_rocprim14__parallel_for6kernelILj256ENS1_20__uninitialized_fill7functorINS0_10device_ptrIfEEfEEmLj1EEEvT0_T1_SA_,"axG",@progbits,_ZN6thrust23THRUST_200600_302600_NS11hip_rocprim14__parallel_for6kernelILj256ENS1_20__uninitialized_fill7functorINS0_10device_ptrIfEEfEEmLj1EEEvT0_T1_SA_,comdat
	.protected	_ZN6thrust23THRUST_200600_302600_NS11hip_rocprim14__parallel_for6kernelILj256ENS1_20__uninitialized_fill7functorINS0_10device_ptrIfEEfEEmLj1EEEvT0_T1_SA_ ; -- Begin function _ZN6thrust23THRUST_200600_302600_NS11hip_rocprim14__parallel_for6kernelILj256ENS1_20__uninitialized_fill7functorINS0_10device_ptrIfEEfEEmLj1EEEvT0_T1_SA_
	.globl	_ZN6thrust23THRUST_200600_302600_NS11hip_rocprim14__parallel_for6kernelILj256ENS1_20__uninitialized_fill7functorINS0_10device_ptrIfEEfEEmLj1EEEvT0_T1_SA_
	.p2align	8
	.type	_ZN6thrust23THRUST_200600_302600_NS11hip_rocprim14__parallel_for6kernelILj256ENS1_20__uninitialized_fill7functorINS0_10device_ptrIfEEfEEmLj1EEEvT0_T1_SA_,@function
_ZN6thrust23THRUST_200600_302600_NS11hip_rocprim14__parallel_for6kernelILj256ENS1_20__uninitialized_fill7functorINS0_10device_ptrIfEEfEEmLj1EEEvT0_T1_SA_: ; @_ZN6thrust23THRUST_200600_302600_NS11hip_rocprim14__parallel_for6kernelILj256ENS1_20__uninitialized_fill7functorINS0_10device_ptrIfEEfEEmLj1EEEvT0_T1_SA_
; %bb.0:
	s_load_dwordx4 s[12:15], s[0:1], 0x10
	s_load_dwordx2 s[4:5], s[0:1], 0x0
	s_load_dword s8, s[0:1], 0x8
	s_lshl_b32 s0, s2, 8
	v_mov_b64_e32 v[2:3], 0xff
	s_waitcnt lgkmcnt(0)
	s_add_u32 s0, s14, s0
	s_addc_u32 s1, s15, 0
	s_sub_u32 s2, s12, s0
	s_subb_u32 s3, s13, s1
	v_cmp_gt_u64_e32 vcc, s[2:3], v[2:3]
	s_mov_b64 s[6:7], -1
	s_cbranch_vccz .LBB38_3
; %bb.1:
	s_andn2_b64 vcc, exec, s[6:7]
	s_cbranch_vccz .LBB38_6
.LBB38_2:
	s_endpgm
.LBB38_3:
	v_cmp_gt_u32_e32 vcc, s2, v0
	s_and_saveexec_b64 s[2:3], vcc
	s_cbranch_execz .LBB38_5
; %bb.4:
	s_lshl_b64 s[6:7], s[0:1], 2
	s_add_u32 s6, s4, s6
	s_addc_u32 s7, s5, s7
	v_lshlrev_b32_e32 v2, 2, v0
	v_mov_b32_e32 v3, 0
	v_lshl_add_u64 v[2:3], s[6:7], 0, v[2:3]
	v_mov_b32_e32 v1, s8
	flat_store_dword v[2:3], v1
.LBB38_5:
	s_or_b64 exec, exec, s[2:3]
	s_cbranch_execnz .LBB38_2
.LBB38_6:
	s_lshl_b64 s[0:1], s[0:1], 2
	s_add_u32 s0, s4, s0
	s_addc_u32 s1, s5, s1
	v_lshlrev_b32_e32 v0, 2, v0
	v_mov_b32_e32 v1, 0
	v_lshl_add_u64 v[0:1], s[0:1], 0, v[0:1]
	v_mov_b32_e32 v2, s8
	flat_store_dword v[0:1], v2
	s_endpgm
	.section	.rodata,"a",@progbits
	.p2align	6, 0x0
	.amdhsa_kernel _ZN6thrust23THRUST_200600_302600_NS11hip_rocprim14__parallel_for6kernelILj256ENS1_20__uninitialized_fill7functorINS0_10device_ptrIfEEfEEmLj1EEEvT0_T1_SA_
		.amdhsa_group_segment_fixed_size 0
		.amdhsa_private_segment_fixed_size 0
		.amdhsa_kernarg_size 32
		.amdhsa_user_sgpr_count 2
		.amdhsa_user_sgpr_dispatch_ptr 0
		.amdhsa_user_sgpr_queue_ptr 0
		.amdhsa_user_sgpr_kernarg_segment_ptr 1
		.amdhsa_user_sgpr_dispatch_id 0
		.amdhsa_user_sgpr_kernarg_preload_length 0
		.amdhsa_user_sgpr_kernarg_preload_offset 0
		.amdhsa_user_sgpr_private_segment_size 0
		.amdhsa_uses_dynamic_stack 0
		.amdhsa_enable_private_segment 0
		.amdhsa_system_sgpr_workgroup_id_x 1
		.amdhsa_system_sgpr_workgroup_id_y 0
		.amdhsa_system_sgpr_workgroup_id_z 0
		.amdhsa_system_sgpr_workgroup_info 0
		.amdhsa_system_vgpr_workitem_id 0
		.amdhsa_next_free_vgpr 4
		.amdhsa_next_free_sgpr 16
		.amdhsa_accum_offset 4
		.amdhsa_reserve_vcc 1
		.amdhsa_float_round_mode_32 0
		.amdhsa_float_round_mode_16_64 0
		.amdhsa_float_denorm_mode_32 3
		.amdhsa_float_denorm_mode_16_64 3
		.amdhsa_dx10_clamp 1
		.amdhsa_ieee_mode 1
		.amdhsa_fp16_overflow 0
		.amdhsa_tg_split 0
		.amdhsa_exception_fp_ieee_invalid_op 0
		.amdhsa_exception_fp_denorm_src 0
		.amdhsa_exception_fp_ieee_div_zero 0
		.amdhsa_exception_fp_ieee_overflow 0
		.amdhsa_exception_fp_ieee_underflow 0
		.amdhsa_exception_fp_ieee_inexact 0
		.amdhsa_exception_int_div_zero 0
	.end_amdhsa_kernel
	.section	.text._ZN6thrust23THRUST_200600_302600_NS11hip_rocprim14__parallel_for6kernelILj256ENS1_20__uninitialized_fill7functorINS0_10device_ptrIfEEfEEmLj1EEEvT0_T1_SA_,"axG",@progbits,_ZN6thrust23THRUST_200600_302600_NS11hip_rocprim14__parallel_for6kernelILj256ENS1_20__uninitialized_fill7functorINS0_10device_ptrIfEEfEEmLj1EEEvT0_T1_SA_,comdat
.Lfunc_end38:
	.size	_ZN6thrust23THRUST_200600_302600_NS11hip_rocprim14__parallel_for6kernelILj256ENS1_20__uninitialized_fill7functorINS0_10device_ptrIfEEfEEmLj1EEEvT0_T1_SA_, .Lfunc_end38-_ZN6thrust23THRUST_200600_302600_NS11hip_rocprim14__parallel_for6kernelILj256ENS1_20__uninitialized_fill7functorINS0_10device_ptrIfEEfEEmLj1EEEvT0_T1_SA_
                                        ; -- End function
	.set _ZN6thrust23THRUST_200600_302600_NS11hip_rocprim14__parallel_for6kernelILj256ENS1_20__uninitialized_fill7functorINS0_10device_ptrIfEEfEEmLj1EEEvT0_T1_SA_.num_vgpr, 4
	.set _ZN6thrust23THRUST_200600_302600_NS11hip_rocprim14__parallel_for6kernelILj256ENS1_20__uninitialized_fill7functorINS0_10device_ptrIfEEfEEmLj1EEEvT0_T1_SA_.num_agpr, 0
	.set _ZN6thrust23THRUST_200600_302600_NS11hip_rocprim14__parallel_for6kernelILj256ENS1_20__uninitialized_fill7functorINS0_10device_ptrIfEEfEEmLj1EEEvT0_T1_SA_.numbered_sgpr, 16
	.set _ZN6thrust23THRUST_200600_302600_NS11hip_rocprim14__parallel_for6kernelILj256ENS1_20__uninitialized_fill7functorINS0_10device_ptrIfEEfEEmLj1EEEvT0_T1_SA_.num_named_barrier, 0
	.set _ZN6thrust23THRUST_200600_302600_NS11hip_rocprim14__parallel_for6kernelILj256ENS1_20__uninitialized_fill7functorINS0_10device_ptrIfEEfEEmLj1EEEvT0_T1_SA_.private_seg_size, 0
	.set _ZN6thrust23THRUST_200600_302600_NS11hip_rocprim14__parallel_for6kernelILj256ENS1_20__uninitialized_fill7functorINS0_10device_ptrIfEEfEEmLj1EEEvT0_T1_SA_.uses_vcc, 1
	.set _ZN6thrust23THRUST_200600_302600_NS11hip_rocprim14__parallel_for6kernelILj256ENS1_20__uninitialized_fill7functorINS0_10device_ptrIfEEfEEmLj1EEEvT0_T1_SA_.uses_flat_scratch, 0
	.set _ZN6thrust23THRUST_200600_302600_NS11hip_rocprim14__parallel_for6kernelILj256ENS1_20__uninitialized_fill7functorINS0_10device_ptrIfEEfEEmLj1EEEvT0_T1_SA_.has_dyn_sized_stack, 0
	.set _ZN6thrust23THRUST_200600_302600_NS11hip_rocprim14__parallel_for6kernelILj256ENS1_20__uninitialized_fill7functorINS0_10device_ptrIfEEfEEmLj1EEEvT0_T1_SA_.has_recursion, 0
	.set _ZN6thrust23THRUST_200600_302600_NS11hip_rocprim14__parallel_for6kernelILj256ENS1_20__uninitialized_fill7functorINS0_10device_ptrIfEEfEEmLj1EEEvT0_T1_SA_.has_indirect_call, 0
	.section	.AMDGPU.csdata,"",@progbits
; Kernel info:
; codeLenInByte = 184
; TotalNumSgprs: 22
; NumVgprs: 4
; NumAgprs: 0
; TotalNumVgprs: 4
; ScratchSize: 0
; MemoryBound: 0
; FloatMode: 240
; IeeeMode: 1
; LDSByteSize: 0 bytes/workgroup (compile time only)
; SGPRBlocks: 2
; VGPRBlocks: 0
; NumSGPRsForWavesPerEU: 22
; NumVGPRsForWavesPerEU: 4
; AccumOffset: 4
; Occupancy: 8
; WaveLimiterHint : 0
; COMPUTE_PGM_RSRC2:SCRATCH_EN: 0
; COMPUTE_PGM_RSRC2:USER_SGPR: 2
; COMPUTE_PGM_RSRC2:TRAP_HANDLER: 0
; COMPUTE_PGM_RSRC2:TGID_X_EN: 1
; COMPUTE_PGM_RSRC2:TGID_Y_EN: 0
; COMPUTE_PGM_RSRC2:TGID_Z_EN: 0
; COMPUTE_PGM_RSRC2:TIDIG_COMP_CNT: 0
; COMPUTE_PGM_RSRC3_GFX90A:ACCUM_OFFSET: 0
; COMPUTE_PGM_RSRC3_GFX90A:TG_SPLIT: 0
	.section	.text._ZN7rocprim17ROCPRIM_400000_NS6detail17trampoline_kernelINS0_14default_configENS1_22reduce_config_selectorIfEEZNS1_11reduce_implILb1ES3_PfS7_fN6thrust23THRUST_200600_302600_NS4plusIfEEEE10hipError_tPvRmT1_T2_T3_mT4_P12ihipStream_tbEUlT_E0_NS1_11comp_targetILNS1_3genE0ELNS1_11target_archE4294967295ELNS1_3gpuE0ELNS1_3repE0EEENS1_30default_config_static_selectorELNS0_4arch9wavefront6targetE1EEEvSF_,"axG",@progbits,_ZN7rocprim17ROCPRIM_400000_NS6detail17trampoline_kernelINS0_14default_configENS1_22reduce_config_selectorIfEEZNS1_11reduce_implILb1ES3_PfS7_fN6thrust23THRUST_200600_302600_NS4plusIfEEEE10hipError_tPvRmT1_T2_T3_mT4_P12ihipStream_tbEUlT_E0_NS1_11comp_targetILNS1_3genE0ELNS1_11target_archE4294967295ELNS1_3gpuE0ELNS1_3repE0EEENS1_30default_config_static_selectorELNS0_4arch9wavefront6targetE1EEEvSF_,comdat
	.protected	_ZN7rocprim17ROCPRIM_400000_NS6detail17trampoline_kernelINS0_14default_configENS1_22reduce_config_selectorIfEEZNS1_11reduce_implILb1ES3_PfS7_fN6thrust23THRUST_200600_302600_NS4plusIfEEEE10hipError_tPvRmT1_T2_T3_mT4_P12ihipStream_tbEUlT_E0_NS1_11comp_targetILNS1_3genE0ELNS1_11target_archE4294967295ELNS1_3gpuE0ELNS1_3repE0EEENS1_30default_config_static_selectorELNS0_4arch9wavefront6targetE1EEEvSF_ ; -- Begin function _ZN7rocprim17ROCPRIM_400000_NS6detail17trampoline_kernelINS0_14default_configENS1_22reduce_config_selectorIfEEZNS1_11reduce_implILb1ES3_PfS7_fN6thrust23THRUST_200600_302600_NS4plusIfEEEE10hipError_tPvRmT1_T2_T3_mT4_P12ihipStream_tbEUlT_E0_NS1_11comp_targetILNS1_3genE0ELNS1_11target_archE4294967295ELNS1_3gpuE0ELNS1_3repE0EEENS1_30default_config_static_selectorELNS0_4arch9wavefront6targetE1EEEvSF_
	.globl	_ZN7rocprim17ROCPRIM_400000_NS6detail17trampoline_kernelINS0_14default_configENS1_22reduce_config_selectorIfEEZNS1_11reduce_implILb1ES3_PfS7_fN6thrust23THRUST_200600_302600_NS4plusIfEEEE10hipError_tPvRmT1_T2_T3_mT4_P12ihipStream_tbEUlT_E0_NS1_11comp_targetILNS1_3genE0ELNS1_11target_archE4294967295ELNS1_3gpuE0ELNS1_3repE0EEENS1_30default_config_static_selectorELNS0_4arch9wavefront6targetE1EEEvSF_
	.p2align	8
	.type	_ZN7rocprim17ROCPRIM_400000_NS6detail17trampoline_kernelINS0_14default_configENS1_22reduce_config_selectorIfEEZNS1_11reduce_implILb1ES3_PfS7_fN6thrust23THRUST_200600_302600_NS4plusIfEEEE10hipError_tPvRmT1_T2_T3_mT4_P12ihipStream_tbEUlT_E0_NS1_11comp_targetILNS1_3genE0ELNS1_11target_archE4294967295ELNS1_3gpuE0ELNS1_3repE0EEENS1_30default_config_static_selectorELNS0_4arch9wavefront6targetE1EEEvSF_,@function
_ZN7rocprim17ROCPRIM_400000_NS6detail17trampoline_kernelINS0_14default_configENS1_22reduce_config_selectorIfEEZNS1_11reduce_implILb1ES3_PfS7_fN6thrust23THRUST_200600_302600_NS4plusIfEEEE10hipError_tPvRmT1_T2_T3_mT4_P12ihipStream_tbEUlT_E0_NS1_11comp_targetILNS1_3genE0ELNS1_11target_archE4294967295ELNS1_3gpuE0ELNS1_3repE0EEENS1_30default_config_static_selectorELNS0_4arch9wavefront6targetE1EEEvSF_: ; @_ZN7rocprim17ROCPRIM_400000_NS6detail17trampoline_kernelINS0_14default_configENS1_22reduce_config_selectorIfEEZNS1_11reduce_implILb1ES3_PfS7_fN6thrust23THRUST_200600_302600_NS4plusIfEEEE10hipError_tPvRmT1_T2_T3_mT4_P12ihipStream_tbEUlT_E0_NS1_11comp_targetILNS1_3genE0ELNS1_11target_archE4294967295ELNS1_3gpuE0ELNS1_3repE0EEENS1_30default_config_static_selectorELNS0_4arch9wavefront6targetE1EEEvSF_
; %bb.0:
	s_load_dwordx8 s[4:11], s[0:1], 0x0
	s_load_dwordx4 s[12:15], s[0:1], 0x20
	v_lshlrev_b32_e32 v6, 2, v0
	v_mbcnt_lo_u32_b32 v1, -1, 0
	s_waitcnt lgkmcnt(0)
	s_lshl_b64 s[6:7], s[6:7], 2
	s_add_u32 s18, s4, s6
	s_addc_u32 s19, s5, s7
	s_lshl_b32 s4, s2, 10
	s_mov_b32 s5, 0
	s_lshr_b64 s[16:17], s[8:9], 10
	s_lshl_b64 s[6:7], s[4:5], 2
	s_add_u32 s6, s18, s6
	s_mov_b32 s3, s5
	s_addc_u32 s7, s19, s7
	s_cmp_lg_u64 s[16:17], s[2:3]
	s_cbranch_scc0 .LBB39_6
; %bb.1:
	global_load_dword v2, v6, s[6:7]
	global_load_dword v5, v6, s[6:7] offset:1024
	global_load_dword v7, v6, s[6:7] offset:2048
	;; [unrolled: 1-line block ×3, first 2 shown]
	v_mbcnt_hi_u32_b32 v3, -1, v1
	v_lshlrev_b32_e32 v4, 2, v3
	v_cmp_eq_u32_e32 vcc, 0, v3
	s_waitcnt vmcnt(2)
	v_add_f32_e32 v2, v2, v5
	s_waitcnt vmcnt(1)
	v_add_f32_e32 v2, v2, v7
	s_waitcnt vmcnt(0)
	v_add_f32_e32 v2, v2, v8
	v_or_b32_e32 v5, 0xfc, v4
	s_nop 0
	v_add_f32_dpp v2, v2, v2 quad_perm:[1,0,3,2] row_mask:0xf bank_mask:0xf bound_ctrl:1
	s_nop 1
	v_add_f32_dpp v2, v2, v2 quad_perm:[2,3,0,1] row_mask:0xf bank_mask:0xf bound_ctrl:1
	s_nop 1
	v_add_f32_dpp v2, v2, v2 row_ror:4 row_mask:0xf bank_mask:0xf bound_ctrl:1
	s_nop 1
	v_add_f32_dpp v2, v2, v2 row_ror:8 row_mask:0xf bank_mask:0xf bound_ctrl:1
	s_nop 1
	v_add_f32_dpp v2, v2, v2 row_bcast:15 row_mask:0xf bank_mask:0xf bound_ctrl:1
	s_nop 1
	v_add_f32_dpp v2, v2, v2 row_bcast:31 row_mask:0xf bank_mask:0xf bound_ctrl:1
	ds_bpermute_b32 v2, v5, v2
	s_and_saveexec_b64 s[16:17], vcc
	s_cbranch_execz .LBB39_3
; %bb.2:
	v_lshrrev_b32_e32 v5, 4, v0
	v_and_b32_e32 v5, 12, v5
	s_waitcnt lgkmcnt(0)
	ds_write_b32 v5, v2
.LBB39_3:
	s_or_b64 exec, exec, s[16:17]
	v_cmp_gt_u32_e32 vcc, 64, v0
	s_waitcnt lgkmcnt(0)
	s_barrier
	s_and_saveexec_b64 s[16:17], vcc
	s_cbranch_execz .LBB39_5
; %bb.4:
	v_and_b32_e32 v2, 3, v3
	v_lshlrev_b32_e32 v5, 2, v2
	ds_read_b32 v5, v5
	v_cmp_ne_u32_e32 vcc, 3, v2
	s_nop 1
	v_addc_co_u32_e32 v2, vcc, 0, v3, vcc
	v_lshlrev_b32_e32 v2, 2, v2
	s_waitcnt lgkmcnt(0)
	ds_bpermute_b32 v2, v2, v5
	v_or_b32_e32 v3, 8, v4
	s_waitcnt lgkmcnt(0)
	v_add_f32_e32 v2, v5, v2
	ds_bpermute_b32 v3, v3, v2
	s_waitcnt lgkmcnt(0)
	v_add_f32_e32 v2, v2, v3
.LBB39_5:
	s_or_b64 exec, exec, s[16:17]
	s_load_dword s18, s[0:1], 0x30
	s_branch .LBB39_20
.LBB39_6:
                                        ; implicit-def: $vgpr2
	s_load_dword s18, s[0:1], 0x30
	s_cbranch_execz .LBB39_20
; %bb.7:
	s_sub_i32 s19, s8, s4
	v_mov_b32_e32 v2, 0
	v_cmp_gt_u32_e32 vcc, s19, v0
	v_mov_b32_e32 v3, v2
	v_mov_b32_e32 v4, v2
	;; [unrolled: 1-line block ×3, first 2 shown]
	s_and_saveexec_b64 s[0:1], vcc
	s_cbranch_execz .LBB39_9
; %bb.8:
	global_load_dword v8, v6, s[6:7]
	v_mov_b32_e32 v9, v2
	v_mov_b32_e32 v10, v2
	;; [unrolled: 1-line block ×3, first 2 shown]
	s_waitcnt vmcnt(0)
	v_mov_b64_e32 v[2:3], v[8:9]
	v_mov_b64_e32 v[4:5], v[10:11]
.LBB39_9:
	s_or_b64 exec, exec, s[0:1]
	v_or_b32_e32 v7, 0x100, v0
	v_cmp_gt_u32_e32 vcc, s19, v7
	s_and_saveexec_b64 s[0:1], vcc
	s_cbranch_execz .LBB39_11
; %bb.10:
	global_load_dword v3, v6, s[6:7] offset:1024
.LBB39_11:
	s_or_b64 exec, exec, s[0:1]
	v_or_b32_e32 v7, 0x200, v0
	v_cmp_gt_u32_e64 s[0:1], s19, v7
	s_and_saveexec_b64 s[4:5], s[0:1]
	s_cbranch_execz .LBB39_13
; %bb.12:
	global_load_dword v4, v6, s[6:7] offset:2048
.LBB39_13:
	s_or_b64 exec, exec, s[4:5]
	v_or_b32_e32 v7, 0x300, v0
	v_cmp_gt_u32_e64 s[4:5], s19, v7
	s_and_saveexec_b64 s[16:17], s[4:5]
	s_cbranch_execz .LBB39_15
; %bb.14:
	global_load_dword v5, v6, s[6:7] offset:3072
.LBB39_15:
	s_or_b64 exec, exec, s[16:17]
	s_waitcnt vmcnt(0)
	v_add_f32_e32 v3, v2, v3
	v_cndmask_b32_e32 v2, v2, v3, vcc
	v_add_f32_e32 v3, v4, v2
	v_mbcnt_hi_u32_b32 v1, -1, v1
	v_cndmask_b32_e64 v2, v2, v3, s[0:1]
	v_and_b32_e32 v4, 63, v1
	v_add_f32_e32 v3, v5, v2
	v_cmp_ne_u32_e32 vcc, 63, v4
	v_cndmask_b32_e64 v2, v2, v3, s[4:5]
	s_min_u32 s6, s19, 0x100
	v_addc_co_u32_e32 v3, vcc, 0, v1, vcc
	v_lshlrev_b32_e32 v3, 2, v3
	ds_bpermute_b32 v3, v3, v2
	v_and_b32_e32 v5, 0xc0, v0
	v_sub_u32_e64 v5, s6, v5 clamp
	v_add_u32_e32 v6, 1, v4
	v_cmp_gt_u32_e64 s[0:1], 62, v4
	s_waitcnt lgkmcnt(0)
	v_add_f32_e32 v3, v2, v3
	v_cmp_lt_u32_e32 vcc, v6, v5
	v_cndmask_b32_e64 v6, 0, 2, s[0:1]
	v_add_lshl_u32 v6, v6, v1, 2
	v_cndmask_b32_e32 v3, v2, v3, vcc
	ds_bpermute_b32 v6, v6, v3
	v_add_u32_e32 v7, 2, v4
	v_cmp_lt_u32_e64 s[0:1], v7, v5
	v_add_u32_e32 v7, 4, v4
	s_waitcnt lgkmcnt(0)
	v_add_f32_e32 v6, v3, v6
	v_cndmask_b32_e64 v3, v3, v6, s[0:1]
	v_cmp_gt_u32_e64 s[0:1], 60, v4
	s_nop 1
	v_cndmask_b32_e64 v6, 0, 4, s[0:1]
	v_add_lshl_u32 v6, v6, v1, 2
	ds_bpermute_b32 v6, v6, v3
	v_cmp_lt_u32_e64 s[0:1], v7, v5
	v_add_u32_e32 v7, 8, v4
	s_waitcnt lgkmcnt(0)
	v_add_f32_e32 v6, v3, v6
	v_cndmask_b32_e64 v3, v3, v6, s[0:1]
	v_cmp_gt_u32_e64 s[0:1], 56, v4
	s_nop 1
	v_cndmask_b32_e64 v6, 0, 8, s[0:1]
	v_add_lshl_u32 v6, v6, v1, 2
	ds_bpermute_b32 v6, v6, v3
	v_cmp_lt_u32_e64 s[0:1], v7, v5
	v_add_u32_e32 v7, 16, v4
	s_waitcnt lgkmcnt(0)
	v_add_f32_e32 v6, v3, v6
	v_cndmask_b32_e64 v3, v3, v6, s[0:1]
	v_cmp_gt_u32_e64 s[0:1], 48, v4
	v_add_u32_e32 v4, 32, v4
	s_nop 0
	v_cndmask_b32_e64 v6, 0, 16, s[0:1]
	v_add_lshl_u32 v6, v6, v1, 2
	ds_bpermute_b32 v6, v6, v3
	v_cmp_lt_u32_e64 s[0:1], v7, v5
	s_waitcnt lgkmcnt(0)
	v_add_f32_e32 v6, v3, v6
	v_cndmask_b32_e64 v6, v3, v6, s[0:1]
	v_lshlrev_b32_e32 v3, 2, v1
	v_or_b32_e32 v7, 0x80, v3
	ds_bpermute_b32 v7, v7, v6
	v_cmp_lt_u32_e64 s[0:1], v4, v5
	s_waitcnt lgkmcnt(0)
	v_add_f32_e32 v7, v6, v7
	v_cndmask_b32_e64 v4, v6, v7, s[0:1]
	v_cndmask_b32_e32 v2, v2, v4, vcc
	v_cmp_eq_u32_e32 vcc, 0, v1
	s_and_saveexec_b64 s[0:1], vcc
; %bb.16:
	v_lshrrev_b32_e32 v4, 4, v0
	v_and_b32_e32 v4, 12, v4
	ds_write_b32 v4, v2 offset:16
; %bb.17:
	s_or_b64 exec, exec, s[0:1]
	v_cmp_gt_u32_e32 vcc, 4, v0
	s_waitcnt lgkmcnt(0)
	s_barrier
	s_and_saveexec_b64 s[4:5], vcc
	s_cbranch_execz .LBB39_19
; %bb.18:
	ds_read_b32 v2, v3 offset:16
	v_and_b32_e32 v4, 3, v1
	v_cmp_ne_u32_e32 vcc, 3, v4
	s_add_i32 s6, s6, 63
	s_lshr_b32 s0, s6, 6
	v_addc_co_u32_e32 v1, vcc, 0, v1, vcc
	v_lshlrev_b32_e32 v1, 2, v1
	s_waitcnt lgkmcnt(0)
	ds_bpermute_b32 v1, v1, v2
	v_add_u32_e32 v5, 1, v4
	v_cmp_gt_u32_e32 vcc, s0, v5
	v_or_b32_e32 v3, 8, v3
	v_add_u32_e32 v4, 2, v4
	s_waitcnt lgkmcnt(0)
	v_add_f32_e32 v1, v2, v1
	v_cndmask_b32_e32 v1, v2, v1, vcc
	ds_bpermute_b32 v3, v3, v1
	v_cmp_gt_u32_e64 s[0:1], s0, v4
	s_waitcnt lgkmcnt(0)
	v_add_f32_e32 v3, v1, v3
	v_cndmask_b32_e64 v1, v1, v3, s[0:1]
	v_cndmask_b32_e32 v2, v2, v1, vcc
.LBB39_19:
	s_or_b64 exec, exec, s[4:5]
.LBB39_20:
	v_cmp_eq_u32_e32 vcc, 0, v0
	s_and_saveexec_b64 s[0:1], vcc
	s_cbranch_execnz .LBB39_22
; %bb.21:
	s_endpgm
.LBB39_22:
	s_mul_i32 s0, s14, s13
	s_mul_hi_u32 s1, s14, s12
	s_add_i32 s0, s1, s0
	s_mul_i32 s1, s15, s12
	s_add_i32 s1, s0, s1
	s_mul_i32 s0, s14, s12
	s_lshl_b64 s[0:1], s[0:1], 2
	s_add_u32 s4, s10, s0
	s_addc_u32 s5, s11, s1
	s_cmp_eq_u64 s[8:9], 0
	s_cselect_b64 vcc, -1, 0
	s_lshl_b64 s[0:1], s[2:3], 2
	s_waitcnt lgkmcnt(0)
	v_mov_b32_e32 v0, s18
	s_add_u32 s0, s4, s0
	v_cndmask_b32_e32 v0, v2, v0, vcc
	s_addc_u32 s1, s5, s1
	v_mov_b32_e32 v1, 0
	global_store_dword v1, v0, s[0:1]
	s_endpgm
	.section	.rodata,"a",@progbits
	.p2align	6, 0x0
	.amdhsa_kernel _ZN7rocprim17ROCPRIM_400000_NS6detail17trampoline_kernelINS0_14default_configENS1_22reduce_config_selectorIfEEZNS1_11reduce_implILb1ES3_PfS7_fN6thrust23THRUST_200600_302600_NS4plusIfEEEE10hipError_tPvRmT1_T2_T3_mT4_P12ihipStream_tbEUlT_E0_NS1_11comp_targetILNS1_3genE0ELNS1_11target_archE4294967295ELNS1_3gpuE0ELNS1_3repE0EEENS1_30default_config_static_selectorELNS0_4arch9wavefront6targetE1EEEvSF_
		.amdhsa_group_segment_fixed_size 32
		.amdhsa_private_segment_fixed_size 0
		.amdhsa_kernarg_size 56
		.amdhsa_user_sgpr_count 2
		.amdhsa_user_sgpr_dispatch_ptr 0
		.amdhsa_user_sgpr_queue_ptr 0
		.amdhsa_user_sgpr_kernarg_segment_ptr 1
		.amdhsa_user_sgpr_dispatch_id 0
		.amdhsa_user_sgpr_kernarg_preload_length 0
		.amdhsa_user_sgpr_kernarg_preload_offset 0
		.amdhsa_user_sgpr_private_segment_size 0
		.amdhsa_uses_dynamic_stack 0
		.amdhsa_enable_private_segment 0
		.amdhsa_system_sgpr_workgroup_id_x 1
		.amdhsa_system_sgpr_workgroup_id_y 0
		.amdhsa_system_sgpr_workgroup_id_z 0
		.amdhsa_system_sgpr_workgroup_info 0
		.amdhsa_system_vgpr_workitem_id 0
		.amdhsa_next_free_vgpr 12
		.amdhsa_next_free_sgpr 20
		.amdhsa_accum_offset 12
		.amdhsa_reserve_vcc 1
		.amdhsa_float_round_mode_32 0
		.amdhsa_float_round_mode_16_64 0
		.amdhsa_float_denorm_mode_32 3
		.amdhsa_float_denorm_mode_16_64 3
		.amdhsa_dx10_clamp 1
		.amdhsa_ieee_mode 1
		.amdhsa_fp16_overflow 0
		.amdhsa_tg_split 0
		.amdhsa_exception_fp_ieee_invalid_op 0
		.amdhsa_exception_fp_denorm_src 0
		.amdhsa_exception_fp_ieee_div_zero 0
		.amdhsa_exception_fp_ieee_overflow 0
		.amdhsa_exception_fp_ieee_underflow 0
		.amdhsa_exception_fp_ieee_inexact 0
		.amdhsa_exception_int_div_zero 0
	.end_amdhsa_kernel
	.section	.text._ZN7rocprim17ROCPRIM_400000_NS6detail17trampoline_kernelINS0_14default_configENS1_22reduce_config_selectorIfEEZNS1_11reduce_implILb1ES3_PfS7_fN6thrust23THRUST_200600_302600_NS4plusIfEEEE10hipError_tPvRmT1_T2_T3_mT4_P12ihipStream_tbEUlT_E0_NS1_11comp_targetILNS1_3genE0ELNS1_11target_archE4294967295ELNS1_3gpuE0ELNS1_3repE0EEENS1_30default_config_static_selectorELNS0_4arch9wavefront6targetE1EEEvSF_,"axG",@progbits,_ZN7rocprim17ROCPRIM_400000_NS6detail17trampoline_kernelINS0_14default_configENS1_22reduce_config_selectorIfEEZNS1_11reduce_implILb1ES3_PfS7_fN6thrust23THRUST_200600_302600_NS4plusIfEEEE10hipError_tPvRmT1_T2_T3_mT4_P12ihipStream_tbEUlT_E0_NS1_11comp_targetILNS1_3genE0ELNS1_11target_archE4294967295ELNS1_3gpuE0ELNS1_3repE0EEENS1_30default_config_static_selectorELNS0_4arch9wavefront6targetE1EEEvSF_,comdat
.Lfunc_end39:
	.size	_ZN7rocprim17ROCPRIM_400000_NS6detail17trampoline_kernelINS0_14default_configENS1_22reduce_config_selectorIfEEZNS1_11reduce_implILb1ES3_PfS7_fN6thrust23THRUST_200600_302600_NS4plusIfEEEE10hipError_tPvRmT1_T2_T3_mT4_P12ihipStream_tbEUlT_E0_NS1_11comp_targetILNS1_3genE0ELNS1_11target_archE4294967295ELNS1_3gpuE0ELNS1_3repE0EEENS1_30default_config_static_selectorELNS0_4arch9wavefront6targetE1EEEvSF_, .Lfunc_end39-_ZN7rocprim17ROCPRIM_400000_NS6detail17trampoline_kernelINS0_14default_configENS1_22reduce_config_selectorIfEEZNS1_11reduce_implILb1ES3_PfS7_fN6thrust23THRUST_200600_302600_NS4plusIfEEEE10hipError_tPvRmT1_T2_T3_mT4_P12ihipStream_tbEUlT_E0_NS1_11comp_targetILNS1_3genE0ELNS1_11target_archE4294967295ELNS1_3gpuE0ELNS1_3repE0EEENS1_30default_config_static_selectorELNS0_4arch9wavefront6targetE1EEEvSF_
                                        ; -- End function
	.set _ZN7rocprim17ROCPRIM_400000_NS6detail17trampoline_kernelINS0_14default_configENS1_22reduce_config_selectorIfEEZNS1_11reduce_implILb1ES3_PfS7_fN6thrust23THRUST_200600_302600_NS4plusIfEEEE10hipError_tPvRmT1_T2_T3_mT4_P12ihipStream_tbEUlT_E0_NS1_11comp_targetILNS1_3genE0ELNS1_11target_archE4294967295ELNS1_3gpuE0ELNS1_3repE0EEENS1_30default_config_static_selectorELNS0_4arch9wavefront6targetE1EEEvSF_.num_vgpr, 12
	.set _ZN7rocprim17ROCPRIM_400000_NS6detail17trampoline_kernelINS0_14default_configENS1_22reduce_config_selectorIfEEZNS1_11reduce_implILb1ES3_PfS7_fN6thrust23THRUST_200600_302600_NS4plusIfEEEE10hipError_tPvRmT1_T2_T3_mT4_P12ihipStream_tbEUlT_E0_NS1_11comp_targetILNS1_3genE0ELNS1_11target_archE4294967295ELNS1_3gpuE0ELNS1_3repE0EEENS1_30default_config_static_selectorELNS0_4arch9wavefront6targetE1EEEvSF_.num_agpr, 0
	.set _ZN7rocprim17ROCPRIM_400000_NS6detail17trampoline_kernelINS0_14default_configENS1_22reduce_config_selectorIfEEZNS1_11reduce_implILb1ES3_PfS7_fN6thrust23THRUST_200600_302600_NS4plusIfEEEE10hipError_tPvRmT1_T2_T3_mT4_P12ihipStream_tbEUlT_E0_NS1_11comp_targetILNS1_3genE0ELNS1_11target_archE4294967295ELNS1_3gpuE0ELNS1_3repE0EEENS1_30default_config_static_selectorELNS0_4arch9wavefront6targetE1EEEvSF_.numbered_sgpr, 20
	.set _ZN7rocprim17ROCPRIM_400000_NS6detail17trampoline_kernelINS0_14default_configENS1_22reduce_config_selectorIfEEZNS1_11reduce_implILb1ES3_PfS7_fN6thrust23THRUST_200600_302600_NS4plusIfEEEE10hipError_tPvRmT1_T2_T3_mT4_P12ihipStream_tbEUlT_E0_NS1_11comp_targetILNS1_3genE0ELNS1_11target_archE4294967295ELNS1_3gpuE0ELNS1_3repE0EEENS1_30default_config_static_selectorELNS0_4arch9wavefront6targetE1EEEvSF_.num_named_barrier, 0
	.set _ZN7rocprim17ROCPRIM_400000_NS6detail17trampoline_kernelINS0_14default_configENS1_22reduce_config_selectorIfEEZNS1_11reduce_implILb1ES3_PfS7_fN6thrust23THRUST_200600_302600_NS4plusIfEEEE10hipError_tPvRmT1_T2_T3_mT4_P12ihipStream_tbEUlT_E0_NS1_11comp_targetILNS1_3genE0ELNS1_11target_archE4294967295ELNS1_3gpuE0ELNS1_3repE0EEENS1_30default_config_static_selectorELNS0_4arch9wavefront6targetE1EEEvSF_.private_seg_size, 0
	.set _ZN7rocprim17ROCPRIM_400000_NS6detail17trampoline_kernelINS0_14default_configENS1_22reduce_config_selectorIfEEZNS1_11reduce_implILb1ES3_PfS7_fN6thrust23THRUST_200600_302600_NS4plusIfEEEE10hipError_tPvRmT1_T2_T3_mT4_P12ihipStream_tbEUlT_E0_NS1_11comp_targetILNS1_3genE0ELNS1_11target_archE4294967295ELNS1_3gpuE0ELNS1_3repE0EEENS1_30default_config_static_selectorELNS0_4arch9wavefront6targetE1EEEvSF_.uses_vcc, 1
	.set _ZN7rocprim17ROCPRIM_400000_NS6detail17trampoline_kernelINS0_14default_configENS1_22reduce_config_selectorIfEEZNS1_11reduce_implILb1ES3_PfS7_fN6thrust23THRUST_200600_302600_NS4plusIfEEEE10hipError_tPvRmT1_T2_T3_mT4_P12ihipStream_tbEUlT_E0_NS1_11comp_targetILNS1_3genE0ELNS1_11target_archE4294967295ELNS1_3gpuE0ELNS1_3repE0EEENS1_30default_config_static_selectorELNS0_4arch9wavefront6targetE1EEEvSF_.uses_flat_scratch, 0
	.set _ZN7rocprim17ROCPRIM_400000_NS6detail17trampoline_kernelINS0_14default_configENS1_22reduce_config_selectorIfEEZNS1_11reduce_implILb1ES3_PfS7_fN6thrust23THRUST_200600_302600_NS4plusIfEEEE10hipError_tPvRmT1_T2_T3_mT4_P12ihipStream_tbEUlT_E0_NS1_11comp_targetILNS1_3genE0ELNS1_11target_archE4294967295ELNS1_3gpuE0ELNS1_3repE0EEENS1_30default_config_static_selectorELNS0_4arch9wavefront6targetE1EEEvSF_.has_dyn_sized_stack, 0
	.set _ZN7rocprim17ROCPRIM_400000_NS6detail17trampoline_kernelINS0_14default_configENS1_22reduce_config_selectorIfEEZNS1_11reduce_implILb1ES3_PfS7_fN6thrust23THRUST_200600_302600_NS4plusIfEEEE10hipError_tPvRmT1_T2_T3_mT4_P12ihipStream_tbEUlT_E0_NS1_11comp_targetILNS1_3genE0ELNS1_11target_archE4294967295ELNS1_3gpuE0ELNS1_3repE0EEENS1_30default_config_static_selectorELNS0_4arch9wavefront6targetE1EEEvSF_.has_recursion, 0
	.set _ZN7rocprim17ROCPRIM_400000_NS6detail17trampoline_kernelINS0_14default_configENS1_22reduce_config_selectorIfEEZNS1_11reduce_implILb1ES3_PfS7_fN6thrust23THRUST_200600_302600_NS4plusIfEEEE10hipError_tPvRmT1_T2_T3_mT4_P12ihipStream_tbEUlT_E0_NS1_11comp_targetILNS1_3genE0ELNS1_11target_archE4294967295ELNS1_3gpuE0ELNS1_3repE0EEENS1_30default_config_static_selectorELNS0_4arch9wavefront6targetE1EEEvSF_.has_indirect_call, 0
	.section	.AMDGPU.csdata,"",@progbits
; Kernel info:
; codeLenInByte = 1240
; TotalNumSgprs: 26
; NumVgprs: 12
; NumAgprs: 0
; TotalNumVgprs: 12
; ScratchSize: 0
; MemoryBound: 0
; FloatMode: 240
; IeeeMode: 1
; LDSByteSize: 32 bytes/workgroup (compile time only)
; SGPRBlocks: 3
; VGPRBlocks: 1
; NumSGPRsForWavesPerEU: 26
; NumVGPRsForWavesPerEU: 12
; AccumOffset: 12
; Occupancy: 8
; WaveLimiterHint : 1
; COMPUTE_PGM_RSRC2:SCRATCH_EN: 0
; COMPUTE_PGM_RSRC2:USER_SGPR: 2
; COMPUTE_PGM_RSRC2:TRAP_HANDLER: 0
; COMPUTE_PGM_RSRC2:TGID_X_EN: 1
; COMPUTE_PGM_RSRC2:TGID_Y_EN: 0
; COMPUTE_PGM_RSRC2:TGID_Z_EN: 0
; COMPUTE_PGM_RSRC2:TIDIG_COMP_CNT: 0
; COMPUTE_PGM_RSRC3_GFX90A:ACCUM_OFFSET: 2
; COMPUTE_PGM_RSRC3_GFX90A:TG_SPLIT: 0
	.section	.text._ZN7rocprim17ROCPRIM_400000_NS6detail17trampoline_kernelINS0_14default_configENS1_22reduce_config_selectorIfEEZNS1_11reduce_implILb1ES3_PfS7_fN6thrust23THRUST_200600_302600_NS4plusIfEEEE10hipError_tPvRmT1_T2_T3_mT4_P12ihipStream_tbEUlT_E0_NS1_11comp_targetILNS1_3genE5ELNS1_11target_archE942ELNS1_3gpuE9ELNS1_3repE0EEENS1_30default_config_static_selectorELNS0_4arch9wavefront6targetE1EEEvSF_,"axG",@progbits,_ZN7rocprim17ROCPRIM_400000_NS6detail17trampoline_kernelINS0_14default_configENS1_22reduce_config_selectorIfEEZNS1_11reduce_implILb1ES3_PfS7_fN6thrust23THRUST_200600_302600_NS4plusIfEEEE10hipError_tPvRmT1_T2_T3_mT4_P12ihipStream_tbEUlT_E0_NS1_11comp_targetILNS1_3genE5ELNS1_11target_archE942ELNS1_3gpuE9ELNS1_3repE0EEENS1_30default_config_static_selectorELNS0_4arch9wavefront6targetE1EEEvSF_,comdat
	.protected	_ZN7rocprim17ROCPRIM_400000_NS6detail17trampoline_kernelINS0_14default_configENS1_22reduce_config_selectorIfEEZNS1_11reduce_implILb1ES3_PfS7_fN6thrust23THRUST_200600_302600_NS4plusIfEEEE10hipError_tPvRmT1_T2_T3_mT4_P12ihipStream_tbEUlT_E0_NS1_11comp_targetILNS1_3genE5ELNS1_11target_archE942ELNS1_3gpuE9ELNS1_3repE0EEENS1_30default_config_static_selectorELNS0_4arch9wavefront6targetE1EEEvSF_ ; -- Begin function _ZN7rocprim17ROCPRIM_400000_NS6detail17trampoline_kernelINS0_14default_configENS1_22reduce_config_selectorIfEEZNS1_11reduce_implILb1ES3_PfS7_fN6thrust23THRUST_200600_302600_NS4plusIfEEEE10hipError_tPvRmT1_T2_T3_mT4_P12ihipStream_tbEUlT_E0_NS1_11comp_targetILNS1_3genE5ELNS1_11target_archE942ELNS1_3gpuE9ELNS1_3repE0EEENS1_30default_config_static_selectorELNS0_4arch9wavefront6targetE1EEEvSF_
	.globl	_ZN7rocprim17ROCPRIM_400000_NS6detail17trampoline_kernelINS0_14default_configENS1_22reduce_config_selectorIfEEZNS1_11reduce_implILb1ES3_PfS7_fN6thrust23THRUST_200600_302600_NS4plusIfEEEE10hipError_tPvRmT1_T2_T3_mT4_P12ihipStream_tbEUlT_E0_NS1_11comp_targetILNS1_3genE5ELNS1_11target_archE942ELNS1_3gpuE9ELNS1_3repE0EEENS1_30default_config_static_selectorELNS0_4arch9wavefront6targetE1EEEvSF_
	.p2align	8
	.type	_ZN7rocprim17ROCPRIM_400000_NS6detail17trampoline_kernelINS0_14default_configENS1_22reduce_config_selectorIfEEZNS1_11reduce_implILb1ES3_PfS7_fN6thrust23THRUST_200600_302600_NS4plusIfEEEE10hipError_tPvRmT1_T2_T3_mT4_P12ihipStream_tbEUlT_E0_NS1_11comp_targetILNS1_3genE5ELNS1_11target_archE942ELNS1_3gpuE9ELNS1_3repE0EEENS1_30default_config_static_selectorELNS0_4arch9wavefront6targetE1EEEvSF_,@function
_ZN7rocprim17ROCPRIM_400000_NS6detail17trampoline_kernelINS0_14default_configENS1_22reduce_config_selectorIfEEZNS1_11reduce_implILb1ES3_PfS7_fN6thrust23THRUST_200600_302600_NS4plusIfEEEE10hipError_tPvRmT1_T2_T3_mT4_P12ihipStream_tbEUlT_E0_NS1_11comp_targetILNS1_3genE5ELNS1_11target_archE942ELNS1_3gpuE9ELNS1_3repE0EEENS1_30default_config_static_selectorELNS0_4arch9wavefront6targetE1EEEvSF_: ; @_ZN7rocprim17ROCPRIM_400000_NS6detail17trampoline_kernelINS0_14default_configENS1_22reduce_config_selectorIfEEZNS1_11reduce_implILb1ES3_PfS7_fN6thrust23THRUST_200600_302600_NS4plusIfEEEE10hipError_tPvRmT1_T2_T3_mT4_P12ihipStream_tbEUlT_E0_NS1_11comp_targetILNS1_3genE5ELNS1_11target_archE942ELNS1_3gpuE9ELNS1_3repE0EEENS1_30default_config_static_selectorELNS0_4arch9wavefront6targetE1EEEvSF_
; %bb.0:
	.section	.rodata,"a",@progbits
	.p2align	6, 0x0
	.amdhsa_kernel _ZN7rocprim17ROCPRIM_400000_NS6detail17trampoline_kernelINS0_14default_configENS1_22reduce_config_selectorIfEEZNS1_11reduce_implILb1ES3_PfS7_fN6thrust23THRUST_200600_302600_NS4plusIfEEEE10hipError_tPvRmT1_T2_T3_mT4_P12ihipStream_tbEUlT_E0_NS1_11comp_targetILNS1_3genE5ELNS1_11target_archE942ELNS1_3gpuE9ELNS1_3repE0EEENS1_30default_config_static_selectorELNS0_4arch9wavefront6targetE1EEEvSF_
		.amdhsa_group_segment_fixed_size 0
		.amdhsa_private_segment_fixed_size 0
		.amdhsa_kernarg_size 56
		.amdhsa_user_sgpr_count 2
		.amdhsa_user_sgpr_dispatch_ptr 0
		.amdhsa_user_sgpr_queue_ptr 0
		.amdhsa_user_sgpr_kernarg_segment_ptr 1
		.amdhsa_user_sgpr_dispatch_id 0
		.amdhsa_user_sgpr_kernarg_preload_length 0
		.amdhsa_user_sgpr_kernarg_preload_offset 0
		.amdhsa_user_sgpr_private_segment_size 0
		.amdhsa_uses_dynamic_stack 0
		.amdhsa_enable_private_segment 0
		.amdhsa_system_sgpr_workgroup_id_x 1
		.amdhsa_system_sgpr_workgroup_id_y 0
		.amdhsa_system_sgpr_workgroup_id_z 0
		.amdhsa_system_sgpr_workgroup_info 0
		.amdhsa_system_vgpr_workitem_id 0
		.amdhsa_next_free_vgpr 1
		.amdhsa_next_free_sgpr 0
		.amdhsa_accum_offset 4
		.amdhsa_reserve_vcc 0
		.amdhsa_float_round_mode_32 0
		.amdhsa_float_round_mode_16_64 0
		.amdhsa_float_denorm_mode_32 3
		.amdhsa_float_denorm_mode_16_64 3
		.amdhsa_dx10_clamp 1
		.amdhsa_ieee_mode 1
		.amdhsa_fp16_overflow 0
		.amdhsa_tg_split 0
		.amdhsa_exception_fp_ieee_invalid_op 0
		.amdhsa_exception_fp_denorm_src 0
		.amdhsa_exception_fp_ieee_div_zero 0
		.amdhsa_exception_fp_ieee_overflow 0
		.amdhsa_exception_fp_ieee_underflow 0
		.amdhsa_exception_fp_ieee_inexact 0
		.amdhsa_exception_int_div_zero 0
	.end_amdhsa_kernel
	.section	.text._ZN7rocprim17ROCPRIM_400000_NS6detail17trampoline_kernelINS0_14default_configENS1_22reduce_config_selectorIfEEZNS1_11reduce_implILb1ES3_PfS7_fN6thrust23THRUST_200600_302600_NS4plusIfEEEE10hipError_tPvRmT1_T2_T3_mT4_P12ihipStream_tbEUlT_E0_NS1_11comp_targetILNS1_3genE5ELNS1_11target_archE942ELNS1_3gpuE9ELNS1_3repE0EEENS1_30default_config_static_selectorELNS0_4arch9wavefront6targetE1EEEvSF_,"axG",@progbits,_ZN7rocprim17ROCPRIM_400000_NS6detail17trampoline_kernelINS0_14default_configENS1_22reduce_config_selectorIfEEZNS1_11reduce_implILb1ES3_PfS7_fN6thrust23THRUST_200600_302600_NS4plusIfEEEE10hipError_tPvRmT1_T2_T3_mT4_P12ihipStream_tbEUlT_E0_NS1_11comp_targetILNS1_3genE5ELNS1_11target_archE942ELNS1_3gpuE9ELNS1_3repE0EEENS1_30default_config_static_selectorELNS0_4arch9wavefront6targetE1EEEvSF_,comdat
.Lfunc_end40:
	.size	_ZN7rocprim17ROCPRIM_400000_NS6detail17trampoline_kernelINS0_14default_configENS1_22reduce_config_selectorIfEEZNS1_11reduce_implILb1ES3_PfS7_fN6thrust23THRUST_200600_302600_NS4plusIfEEEE10hipError_tPvRmT1_T2_T3_mT4_P12ihipStream_tbEUlT_E0_NS1_11comp_targetILNS1_3genE5ELNS1_11target_archE942ELNS1_3gpuE9ELNS1_3repE0EEENS1_30default_config_static_selectorELNS0_4arch9wavefront6targetE1EEEvSF_, .Lfunc_end40-_ZN7rocprim17ROCPRIM_400000_NS6detail17trampoline_kernelINS0_14default_configENS1_22reduce_config_selectorIfEEZNS1_11reduce_implILb1ES3_PfS7_fN6thrust23THRUST_200600_302600_NS4plusIfEEEE10hipError_tPvRmT1_T2_T3_mT4_P12ihipStream_tbEUlT_E0_NS1_11comp_targetILNS1_3genE5ELNS1_11target_archE942ELNS1_3gpuE9ELNS1_3repE0EEENS1_30default_config_static_selectorELNS0_4arch9wavefront6targetE1EEEvSF_
                                        ; -- End function
	.set _ZN7rocprim17ROCPRIM_400000_NS6detail17trampoline_kernelINS0_14default_configENS1_22reduce_config_selectorIfEEZNS1_11reduce_implILb1ES3_PfS7_fN6thrust23THRUST_200600_302600_NS4plusIfEEEE10hipError_tPvRmT1_T2_T3_mT4_P12ihipStream_tbEUlT_E0_NS1_11comp_targetILNS1_3genE5ELNS1_11target_archE942ELNS1_3gpuE9ELNS1_3repE0EEENS1_30default_config_static_selectorELNS0_4arch9wavefront6targetE1EEEvSF_.num_vgpr, 0
	.set _ZN7rocprim17ROCPRIM_400000_NS6detail17trampoline_kernelINS0_14default_configENS1_22reduce_config_selectorIfEEZNS1_11reduce_implILb1ES3_PfS7_fN6thrust23THRUST_200600_302600_NS4plusIfEEEE10hipError_tPvRmT1_T2_T3_mT4_P12ihipStream_tbEUlT_E0_NS1_11comp_targetILNS1_3genE5ELNS1_11target_archE942ELNS1_3gpuE9ELNS1_3repE0EEENS1_30default_config_static_selectorELNS0_4arch9wavefront6targetE1EEEvSF_.num_agpr, 0
	.set _ZN7rocprim17ROCPRIM_400000_NS6detail17trampoline_kernelINS0_14default_configENS1_22reduce_config_selectorIfEEZNS1_11reduce_implILb1ES3_PfS7_fN6thrust23THRUST_200600_302600_NS4plusIfEEEE10hipError_tPvRmT1_T2_T3_mT4_P12ihipStream_tbEUlT_E0_NS1_11comp_targetILNS1_3genE5ELNS1_11target_archE942ELNS1_3gpuE9ELNS1_3repE0EEENS1_30default_config_static_selectorELNS0_4arch9wavefront6targetE1EEEvSF_.numbered_sgpr, 0
	.set _ZN7rocprim17ROCPRIM_400000_NS6detail17trampoline_kernelINS0_14default_configENS1_22reduce_config_selectorIfEEZNS1_11reduce_implILb1ES3_PfS7_fN6thrust23THRUST_200600_302600_NS4plusIfEEEE10hipError_tPvRmT1_T2_T3_mT4_P12ihipStream_tbEUlT_E0_NS1_11comp_targetILNS1_3genE5ELNS1_11target_archE942ELNS1_3gpuE9ELNS1_3repE0EEENS1_30default_config_static_selectorELNS0_4arch9wavefront6targetE1EEEvSF_.num_named_barrier, 0
	.set _ZN7rocprim17ROCPRIM_400000_NS6detail17trampoline_kernelINS0_14default_configENS1_22reduce_config_selectorIfEEZNS1_11reduce_implILb1ES3_PfS7_fN6thrust23THRUST_200600_302600_NS4plusIfEEEE10hipError_tPvRmT1_T2_T3_mT4_P12ihipStream_tbEUlT_E0_NS1_11comp_targetILNS1_3genE5ELNS1_11target_archE942ELNS1_3gpuE9ELNS1_3repE0EEENS1_30default_config_static_selectorELNS0_4arch9wavefront6targetE1EEEvSF_.private_seg_size, 0
	.set _ZN7rocprim17ROCPRIM_400000_NS6detail17trampoline_kernelINS0_14default_configENS1_22reduce_config_selectorIfEEZNS1_11reduce_implILb1ES3_PfS7_fN6thrust23THRUST_200600_302600_NS4plusIfEEEE10hipError_tPvRmT1_T2_T3_mT4_P12ihipStream_tbEUlT_E0_NS1_11comp_targetILNS1_3genE5ELNS1_11target_archE942ELNS1_3gpuE9ELNS1_3repE0EEENS1_30default_config_static_selectorELNS0_4arch9wavefront6targetE1EEEvSF_.uses_vcc, 0
	.set _ZN7rocprim17ROCPRIM_400000_NS6detail17trampoline_kernelINS0_14default_configENS1_22reduce_config_selectorIfEEZNS1_11reduce_implILb1ES3_PfS7_fN6thrust23THRUST_200600_302600_NS4plusIfEEEE10hipError_tPvRmT1_T2_T3_mT4_P12ihipStream_tbEUlT_E0_NS1_11comp_targetILNS1_3genE5ELNS1_11target_archE942ELNS1_3gpuE9ELNS1_3repE0EEENS1_30default_config_static_selectorELNS0_4arch9wavefront6targetE1EEEvSF_.uses_flat_scratch, 0
	.set _ZN7rocprim17ROCPRIM_400000_NS6detail17trampoline_kernelINS0_14default_configENS1_22reduce_config_selectorIfEEZNS1_11reduce_implILb1ES3_PfS7_fN6thrust23THRUST_200600_302600_NS4plusIfEEEE10hipError_tPvRmT1_T2_T3_mT4_P12ihipStream_tbEUlT_E0_NS1_11comp_targetILNS1_3genE5ELNS1_11target_archE942ELNS1_3gpuE9ELNS1_3repE0EEENS1_30default_config_static_selectorELNS0_4arch9wavefront6targetE1EEEvSF_.has_dyn_sized_stack, 0
	.set _ZN7rocprim17ROCPRIM_400000_NS6detail17trampoline_kernelINS0_14default_configENS1_22reduce_config_selectorIfEEZNS1_11reduce_implILb1ES3_PfS7_fN6thrust23THRUST_200600_302600_NS4plusIfEEEE10hipError_tPvRmT1_T2_T3_mT4_P12ihipStream_tbEUlT_E0_NS1_11comp_targetILNS1_3genE5ELNS1_11target_archE942ELNS1_3gpuE9ELNS1_3repE0EEENS1_30default_config_static_selectorELNS0_4arch9wavefront6targetE1EEEvSF_.has_recursion, 0
	.set _ZN7rocprim17ROCPRIM_400000_NS6detail17trampoline_kernelINS0_14default_configENS1_22reduce_config_selectorIfEEZNS1_11reduce_implILb1ES3_PfS7_fN6thrust23THRUST_200600_302600_NS4plusIfEEEE10hipError_tPvRmT1_T2_T3_mT4_P12ihipStream_tbEUlT_E0_NS1_11comp_targetILNS1_3genE5ELNS1_11target_archE942ELNS1_3gpuE9ELNS1_3repE0EEENS1_30default_config_static_selectorELNS0_4arch9wavefront6targetE1EEEvSF_.has_indirect_call, 0
	.section	.AMDGPU.csdata,"",@progbits
; Kernel info:
; codeLenInByte = 0
; TotalNumSgprs: 6
; NumVgprs: 0
; NumAgprs: 0
; TotalNumVgprs: 0
; ScratchSize: 0
; MemoryBound: 0
; FloatMode: 240
; IeeeMode: 1
; LDSByteSize: 0 bytes/workgroup (compile time only)
; SGPRBlocks: 0
; VGPRBlocks: 0
; NumSGPRsForWavesPerEU: 6
; NumVGPRsForWavesPerEU: 1
; AccumOffset: 4
; Occupancy: 8
; WaveLimiterHint : 0
; COMPUTE_PGM_RSRC2:SCRATCH_EN: 0
; COMPUTE_PGM_RSRC2:USER_SGPR: 2
; COMPUTE_PGM_RSRC2:TRAP_HANDLER: 0
; COMPUTE_PGM_RSRC2:TGID_X_EN: 1
; COMPUTE_PGM_RSRC2:TGID_Y_EN: 0
; COMPUTE_PGM_RSRC2:TGID_Z_EN: 0
; COMPUTE_PGM_RSRC2:TIDIG_COMP_CNT: 0
; COMPUTE_PGM_RSRC3_GFX90A:ACCUM_OFFSET: 0
; COMPUTE_PGM_RSRC3_GFX90A:TG_SPLIT: 0
	.section	.text._ZN7rocprim17ROCPRIM_400000_NS6detail17trampoline_kernelINS0_14default_configENS1_22reduce_config_selectorIfEEZNS1_11reduce_implILb1ES3_PfS7_fN6thrust23THRUST_200600_302600_NS4plusIfEEEE10hipError_tPvRmT1_T2_T3_mT4_P12ihipStream_tbEUlT_E0_NS1_11comp_targetILNS1_3genE4ELNS1_11target_archE910ELNS1_3gpuE8ELNS1_3repE0EEENS1_30default_config_static_selectorELNS0_4arch9wavefront6targetE1EEEvSF_,"axG",@progbits,_ZN7rocprim17ROCPRIM_400000_NS6detail17trampoline_kernelINS0_14default_configENS1_22reduce_config_selectorIfEEZNS1_11reduce_implILb1ES3_PfS7_fN6thrust23THRUST_200600_302600_NS4plusIfEEEE10hipError_tPvRmT1_T2_T3_mT4_P12ihipStream_tbEUlT_E0_NS1_11comp_targetILNS1_3genE4ELNS1_11target_archE910ELNS1_3gpuE8ELNS1_3repE0EEENS1_30default_config_static_selectorELNS0_4arch9wavefront6targetE1EEEvSF_,comdat
	.protected	_ZN7rocprim17ROCPRIM_400000_NS6detail17trampoline_kernelINS0_14default_configENS1_22reduce_config_selectorIfEEZNS1_11reduce_implILb1ES3_PfS7_fN6thrust23THRUST_200600_302600_NS4plusIfEEEE10hipError_tPvRmT1_T2_T3_mT4_P12ihipStream_tbEUlT_E0_NS1_11comp_targetILNS1_3genE4ELNS1_11target_archE910ELNS1_3gpuE8ELNS1_3repE0EEENS1_30default_config_static_selectorELNS0_4arch9wavefront6targetE1EEEvSF_ ; -- Begin function _ZN7rocprim17ROCPRIM_400000_NS6detail17trampoline_kernelINS0_14default_configENS1_22reduce_config_selectorIfEEZNS1_11reduce_implILb1ES3_PfS7_fN6thrust23THRUST_200600_302600_NS4plusIfEEEE10hipError_tPvRmT1_T2_T3_mT4_P12ihipStream_tbEUlT_E0_NS1_11comp_targetILNS1_3genE4ELNS1_11target_archE910ELNS1_3gpuE8ELNS1_3repE0EEENS1_30default_config_static_selectorELNS0_4arch9wavefront6targetE1EEEvSF_
	.globl	_ZN7rocprim17ROCPRIM_400000_NS6detail17trampoline_kernelINS0_14default_configENS1_22reduce_config_selectorIfEEZNS1_11reduce_implILb1ES3_PfS7_fN6thrust23THRUST_200600_302600_NS4plusIfEEEE10hipError_tPvRmT1_T2_T3_mT4_P12ihipStream_tbEUlT_E0_NS1_11comp_targetILNS1_3genE4ELNS1_11target_archE910ELNS1_3gpuE8ELNS1_3repE0EEENS1_30default_config_static_selectorELNS0_4arch9wavefront6targetE1EEEvSF_
	.p2align	8
	.type	_ZN7rocprim17ROCPRIM_400000_NS6detail17trampoline_kernelINS0_14default_configENS1_22reduce_config_selectorIfEEZNS1_11reduce_implILb1ES3_PfS7_fN6thrust23THRUST_200600_302600_NS4plusIfEEEE10hipError_tPvRmT1_T2_T3_mT4_P12ihipStream_tbEUlT_E0_NS1_11comp_targetILNS1_3genE4ELNS1_11target_archE910ELNS1_3gpuE8ELNS1_3repE0EEENS1_30default_config_static_selectorELNS0_4arch9wavefront6targetE1EEEvSF_,@function
_ZN7rocprim17ROCPRIM_400000_NS6detail17trampoline_kernelINS0_14default_configENS1_22reduce_config_selectorIfEEZNS1_11reduce_implILb1ES3_PfS7_fN6thrust23THRUST_200600_302600_NS4plusIfEEEE10hipError_tPvRmT1_T2_T3_mT4_P12ihipStream_tbEUlT_E0_NS1_11comp_targetILNS1_3genE4ELNS1_11target_archE910ELNS1_3gpuE8ELNS1_3repE0EEENS1_30default_config_static_selectorELNS0_4arch9wavefront6targetE1EEEvSF_: ; @_ZN7rocprim17ROCPRIM_400000_NS6detail17trampoline_kernelINS0_14default_configENS1_22reduce_config_selectorIfEEZNS1_11reduce_implILb1ES3_PfS7_fN6thrust23THRUST_200600_302600_NS4plusIfEEEE10hipError_tPvRmT1_T2_T3_mT4_P12ihipStream_tbEUlT_E0_NS1_11comp_targetILNS1_3genE4ELNS1_11target_archE910ELNS1_3gpuE8ELNS1_3repE0EEENS1_30default_config_static_selectorELNS0_4arch9wavefront6targetE1EEEvSF_
; %bb.0:
	.section	.rodata,"a",@progbits
	.p2align	6, 0x0
	.amdhsa_kernel _ZN7rocprim17ROCPRIM_400000_NS6detail17trampoline_kernelINS0_14default_configENS1_22reduce_config_selectorIfEEZNS1_11reduce_implILb1ES3_PfS7_fN6thrust23THRUST_200600_302600_NS4plusIfEEEE10hipError_tPvRmT1_T2_T3_mT4_P12ihipStream_tbEUlT_E0_NS1_11comp_targetILNS1_3genE4ELNS1_11target_archE910ELNS1_3gpuE8ELNS1_3repE0EEENS1_30default_config_static_selectorELNS0_4arch9wavefront6targetE1EEEvSF_
		.amdhsa_group_segment_fixed_size 0
		.amdhsa_private_segment_fixed_size 0
		.amdhsa_kernarg_size 56
		.amdhsa_user_sgpr_count 2
		.amdhsa_user_sgpr_dispatch_ptr 0
		.amdhsa_user_sgpr_queue_ptr 0
		.amdhsa_user_sgpr_kernarg_segment_ptr 1
		.amdhsa_user_sgpr_dispatch_id 0
		.amdhsa_user_sgpr_kernarg_preload_length 0
		.amdhsa_user_sgpr_kernarg_preload_offset 0
		.amdhsa_user_sgpr_private_segment_size 0
		.amdhsa_uses_dynamic_stack 0
		.amdhsa_enable_private_segment 0
		.amdhsa_system_sgpr_workgroup_id_x 1
		.amdhsa_system_sgpr_workgroup_id_y 0
		.amdhsa_system_sgpr_workgroup_id_z 0
		.amdhsa_system_sgpr_workgroup_info 0
		.amdhsa_system_vgpr_workitem_id 0
		.amdhsa_next_free_vgpr 1
		.amdhsa_next_free_sgpr 0
		.amdhsa_accum_offset 4
		.amdhsa_reserve_vcc 0
		.amdhsa_float_round_mode_32 0
		.amdhsa_float_round_mode_16_64 0
		.amdhsa_float_denorm_mode_32 3
		.amdhsa_float_denorm_mode_16_64 3
		.amdhsa_dx10_clamp 1
		.amdhsa_ieee_mode 1
		.amdhsa_fp16_overflow 0
		.amdhsa_tg_split 0
		.amdhsa_exception_fp_ieee_invalid_op 0
		.amdhsa_exception_fp_denorm_src 0
		.amdhsa_exception_fp_ieee_div_zero 0
		.amdhsa_exception_fp_ieee_overflow 0
		.amdhsa_exception_fp_ieee_underflow 0
		.amdhsa_exception_fp_ieee_inexact 0
		.amdhsa_exception_int_div_zero 0
	.end_amdhsa_kernel
	.section	.text._ZN7rocprim17ROCPRIM_400000_NS6detail17trampoline_kernelINS0_14default_configENS1_22reduce_config_selectorIfEEZNS1_11reduce_implILb1ES3_PfS7_fN6thrust23THRUST_200600_302600_NS4plusIfEEEE10hipError_tPvRmT1_T2_T3_mT4_P12ihipStream_tbEUlT_E0_NS1_11comp_targetILNS1_3genE4ELNS1_11target_archE910ELNS1_3gpuE8ELNS1_3repE0EEENS1_30default_config_static_selectorELNS0_4arch9wavefront6targetE1EEEvSF_,"axG",@progbits,_ZN7rocprim17ROCPRIM_400000_NS6detail17trampoline_kernelINS0_14default_configENS1_22reduce_config_selectorIfEEZNS1_11reduce_implILb1ES3_PfS7_fN6thrust23THRUST_200600_302600_NS4plusIfEEEE10hipError_tPvRmT1_T2_T3_mT4_P12ihipStream_tbEUlT_E0_NS1_11comp_targetILNS1_3genE4ELNS1_11target_archE910ELNS1_3gpuE8ELNS1_3repE0EEENS1_30default_config_static_selectorELNS0_4arch9wavefront6targetE1EEEvSF_,comdat
.Lfunc_end41:
	.size	_ZN7rocprim17ROCPRIM_400000_NS6detail17trampoline_kernelINS0_14default_configENS1_22reduce_config_selectorIfEEZNS1_11reduce_implILb1ES3_PfS7_fN6thrust23THRUST_200600_302600_NS4plusIfEEEE10hipError_tPvRmT1_T2_T3_mT4_P12ihipStream_tbEUlT_E0_NS1_11comp_targetILNS1_3genE4ELNS1_11target_archE910ELNS1_3gpuE8ELNS1_3repE0EEENS1_30default_config_static_selectorELNS0_4arch9wavefront6targetE1EEEvSF_, .Lfunc_end41-_ZN7rocprim17ROCPRIM_400000_NS6detail17trampoline_kernelINS0_14default_configENS1_22reduce_config_selectorIfEEZNS1_11reduce_implILb1ES3_PfS7_fN6thrust23THRUST_200600_302600_NS4plusIfEEEE10hipError_tPvRmT1_T2_T3_mT4_P12ihipStream_tbEUlT_E0_NS1_11comp_targetILNS1_3genE4ELNS1_11target_archE910ELNS1_3gpuE8ELNS1_3repE0EEENS1_30default_config_static_selectorELNS0_4arch9wavefront6targetE1EEEvSF_
                                        ; -- End function
	.set _ZN7rocprim17ROCPRIM_400000_NS6detail17trampoline_kernelINS0_14default_configENS1_22reduce_config_selectorIfEEZNS1_11reduce_implILb1ES3_PfS7_fN6thrust23THRUST_200600_302600_NS4plusIfEEEE10hipError_tPvRmT1_T2_T3_mT4_P12ihipStream_tbEUlT_E0_NS1_11comp_targetILNS1_3genE4ELNS1_11target_archE910ELNS1_3gpuE8ELNS1_3repE0EEENS1_30default_config_static_selectorELNS0_4arch9wavefront6targetE1EEEvSF_.num_vgpr, 0
	.set _ZN7rocprim17ROCPRIM_400000_NS6detail17trampoline_kernelINS0_14default_configENS1_22reduce_config_selectorIfEEZNS1_11reduce_implILb1ES3_PfS7_fN6thrust23THRUST_200600_302600_NS4plusIfEEEE10hipError_tPvRmT1_T2_T3_mT4_P12ihipStream_tbEUlT_E0_NS1_11comp_targetILNS1_3genE4ELNS1_11target_archE910ELNS1_3gpuE8ELNS1_3repE0EEENS1_30default_config_static_selectorELNS0_4arch9wavefront6targetE1EEEvSF_.num_agpr, 0
	.set _ZN7rocprim17ROCPRIM_400000_NS6detail17trampoline_kernelINS0_14default_configENS1_22reduce_config_selectorIfEEZNS1_11reduce_implILb1ES3_PfS7_fN6thrust23THRUST_200600_302600_NS4plusIfEEEE10hipError_tPvRmT1_T2_T3_mT4_P12ihipStream_tbEUlT_E0_NS1_11comp_targetILNS1_3genE4ELNS1_11target_archE910ELNS1_3gpuE8ELNS1_3repE0EEENS1_30default_config_static_selectorELNS0_4arch9wavefront6targetE1EEEvSF_.numbered_sgpr, 0
	.set _ZN7rocprim17ROCPRIM_400000_NS6detail17trampoline_kernelINS0_14default_configENS1_22reduce_config_selectorIfEEZNS1_11reduce_implILb1ES3_PfS7_fN6thrust23THRUST_200600_302600_NS4plusIfEEEE10hipError_tPvRmT1_T2_T3_mT4_P12ihipStream_tbEUlT_E0_NS1_11comp_targetILNS1_3genE4ELNS1_11target_archE910ELNS1_3gpuE8ELNS1_3repE0EEENS1_30default_config_static_selectorELNS0_4arch9wavefront6targetE1EEEvSF_.num_named_barrier, 0
	.set _ZN7rocprim17ROCPRIM_400000_NS6detail17trampoline_kernelINS0_14default_configENS1_22reduce_config_selectorIfEEZNS1_11reduce_implILb1ES3_PfS7_fN6thrust23THRUST_200600_302600_NS4plusIfEEEE10hipError_tPvRmT1_T2_T3_mT4_P12ihipStream_tbEUlT_E0_NS1_11comp_targetILNS1_3genE4ELNS1_11target_archE910ELNS1_3gpuE8ELNS1_3repE0EEENS1_30default_config_static_selectorELNS0_4arch9wavefront6targetE1EEEvSF_.private_seg_size, 0
	.set _ZN7rocprim17ROCPRIM_400000_NS6detail17trampoline_kernelINS0_14default_configENS1_22reduce_config_selectorIfEEZNS1_11reduce_implILb1ES3_PfS7_fN6thrust23THRUST_200600_302600_NS4plusIfEEEE10hipError_tPvRmT1_T2_T3_mT4_P12ihipStream_tbEUlT_E0_NS1_11comp_targetILNS1_3genE4ELNS1_11target_archE910ELNS1_3gpuE8ELNS1_3repE0EEENS1_30default_config_static_selectorELNS0_4arch9wavefront6targetE1EEEvSF_.uses_vcc, 0
	.set _ZN7rocprim17ROCPRIM_400000_NS6detail17trampoline_kernelINS0_14default_configENS1_22reduce_config_selectorIfEEZNS1_11reduce_implILb1ES3_PfS7_fN6thrust23THRUST_200600_302600_NS4plusIfEEEE10hipError_tPvRmT1_T2_T3_mT4_P12ihipStream_tbEUlT_E0_NS1_11comp_targetILNS1_3genE4ELNS1_11target_archE910ELNS1_3gpuE8ELNS1_3repE0EEENS1_30default_config_static_selectorELNS0_4arch9wavefront6targetE1EEEvSF_.uses_flat_scratch, 0
	.set _ZN7rocprim17ROCPRIM_400000_NS6detail17trampoline_kernelINS0_14default_configENS1_22reduce_config_selectorIfEEZNS1_11reduce_implILb1ES3_PfS7_fN6thrust23THRUST_200600_302600_NS4plusIfEEEE10hipError_tPvRmT1_T2_T3_mT4_P12ihipStream_tbEUlT_E0_NS1_11comp_targetILNS1_3genE4ELNS1_11target_archE910ELNS1_3gpuE8ELNS1_3repE0EEENS1_30default_config_static_selectorELNS0_4arch9wavefront6targetE1EEEvSF_.has_dyn_sized_stack, 0
	.set _ZN7rocprim17ROCPRIM_400000_NS6detail17trampoline_kernelINS0_14default_configENS1_22reduce_config_selectorIfEEZNS1_11reduce_implILb1ES3_PfS7_fN6thrust23THRUST_200600_302600_NS4plusIfEEEE10hipError_tPvRmT1_T2_T3_mT4_P12ihipStream_tbEUlT_E0_NS1_11comp_targetILNS1_3genE4ELNS1_11target_archE910ELNS1_3gpuE8ELNS1_3repE0EEENS1_30default_config_static_selectorELNS0_4arch9wavefront6targetE1EEEvSF_.has_recursion, 0
	.set _ZN7rocprim17ROCPRIM_400000_NS6detail17trampoline_kernelINS0_14default_configENS1_22reduce_config_selectorIfEEZNS1_11reduce_implILb1ES3_PfS7_fN6thrust23THRUST_200600_302600_NS4plusIfEEEE10hipError_tPvRmT1_T2_T3_mT4_P12ihipStream_tbEUlT_E0_NS1_11comp_targetILNS1_3genE4ELNS1_11target_archE910ELNS1_3gpuE8ELNS1_3repE0EEENS1_30default_config_static_selectorELNS0_4arch9wavefront6targetE1EEEvSF_.has_indirect_call, 0
	.section	.AMDGPU.csdata,"",@progbits
; Kernel info:
; codeLenInByte = 0
; TotalNumSgprs: 6
; NumVgprs: 0
; NumAgprs: 0
; TotalNumVgprs: 0
; ScratchSize: 0
; MemoryBound: 0
; FloatMode: 240
; IeeeMode: 1
; LDSByteSize: 0 bytes/workgroup (compile time only)
; SGPRBlocks: 0
; VGPRBlocks: 0
; NumSGPRsForWavesPerEU: 6
; NumVGPRsForWavesPerEU: 1
; AccumOffset: 4
; Occupancy: 8
; WaveLimiterHint : 0
; COMPUTE_PGM_RSRC2:SCRATCH_EN: 0
; COMPUTE_PGM_RSRC2:USER_SGPR: 2
; COMPUTE_PGM_RSRC2:TRAP_HANDLER: 0
; COMPUTE_PGM_RSRC2:TGID_X_EN: 1
; COMPUTE_PGM_RSRC2:TGID_Y_EN: 0
; COMPUTE_PGM_RSRC2:TGID_Z_EN: 0
; COMPUTE_PGM_RSRC2:TIDIG_COMP_CNT: 0
; COMPUTE_PGM_RSRC3_GFX90A:ACCUM_OFFSET: 0
; COMPUTE_PGM_RSRC3_GFX90A:TG_SPLIT: 0
	.section	.text._ZN7rocprim17ROCPRIM_400000_NS6detail17trampoline_kernelINS0_14default_configENS1_22reduce_config_selectorIfEEZNS1_11reduce_implILb1ES3_PfS7_fN6thrust23THRUST_200600_302600_NS4plusIfEEEE10hipError_tPvRmT1_T2_T3_mT4_P12ihipStream_tbEUlT_E0_NS1_11comp_targetILNS1_3genE3ELNS1_11target_archE908ELNS1_3gpuE7ELNS1_3repE0EEENS1_30default_config_static_selectorELNS0_4arch9wavefront6targetE1EEEvSF_,"axG",@progbits,_ZN7rocprim17ROCPRIM_400000_NS6detail17trampoline_kernelINS0_14default_configENS1_22reduce_config_selectorIfEEZNS1_11reduce_implILb1ES3_PfS7_fN6thrust23THRUST_200600_302600_NS4plusIfEEEE10hipError_tPvRmT1_T2_T3_mT4_P12ihipStream_tbEUlT_E0_NS1_11comp_targetILNS1_3genE3ELNS1_11target_archE908ELNS1_3gpuE7ELNS1_3repE0EEENS1_30default_config_static_selectorELNS0_4arch9wavefront6targetE1EEEvSF_,comdat
	.protected	_ZN7rocprim17ROCPRIM_400000_NS6detail17trampoline_kernelINS0_14default_configENS1_22reduce_config_selectorIfEEZNS1_11reduce_implILb1ES3_PfS7_fN6thrust23THRUST_200600_302600_NS4plusIfEEEE10hipError_tPvRmT1_T2_T3_mT4_P12ihipStream_tbEUlT_E0_NS1_11comp_targetILNS1_3genE3ELNS1_11target_archE908ELNS1_3gpuE7ELNS1_3repE0EEENS1_30default_config_static_selectorELNS0_4arch9wavefront6targetE1EEEvSF_ ; -- Begin function _ZN7rocprim17ROCPRIM_400000_NS6detail17trampoline_kernelINS0_14default_configENS1_22reduce_config_selectorIfEEZNS1_11reduce_implILb1ES3_PfS7_fN6thrust23THRUST_200600_302600_NS4plusIfEEEE10hipError_tPvRmT1_T2_T3_mT4_P12ihipStream_tbEUlT_E0_NS1_11comp_targetILNS1_3genE3ELNS1_11target_archE908ELNS1_3gpuE7ELNS1_3repE0EEENS1_30default_config_static_selectorELNS0_4arch9wavefront6targetE1EEEvSF_
	.globl	_ZN7rocprim17ROCPRIM_400000_NS6detail17trampoline_kernelINS0_14default_configENS1_22reduce_config_selectorIfEEZNS1_11reduce_implILb1ES3_PfS7_fN6thrust23THRUST_200600_302600_NS4plusIfEEEE10hipError_tPvRmT1_T2_T3_mT4_P12ihipStream_tbEUlT_E0_NS1_11comp_targetILNS1_3genE3ELNS1_11target_archE908ELNS1_3gpuE7ELNS1_3repE0EEENS1_30default_config_static_selectorELNS0_4arch9wavefront6targetE1EEEvSF_
	.p2align	8
	.type	_ZN7rocprim17ROCPRIM_400000_NS6detail17trampoline_kernelINS0_14default_configENS1_22reduce_config_selectorIfEEZNS1_11reduce_implILb1ES3_PfS7_fN6thrust23THRUST_200600_302600_NS4plusIfEEEE10hipError_tPvRmT1_T2_T3_mT4_P12ihipStream_tbEUlT_E0_NS1_11comp_targetILNS1_3genE3ELNS1_11target_archE908ELNS1_3gpuE7ELNS1_3repE0EEENS1_30default_config_static_selectorELNS0_4arch9wavefront6targetE1EEEvSF_,@function
_ZN7rocprim17ROCPRIM_400000_NS6detail17trampoline_kernelINS0_14default_configENS1_22reduce_config_selectorIfEEZNS1_11reduce_implILb1ES3_PfS7_fN6thrust23THRUST_200600_302600_NS4plusIfEEEE10hipError_tPvRmT1_T2_T3_mT4_P12ihipStream_tbEUlT_E0_NS1_11comp_targetILNS1_3genE3ELNS1_11target_archE908ELNS1_3gpuE7ELNS1_3repE0EEENS1_30default_config_static_selectorELNS0_4arch9wavefront6targetE1EEEvSF_: ; @_ZN7rocprim17ROCPRIM_400000_NS6detail17trampoline_kernelINS0_14default_configENS1_22reduce_config_selectorIfEEZNS1_11reduce_implILb1ES3_PfS7_fN6thrust23THRUST_200600_302600_NS4plusIfEEEE10hipError_tPvRmT1_T2_T3_mT4_P12ihipStream_tbEUlT_E0_NS1_11comp_targetILNS1_3genE3ELNS1_11target_archE908ELNS1_3gpuE7ELNS1_3repE0EEENS1_30default_config_static_selectorELNS0_4arch9wavefront6targetE1EEEvSF_
; %bb.0:
	.section	.rodata,"a",@progbits
	.p2align	6, 0x0
	.amdhsa_kernel _ZN7rocprim17ROCPRIM_400000_NS6detail17trampoline_kernelINS0_14default_configENS1_22reduce_config_selectorIfEEZNS1_11reduce_implILb1ES3_PfS7_fN6thrust23THRUST_200600_302600_NS4plusIfEEEE10hipError_tPvRmT1_T2_T3_mT4_P12ihipStream_tbEUlT_E0_NS1_11comp_targetILNS1_3genE3ELNS1_11target_archE908ELNS1_3gpuE7ELNS1_3repE0EEENS1_30default_config_static_selectorELNS0_4arch9wavefront6targetE1EEEvSF_
		.amdhsa_group_segment_fixed_size 0
		.amdhsa_private_segment_fixed_size 0
		.amdhsa_kernarg_size 56
		.amdhsa_user_sgpr_count 2
		.amdhsa_user_sgpr_dispatch_ptr 0
		.amdhsa_user_sgpr_queue_ptr 0
		.amdhsa_user_sgpr_kernarg_segment_ptr 1
		.amdhsa_user_sgpr_dispatch_id 0
		.amdhsa_user_sgpr_kernarg_preload_length 0
		.amdhsa_user_sgpr_kernarg_preload_offset 0
		.amdhsa_user_sgpr_private_segment_size 0
		.amdhsa_uses_dynamic_stack 0
		.amdhsa_enable_private_segment 0
		.amdhsa_system_sgpr_workgroup_id_x 1
		.amdhsa_system_sgpr_workgroup_id_y 0
		.amdhsa_system_sgpr_workgroup_id_z 0
		.amdhsa_system_sgpr_workgroup_info 0
		.amdhsa_system_vgpr_workitem_id 0
		.amdhsa_next_free_vgpr 1
		.amdhsa_next_free_sgpr 0
		.amdhsa_accum_offset 4
		.amdhsa_reserve_vcc 0
		.amdhsa_float_round_mode_32 0
		.amdhsa_float_round_mode_16_64 0
		.amdhsa_float_denorm_mode_32 3
		.amdhsa_float_denorm_mode_16_64 3
		.amdhsa_dx10_clamp 1
		.amdhsa_ieee_mode 1
		.amdhsa_fp16_overflow 0
		.amdhsa_tg_split 0
		.amdhsa_exception_fp_ieee_invalid_op 0
		.amdhsa_exception_fp_denorm_src 0
		.amdhsa_exception_fp_ieee_div_zero 0
		.amdhsa_exception_fp_ieee_overflow 0
		.amdhsa_exception_fp_ieee_underflow 0
		.amdhsa_exception_fp_ieee_inexact 0
		.amdhsa_exception_int_div_zero 0
	.end_amdhsa_kernel
	.section	.text._ZN7rocprim17ROCPRIM_400000_NS6detail17trampoline_kernelINS0_14default_configENS1_22reduce_config_selectorIfEEZNS1_11reduce_implILb1ES3_PfS7_fN6thrust23THRUST_200600_302600_NS4plusIfEEEE10hipError_tPvRmT1_T2_T3_mT4_P12ihipStream_tbEUlT_E0_NS1_11comp_targetILNS1_3genE3ELNS1_11target_archE908ELNS1_3gpuE7ELNS1_3repE0EEENS1_30default_config_static_selectorELNS0_4arch9wavefront6targetE1EEEvSF_,"axG",@progbits,_ZN7rocprim17ROCPRIM_400000_NS6detail17trampoline_kernelINS0_14default_configENS1_22reduce_config_selectorIfEEZNS1_11reduce_implILb1ES3_PfS7_fN6thrust23THRUST_200600_302600_NS4plusIfEEEE10hipError_tPvRmT1_T2_T3_mT4_P12ihipStream_tbEUlT_E0_NS1_11comp_targetILNS1_3genE3ELNS1_11target_archE908ELNS1_3gpuE7ELNS1_3repE0EEENS1_30default_config_static_selectorELNS0_4arch9wavefront6targetE1EEEvSF_,comdat
.Lfunc_end42:
	.size	_ZN7rocprim17ROCPRIM_400000_NS6detail17trampoline_kernelINS0_14default_configENS1_22reduce_config_selectorIfEEZNS1_11reduce_implILb1ES3_PfS7_fN6thrust23THRUST_200600_302600_NS4plusIfEEEE10hipError_tPvRmT1_T2_T3_mT4_P12ihipStream_tbEUlT_E0_NS1_11comp_targetILNS1_3genE3ELNS1_11target_archE908ELNS1_3gpuE7ELNS1_3repE0EEENS1_30default_config_static_selectorELNS0_4arch9wavefront6targetE1EEEvSF_, .Lfunc_end42-_ZN7rocprim17ROCPRIM_400000_NS6detail17trampoline_kernelINS0_14default_configENS1_22reduce_config_selectorIfEEZNS1_11reduce_implILb1ES3_PfS7_fN6thrust23THRUST_200600_302600_NS4plusIfEEEE10hipError_tPvRmT1_T2_T3_mT4_P12ihipStream_tbEUlT_E0_NS1_11comp_targetILNS1_3genE3ELNS1_11target_archE908ELNS1_3gpuE7ELNS1_3repE0EEENS1_30default_config_static_selectorELNS0_4arch9wavefront6targetE1EEEvSF_
                                        ; -- End function
	.set _ZN7rocprim17ROCPRIM_400000_NS6detail17trampoline_kernelINS0_14default_configENS1_22reduce_config_selectorIfEEZNS1_11reduce_implILb1ES3_PfS7_fN6thrust23THRUST_200600_302600_NS4plusIfEEEE10hipError_tPvRmT1_T2_T3_mT4_P12ihipStream_tbEUlT_E0_NS1_11comp_targetILNS1_3genE3ELNS1_11target_archE908ELNS1_3gpuE7ELNS1_3repE0EEENS1_30default_config_static_selectorELNS0_4arch9wavefront6targetE1EEEvSF_.num_vgpr, 0
	.set _ZN7rocprim17ROCPRIM_400000_NS6detail17trampoline_kernelINS0_14default_configENS1_22reduce_config_selectorIfEEZNS1_11reduce_implILb1ES3_PfS7_fN6thrust23THRUST_200600_302600_NS4plusIfEEEE10hipError_tPvRmT1_T2_T3_mT4_P12ihipStream_tbEUlT_E0_NS1_11comp_targetILNS1_3genE3ELNS1_11target_archE908ELNS1_3gpuE7ELNS1_3repE0EEENS1_30default_config_static_selectorELNS0_4arch9wavefront6targetE1EEEvSF_.num_agpr, 0
	.set _ZN7rocprim17ROCPRIM_400000_NS6detail17trampoline_kernelINS0_14default_configENS1_22reduce_config_selectorIfEEZNS1_11reduce_implILb1ES3_PfS7_fN6thrust23THRUST_200600_302600_NS4plusIfEEEE10hipError_tPvRmT1_T2_T3_mT4_P12ihipStream_tbEUlT_E0_NS1_11comp_targetILNS1_3genE3ELNS1_11target_archE908ELNS1_3gpuE7ELNS1_3repE0EEENS1_30default_config_static_selectorELNS0_4arch9wavefront6targetE1EEEvSF_.numbered_sgpr, 0
	.set _ZN7rocprim17ROCPRIM_400000_NS6detail17trampoline_kernelINS0_14default_configENS1_22reduce_config_selectorIfEEZNS1_11reduce_implILb1ES3_PfS7_fN6thrust23THRUST_200600_302600_NS4plusIfEEEE10hipError_tPvRmT1_T2_T3_mT4_P12ihipStream_tbEUlT_E0_NS1_11comp_targetILNS1_3genE3ELNS1_11target_archE908ELNS1_3gpuE7ELNS1_3repE0EEENS1_30default_config_static_selectorELNS0_4arch9wavefront6targetE1EEEvSF_.num_named_barrier, 0
	.set _ZN7rocprim17ROCPRIM_400000_NS6detail17trampoline_kernelINS0_14default_configENS1_22reduce_config_selectorIfEEZNS1_11reduce_implILb1ES3_PfS7_fN6thrust23THRUST_200600_302600_NS4plusIfEEEE10hipError_tPvRmT1_T2_T3_mT4_P12ihipStream_tbEUlT_E0_NS1_11comp_targetILNS1_3genE3ELNS1_11target_archE908ELNS1_3gpuE7ELNS1_3repE0EEENS1_30default_config_static_selectorELNS0_4arch9wavefront6targetE1EEEvSF_.private_seg_size, 0
	.set _ZN7rocprim17ROCPRIM_400000_NS6detail17trampoline_kernelINS0_14default_configENS1_22reduce_config_selectorIfEEZNS1_11reduce_implILb1ES3_PfS7_fN6thrust23THRUST_200600_302600_NS4plusIfEEEE10hipError_tPvRmT1_T2_T3_mT4_P12ihipStream_tbEUlT_E0_NS1_11comp_targetILNS1_3genE3ELNS1_11target_archE908ELNS1_3gpuE7ELNS1_3repE0EEENS1_30default_config_static_selectorELNS0_4arch9wavefront6targetE1EEEvSF_.uses_vcc, 0
	.set _ZN7rocprim17ROCPRIM_400000_NS6detail17trampoline_kernelINS0_14default_configENS1_22reduce_config_selectorIfEEZNS1_11reduce_implILb1ES3_PfS7_fN6thrust23THRUST_200600_302600_NS4plusIfEEEE10hipError_tPvRmT1_T2_T3_mT4_P12ihipStream_tbEUlT_E0_NS1_11comp_targetILNS1_3genE3ELNS1_11target_archE908ELNS1_3gpuE7ELNS1_3repE0EEENS1_30default_config_static_selectorELNS0_4arch9wavefront6targetE1EEEvSF_.uses_flat_scratch, 0
	.set _ZN7rocprim17ROCPRIM_400000_NS6detail17trampoline_kernelINS0_14default_configENS1_22reduce_config_selectorIfEEZNS1_11reduce_implILb1ES3_PfS7_fN6thrust23THRUST_200600_302600_NS4plusIfEEEE10hipError_tPvRmT1_T2_T3_mT4_P12ihipStream_tbEUlT_E0_NS1_11comp_targetILNS1_3genE3ELNS1_11target_archE908ELNS1_3gpuE7ELNS1_3repE0EEENS1_30default_config_static_selectorELNS0_4arch9wavefront6targetE1EEEvSF_.has_dyn_sized_stack, 0
	.set _ZN7rocprim17ROCPRIM_400000_NS6detail17trampoline_kernelINS0_14default_configENS1_22reduce_config_selectorIfEEZNS1_11reduce_implILb1ES3_PfS7_fN6thrust23THRUST_200600_302600_NS4plusIfEEEE10hipError_tPvRmT1_T2_T3_mT4_P12ihipStream_tbEUlT_E0_NS1_11comp_targetILNS1_3genE3ELNS1_11target_archE908ELNS1_3gpuE7ELNS1_3repE0EEENS1_30default_config_static_selectorELNS0_4arch9wavefront6targetE1EEEvSF_.has_recursion, 0
	.set _ZN7rocprim17ROCPRIM_400000_NS6detail17trampoline_kernelINS0_14default_configENS1_22reduce_config_selectorIfEEZNS1_11reduce_implILb1ES3_PfS7_fN6thrust23THRUST_200600_302600_NS4plusIfEEEE10hipError_tPvRmT1_T2_T3_mT4_P12ihipStream_tbEUlT_E0_NS1_11comp_targetILNS1_3genE3ELNS1_11target_archE908ELNS1_3gpuE7ELNS1_3repE0EEENS1_30default_config_static_selectorELNS0_4arch9wavefront6targetE1EEEvSF_.has_indirect_call, 0
	.section	.AMDGPU.csdata,"",@progbits
; Kernel info:
; codeLenInByte = 0
; TotalNumSgprs: 6
; NumVgprs: 0
; NumAgprs: 0
; TotalNumVgprs: 0
; ScratchSize: 0
; MemoryBound: 0
; FloatMode: 240
; IeeeMode: 1
; LDSByteSize: 0 bytes/workgroup (compile time only)
; SGPRBlocks: 0
; VGPRBlocks: 0
; NumSGPRsForWavesPerEU: 6
; NumVGPRsForWavesPerEU: 1
; AccumOffset: 4
; Occupancy: 8
; WaveLimiterHint : 0
; COMPUTE_PGM_RSRC2:SCRATCH_EN: 0
; COMPUTE_PGM_RSRC2:USER_SGPR: 2
; COMPUTE_PGM_RSRC2:TRAP_HANDLER: 0
; COMPUTE_PGM_RSRC2:TGID_X_EN: 1
; COMPUTE_PGM_RSRC2:TGID_Y_EN: 0
; COMPUTE_PGM_RSRC2:TGID_Z_EN: 0
; COMPUTE_PGM_RSRC2:TIDIG_COMP_CNT: 0
; COMPUTE_PGM_RSRC3_GFX90A:ACCUM_OFFSET: 0
; COMPUTE_PGM_RSRC3_GFX90A:TG_SPLIT: 0
	.section	.text._ZN7rocprim17ROCPRIM_400000_NS6detail17trampoline_kernelINS0_14default_configENS1_22reduce_config_selectorIfEEZNS1_11reduce_implILb1ES3_PfS7_fN6thrust23THRUST_200600_302600_NS4plusIfEEEE10hipError_tPvRmT1_T2_T3_mT4_P12ihipStream_tbEUlT_E0_NS1_11comp_targetILNS1_3genE2ELNS1_11target_archE906ELNS1_3gpuE6ELNS1_3repE0EEENS1_30default_config_static_selectorELNS0_4arch9wavefront6targetE1EEEvSF_,"axG",@progbits,_ZN7rocprim17ROCPRIM_400000_NS6detail17trampoline_kernelINS0_14default_configENS1_22reduce_config_selectorIfEEZNS1_11reduce_implILb1ES3_PfS7_fN6thrust23THRUST_200600_302600_NS4plusIfEEEE10hipError_tPvRmT1_T2_T3_mT4_P12ihipStream_tbEUlT_E0_NS1_11comp_targetILNS1_3genE2ELNS1_11target_archE906ELNS1_3gpuE6ELNS1_3repE0EEENS1_30default_config_static_selectorELNS0_4arch9wavefront6targetE1EEEvSF_,comdat
	.protected	_ZN7rocprim17ROCPRIM_400000_NS6detail17trampoline_kernelINS0_14default_configENS1_22reduce_config_selectorIfEEZNS1_11reduce_implILb1ES3_PfS7_fN6thrust23THRUST_200600_302600_NS4plusIfEEEE10hipError_tPvRmT1_T2_T3_mT4_P12ihipStream_tbEUlT_E0_NS1_11comp_targetILNS1_3genE2ELNS1_11target_archE906ELNS1_3gpuE6ELNS1_3repE0EEENS1_30default_config_static_selectorELNS0_4arch9wavefront6targetE1EEEvSF_ ; -- Begin function _ZN7rocprim17ROCPRIM_400000_NS6detail17trampoline_kernelINS0_14default_configENS1_22reduce_config_selectorIfEEZNS1_11reduce_implILb1ES3_PfS7_fN6thrust23THRUST_200600_302600_NS4plusIfEEEE10hipError_tPvRmT1_T2_T3_mT4_P12ihipStream_tbEUlT_E0_NS1_11comp_targetILNS1_3genE2ELNS1_11target_archE906ELNS1_3gpuE6ELNS1_3repE0EEENS1_30default_config_static_selectorELNS0_4arch9wavefront6targetE1EEEvSF_
	.globl	_ZN7rocprim17ROCPRIM_400000_NS6detail17trampoline_kernelINS0_14default_configENS1_22reduce_config_selectorIfEEZNS1_11reduce_implILb1ES3_PfS7_fN6thrust23THRUST_200600_302600_NS4plusIfEEEE10hipError_tPvRmT1_T2_T3_mT4_P12ihipStream_tbEUlT_E0_NS1_11comp_targetILNS1_3genE2ELNS1_11target_archE906ELNS1_3gpuE6ELNS1_3repE0EEENS1_30default_config_static_selectorELNS0_4arch9wavefront6targetE1EEEvSF_
	.p2align	8
	.type	_ZN7rocprim17ROCPRIM_400000_NS6detail17trampoline_kernelINS0_14default_configENS1_22reduce_config_selectorIfEEZNS1_11reduce_implILb1ES3_PfS7_fN6thrust23THRUST_200600_302600_NS4plusIfEEEE10hipError_tPvRmT1_T2_T3_mT4_P12ihipStream_tbEUlT_E0_NS1_11comp_targetILNS1_3genE2ELNS1_11target_archE906ELNS1_3gpuE6ELNS1_3repE0EEENS1_30default_config_static_selectorELNS0_4arch9wavefront6targetE1EEEvSF_,@function
_ZN7rocprim17ROCPRIM_400000_NS6detail17trampoline_kernelINS0_14default_configENS1_22reduce_config_selectorIfEEZNS1_11reduce_implILb1ES3_PfS7_fN6thrust23THRUST_200600_302600_NS4plusIfEEEE10hipError_tPvRmT1_T2_T3_mT4_P12ihipStream_tbEUlT_E0_NS1_11comp_targetILNS1_3genE2ELNS1_11target_archE906ELNS1_3gpuE6ELNS1_3repE0EEENS1_30default_config_static_selectorELNS0_4arch9wavefront6targetE1EEEvSF_: ; @_ZN7rocprim17ROCPRIM_400000_NS6detail17trampoline_kernelINS0_14default_configENS1_22reduce_config_selectorIfEEZNS1_11reduce_implILb1ES3_PfS7_fN6thrust23THRUST_200600_302600_NS4plusIfEEEE10hipError_tPvRmT1_T2_T3_mT4_P12ihipStream_tbEUlT_E0_NS1_11comp_targetILNS1_3genE2ELNS1_11target_archE906ELNS1_3gpuE6ELNS1_3repE0EEENS1_30default_config_static_selectorELNS0_4arch9wavefront6targetE1EEEvSF_
; %bb.0:
	.section	.rodata,"a",@progbits
	.p2align	6, 0x0
	.amdhsa_kernel _ZN7rocprim17ROCPRIM_400000_NS6detail17trampoline_kernelINS0_14default_configENS1_22reduce_config_selectorIfEEZNS1_11reduce_implILb1ES3_PfS7_fN6thrust23THRUST_200600_302600_NS4plusIfEEEE10hipError_tPvRmT1_T2_T3_mT4_P12ihipStream_tbEUlT_E0_NS1_11comp_targetILNS1_3genE2ELNS1_11target_archE906ELNS1_3gpuE6ELNS1_3repE0EEENS1_30default_config_static_selectorELNS0_4arch9wavefront6targetE1EEEvSF_
		.amdhsa_group_segment_fixed_size 0
		.amdhsa_private_segment_fixed_size 0
		.amdhsa_kernarg_size 56
		.amdhsa_user_sgpr_count 2
		.amdhsa_user_sgpr_dispatch_ptr 0
		.amdhsa_user_sgpr_queue_ptr 0
		.amdhsa_user_sgpr_kernarg_segment_ptr 1
		.amdhsa_user_sgpr_dispatch_id 0
		.amdhsa_user_sgpr_kernarg_preload_length 0
		.amdhsa_user_sgpr_kernarg_preload_offset 0
		.amdhsa_user_sgpr_private_segment_size 0
		.amdhsa_uses_dynamic_stack 0
		.amdhsa_enable_private_segment 0
		.amdhsa_system_sgpr_workgroup_id_x 1
		.amdhsa_system_sgpr_workgroup_id_y 0
		.amdhsa_system_sgpr_workgroup_id_z 0
		.amdhsa_system_sgpr_workgroup_info 0
		.amdhsa_system_vgpr_workitem_id 0
		.amdhsa_next_free_vgpr 1
		.amdhsa_next_free_sgpr 0
		.amdhsa_accum_offset 4
		.amdhsa_reserve_vcc 0
		.amdhsa_float_round_mode_32 0
		.amdhsa_float_round_mode_16_64 0
		.amdhsa_float_denorm_mode_32 3
		.amdhsa_float_denorm_mode_16_64 3
		.amdhsa_dx10_clamp 1
		.amdhsa_ieee_mode 1
		.amdhsa_fp16_overflow 0
		.amdhsa_tg_split 0
		.amdhsa_exception_fp_ieee_invalid_op 0
		.amdhsa_exception_fp_denorm_src 0
		.amdhsa_exception_fp_ieee_div_zero 0
		.amdhsa_exception_fp_ieee_overflow 0
		.amdhsa_exception_fp_ieee_underflow 0
		.amdhsa_exception_fp_ieee_inexact 0
		.amdhsa_exception_int_div_zero 0
	.end_amdhsa_kernel
	.section	.text._ZN7rocprim17ROCPRIM_400000_NS6detail17trampoline_kernelINS0_14default_configENS1_22reduce_config_selectorIfEEZNS1_11reduce_implILb1ES3_PfS7_fN6thrust23THRUST_200600_302600_NS4plusIfEEEE10hipError_tPvRmT1_T2_T3_mT4_P12ihipStream_tbEUlT_E0_NS1_11comp_targetILNS1_3genE2ELNS1_11target_archE906ELNS1_3gpuE6ELNS1_3repE0EEENS1_30default_config_static_selectorELNS0_4arch9wavefront6targetE1EEEvSF_,"axG",@progbits,_ZN7rocprim17ROCPRIM_400000_NS6detail17trampoline_kernelINS0_14default_configENS1_22reduce_config_selectorIfEEZNS1_11reduce_implILb1ES3_PfS7_fN6thrust23THRUST_200600_302600_NS4plusIfEEEE10hipError_tPvRmT1_T2_T3_mT4_P12ihipStream_tbEUlT_E0_NS1_11comp_targetILNS1_3genE2ELNS1_11target_archE906ELNS1_3gpuE6ELNS1_3repE0EEENS1_30default_config_static_selectorELNS0_4arch9wavefront6targetE1EEEvSF_,comdat
.Lfunc_end43:
	.size	_ZN7rocprim17ROCPRIM_400000_NS6detail17trampoline_kernelINS0_14default_configENS1_22reduce_config_selectorIfEEZNS1_11reduce_implILb1ES3_PfS7_fN6thrust23THRUST_200600_302600_NS4plusIfEEEE10hipError_tPvRmT1_T2_T3_mT4_P12ihipStream_tbEUlT_E0_NS1_11comp_targetILNS1_3genE2ELNS1_11target_archE906ELNS1_3gpuE6ELNS1_3repE0EEENS1_30default_config_static_selectorELNS0_4arch9wavefront6targetE1EEEvSF_, .Lfunc_end43-_ZN7rocprim17ROCPRIM_400000_NS6detail17trampoline_kernelINS0_14default_configENS1_22reduce_config_selectorIfEEZNS1_11reduce_implILb1ES3_PfS7_fN6thrust23THRUST_200600_302600_NS4plusIfEEEE10hipError_tPvRmT1_T2_T3_mT4_P12ihipStream_tbEUlT_E0_NS1_11comp_targetILNS1_3genE2ELNS1_11target_archE906ELNS1_3gpuE6ELNS1_3repE0EEENS1_30default_config_static_selectorELNS0_4arch9wavefront6targetE1EEEvSF_
                                        ; -- End function
	.set _ZN7rocprim17ROCPRIM_400000_NS6detail17trampoline_kernelINS0_14default_configENS1_22reduce_config_selectorIfEEZNS1_11reduce_implILb1ES3_PfS7_fN6thrust23THRUST_200600_302600_NS4plusIfEEEE10hipError_tPvRmT1_T2_T3_mT4_P12ihipStream_tbEUlT_E0_NS1_11comp_targetILNS1_3genE2ELNS1_11target_archE906ELNS1_3gpuE6ELNS1_3repE0EEENS1_30default_config_static_selectorELNS0_4arch9wavefront6targetE1EEEvSF_.num_vgpr, 0
	.set _ZN7rocprim17ROCPRIM_400000_NS6detail17trampoline_kernelINS0_14default_configENS1_22reduce_config_selectorIfEEZNS1_11reduce_implILb1ES3_PfS7_fN6thrust23THRUST_200600_302600_NS4plusIfEEEE10hipError_tPvRmT1_T2_T3_mT4_P12ihipStream_tbEUlT_E0_NS1_11comp_targetILNS1_3genE2ELNS1_11target_archE906ELNS1_3gpuE6ELNS1_3repE0EEENS1_30default_config_static_selectorELNS0_4arch9wavefront6targetE1EEEvSF_.num_agpr, 0
	.set _ZN7rocprim17ROCPRIM_400000_NS6detail17trampoline_kernelINS0_14default_configENS1_22reduce_config_selectorIfEEZNS1_11reduce_implILb1ES3_PfS7_fN6thrust23THRUST_200600_302600_NS4plusIfEEEE10hipError_tPvRmT1_T2_T3_mT4_P12ihipStream_tbEUlT_E0_NS1_11comp_targetILNS1_3genE2ELNS1_11target_archE906ELNS1_3gpuE6ELNS1_3repE0EEENS1_30default_config_static_selectorELNS0_4arch9wavefront6targetE1EEEvSF_.numbered_sgpr, 0
	.set _ZN7rocprim17ROCPRIM_400000_NS6detail17trampoline_kernelINS0_14default_configENS1_22reduce_config_selectorIfEEZNS1_11reduce_implILb1ES3_PfS7_fN6thrust23THRUST_200600_302600_NS4plusIfEEEE10hipError_tPvRmT1_T2_T3_mT4_P12ihipStream_tbEUlT_E0_NS1_11comp_targetILNS1_3genE2ELNS1_11target_archE906ELNS1_3gpuE6ELNS1_3repE0EEENS1_30default_config_static_selectorELNS0_4arch9wavefront6targetE1EEEvSF_.num_named_barrier, 0
	.set _ZN7rocprim17ROCPRIM_400000_NS6detail17trampoline_kernelINS0_14default_configENS1_22reduce_config_selectorIfEEZNS1_11reduce_implILb1ES3_PfS7_fN6thrust23THRUST_200600_302600_NS4plusIfEEEE10hipError_tPvRmT1_T2_T3_mT4_P12ihipStream_tbEUlT_E0_NS1_11comp_targetILNS1_3genE2ELNS1_11target_archE906ELNS1_3gpuE6ELNS1_3repE0EEENS1_30default_config_static_selectorELNS0_4arch9wavefront6targetE1EEEvSF_.private_seg_size, 0
	.set _ZN7rocprim17ROCPRIM_400000_NS6detail17trampoline_kernelINS0_14default_configENS1_22reduce_config_selectorIfEEZNS1_11reduce_implILb1ES3_PfS7_fN6thrust23THRUST_200600_302600_NS4plusIfEEEE10hipError_tPvRmT1_T2_T3_mT4_P12ihipStream_tbEUlT_E0_NS1_11comp_targetILNS1_3genE2ELNS1_11target_archE906ELNS1_3gpuE6ELNS1_3repE0EEENS1_30default_config_static_selectorELNS0_4arch9wavefront6targetE1EEEvSF_.uses_vcc, 0
	.set _ZN7rocprim17ROCPRIM_400000_NS6detail17trampoline_kernelINS0_14default_configENS1_22reduce_config_selectorIfEEZNS1_11reduce_implILb1ES3_PfS7_fN6thrust23THRUST_200600_302600_NS4plusIfEEEE10hipError_tPvRmT1_T2_T3_mT4_P12ihipStream_tbEUlT_E0_NS1_11comp_targetILNS1_3genE2ELNS1_11target_archE906ELNS1_3gpuE6ELNS1_3repE0EEENS1_30default_config_static_selectorELNS0_4arch9wavefront6targetE1EEEvSF_.uses_flat_scratch, 0
	.set _ZN7rocprim17ROCPRIM_400000_NS6detail17trampoline_kernelINS0_14default_configENS1_22reduce_config_selectorIfEEZNS1_11reduce_implILb1ES3_PfS7_fN6thrust23THRUST_200600_302600_NS4plusIfEEEE10hipError_tPvRmT1_T2_T3_mT4_P12ihipStream_tbEUlT_E0_NS1_11comp_targetILNS1_3genE2ELNS1_11target_archE906ELNS1_3gpuE6ELNS1_3repE0EEENS1_30default_config_static_selectorELNS0_4arch9wavefront6targetE1EEEvSF_.has_dyn_sized_stack, 0
	.set _ZN7rocprim17ROCPRIM_400000_NS6detail17trampoline_kernelINS0_14default_configENS1_22reduce_config_selectorIfEEZNS1_11reduce_implILb1ES3_PfS7_fN6thrust23THRUST_200600_302600_NS4plusIfEEEE10hipError_tPvRmT1_T2_T3_mT4_P12ihipStream_tbEUlT_E0_NS1_11comp_targetILNS1_3genE2ELNS1_11target_archE906ELNS1_3gpuE6ELNS1_3repE0EEENS1_30default_config_static_selectorELNS0_4arch9wavefront6targetE1EEEvSF_.has_recursion, 0
	.set _ZN7rocprim17ROCPRIM_400000_NS6detail17trampoline_kernelINS0_14default_configENS1_22reduce_config_selectorIfEEZNS1_11reduce_implILb1ES3_PfS7_fN6thrust23THRUST_200600_302600_NS4plusIfEEEE10hipError_tPvRmT1_T2_T3_mT4_P12ihipStream_tbEUlT_E0_NS1_11comp_targetILNS1_3genE2ELNS1_11target_archE906ELNS1_3gpuE6ELNS1_3repE0EEENS1_30default_config_static_selectorELNS0_4arch9wavefront6targetE1EEEvSF_.has_indirect_call, 0
	.section	.AMDGPU.csdata,"",@progbits
; Kernel info:
; codeLenInByte = 0
; TotalNumSgprs: 6
; NumVgprs: 0
; NumAgprs: 0
; TotalNumVgprs: 0
; ScratchSize: 0
; MemoryBound: 0
; FloatMode: 240
; IeeeMode: 1
; LDSByteSize: 0 bytes/workgroup (compile time only)
; SGPRBlocks: 0
; VGPRBlocks: 0
; NumSGPRsForWavesPerEU: 6
; NumVGPRsForWavesPerEU: 1
; AccumOffset: 4
; Occupancy: 8
; WaveLimiterHint : 0
; COMPUTE_PGM_RSRC2:SCRATCH_EN: 0
; COMPUTE_PGM_RSRC2:USER_SGPR: 2
; COMPUTE_PGM_RSRC2:TRAP_HANDLER: 0
; COMPUTE_PGM_RSRC2:TGID_X_EN: 1
; COMPUTE_PGM_RSRC2:TGID_Y_EN: 0
; COMPUTE_PGM_RSRC2:TGID_Z_EN: 0
; COMPUTE_PGM_RSRC2:TIDIG_COMP_CNT: 0
; COMPUTE_PGM_RSRC3_GFX90A:ACCUM_OFFSET: 0
; COMPUTE_PGM_RSRC3_GFX90A:TG_SPLIT: 0
	.section	.text._ZN7rocprim17ROCPRIM_400000_NS6detail17trampoline_kernelINS0_14default_configENS1_22reduce_config_selectorIfEEZNS1_11reduce_implILb1ES3_PfS7_fN6thrust23THRUST_200600_302600_NS4plusIfEEEE10hipError_tPvRmT1_T2_T3_mT4_P12ihipStream_tbEUlT_E0_NS1_11comp_targetILNS1_3genE10ELNS1_11target_archE1201ELNS1_3gpuE5ELNS1_3repE0EEENS1_30default_config_static_selectorELNS0_4arch9wavefront6targetE1EEEvSF_,"axG",@progbits,_ZN7rocprim17ROCPRIM_400000_NS6detail17trampoline_kernelINS0_14default_configENS1_22reduce_config_selectorIfEEZNS1_11reduce_implILb1ES3_PfS7_fN6thrust23THRUST_200600_302600_NS4plusIfEEEE10hipError_tPvRmT1_T2_T3_mT4_P12ihipStream_tbEUlT_E0_NS1_11comp_targetILNS1_3genE10ELNS1_11target_archE1201ELNS1_3gpuE5ELNS1_3repE0EEENS1_30default_config_static_selectorELNS0_4arch9wavefront6targetE1EEEvSF_,comdat
	.protected	_ZN7rocprim17ROCPRIM_400000_NS6detail17trampoline_kernelINS0_14default_configENS1_22reduce_config_selectorIfEEZNS1_11reduce_implILb1ES3_PfS7_fN6thrust23THRUST_200600_302600_NS4plusIfEEEE10hipError_tPvRmT1_T2_T3_mT4_P12ihipStream_tbEUlT_E0_NS1_11comp_targetILNS1_3genE10ELNS1_11target_archE1201ELNS1_3gpuE5ELNS1_3repE0EEENS1_30default_config_static_selectorELNS0_4arch9wavefront6targetE1EEEvSF_ ; -- Begin function _ZN7rocprim17ROCPRIM_400000_NS6detail17trampoline_kernelINS0_14default_configENS1_22reduce_config_selectorIfEEZNS1_11reduce_implILb1ES3_PfS7_fN6thrust23THRUST_200600_302600_NS4plusIfEEEE10hipError_tPvRmT1_T2_T3_mT4_P12ihipStream_tbEUlT_E0_NS1_11comp_targetILNS1_3genE10ELNS1_11target_archE1201ELNS1_3gpuE5ELNS1_3repE0EEENS1_30default_config_static_selectorELNS0_4arch9wavefront6targetE1EEEvSF_
	.globl	_ZN7rocprim17ROCPRIM_400000_NS6detail17trampoline_kernelINS0_14default_configENS1_22reduce_config_selectorIfEEZNS1_11reduce_implILb1ES3_PfS7_fN6thrust23THRUST_200600_302600_NS4plusIfEEEE10hipError_tPvRmT1_T2_T3_mT4_P12ihipStream_tbEUlT_E0_NS1_11comp_targetILNS1_3genE10ELNS1_11target_archE1201ELNS1_3gpuE5ELNS1_3repE0EEENS1_30default_config_static_selectorELNS0_4arch9wavefront6targetE1EEEvSF_
	.p2align	8
	.type	_ZN7rocprim17ROCPRIM_400000_NS6detail17trampoline_kernelINS0_14default_configENS1_22reduce_config_selectorIfEEZNS1_11reduce_implILb1ES3_PfS7_fN6thrust23THRUST_200600_302600_NS4plusIfEEEE10hipError_tPvRmT1_T2_T3_mT4_P12ihipStream_tbEUlT_E0_NS1_11comp_targetILNS1_3genE10ELNS1_11target_archE1201ELNS1_3gpuE5ELNS1_3repE0EEENS1_30default_config_static_selectorELNS0_4arch9wavefront6targetE1EEEvSF_,@function
_ZN7rocprim17ROCPRIM_400000_NS6detail17trampoline_kernelINS0_14default_configENS1_22reduce_config_selectorIfEEZNS1_11reduce_implILb1ES3_PfS7_fN6thrust23THRUST_200600_302600_NS4plusIfEEEE10hipError_tPvRmT1_T2_T3_mT4_P12ihipStream_tbEUlT_E0_NS1_11comp_targetILNS1_3genE10ELNS1_11target_archE1201ELNS1_3gpuE5ELNS1_3repE0EEENS1_30default_config_static_selectorELNS0_4arch9wavefront6targetE1EEEvSF_: ; @_ZN7rocprim17ROCPRIM_400000_NS6detail17trampoline_kernelINS0_14default_configENS1_22reduce_config_selectorIfEEZNS1_11reduce_implILb1ES3_PfS7_fN6thrust23THRUST_200600_302600_NS4plusIfEEEE10hipError_tPvRmT1_T2_T3_mT4_P12ihipStream_tbEUlT_E0_NS1_11comp_targetILNS1_3genE10ELNS1_11target_archE1201ELNS1_3gpuE5ELNS1_3repE0EEENS1_30default_config_static_selectorELNS0_4arch9wavefront6targetE1EEEvSF_
; %bb.0:
	.section	.rodata,"a",@progbits
	.p2align	6, 0x0
	.amdhsa_kernel _ZN7rocprim17ROCPRIM_400000_NS6detail17trampoline_kernelINS0_14default_configENS1_22reduce_config_selectorIfEEZNS1_11reduce_implILb1ES3_PfS7_fN6thrust23THRUST_200600_302600_NS4plusIfEEEE10hipError_tPvRmT1_T2_T3_mT4_P12ihipStream_tbEUlT_E0_NS1_11comp_targetILNS1_3genE10ELNS1_11target_archE1201ELNS1_3gpuE5ELNS1_3repE0EEENS1_30default_config_static_selectorELNS0_4arch9wavefront6targetE1EEEvSF_
		.amdhsa_group_segment_fixed_size 0
		.amdhsa_private_segment_fixed_size 0
		.amdhsa_kernarg_size 56
		.amdhsa_user_sgpr_count 2
		.amdhsa_user_sgpr_dispatch_ptr 0
		.amdhsa_user_sgpr_queue_ptr 0
		.amdhsa_user_sgpr_kernarg_segment_ptr 1
		.amdhsa_user_sgpr_dispatch_id 0
		.amdhsa_user_sgpr_kernarg_preload_length 0
		.amdhsa_user_sgpr_kernarg_preload_offset 0
		.amdhsa_user_sgpr_private_segment_size 0
		.amdhsa_uses_dynamic_stack 0
		.amdhsa_enable_private_segment 0
		.amdhsa_system_sgpr_workgroup_id_x 1
		.amdhsa_system_sgpr_workgroup_id_y 0
		.amdhsa_system_sgpr_workgroup_id_z 0
		.amdhsa_system_sgpr_workgroup_info 0
		.amdhsa_system_vgpr_workitem_id 0
		.amdhsa_next_free_vgpr 1
		.amdhsa_next_free_sgpr 0
		.amdhsa_accum_offset 4
		.amdhsa_reserve_vcc 0
		.amdhsa_float_round_mode_32 0
		.amdhsa_float_round_mode_16_64 0
		.amdhsa_float_denorm_mode_32 3
		.amdhsa_float_denorm_mode_16_64 3
		.amdhsa_dx10_clamp 1
		.amdhsa_ieee_mode 1
		.amdhsa_fp16_overflow 0
		.amdhsa_tg_split 0
		.amdhsa_exception_fp_ieee_invalid_op 0
		.amdhsa_exception_fp_denorm_src 0
		.amdhsa_exception_fp_ieee_div_zero 0
		.amdhsa_exception_fp_ieee_overflow 0
		.amdhsa_exception_fp_ieee_underflow 0
		.amdhsa_exception_fp_ieee_inexact 0
		.amdhsa_exception_int_div_zero 0
	.end_amdhsa_kernel
	.section	.text._ZN7rocprim17ROCPRIM_400000_NS6detail17trampoline_kernelINS0_14default_configENS1_22reduce_config_selectorIfEEZNS1_11reduce_implILb1ES3_PfS7_fN6thrust23THRUST_200600_302600_NS4plusIfEEEE10hipError_tPvRmT1_T2_T3_mT4_P12ihipStream_tbEUlT_E0_NS1_11comp_targetILNS1_3genE10ELNS1_11target_archE1201ELNS1_3gpuE5ELNS1_3repE0EEENS1_30default_config_static_selectorELNS0_4arch9wavefront6targetE1EEEvSF_,"axG",@progbits,_ZN7rocprim17ROCPRIM_400000_NS6detail17trampoline_kernelINS0_14default_configENS1_22reduce_config_selectorIfEEZNS1_11reduce_implILb1ES3_PfS7_fN6thrust23THRUST_200600_302600_NS4plusIfEEEE10hipError_tPvRmT1_T2_T3_mT4_P12ihipStream_tbEUlT_E0_NS1_11comp_targetILNS1_3genE10ELNS1_11target_archE1201ELNS1_3gpuE5ELNS1_3repE0EEENS1_30default_config_static_selectorELNS0_4arch9wavefront6targetE1EEEvSF_,comdat
.Lfunc_end44:
	.size	_ZN7rocprim17ROCPRIM_400000_NS6detail17trampoline_kernelINS0_14default_configENS1_22reduce_config_selectorIfEEZNS1_11reduce_implILb1ES3_PfS7_fN6thrust23THRUST_200600_302600_NS4plusIfEEEE10hipError_tPvRmT1_T2_T3_mT4_P12ihipStream_tbEUlT_E0_NS1_11comp_targetILNS1_3genE10ELNS1_11target_archE1201ELNS1_3gpuE5ELNS1_3repE0EEENS1_30default_config_static_selectorELNS0_4arch9wavefront6targetE1EEEvSF_, .Lfunc_end44-_ZN7rocprim17ROCPRIM_400000_NS6detail17trampoline_kernelINS0_14default_configENS1_22reduce_config_selectorIfEEZNS1_11reduce_implILb1ES3_PfS7_fN6thrust23THRUST_200600_302600_NS4plusIfEEEE10hipError_tPvRmT1_T2_T3_mT4_P12ihipStream_tbEUlT_E0_NS1_11comp_targetILNS1_3genE10ELNS1_11target_archE1201ELNS1_3gpuE5ELNS1_3repE0EEENS1_30default_config_static_selectorELNS0_4arch9wavefront6targetE1EEEvSF_
                                        ; -- End function
	.set _ZN7rocprim17ROCPRIM_400000_NS6detail17trampoline_kernelINS0_14default_configENS1_22reduce_config_selectorIfEEZNS1_11reduce_implILb1ES3_PfS7_fN6thrust23THRUST_200600_302600_NS4plusIfEEEE10hipError_tPvRmT1_T2_T3_mT4_P12ihipStream_tbEUlT_E0_NS1_11comp_targetILNS1_3genE10ELNS1_11target_archE1201ELNS1_3gpuE5ELNS1_3repE0EEENS1_30default_config_static_selectorELNS0_4arch9wavefront6targetE1EEEvSF_.num_vgpr, 0
	.set _ZN7rocprim17ROCPRIM_400000_NS6detail17trampoline_kernelINS0_14default_configENS1_22reduce_config_selectorIfEEZNS1_11reduce_implILb1ES3_PfS7_fN6thrust23THRUST_200600_302600_NS4plusIfEEEE10hipError_tPvRmT1_T2_T3_mT4_P12ihipStream_tbEUlT_E0_NS1_11comp_targetILNS1_3genE10ELNS1_11target_archE1201ELNS1_3gpuE5ELNS1_3repE0EEENS1_30default_config_static_selectorELNS0_4arch9wavefront6targetE1EEEvSF_.num_agpr, 0
	.set _ZN7rocprim17ROCPRIM_400000_NS6detail17trampoline_kernelINS0_14default_configENS1_22reduce_config_selectorIfEEZNS1_11reduce_implILb1ES3_PfS7_fN6thrust23THRUST_200600_302600_NS4plusIfEEEE10hipError_tPvRmT1_T2_T3_mT4_P12ihipStream_tbEUlT_E0_NS1_11comp_targetILNS1_3genE10ELNS1_11target_archE1201ELNS1_3gpuE5ELNS1_3repE0EEENS1_30default_config_static_selectorELNS0_4arch9wavefront6targetE1EEEvSF_.numbered_sgpr, 0
	.set _ZN7rocprim17ROCPRIM_400000_NS6detail17trampoline_kernelINS0_14default_configENS1_22reduce_config_selectorIfEEZNS1_11reduce_implILb1ES3_PfS7_fN6thrust23THRUST_200600_302600_NS4plusIfEEEE10hipError_tPvRmT1_T2_T3_mT4_P12ihipStream_tbEUlT_E0_NS1_11comp_targetILNS1_3genE10ELNS1_11target_archE1201ELNS1_3gpuE5ELNS1_3repE0EEENS1_30default_config_static_selectorELNS0_4arch9wavefront6targetE1EEEvSF_.num_named_barrier, 0
	.set _ZN7rocprim17ROCPRIM_400000_NS6detail17trampoline_kernelINS0_14default_configENS1_22reduce_config_selectorIfEEZNS1_11reduce_implILb1ES3_PfS7_fN6thrust23THRUST_200600_302600_NS4plusIfEEEE10hipError_tPvRmT1_T2_T3_mT4_P12ihipStream_tbEUlT_E0_NS1_11comp_targetILNS1_3genE10ELNS1_11target_archE1201ELNS1_3gpuE5ELNS1_3repE0EEENS1_30default_config_static_selectorELNS0_4arch9wavefront6targetE1EEEvSF_.private_seg_size, 0
	.set _ZN7rocprim17ROCPRIM_400000_NS6detail17trampoline_kernelINS0_14default_configENS1_22reduce_config_selectorIfEEZNS1_11reduce_implILb1ES3_PfS7_fN6thrust23THRUST_200600_302600_NS4plusIfEEEE10hipError_tPvRmT1_T2_T3_mT4_P12ihipStream_tbEUlT_E0_NS1_11comp_targetILNS1_3genE10ELNS1_11target_archE1201ELNS1_3gpuE5ELNS1_3repE0EEENS1_30default_config_static_selectorELNS0_4arch9wavefront6targetE1EEEvSF_.uses_vcc, 0
	.set _ZN7rocprim17ROCPRIM_400000_NS6detail17trampoline_kernelINS0_14default_configENS1_22reduce_config_selectorIfEEZNS1_11reduce_implILb1ES3_PfS7_fN6thrust23THRUST_200600_302600_NS4plusIfEEEE10hipError_tPvRmT1_T2_T3_mT4_P12ihipStream_tbEUlT_E0_NS1_11comp_targetILNS1_3genE10ELNS1_11target_archE1201ELNS1_3gpuE5ELNS1_3repE0EEENS1_30default_config_static_selectorELNS0_4arch9wavefront6targetE1EEEvSF_.uses_flat_scratch, 0
	.set _ZN7rocprim17ROCPRIM_400000_NS6detail17trampoline_kernelINS0_14default_configENS1_22reduce_config_selectorIfEEZNS1_11reduce_implILb1ES3_PfS7_fN6thrust23THRUST_200600_302600_NS4plusIfEEEE10hipError_tPvRmT1_T2_T3_mT4_P12ihipStream_tbEUlT_E0_NS1_11comp_targetILNS1_3genE10ELNS1_11target_archE1201ELNS1_3gpuE5ELNS1_3repE0EEENS1_30default_config_static_selectorELNS0_4arch9wavefront6targetE1EEEvSF_.has_dyn_sized_stack, 0
	.set _ZN7rocprim17ROCPRIM_400000_NS6detail17trampoline_kernelINS0_14default_configENS1_22reduce_config_selectorIfEEZNS1_11reduce_implILb1ES3_PfS7_fN6thrust23THRUST_200600_302600_NS4plusIfEEEE10hipError_tPvRmT1_T2_T3_mT4_P12ihipStream_tbEUlT_E0_NS1_11comp_targetILNS1_3genE10ELNS1_11target_archE1201ELNS1_3gpuE5ELNS1_3repE0EEENS1_30default_config_static_selectorELNS0_4arch9wavefront6targetE1EEEvSF_.has_recursion, 0
	.set _ZN7rocprim17ROCPRIM_400000_NS6detail17trampoline_kernelINS0_14default_configENS1_22reduce_config_selectorIfEEZNS1_11reduce_implILb1ES3_PfS7_fN6thrust23THRUST_200600_302600_NS4plusIfEEEE10hipError_tPvRmT1_T2_T3_mT4_P12ihipStream_tbEUlT_E0_NS1_11comp_targetILNS1_3genE10ELNS1_11target_archE1201ELNS1_3gpuE5ELNS1_3repE0EEENS1_30default_config_static_selectorELNS0_4arch9wavefront6targetE1EEEvSF_.has_indirect_call, 0
	.section	.AMDGPU.csdata,"",@progbits
; Kernel info:
; codeLenInByte = 0
; TotalNumSgprs: 6
; NumVgprs: 0
; NumAgprs: 0
; TotalNumVgprs: 0
; ScratchSize: 0
; MemoryBound: 0
; FloatMode: 240
; IeeeMode: 1
; LDSByteSize: 0 bytes/workgroup (compile time only)
; SGPRBlocks: 0
; VGPRBlocks: 0
; NumSGPRsForWavesPerEU: 6
; NumVGPRsForWavesPerEU: 1
; AccumOffset: 4
; Occupancy: 8
; WaveLimiterHint : 0
; COMPUTE_PGM_RSRC2:SCRATCH_EN: 0
; COMPUTE_PGM_RSRC2:USER_SGPR: 2
; COMPUTE_PGM_RSRC2:TRAP_HANDLER: 0
; COMPUTE_PGM_RSRC2:TGID_X_EN: 1
; COMPUTE_PGM_RSRC2:TGID_Y_EN: 0
; COMPUTE_PGM_RSRC2:TGID_Z_EN: 0
; COMPUTE_PGM_RSRC2:TIDIG_COMP_CNT: 0
; COMPUTE_PGM_RSRC3_GFX90A:ACCUM_OFFSET: 0
; COMPUTE_PGM_RSRC3_GFX90A:TG_SPLIT: 0
	.section	.text._ZN7rocprim17ROCPRIM_400000_NS6detail17trampoline_kernelINS0_14default_configENS1_22reduce_config_selectorIfEEZNS1_11reduce_implILb1ES3_PfS7_fN6thrust23THRUST_200600_302600_NS4plusIfEEEE10hipError_tPvRmT1_T2_T3_mT4_P12ihipStream_tbEUlT_E0_NS1_11comp_targetILNS1_3genE10ELNS1_11target_archE1200ELNS1_3gpuE4ELNS1_3repE0EEENS1_30default_config_static_selectorELNS0_4arch9wavefront6targetE1EEEvSF_,"axG",@progbits,_ZN7rocprim17ROCPRIM_400000_NS6detail17trampoline_kernelINS0_14default_configENS1_22reduce_config_selectorIfEEZNS1_11reduce_implILb1ES3_PfS7_fN6thrust23THRUST_200600_302600_NS4plusIfEEEE10hipError_tPvRmT1_T2_T3_mT4_P12ihipStream_tbEUlT_E0_NS1_11comp_targetILNS1_3genE10ELNS1_11target_archE1200ELNS1_3gpuE4ELNS1_3repE0EEENS1_30default_config_static_selectorELNS0_4arch9wavefront6targetE1EEEvSF_,comdat
	.protected	_ZN7rocprim17ROCPRIM_400000_NS6detail17trampoline_kernelINS0_14default_configENS1_22reduce_config_selectorIfEEZNS1_11reduce_implILb1ES3_PfS7_fN6thrust23THRUST_200600_302600_NS4plusIfEEEE10hipError_tPvRmT1_T2_T3_mT4_P12ihipStream_tbEUlT_E0_NS1_11comp_targetILNS1_3genE10ELNS1_11target_archE1200ELNS1_3gpuE4ELNS1_3repE0EEENS1_30default_config_static_selectorELNS0_4arch9wavefront6targetE1EEEvSF_ ; -- Begin function _ZN7rocprim17ROCPRIM_400000_NS6detail17trampoline_kernelINS0_14default_configENS1_22reduce_config_selectorIfEEZNS1_11reduce_implILb1ES3_PfS7_fN6thrust23THRUST_200600_302600_NS4plusIfEEEE10hipError_tPvRmT1_T2_T3_mT4_P12ihipStream_tbEUlT_E0_NS1_11comp_targetILNS1_3genE10ELNS1_11target_archE1200ELNS1_3gpuE4ELNS1_3repE0EEENS1_30default_config_static_selectorELNS0_4arch9wavefront6targetE1EEEvSF_
	.globl	_ZN7rocprim17ROCPRIM_400000_NS6detail17trampoline_kernelINS0_14default_configENS1_22reduce_config_selectorIfEEZNS1_11reduce_implILb1ES3_PfS7_fN6thrust23THRUST_200600_302600_NS4plusIfEEEE10hipError_tPvRmT1_T2_T3_mT4_P12ihipStream_tbEUlT_E0_NS1_11comp_targetILNS1_3genE10ELNS1_11target_archE1200ELNS1_3gpuE4ELNS1_3repE0EEENS1_30default_config_static_selectorELNS0_4arch9wavefront6targetE1EEEvSF_
	.p2align	8
	.type	_ZN7rocprim17ROCPRIM_400000_NS6detail17trampoline_kernelINS0_14default_configENS1_22reduce_config_selectorIfEEZNS1_11reduce_implILb1ES3_PfS7_fN6thrust23THRUST_200600_302600_NS4plusIfEEEE10hipError_tPvRmT1_T2_T3_mT4_P12ihipStream_tbEUlT_E0_NS1_11comp_targetILNS1_3genE10ELNS1_11target_archE1200ELNS1_3gpuE4ELNS1_3repE0EEENS1_30default_config_static_selectorELNS0_4arch9wavefront6targetE1EEEvSF_,@function
_ZN7rocprim17ROCPRIM_400000_NS6detail17trampoline_kernelINS0_14default_configENS1_22reduce_config_selectorIfEEZNS1_11reduce_implILb1ES3_PfS7_fN6thrust23THRUST_200600_302600_NS4plusIfEEEE10hipError_tPvRmT1_T2_T3_mT4_P12ihipStream_tbEUlT_E0_NS1_11comp_targetILNS1_3genE10ELNS1_11target_archE1200ELNS1_3gpuE4ELNS1_3repE0EEENS1_30default_config_static_selectorELNS0_4arch9wavefront6targetE1EEEvSF_: ; @_ZN7rocprim17ROCPRIM_400000_NS6detail17trampoline_kernelINS0_14default_configENS1_22reduce_config_selectorIfEEZNS1_11reduce_implILb1ES3_PfS7_fN6thrust23THRUST_200600_302600_NS4plusIfEEEE10hipError_tPvRmT1_T2_T3_mT4_P12ihipStream_tbEUlT_E0_NS1_11comp_targetILNS1_3genE10ELNS1_11target_archE1200ELNS1_3gpuE4ELNS1_3repE0EEENS1_30default_config_static_selectorELNS0_4arch9wavefront6targetE1EEEvSF_
; %bb.0:
	.section	.rodata,"a",@progbits
	.p2align	6, 0x0
	.amdhsa_kernel _ZN7rocprim17ROCPRIM_400000_NS6detail17trampoline_kernelINS0_14default_configENS1_22reduce_config_selectorIfEEZNS1_11reduce_implILb1ES3_PfS7_fN6thrust23THRUST_200600_302600_NS4plusIfEEEE10hipError_tPvRmT1_T2_T3_mT4_P12ihipStream_tbEUlT_E0_NS1_11comp_targetILNS1_3genE10ELNS1_11target_archE1200ELNS1_3gpuE4ELNS1_3repE0EEENS1_30default_config_static_selectorELNS0_4arch9wavefront6targetE1EEEvSF_
		.amdhsa_group_segment_fixed_size 0
		.amdhsa_private_segment_fixed_size 0
		.amdhsa_kernarg_size 56
		.amdhsa_user_sgpr_count 2
		.amdhsa_user_sgpr_dispatch_ptr 0
		.amdhsa_user_sgpr_queue_ptr 0
		.amdhsa_user_sgpr_kernarg_segment_ptr 1
		.amdhsa_user_sgpr_dispatch_id 0
		.amdhsa_user_sgpr_kernarg_preload_length 0
		.amdhsa_user_sgpr_kernarg_preload_offset 0
		.amdhsa_user_sgpr_private_segment_size 0
		.amdhsa_uses_dynamic_stack 0
		.amdhsa_enable_private_segment 0
		.amdhsa_system_sgpr_workgroup_id_x 1
		.amdhsa_system_sgpr_workgroup_id_y 0
		.amdhsa_system_sgpr_workgroup_id_z 0
		.amdhsa_system_sgpr_workgroup_info 0
		.amdhsa_system_vgpr_workitem_id 0
		.amdhsa_next_free_vgpr 1
		.amdhsa_next_free_sgpr 0
		.amdhsa_accum_offset 4
		.amdhsa_reserve_vcc 0
		.amdhsa_float_round_mode_32 0
		.amdhsa_float_round_mode_16_64 0
		.amdhsa_float_denorm_mode_32 3
		.amdhsa_float_denorm_mode_16_64 3
		.amdhsa_dx10_clamp 1
		.amdhsa_ieee_mode 1
		.amdhsa_fp16_overflow 0
		.amdhsa_tg_split 0
		.amdhsa_exception_fp_ieee_invalid_op 0
		.amdhsa_exception_fp_denorm_src 0
		.amdhsa_exception_fp_ieee_div_zero 0
		.amdhsa_exception_fp_ieee_overflow 0
		.amdhsa_exception_fp_ieee_underflow 0
		.amdhsa_exception_fp_ieee_inexact 0
		.amdhsa_exception_int_div_zero 0
	.end_amdhsa_kernel
	.section	.text._ZN7rocprim17ROCPRIM_400000_NS6detail17trampoline_kernelINS0_14default_configENS1_22reduce_config_selectorIfEEZNS1_11reduce_implILb1ES3_PfS7_fN6thrust23THRUST_200600_302600_NS4plusIfEEEE10hipError_tPvRmT1_T2_T3_mT4_P12ihipStream_tbEUlT_E0_NS1_11comp_targetILNS1_3genE10ELNS1_11target_archE1200ELNS1_3gpuE4ELNS1_3repE0EEENS1_30default_config_static_selectorELNS0_4arch9wavefront6targetE1EEEvSF_,"axG",@progbits,_ZN7rocprim17ROCPRIM_400000_NS6detail17trampoline_kernelINS0_14default_configENS1_22reduce_config_selectorIfEEZNS1_11reduce_implILb1ES3_PfS7_fN6thrust23THRUST_200600_302600_NS4plusIfEEEE10hipError_tPvRmT1_T2_T3_mT4_P12ihipStream_tbEUlT_E0_NS1_11comp_targetILNS1_3genE10ELNS1_11target_archE1200ELNS1_3gpuE4ELNS1_3repE0EEENS1_30default_config_static_selectorELNS0_4arch9wavefront6targetE1EEEvSF_,comdat
.Lfunc_end45:
	.size	_ZN7rocprim17ROCPRIM_400000_NS6detail17trampoline_kernelINS0_14default_configENS1_22reduce_config_selectorIfEEZNS1_11reduce_implILb1ES3_PfS7_fN6thrust23THRUST_200600_302600_NS4plusIfEEEE10hipError_tPvRmT1_T2_T3_mT4_P12ihipStream_tbEUlT_E0_NS1_11comp_targetILNS1_3genE10ELNS1_11target_archE1200ELNS1_3gpuE4ELNS1_3repE0EEENS1_30default_config_static_selectorELNS0_4arch9wavefront6targetE1EEEvSF_, .Lfunc_end45-_ZN7rocprim17ROCPRIM_400000_NS6detail17trampoline_kernelINS0_14default_configENS1_22reduce_config_selectorIfEEZNS1_11reduce_implILb1ES3_PfS7_fN6thrust23THRUST_200600_302600_NS4plusIfEEEE10hipError_tPvRmT1_T2_T3_mT4_P12ihipStream_tbEUlT_E0_NS1_11comp_targetILNS1_3genE10ELNS1_11target_archE1200ELNS1_3gpuE4ELNS1_3repE0EEENS1_30default_config_static_selectorELNS0_4arch9wavefront6targetE1EEEvSF_
                                        ; -- End function
	.set _ZN7rocprim17ROCPRIM_400000_NS6detail17trampoline_kernelINS0_14default_configENS1_22reduce_config_selectorIfEEZNS1_11reduce_implILb1ES3_PfS7_fN6thrust23THRUST_200600_302600_NS4plusIfEEEE10hipError_tPvRmT1_T2_T3_mT4_P12ihipStream_tbEUlT_E0_NS1_11comp_targetILNS1_3genE10ELNS1_11target_archE1200ELNS1_3gpuE4ELNS1_3repE0EEENS1_30default_config_static_selectorELNS0_4arch9wavefront6targetE1EEEvSF_.num_vgpr, 0
	.set _ZN7rocprim17ROCPRIM_400000_NS6detail17trampoline_kernelINS0_14default_configENS1_22reduce_config_selectorIfEEZNS1_11reduce_implILb1ES3_PfS7_fN6thrust23THRUST_200600_302600_NS4plusIfEEEE10hipError_tPvRmT1_T2_T3_mT4_P12ihipStream_tbEUlT_E0_NS1_11comp_targetILNS1_3genE10ELNS1_11target_archE1200ELNS1_3gpuE4ELNS1_3repE0EEENS1_30default_config_static_selectorELNS0_4arch9wavefront6targetE1EEEvSF_.num_agpr, 0
	.set _ZN7rocprim17ROCPRIM_400000_NS6detail17trampoline_kernelINS0_14default_configENS1_22reduce_config_selectorIfEEZNS1_11reduce_implILb1ES3_PfS7_fN6thrust23THRUST_200600_302600_NS4plusIfEEEE10hipError_tPvRmT1_T2_T3_mT4_P12ihipStream_tbEUlT_E0_NS1_11comp_targetILNS1_3genE10ELNS1_11target_archE1200ELNS1_3gpuE4ELNS1_3repE0EEENS1_30default_config_static_selectorELNS0_4arch9wavefront6targetE1EEEvSF_.numbered_sgpr, 0
	.set _ZN7rocprim17ROCPRIM_400000_NS6detail17trampoline_kernelINS0_14default_configENS1_22reduce_config_selectorIfEEZNS1_11reduce_implILb1ES3_PfS7_fN6thrust23THRUST_200600_302600_NS4plusIfEEEE10hipError_tPvRmT1_T2_T3_mT4_P12ihipStream_tbEUlT_E0_NS1_11comp_targetILNS1_3genE10ELNS1_11target_archE1200ELNS1_3gpuE4ELNS1_3repE0EEENS1_30default_config_static_selectorELNS0_4arch9wavefront6targetE1EEEvSF_.num_named_barrier, 0
	.set _ZN7rocprim17ROCPRIM_400000_NS6detail17trampoline_kernelINS0_14default_configENS1_22reduce_config_selectorIfEEZNS1_11reduce_implILb1ES3_PfS7_fN6thrust23THRUST_200600_302600_NS4plusIfEEEE10hipError_tPvRmT1_T2_T3_mT4_P12ihipStream_tbEUlT_E0_NS1_11comp_targetILNS1_3genE10ELNS1_11target_archE1200ELNS1_3gpuE4ELNS1_3repE0EEENS1_30default_config_static_selectorELNS0_4arch9wavefront6targetE1EEEvSF_.private_seg_size, 0
	.set _ZN7rocprim17ROCPRIM_400000_NS6detail17trampoline_kernelINS0_14default_configENS1_22reduce_config_selectorIfEEZNS1_11reduce_implILb1ES3_PfS7_fN6thrust23THRUST_200600_302600_NS4plusIfEEEE10hipError_tPvRmT1_T2_T3_mT4_P12ihipStream_tbEUlT_E0_NS1_11comp_targetILNS1_3genE10ELNS1_11target_archE1200ELNS1_3gpuE4ELNS1_3repE0EEENS1_30default_config_static_selectorELNS0_4arch9wavefront6targetE1EEEvSF_.uses_vcc, 0
	.set _ZN7rocprim17ROCPRIM_400000_NS6detail17trampoline_kernelINS0_14default_configENS1_22reduce_config_selectorIfEEZNS1_11reduce_implILb1ES3_PfS7_fN6thrust23THRUST_200600_302600_NS4plusIfEEEE10hipError_tPvRmT1_T2_T3_mT4_P12ihipStream_tbEUlT_E0_NS1_11comp_targetILNS1_3genE10ELNS1_11target_archE1200ELNS1_3gpuE4ELNS1_3repE0EEENS1_30default_config_static_selectorELNS0_4arch9wavefront6targetE1EEEvSF_.uses_flat_scratch, 0
	.set _ZN7rocprim17ROCPRIM_400000_NS6detail17trampoline_kernelINS0_14default_configENS1_22reduce_config_selectorIfEEZNS1_11reduce_implILb1ES3_PfS7_fN6thrust23THRUST_200600_302600_NS4plusIfEEEE10hipError_tPvRmT1_T2_T3_mT4_P12ihipStream_tbEUlT_E0_NS1_11comp_targetILNS1_3genE10ELNS1_11target_archE1200ELNS1_3gpuE4ELNS1_3repE0EEENS1_30default_config_static_selectorELNS0_4arch9wavefront6targetE1EEEvSF_.has_dyn_sized_stack, 0
	.set _ZN7rocprim17ROCPRIM_400000_NS6detail17trampoline_kernelINS0_14default_configENS1_22reduce_config_selectorIfEEZNS1_11reduce_implILb1ES3_PfS7_fN6thrust23THRUST_200600_302600_NS4plusIfEEEE10hipError_tPvRmT1_T2_T3_mT4_P12ihipStream_tbEUlT_E0_NS1_11comp_targetILNS1_3genE10ELNS1_11target_archE1200ELNS1_3gpuE4ELNS1_3repE0EEENS1_30default_config_static_selectorELNS0_4arch9wavefront6targetE1EEEvSF_.has_recursion, 0
	.set _ZN7rocprim17ROCPRIM_400000_NS6detail17trampoline_kernelINS0_14default_configENS1_22reduce_config_selectorIfEEZNS1_11reduce_implILb1ES3_PfS7_fN6thrust23THRUST_200600_302600_NS4plusIfEEEE10hipError_tPvRmT1_T2_T3_mT4_P12ihipStream_tbEUlT_E0_NS1_11comp_targetILNS1_3genE10ELNS1_11target_archE1200ELNS1_3gpuE4ELNS1_3repE0EEENS1_30default_config_static_selectorELNS0_4arch9wavefront6targetE1EEEvSF_.has_indirect_call, 0
	.section	.AMDGPU.csdata,"",@progbits
; Kernel info:
; codeLenInByte = 0
; TotalNumSgprs: 6
; NumVgprs: 0
; NumAgprs: 0
; TotalNumVgprs: 0
; ScratchSize: 0
; MemoryBound: 0
; FloatMode: 240
; IeeeMode: 1
; LDSByteSize: 0 bytes/workgroup (compile time only)
; SGPRBlocks: 0
; VGPRBlocks: 0
; NumSGPRsForWavesPerEU: 6
; NumVGPRsForWavesPerEU: 1
; AccumOffset: 4
; Occupancy: 8
; WaveLimiterHint : 0
; COMPUTE_PGM_RSRC2:SCRATCH_EN: 0
; COMPUTE_PGM_RSRC2:USER_SGPR: 2
; COMPUTE_PGM_RSRC2:TRAP_HANDLER: 0
; COMPUTE_PGM_RSRC2:TGID_X_EN: 1
; COMPUTE_PGM_RSRC2:TGID_Y_EN: 0
; COMPUTE_PGM_RSRC2:TGID_Z_EN: 0
; COMPUTE_PGM_RSRC2:TIDIG_COMP_CNT: 0
; COMPUTE_PGM_RSRC3_GFX90A:ACCUM_OFFSET: 0
; COMPUTE_PGM_RSRC3_GFX90A:TG_SPLIT: 0
	.section	.text._ZN7rocprim17ROCPRIM_400000_NS6detail17trampoline_kernelINS0_14default_configENS1_22reduce_config_selectorIfEEZNS1_11reduce_implILb1ES3_PfS7_fN6thrust23THRUST_200600_302600_NS4plusIfEEEE10hipError_tPvRmT1_T2_T3_mT4_P12ihipStream_tbEUlT_E0_NS1_11comp_targetILNS1_3genE9ELNS1_11target_archE1100ELNS1_3gpuE3ELNS1_3repE0EEENS1_30default_config_static_selectorELNS0_4arch9wavefront6targetE1EEEvSF_,"axG",@progbits,_ZN7rocprim17ROCPRIM_400000_NS6detail17trampoline_kernelINS0_14default_configENS1_22reduce_config_selectorIfEEZNS1_11reduce_implILb1ES3_PfS7_fN6thrust23THRUST_200600_302600_NS4plusIfEEEE10hipError_tPvRmT1_T2_T3_mT4_P12ihipStream_tbEUlT_E0_NS1_11comp_targetILNS1_3genE9ELNS1_11target_archE1100ELNS1_3gpuE3ELNS1_3repE0EEENS1_30default_config_static_selectorELNS0_4arch9wavefront6targetE1EEEvSF_,comdat
	.protected	_ZN7rocprim17ROCPRIM_400000_NS6detail17trampoline_kernelINS0_14default_configENS1_22reduce_config_selectorIfEEZNS1_11reduce_implILb1ES3_PfS7_fN6thrust23THRUST_200600_302600_NS4plusIfEEEE10hipError_tPvRmT1_T2_T3_mT4_P12ihipStream_tbEUlT_E0_NS1_11comp_targetILNS1_3genE9ELNS1_11target_archE1100ELNS1_3gpuE3ELNS1_3repE0EEENS1_30default_config_static_selectorELNS0_4arch9wavefront6targetE1EEEvSF_ ; -- Begin function _ZN7rocprim17ROCPRIM_400000_NS6detail17trampoline_kernelINS0_14default_configENS1_22reduce_config_selectorIfEEZNS1_11reduce_implILb1ES3_PfS7_fN6thrust23THRUST_200600_302600_NS4plusIfEEEE10hipError_tPvRmT1_T2_T3_mT4_P12ihipStream_tbEUlT_E0_NS1_11comp_targetILNS1_3genE9ELNS1_11target_archE1100ELNS1_3gpuE3ELNS1_3repE0EEENS1_30default_config_static_selectorELNS0_4arch9wavefront6targetE1EEEvSF_
	.globl	_ZN7rocprim17ROCPRIM_400000_NS6detail17trampoline_kernelINS0_14default_configENS1_22reduce_config_selectorIfEEZNS1_11reduce_implILb1ES3_PfS7_fN6thrust23THRUST_200600_302600_NS4plusIfEEEE10hipError_tPvRmT1_T2_T3_mT4_P12ihipStream_tbEUlT_E0_NS1_11comp_targetILNS1_3genE9ELNS1_11target_archE1100ELNS1_3gpuE3ELNS1_3repE0EEENS1_30default_config_static_selectorELNS0_4arch9wavefront6targetE1EEEvSF_
	.p2align	8
	.type	_ZN7rocprim17ROCPRIM_400000_NS6detail17trampoline_kernelINS0_14default_configENS1_22reduce_config_selectorIfEEZNS1_11reduce_implILb1ES3_PfS7_fN6thrust23THRUST_200600_302600_NS4plusIfEEEE10hipError_tPvRmT1_T2_T3_mT4_P12ihipStream_tbEUlT_E0_NS1_11comp_targetILNS1_3genE9ELNS1_11target_archE1100ELNS1_3gpuE3ELNS1_3repE0EEENS1_30default_config_static_selectorELNS0_4arch9wavefront6targetE1EEEvSF_,@function
_ZN7rocprim17ROCPRIM_400000_NS6detail17trampoline_kernelINS0_14default_configENS1_22reduce_config_selectorIfEEZNS1_11reduce_implILb1ES3_PfS7_fN6thrust23THRUST_200600_302600_NS4plusIfEEEE10hipError_tPvRmT1_T2_T3_mT4_P12ihipStream_tbEUlT_E0_NS1_11comp_targetILNS1_3genE9ELNS1_11target_archE1100ELNS1_3gpuE3ELNS1_3repE0EEENS1_30default_config_static_selectorELNS0_4arch9wavefront6targetE1EEEvSF_: ; @_ZN7rocprim17ROCPRIM_400000_NS6detail17trampoline_kernelINS0_14default_configENS1_22reduce_config_selectorIfEEZNS1_11reduce_implILb1ES3_PfS7_fN6thrust23THRUST_200600_302600_NS4plusIfEEEE10hipError_tPvRmT1_T2_T3_mT4_P12ihipStream_tbEUlT_E0_NS1_11comp_targetILNS1_3genE9ELNS1_11target_archE1100ELNS1_3gpuE3ELNS1_3repE0EEENS1_30default_config_static_selectorELNS0_4arch9wavefront6targetE1EEEvSF_
; %bb.0:
	.section	.rodata,"a",@progbits
	.p2align	6, 0x0
	.amdhsa_kernel _ZN7rocprim17ROCPRIM_400000_NS6detail17trampoline_kernelINS0_14default_configENS1_22reduce_config_selectorIfEEZNS1_11reduce_implILb1ES3_PfS7_fN6thrust23THRUST_200600_302600_NS4plusIfEEEE10hipError_tPvRmT1_T2_T3_mT4_P12ihipStream_tbEUlT_E0_NS1_11comp_targetILNS1_3genE9ELNS1_11target_archE1100ELNS1_3gpuE3ELNS1_3repE0EEENS1_30default_config_static_selectorELNS0_4arch9wavefront6targetE1EEEvSF_
		.amdhsa_group_segment_fixed_size 0
		.amdhsa_private_segment_fixed_size 0
		.amdhsa_kernarg_size 56
		.amdhsa_user_sgpr_count 2
		.amdhsa_user_sgpr_dispatch_ptr 0
		.amdhsa_user_sgpr_queue_ptr 0
		.amdhsa_user_sgpr_kernarg_segment_ptr 1
		.amdhsa_user_sgpr_dispatch_id 0
		.amdhsa_user_sgpr_kernarg_preload_length 0
		.amdhsa_user_sgpr_kernarg_preload_offset 0
		.amdhsa_user_sgpr_private_segment_size 0
		.amdhsa_uses_dynamic_stack 0
		.amdhsa_enable_private_segment 0
		.amdhsa_system_sgpr_workgroup_id_x 1
		.amdhsa_system_sgpr_workgroup_id_y 0
		.amdhsa_system_sgpr_workgroup_id_z 0
		.amdhsa_system_sgpr_workgroup_info 0
		.amdhsa_system_vgpr_workitem_id 0
		.amdhsa_next_free_vgpr 1
		.amdhsa_next_free_sgpr 0
		.amdhsa_accum_offset 4
		.amdhsa_reserve_vcc 0
		.amdhsa_float_round_mode_32 0
		.amdhsa_float_round_mode_16_64 0
		.amdhsa_float_denorm_mode_32 3
		.amdhsa_float_denorm_mode_16_64 3
		.amdhsa_dx10_clamp 1
		.amdhsa_ieee_mode 1
		.amdhsa_fp16_overflow 0
		.amdhsa_tg_split 0
		.amdhsa_exception_fp_ieee_invalid_op 0
		.amdhsa_exception_fp_denorm_src 0
		.amdhsa_exception_fp_ieee_div_zero 0
		.amdhsa_exception_fp_ieee_overflow 0
		.amdhsa_exception_fp_ieee_underflow 0
		.amdhsa_exception_fp_ieee_inexact 0
		.amdhsa_exception_int_div_zero 0
	.end_amdhsa_kernel
	.section	.text._ZN7rocprim17ROCPRIM_400000_NS6detail17trampoline_kernelINS0_14default_configENS1_22reduce_config_selectorIfEEZNS1_11reduce_implILb1ES3_PfS7_fN6thrust23THRUST_200600_302600_NS4plusIfEEEE10hipError_tPvRmT1_T2_T3_mT4_P12ihipStream_tbEUlT_E0_NS1_11comp_targetILNS1_3genE9ELNS1_11target_archE1100ELNS1_3gpuE3ELNS1_3repE0EEENS1_30default_config_static_selectorELNS0_4arch9wavefront6targetE1EEEvSF_,"axG",@progbits,_ZN7rocprim17ROCPRIM_400000_NS6detail17trampoline_kernelINS0_14default_configENS1_22reduce_config_selectorIfEEZNS1_11reduce_implILb1ES3_PfS7_fN6thrust23THRUST_200600_302600_NS4plusIfEEEE10hipError_tPvRmT1_T2_T3_mT4_P12ihipStream_tbEUlT_E0_NS1_11comp_targetILNS1_3genE9ELNS1_11target_archE1100ELNS1_3gpuE3ELNS1_3repE0EEENS1_30default_config_static_selectorELNS0_4arch9wavefront6targetE1EEEvSF_,comdat
.Lfunc_end46:
	.size	_ZN7rocprim17ROCPRIM_400000_NS6detail17trampoline_kernelINS0_14default_configENS1_22reduce_config_selectorIfEEZNS1_11reduce_implILb1ES3_PfS7_fN6thrust23THRUST_200600_302600_NS4plusIfEEEE10hipError_tPvRmT1_T2_T3_mT4_P12ihipStream_tbEUlT_E0_NS1_11comp_targetILNS1_3genE9ELNS1_11target_archE1100ELNS1_3gpuE3ELNS1_3repE0EEENS1_30default_config_static_selectorELNS0_4arch9wavefront6targetE1EEEvSF_, .Lfunc_end46-_ZN7rocprim17ROCPRIM_400000_NS6detail17trampoline_kernelINS0_14default_configENS1_22reduce_config_selectorIfEEZNS1_11reduce_implILb1ES3_PfS7_fN6thrust23THRUST_200600_302600_NS4plusIfEEEE10hipError_tPvRmT1_T2_T3_mT4_P12ihipStream_tbEUlT_E0_NS1_11comp_targetILNS1_3genE9ELNS1_11target_archE1100ELNS1_3gpuE3ELNS1_3repE0EEENS1_30default_config_static_selectorELNS0_4arch9wavefront6targetE1EEEvSF_
                                        ; -- End function
	.set _ZN7rocprim17ROCPRIM_400000_NS6detail17trampoline_kernelINS0_14default_configENS1_22reduce_config_selectorIfEEZNS1_11reduce_implILb1ES3_PfS7_fN6thrust23THRUST_200600_302600_NS4plusIfEEEE10hipError_tPvRmT1_T2_T3_mT4_P12ihipStream_tbEUlT_E0_NS1_11comp_targetILNS1_3genE9ELNS1_11target_archE1100ELNS1_3gpuE3ELNS1_3repE0EEENS1_30default_config_static_selectorELNS0_4arch9wavefront6targetE1EEEvSF_.num_vgpr, 0
	.set _ZN7rocprim17ROCPRIM_400000_NS6detail17trampoline_kernelINS0_14default_configENS1_22reduce_config_selectorIfEEZNS1_11reduce_implILb1ES3_PfS7_fN6thrust23THRUST_200600_302600_NS4plusIfEEEE10hipError_tPvRmT1_T2_T3_mT4_P12ihipStream_tbEUlT_E0_NS1_11comp_targetILNS1_3genE9ELNS1_11target_archE1100ELNS1_3gpuE3ELNS1_3repE0EEENS1_30default_config_static_selectorELNS0_4arch9wavefront6targetE1EEEvSF_.num_agpr, 0
	.set _ZN7rocprim17ROCPRIM_400000_NS6detail17trampoline_kernelINS0_14default_configENS1_22reduce_config_selectorIfEEZNS1_11reduce_implILb1ES3_PfS7_fN6thrust23THRUST_200600_302600_NS4plusIfEEEE10hipError_tPvRmT1_T2_T3_mT4_P12ihipStream_tbEUlT_E0_NS1_11comp_targetILNS1_3genE9ELNS1_11target_archE1100ELNS1_3gpuE3ELNS1_3repE0EEENS1_30default_config_static_selectorELNS0_4arch9wavefront6targetE1EEEvSF_.numbered_sgpr, 0
	.set _ZN7rocprim17ROCPRIM_400000_NS6detail17trampoline_kernelINS0_14default_configENS1_22reduce_config_selectorIfEEZNS1_11reduce_implILb1ES3_PfS7_fN6thrust23THRUST_200600_302600_NS4plusIfEEEE10hipError_tPvRmT1_T2_T3_mT4_P12ihipStream_tbEUlT_E0_NS1_11comp_targetILNS1_3genE9ELNS1_11target_archE1100ELNS1_3gpuE3ELNS1_3repE0EEENS1_30default_config_static_selectorELNS0_4arch9wavefront6targetE1EEEvSF_.num_named_barrier, 0
	.set _ZN7rocprim17ROCPRIM_400000_NS6detail17trampoline_kernelINS0_14default_configENS1_22reduce_config_selectorIfEEZNS1_11reduce_implILb1ES3_PfS7_fN6thrust23THRUST_200600_302600_NS4plusIfEEEE10hipError_tPvRmT1_T2_T3_mT4_P12ihipStream_tbEUlT_E0_NS1_11comp_targetILNS1_3genE9ELNS1_11target_archE1100ELNS1_3gpuE3ELNS1_3repE0EEENS1_30default_config_static_selectorELNS0_4arch9wavefront6targetE1EEEvSF_.private_seg_size, 0
	.set _ZN7rocprim17ROCPRIM_400000_NS6detail17trampoline_kernelINS0_14default_configENS1_22reduce_config_selectorIfEEZNS1_11reduce_implILb1ES3_PfS7_fN6thrust23THRUST_200600_302600_NS4plusIfEEEE10hipError_tPvRmT1_T2_T3_mT4_P12ihipStream_tbEUlT_E0_NS1_11comp_targetILNS1_3genE9ELNS1_11target_archE1100ELNS1_3gpuE3ELNS1_3repE0EEENS1_30default_config_static_selectorELNS0_4arch9wavefront6targetE1EEEvSF_.uses_vcc, 0
	.set _ZN7rocprim17ROCPRIM_400000_NS6detail17trampoline_kernelINS0_14default_configENS1_22reduce_config_selectorIfEEZNS1_11reduce_implILb1ES3_PfS7_fN6thrust23THRUST_200600_302600_NS4plusIfEEEE10hipError_tPvRmT1_T2_T3_mT4_P12ihipStream_tbEUlT_E0_NS1_11comp_targetILNS1_3genE9ELNS1_11target_archE1100ELNS1_3gpuE3ELNS1_3repE0EEENS1_30default_config_static_selectorELNS0_4arch9wavefront6targetE1EEEvSF_.uses_flat_scratch, 0
	.set _ZN7rocprim17ROCPRIM_400000_NS6detail17trampoline_kernelINS0_14default_configENS1_22reduce_config_selectorIfEEZNS1_11reduce_implILb1ES3_PfS7_fN6thrust23THRUST_200600_302600_NS4plusIfEEEE10hipError_tPvRmT1_T2_T3_mT4_P12ihipStream_tbEUlT_E0_NS1_11comp_targetILNS1_3genE9ELNS1_11target_archE1100ELNS1_3gpuE3ELNS1_3repE0EEENS1_30default_config_static_selectorELNS0_4arch9wavefront6targetE1EEEvSF_.has_dyn_sized_stack, 0
	.set _ZN7rocprim17ROCPRIM_400000_NS6detail17trampoline_kernelINS0_14default_configENS1_22reduce_config_selectorIfEEZNS1_11reduce_implILb1ES3_PfS7_fN6thrust23THRUST_200600_302600_NS4plusIfEEEE10hipError_tPvRmT1_T2_T3_mT4_P12ihipStream_tbEUlT_E0_NS1_11comp_targetILNS1_3genE9ELNS1_11target_archE1100ELNS1_3gpuE3ELNS1_3repE0EEENS1_30default_config_static_selectorELNS0_4arch9wavefront6targetE1EEEvSF_.has_recursion, 0
	.set _ZN7rocprim17ROCPRIM_400000_NS6detail17trampoline_kernelINS0_14default_configENS1_22reduce_config_selectorIfEEZNS1_11reduce_implILb1ES3_PfS7_fN6thrust23THRUST_200600_302600_NS4plusIfEEEE10hipError_tPvRmT1_T2_T3_mT4_P12ihipStream_tbEUlT_E0_NS1_11comp_targetILNS1_3genE9ELNS1_11target_archE1100ELNS1_3gpuE3ELNS1_3repE0EEENS1_30default_config_static_selectorELNS0_4arch9wavefront6targetE1EEEvSF_.has_indirect_call, 0
	.section	.AMDGPU.csdata,"",@progbits
; Kernel info:
; codeLenInByte = 0
; TotalNumSgprs: 6
; NumVgprs: 0
; NumAgprs: 0
; TotalNumVgprs: 0
; ScratchSize: 0
; MemoryBound: 0
; FloatMode: 240
; IeeeMode: 1
; LDSByteSize: 0 bytes/workgroup (compile time only)
; SGPRBlocks: 0
; VGPRBlocks: 0
; NumSGPRsForWavesPerEU: 6
; NumVGPRsForWavesPerEU: 1
; AccumOffset: 4
; Occupancy: 8
; WaveLimiterHint : 0
; COMPUTE_PGM_RSRC2:SCRATCH_EN: 0
; COMPUTE_PGM_RSRC2:USER_SGPR: 2
; COMPUTE_PGM_RSRC2:TRAP_HANDLER: 0
; COMPUTE_PGM_RSRC2:TGID_X_EN: 1
; COMPUTE_PGM_RSRC2:TGID_Y_EN: 0
; COMPUTE_PGM_RSRC2:TGID_Z_EN: 0
; COMPUTE_PGM_RSRC2:TIDIG_COMP_CNT: 0
; COMPUTE_PGM_RSRC3_GFX90A:ACCUM_OFFSET: 0
; COMPUTE_PGM_RSRC3_GFX90A:TG_SPLIT: 0
	.section	.text._ZN7rocprim17ROCPRIM_400000_NS6detail17trampoline_kernelINS0_14default_configENS1_22reduce_config_selectorIfEEZNS1_11reduce_implILb1ES3_PfS7_fN6thrust23THRUST_200600_302600_NS4plusIfEEEE10hipError_tPvRmT1_T2_T3_mT4_P12ihipStream_tbEUlT_E0_NS1_11comp_targetILNS1_3genE8ELNS1_11target_archE1030ELNS1_3gpuE2ELNS1_3repE0EEENS1_30default_config_static_selectorELNS0_4arch9wavefront6targetE1EEEvSF_,"axG",@progbits,_ZN7rocprim17ROCPRIM_400000_NS6detail17trampoline_kernelINS0_14default_configENS1_22reduce_config_selectorIfEEZNS1_11reduce_implILb1ES3_PfS7_fN6thrust23THRUST_200600_302600_NS4plusIfEEEE10hipError_tPvRmT1_T2_T3_mT4_P12ihipStream_tbEUlT_E0_NS1_11comp_targetILNS1_3genE8ELNS1_11target_archE1030ELNS1_3gpuE2ELNS1_3repE0EEENS1_30default_config_static_selectorELNS0_4arch9wavefront6targetE1EEEvSF_,comdat
	.protected	_ZN7rocprim17ROCPRIM_400000_NS6detail17trampoline_kernelINS0_14default_configENS1_22reduce_config_selectorIfEEZNS1_11reduce_implILb1ES3_PfS7_fN6thrust23THRUST_200600_302600_NS4plusIfEEEE10hipError_tPvRmT1_T2_T3_mT4_P12ihipStream_tbEUlT_E0_NS1_11comp_targetILNS1_3genE8ELNS1_11target_archE1030ELNS1_3gpuE2ELNS1_3repE0EEENS1_30default_config_static_selectorELNS0_4arch9wavefront6targetE1EEEvSF_ ; -- Begin function _ZN7rocprim17ROCPRIM_400000_NS6detail17trampoline_kernelINS0_14default_configENS1_22reduce_config_selectorIfEEZNS1_11reduce_implILb1ES3_PfS7_fN6thrust23THRUST_200600_302600_NS4plusIfEEEE10hipError_tPvRmT1_T2_T3_mT4_P12ihipStream_tbEUlT_E0_NS1_11comp_targetILNS1_3genE8ELNS1_11target_archE1030ELNS1_3gpuE2ELNS1_3repE0EEENS1_30default_config_static_selectorELNS0_4arch9wavefront6targetE1EEEvSF_
	.globl	_ZN7rocprim17ROCPRIM_400000_NS6detail17trampoline_kernelINS0_14default_configENS1_22reduce_config_selectorIfEEZNS1_11reduce_implILb1ES3_PfS7_fN6thrust23THRUST_200600_302600_NS4plusIfEEEE10hipError_tPvRmT1_T2_T3_mT4_P12ihipStream_tbEUlT_E0_NS1_11comp_targetILNS1_3genE8ELNS1_11target_archE1030ELNS1_3gpuE2ELNS1_3repE0EEENS1_30default_config_static_selectorELNS0_4arch9wavefront6targetE1EEEvSF_
	.p2align	8
	.type	_ZN7rocprim17ROCPRIM_400000_NS6detail17trampoline_kernelINS0_14default_configENS1_22reduce_config_selectorIfEEZNS1_11reduce_implILb1ES3_PfS7_fN6thrust23THRUST_200600_302600_NS4plusIfEEEE10hipError_tPvRmT1_T2_T3_mT4_P12ihipStream_tbEUlT_E0_NS1_11comp_targetILNS1_3genE8ELNS1_11target_archE1030ELNS1_3gpuE2ELNS1_3repE0EEENS1_30default_config_static_selectorELNS0_4arch9wavefront6targetE1EEEvSF_,@function
_ZN7rocprim17ROCPRIM_400000_NS6detail17trampoline_kernelINS0_14default_configENS1_22reduce_config_selectorIfEEZNS1_11reduce_implILb1ES3_PfS7_fN6thrust23THRUST_200600_302600_NS4plusIfEEEE10hipError_tPvRmT1_T2_T3_mT4_P12ihipStream_tbEUlT_E0_NS1_11comp_targetILNS1_3genE8ELNS1_11target_archE1030ELNS1_3gpuE2ELNS1_3repE0EEENS1_30default_config_static_selectorELNS0_4arch9wavefront6targetE1EEEvSF_: ; @_ZN7rocprim17ROCPRIM_400000_NS6detail17trampoline_kernelINS0_14default_configENS1_22reduce_config_selectorIfEEZNS1_11reduce_implILb1ES3_PfS7_fN6thrust23THRUST_200600_302600_NS4plusIfEEEE10hipError_tPvRmT1_T2_T3_mT4_P12ihipStream_tbEUlT_E0_NS1_11comp_targetILNS1_3genE8ELNS1_11target_archE1030ELNS1_3gpuE2ELNS1_3repE0EEENS1_30default_config_static_selectorELNS0_4arch9wavefront6targetE1EEEvSF_
; %bb.0:
	.section	.rodata,"a",@progbits
	.p2align	6, 0x0
	.amdhsa_kernel _ZN7rocprim17ROCPRIM_400000_NS6detail17trampoline_kernelINS0_14default_configENS1_22reduce_config_selectorIfEEZNS1_11reduce_implILb1ES3_PfS7_fN6thrust23THRUST_200600_302600_NS4plusIfEEEE10hipError_tPvRmT1_T2_T3_mT4_P12ihipStream_tbEUlT_E0_NS1_11comp_targetILNS1_3genE8ELNS1_11target_archE1030ELNS1_3gpuE2ELNS1_3repE0EEENS1_30default_config_static_selectorELNS0_4arch9wavefront6targetE1EEEvSF_
		.amdhsa_group_segment_fixed_size 0
		.amdhsa_private_segment_fixed_size 0
		.amdhsa_kernarg_size 56
		.amdhsa_user_sgpr_count 2
		.amdhsa_user_sgpr_dispatch_ptr 0
		.amdhsa_user_sgpr_queue_ptr 0
		.amdhsa_user_sgpr_kernarg_segment_ptr 1
		.amdhsa_user_sgpr_dispatch_id 0
		.amdhsa_user_sgpr_kernarg_preload_length 0
		.amdhsa_user_sgpr_kernarg_preload_offset 0
		.amdhsa_user_sgpr_private_segment_size 0
		.amdhsa_uses_dynamic_stack 0
		.amdhsa_enable_private_segment 0
		.amdhsa_system_sgpr_workgroup_id_x 1
		.amdhsa_system_sgpr_workgroup_id_y 0
		.amdhsa_system_sgpr_workgroup_id_z 0
		.amdhsa_system_sgpr_workgroup_info 0
		.amdhsa_system_vgpr_workitem_id 0
		.amdhsa_next_free_vgpr 1
		.amdhsa_next_free_sgpr 0
		.amdhsa_accum_offset 4
		.amdhsa_reserve_vcc 0
		.amdhsa_float_round_mode_32 0
		.amdhsa_float_round_mode_16_64 0
		.amdhsa_float_denorm_mode_32 3
		.amdhsa_float_denorm_mode_16_64 3
		.amdhsa_dx10_clamp 1
		.amdhsa_ieee_mode 1
		.amdhsa_fp16_overflow 0
		.amdhsa_tg_split 0
		.amdhsa_exception_fp_ieee_invalid_op 0
		.amdhsa_exception_fp_denorm_src 0
		.amdhsa_exception_fp_ieee_div_zero 0
		.amdhsa_exception_fp_ieee_overflow 0
		.amdhsa_exception_fp_ieee_underflow 0
		.amdhsa_exception_fp_ieee_inexact 0
		.amdhsa_exception_int_div_zero 0
	.end_amdhsa_kernel
	.section	.text._ZN7rocprim17ROCPRIM_400000_NS6detail17trampoline_kernelINS0_14default_configENS1_22reduce_config_selectorIfEEZNS1_11reduce_implILb1ES3_PfS7_fN6thrust23THRUST_200600_302600_NS4plusIfEEEE10hipError_tPvRmT1_T2_T3_mT4_P12ihipStream_tbEUlT_E0_NS1_11comp_targetILNS1_3genE8ELNS1_11target_archE1030ELNS1_3gpuE2ELNS1_3repE0EEENS1_30default_config_static_selectorELNS0_4arch9wavefront6targetE1EEEvSF_,"axG",@progbits,_ZN7rocprim17ROCPRIM_400000_NS6detail17trampoline_kernelINS0_14default_configENS1_22reduce_config_selectorIfEEZNS1_11reduce_implILb1ES3_PfS7_fN6thrust23THRUST_200600_302600_NS4plusIfEEEE10hipError_tPvRmT1_T2_T3_mT4_P12ihipStream_tbEUlT_E0_NS1_11comp_targetILNS1_3genE8ELNS1_11target_archE1030ELNS1_3gpuE2ELNS1_3repE0EEENS1_30default_config_static_selectorELNS0_4arch9wavefront6targetE1EEEvSF_,comdat
.Lfunc_end47:
	.size	_ZN7rocprim17ROCPRIM_400000_NS6detail17trampoline_kernelINS0_14default_configENS1_22reduce_config_selectorIfEEZNS1_11reduce_implILb1ES3_PfS7_fN6thrust23THRUST_200600_302600_NS4plusIfEEEE10hipError_tPvRmT1_T2_T3_mT4_P12ihipStream_tbEUlT_E0_NS1_11comp_targetILNS1_3genE8ELNS1_11target_archE1030ELNS1_3gpuE2ELNS1_3repE0EEENS1_30default_config_static_selectorELNS0_4arch9wavefront6targetE1EEEvSF_, .Lfunc_end47-_ZN7rocprim17ROCPRIM_400000_NS6detail17trampoline_kernelINS0_14default_configENS1_22reduce_config_selectorIfEEZNS1_11reduce_implILb1ES3_PfS7_fN6thrust23THRUST_200600_302600_NS4plusIfEEEE10hipError_tPvRmT1_T2_T3_mT4_P12ihipStream_tbEUlT_E0_NS1_11comp_targetILNS1_3genE8ELNS1_11target_archE1030ELNS1_3gpuE2ELNS1_3repE0EEENS1_30default_config_static_selectorELNS0_4arch9wavefront6targetE1EEEvSF_
                                        ; -- End function
	.set _ZN7rocprim17ROCPRIM_400000_NS6detail17trampoline_kernelINS0_14default_configENS1_22reduce_config_selectorIfEEZNS1_11reduce_implILb1ES3_PfS7_fN6thrust23THRUST_200600_302600_NS4plusIfEEEE10hipError_tPvRmT1_T2_T3_mT4_P12ihipStream_tbEUlT_E0_NS1_11comp_targetILNS1_3genE8ELNS1_11target_archE1030ELNS1_3gpuE2ELNS1_3repE0EEENS1_30default_config_static_selectorELNS0_4arch9wavefront6targetE1EEEvSF_.num_vgpr, 0
	.set _ZN7rocprim17ROCPRIM_400000_NS6detail17trampoline_kernelINS0_14default_configENS1_22reduce_config_selectorIfEEZNS1_11reduce_implILb1ES3_PfS7_fN6thrust23THRUST_200600_302600_NS4plusIfEEEE10hipError_tPvRmT1_T2_T3_mT4_P12ihipStream_tbEUlT_E0_NS1_11comp_targetILNS1_3genE8ELNS1_11target_archE1030ELNS1_3gpuE2ELNS1_3repE0EEENS1_30default_config_static_selectorELNS0_4arch9wavefront6targetE1EEEvSF_.num_agpr, 0
	.set _ZN7rocprim17ROCPRIM_400000_NS6detail17trampoline_kernelINS0_14default_configENS1_22reduce_config_selectorIfEEZNS1_11reduce_implILb1ES3_PfS7_fN6thrust23THRUST_200600_302600_NS4plusIfEEEE10hipError_tPvRmT1_T2_T3_mT4_P12ihipStream_tbEUlT_E0_NS1_11comp_targetILNS1_3genE8ELNS1_11target_archE1030ELNS1_3gpuE2ELNS1_3repE0EEENS1_30default_config_static_selectorELNS0_4arch9wavefront6targetE1EEEvSF_.numbered_sgpr, 0
	.set _ZN7rocprim17ROCPRIM_400000_NS6detail17trampoline_kernelINS0_14default_configENS1_22reduce_config_selectorIfEEZNS1_11reduce_implILb1ES3_PfS7_fN6thrust23THRUST_200600_302600_NS4plusIfEEEE10hipError_tPvRmT1_T2_T3_mT4_P12ihipStream_tbEUlT_E0_NS1_11comp_targetILNS1_3genE8ELNS1_11target_archE1030ELNS1_3gpuE2ELNS1_3repE0EEENS1_30default_config_static_selectorELNS0_4arch9wavefront6targetE1EEEvSF_.num_named_barrier, 0
	.set _ZN7rocprim17ROCPRIM_400000_NS6detail17trampoline_kernelINS0_14default_configENS1_22reduce_config_selectorIfEEZNS1_11reduce_implILb1ES3_PfS7_fN6thrust23THRUST_200600_302600_NS4plusIfEEEE10hipError_tPvRmT1_T2_T3_mT4_P12ihipStream_tbEUlT_E0_NS1_11comp_targetILNS1_3genE8ELNS1_11target_archE1030ELNS1_3gpuE2ELNS1_3repE0EEENS1_30default_config_static_selectorELNS0_4arch9wavefront6targetE1EEEvSF_.private_seg_size, 0
	.set _ZN7rocprim17ROCPRIM_400000_NS6detail17trampoline_kernelINS0_14default_configENS1_22reduce_config_selectorIfEEZNS1_11reduce_implILb1ES3_PfS7_fN6thrust23THRUST_200600_302600_NS4plusIfEEEE10hipError_tPvRmT1_T2_T3_mT4_P12ihipStream_tbEUlT_E0_NS1_11comp_targetILNS1_3genE8ELNS1_11target_archE1030ELNS1_3gpuE2ELNS1_3repE0EEENS1_30default_config_static_selectorELNS0_4arch9wavefront6targetE1EEEvSF_.uses_vcc, 0
	.set _ZN7rocprim17ROCPRIM_400000_NS6detail17trampoline_kernelINS0_14default_configENS1_22reduce_config_selectorIfEEZNS1_11reduce_implILb1ES3_PfS7_fN6thrust23THRUST_200600_302600_NS4plusIfEEEE10hipError_tPvRmT1_T2_T3_mT4_P12ihipStream_tbEUlT_E0_NS1_11comp_targetILNS1_3genE8ELNS1_11target_archE1030ELNS1_3gpuE2ELNS1_3repE0EEENS1_30default_config_static_selectorELNS0_4arch9wavefront6targetE1EEEvSF_.uses_flat_scratch, 0
	.set _ZN7rocprim17ROCPRIM_400000_NS6detail17trampoline_kernelINS0_14default_configENS1_22reduce_config_selectorIfEEZNS1_11reduce_implILb1ES3_PfS7_fN6thrust23THRUST_200600_302600_NS4plusIfEEEE10hipError_tPvRmT1_T2_T3_mT4_P12ihipStream_tbEUlT_E0_NS1_11comp_targetILNS1_3genE8ELNS1_11target_archE1030ELNS1_3gpuE2ELNS1_3repE0EEENS1_30default_config_static_selectorELNS0_4arch9wavefront6targetE1EEEvSF_.has_dyn_sized_stack, 0
	.set _ZN7rocprim17ROCPRIM_400000_NS6detail17trampoline_kernelINS0_14default_configENS1_22reduce_config_selectorIfEEZNS1_11reduce_implILb1ES3_PfS7_fN6thrust23THRUST_200600_302600_NS4plusIfEEEE10hipError_tPvRmT1_T2_T3_mT4_P12ihipStream_tbEUlT_E0_NS1_11comp_targetILNS1_3genE8ELNS1_11target_archE1030ELNS1_3gpuE2ELNS1_3repE0EEENS1_30default_config_static_selectorELNS0_4arch9wavefront6targetE1EEEvSF_.has_recursion, 0
	.set _ZN7rocprim17ROCPRIM_400000_NS6detail17trampoline_kernelINS0_14default_configENS1_22reduce_config_selectorIfEEZNS1_11reduce_implILb1ES3_PfS7_fN6thrust23THRUST_200600_302600_NS4plusIfEEEE10hipError_tPvRmT1_T2_T3_mT4_P12ihipStream_tbEUlT_E0_NS1_11comp_targetILNS1_3genE8ELNS1_11target_archE1030ELNS1_3gpuE2ELNS1_3repE0EEENS1_30default_config_static_selectorELNS0_4arch9wavefront6targetE1EEEvSF_.has_indirect_call, 0
	.section	.AMDGPU.csdata,"",@progbits
; Kernel info:
; codeLenInByte = 0
; TotalNumSgprs: 6
; NumVgprs: 0
; NumAgprs: 0
; TotalNumVgprs: 0
; ScratchSize: 0
; MemoryBound: 0
; FloatMode: 240
; IeeeMode: 1
; LDSByteSize: 0 bytes/workgroup (compile time only)
; SGPRBlocks: 0
; VGPRBlocks: 0
; NumSGPRsForWavesPerEU: 6
; NumVGPRsForWavesPerEU: 1
; AccumOffset: 4
; Occupancy: 8
; WaveLimiterHint : 0
; COMPUTE_PGM_RSRC2:SCRATCH_EN: 0
; COMPUTE_PGM_RSRC2:USER_SGPR: 2
; COMPUTE_PGM_RSRC2:TRAP_HANDLER: 0
; COMPUTE_PGM_RSRC2:TGID_X_EN: 1
; COMPUTE_PGM_RSRC2:TGID_Y_EN: 0
; COMPUTE_PGM_RSRC2:TGID_Z_EN: 0
; COMPUTE_PGM_RSRC2:TIDIG_COMP_CNT: 0
; COMPUTE_PGM_RSRC3_GFX90A:ACCUM_OFFSET: 0
; COMPUTE_PGM_RSRC3_GFX90A:TG_SPLIT: 0
	.section	.text._ZN7rocprim17ROCPRIM_400000_NS6detail17trampoline_kernelINS0_14default_configENS1_22reduce_config_selectorIfEEZNS1_11reduce_implILb1ES3_PfS7_fN6thrust23THRUST_200600_302600_NS4plusIfEEEE10hipError_tPvRmT1_T2_T3_mT4_P12ihipStream_tbEUlT_E1_NS1_11comp_targetILNS1_3genE0ELNS1_11target_archE4294967295ELNS1_3gpuE0ELNS1_3repE0EEENS1_30default_config_static_selectorELNS0_4arch9wavefront6targetE1EEEvSF_,"axG",@progbits,_ZN7rocprim17ROCPRIM_400000_NS6detail17trampoline_kernelINS0_14default_configENS1_22reduce_config_selectorIfEEZNS1_11reduce_implILb1ES3_PfS7_fN6thrust23THRUST_200600_302600_NS4plusIfEEEE10hipError_tPvRmT1_T2_T3_mT4_P12ihipStream_tbEUlT_E1_NS1_11comp_targetILNS1_3genE0ELNS1_11target_archE4294967295ELNS1_3gpuE0ELNS1_3repE0EEENS1_30default_config_static_selectorELNS0_4arch9wavefront6targetE1EEEvSF_,comdat
	.protected	_ZN7rocprim17ROCPRIM_400000_NS6detail17trampoline_kernelINS0_14default_configENS1_22reduce_config_selectorIfEEZNS1_11reduce_implILb1ES3_PfS7_fN6thrust23THRUST_200600_302600_NS4plusIfEEEE10hipError_tPvRmT1_T2_T3_mT4_P12ihipStream_tbEUlT_E1_NS1_11comp_targetILNS1_3genE0ELNS1_11target_archE4294967295ELNS1_3gpuE0ELNS1_3repE0EEENS1_30default_config_static_selectorELNS0_4arch9wavefront6targetE1EEEvSF_ ; -- Begin function _ZN7rocprim17ROCPRIM_400000_NS6detail17trampoline_kernelINS0_14default_configENS1_22reduce_config_selectorIfEEZNS1_11reduce_implILb1ES3_PfS7_fN6thrust23THRUST_200600_302600_NS4plusIfEEEE10hipError_tPvRmT1_T2_T3_mT4_P12ihipStream_tbEUlT_E1_NS1_11comp_targetILNS1_3genE0ELNS1_11target_archE4294967295ELNS1_3gpuE0ELNS1_3repE0EEENS1_30default_config_static_selectorELNS0_4arch9wavefront6targetE1EEEvSF_
	.globl	_ZN7rocprim17ROCPRIM_400000_NS6detail17trampoline_kernelINS0_14default_configENS1_22reduce_config_selectorIfEEZNS1_11reduce_implILb1ES3_PfS7_fN6thrust23THRUST_200600_302600_NS4plusIfEEEE10hipError_tPvRmT1_T2_T3_mT4_P12ihipStream_tbEUlT_E1_NS1_11comp_targetILNS1_3genE0ELNS1_11target_archE4294967295ELNS1_3gpuE0ELNS1_3repE0EEENS1_30default_config_static_selectorELNS0_4arch9wavefront6targetE1EEEvSF_
	.p2align	8
	.type	_ZN7rocprim17ROCPRIM_400000_NS6detail17trampoline_kernelINS0_14default_configENS1_22reduce_config_selectorIfEEZNS1_11reduce_implILb1ES3_PfS7_fN6thrust23THRUST_200600_302600_NS4plusIfEEEE10hipError_tPvRmT1_T2_T3_mT4_P12ihipStream_tbEUlT_E1_NS1_11comp_targetILNS1_3genE0ELNS1_11target_archE4294967295ELNS1_3gpuE0ELNS1_3repE0EEENS1_30default_config_static_selectorELNS0_4arch9wavefront6targetE1EEEvSF_,@function
_ZN7rocprim17ROCPRIM_400000_NS6detail17trampoline_kernelINS0_14default_configENS1_22reduce_config_selectorIfEEZNS1_11reduce_implILb1ES3_PfS7_fN6thrust23THRUST_200600_302600_NS4plusIfEEEE10hipError_tPvRmT1_T2_T3_mT4_P12ihipStream_tbEUlT_E1_NS1_11comp_targetILNS1_3genE0ELNS1_11target_archE4294967295ELNS1_3gpuE0ELNS1_3repE0EEENS1_30default_config_static_selectorELNS0_4arch9wavefront6targetE1EEEvSF_: ; @_ZN7rocprim17ROCPRIM_400000_NS6detail17trampoline_kernelINS0_14default_configENS1_22reduce_config_selectorIfEEZNS1_11reduce_implILb1ES3_PfS7_fN6thrust23THRUST_200600_302600_NS4plusIfEEEE10hipError_tPvRmT1_T2_T3_mT4_P12ihipStream_tbEUlT_E1_NS1_11comp_targetILNS1_3genE0ELNS1_11target_archE4294967295ELNS1_3gpuE0ELNS1_3repE0EEENS1_30default_config_static_selectorELNS0_4arch9wavefront6targetE1EEEvSF_
; %bb.0:
	s_load_dword s33, s[0:1], 0x4
	s_load_dwordx4 s[68:71], s[0:1], 0x8
	s_waitcnt lgkmcnt(0)
	s_cmp_lt_i32 s33, 8
	s_cbranch_scc1 .LBB48_11
; %bb.1:
	s_cmp_gt_i32 s33, 15
	s_cbranch_scc0 .LBB48_12
; %bb.2:
	s_cmp_gt_i32 s33, 31
	s_cbranch_scc0 .LBB48_13
; %bb.3:
	s_cmp_eq_u32 s33, 32
	s_mov_b64 s[66:67], 0
	s_cbranch_scc0 .LBB48_14
; %bb.4:
	s_mov_b32 s3, 0
	s_lshl_b32 s4, s2, 13
	s_mov_b32 s5, s3
	s_lshr_b64 s[6:7], s[70:71], 13
	s_lshl_b64 s[8:9], s[4:5], 2
	s_add_u32 s72, s68, s8
	s_addc_u32 s73, s69, s9
	s_cmp_lg_u64 s[6:7], s[2:3]
	s_cbranch_scc0 .LBB48_23
; %bb.5:
	v_lshlrev_b32_e32 v2, 2, v0
	global_load_dword v1, v2, s[72:73]
	global_load_dword v8, v2, s[72:73] offset:1024
	global_load_dword v9, v2, s[72:73] offset:2048
	;; [unrolled: 1-line block ×3, first 2 shown]
	v_mov_b32_e32 v3, 0
	v_lshl_add_u64 v[4:5], s[72:73], 0, v[2:3]
	v_add_co_u32_e32 v2, vcc, 0x1000, v4
	s_waitcnt vmcnt(2)
	v_add_f32_e32 v1, v1, v8
	v_addc_co_u32_e32 v3, vcc, 0, v5, vcc
	v_add_co_u32_e32 v6, vcc, 0x2000, v4
	s_waitcnt vmcnt(1)
	v_add_f32_e32 v1, v1, v9
	v_addc_co_u32_e32 v7, vcc, 0, v5, vcc
	global_load_dword v11, v[2:3], off
	global_load_dword v12, v[2:3], off offset:1024
	global_load_dword v13, v[2:3], off offset:2048
	global_load_dword v14, v[2:3], off offset:3072
	global_load_dword v15, v[6:7], off
	global_load_dword v16, v[6:7], off offset:1024
	global_load_dword v17, v[6:7], off offset:2048
	global_load_dword v18, v[6:7], off offset:3072
	v_add_co_u32_e32 v2, vcc, 0x3000, v4
	s_waitcnt vmcnt(8)
	v_add_f32_e32 v1, v1, v10
	v_addc_co_u32_e32 v3, vcc, 0, v5, vcc
	v_add_co_u32_e32 v6, vcc, 0x4000, v4
	s_waitcnt vmcnt(7)
	v_add_f32_e32 v1, v1, v11
	v_addc_co_u32_e32 v7, vcc, 0, v5, vcc
	global_load_dword v19, v[2:3], off
	global_load_dword v20, v[2:3], off offset:1024
	global_load_dword v21, v[2:3], off offset:2048
	global_load_dword v22, v[2:3], off offset:3072
	global_load_dword v23, v[6:7], off
	global_load_dword v24, v[6:7], off offset:1024
	global_load_dword v25, v[6:7], off offset:2048
	global_load_dword v26, v[6:7], off offset:3072
	;; [unrolled: 16-line block ×3, first 2 shown]
	v_add_co_u32_e32 v2, vcc, 0x7000, v4
	s_waitcnt vmcnt(20)
	v_add_f32_e32 v1, v1, v14
	v_addc_co_u32_e32 v3, vcc, 0, v5, vcc
	global_load_dword v4, v[2:3], off
	global_load_dword v5, v[2:3], off offset:1024
	global_load_dword v6, v[2:3], off offset:2048
	;; [unrolled: 1-line block ×3, first 2 shown]
	s_waitcnt vmcnt(23)
	v_add_f32_e32 v1, v1, v15
	s_waitcnt vmcnt(22)
	v_add_f32_e32 v1, v1, v16
	;; [unrolled: 2-line block ×4, first 2 shown]
	v_mbcnt_lo_u32_b32 v2, -1, 0
	v_mbcnt_hi_u32_b32 v2, -1, v2
	v_lshlrev_b32_e32 v3, 2, v2
	v_cmp_eq_u32_e32 vcc, 0, v2
	s_waitcnt vmcnt(19)
	v_add_f32_e32 v1, v1, v19
	s_waitcnt vmcnt(18)
	v_add_f32_e32 v1, v1, v20
	;; [unrolled: 2-line block ×20, first 2 shown]
	v_or_b32_e32 v4, 0xfc, v3
	s_nop 0
	v_add_f32_dpp v1, v1, v1 quad_perm:[1,0,3,2] row_mask:0xf bank_mask:0xf bound_ctrl:1
	s_nop 1
	v_add_f32_dpp v1, v1, v1 quad_perm:[2,3,0,1] row_mask:0xf bank_mask:0xf bound_ctrl:1
	s_nop 1
	v_add_f32_dpp v1, v1, v1 row_ror:4 row_mask:0xf bank_mask:0xf bound_ctrl:1
	s_nop 1
	v_add_f32_dpp v1, v1, v1 row_ror:8 row_mask:0xf bank_mask:0xf bound_ctrl:1
	s_nop 1
	v_add_f32_dpp v1, v1, v1 row_bcast:15 row_mask:0xf bank_mask:0xf bound_ctrl:1
	s_nop 1
	v_add_f32_dpp v1, v1, v1 row_bcast:31 row_mask:0xf bank_mask:0xf bound_ctrl:1
	ds_bpermute_b32 v1, v4, v1
	s_and_saveexec_b64 s[6:7], vcc
	s_cbranch_execz .LBB48_7
; %bb.6:
	v_lshrrev_b32_e32 v4, 4, v0
	v_and_b32_e32 v4, 12, v4
	s_waitcnt lgkmcnt(0)
	ds_write_b32 v4, v1 offset:48
.LBB48_7:
	s_or_b64 exec, exec, s[6:7]
	v_cmp_gt_u32_e32 vcc, 64, v0
	s_waitcnt lgkmcnt(0)
	s_barrier
	s_and_saveexec_b64 s[6:7], vcc
	s_cbranch_execz .LBB48_9
; %bb.8:
	v_and_b32_e32 v1, 3, v2
	v_lshlrev_b32_e32 v4, 2, v1
	ds_read_b32 v4, v4 offset:48
	v_cmp_ne_u32_e32 vcc, 3, v1
	s_nop 1
	v_addc_co_u32_e32 v1, vcc, 0, v2, vcc
	v_lshlrev_b32_e32 v1, 2, v1
	s_waitcnt lgkmcnt(0)
	ds_bpermute_b32 v1, v1, v4
	v_or_b32_e32 v2, 8, v3
	s_waitcnt lgkmcnt(0)
	v_add_f32_e32 v1, v4, v1
	ds_bpermute_b32 v2, v2, v1
	s_waitcnt lgkmcnt(0)
	v_add_f32_e32 v1, v1, v2
.LBB48_9:
	s_or_b64 exec, exec, s[6:7]
.LBB48_10:
	v_cmp_eq_u32_e64 s[4:5], 0, v0
	s_and_b64 vcc, exec, s[66:67]
	s_cbranch_vccnz .LBB48_15
	s_branch .LBB48_93
.LBB48_11:
	s_mov_b64 s[4:5], 0
                                        ; implicit-def: $vgpr1
	s_cbranch_execnz .LBB48_166
	s_branch .LBB48_224
.LBB48_12:
	s_mov_b64 s[4:5], 0
                                        ; implicit-def: $vgpr1
	s_cbranch_execnz .LBB48_134
	s_branch .LBB48_142
.LBB48_13:
	s_mov_b64 s[66:67], -1
.LBB48_14:
	s_mov_b64 s[4:5], 0
                                        ; implicit-def: $vgpr1
	s_and_b64 vcc, exec, s[66:67]
	s_cbranch_vccz .LBB48_93
.LBB48_15:
	s_cmp_eq_u32 s33, 16
	s_cbranch_scc0 .LBB48_22
; %bb.16:
	s_mov_b32 s3, 0
	s_lshl_b32 s4, s2, 12
	s_mov_b32 s5, s3
	s_lshr_b64 s[6:7], s[70:71], 12
	s_lshl_b64 s[8:9], s[4:5], 2
	s_add_u32 s34, s68, s8
	s_addc_u32 s35, s69, s9
	s_cmp_lg_u64 s[6:7], s[2:3]
	s_cbranch_scc0 .LBB48_94
; %bb.17:
	v_lshlrev_b32_e32 v2, 2, v0
	global_load_dword v1, v2, s[34:35]
	global_load_dword v8, v2, s[34:35] offset:1024
	global_load_dword v9, v2, s[34:35] offset:2048
	;; [unrolled: 1-line block ×3, first 2 shown]
	v_mov_b32_e32 v3, 0
	v_lshl_add_u64 v[4:5], s[34:35], 0, v[2:3]
	v_add_co_u32_e32 v2, vcc, 0x1000, v4
	s_waitcnt vmcnt(2)
	v_add_f32_e32 v1, v1, v8
	v_addc_co_u32_e32 v3, vcc, 0, v5, vcc
	v_add_co_u32_e32 v6, vcc, 0x2000, v4
	s_waitcnt vmcnt(1)
	v_add_f32_e32 v1, v1, v9
	v_addc_co_u32_e32 v7, vcc, 0, v5, vcc
	global_load_dword v11, v[2:3], off
	global_load_dword v12, v[2:3], off offset:1024
	global_load_dword v13, v[2:3], off offset:2048
	;; [unrolled: 1-line block ×3, first 2 shown]
	global_load_dword v15, v[6:7], off
	global_load_dword v16, v[6:7], off offset:1024
	global_load_dword v17, v[6:7], off offset:2048
	;; [unrolled: 1-line block ×3, first 2 shown]
	v_add_co_u32_e32 v2, vcc, 0x3000, v4
	s_waitcnt vmcnt(8)
	v_add_f32_e32 v1, v1, v10
	v_addc_co_u32_e32 v3, vcc, 0, v5, vcc
	global_load_dword v4, v[2:3], off
	global_load_dword v5, v[2:3], off offset:1024
	global_load_dword v6, v[2:3], off offset:2048
	global_load_dword v7, v[2:3], off offset:3072
	v_mbcnt_lo_u32_b32 v2, -1, 0
	v_mbcnt_hi_u32_b32 v2, -1, v2
	v_lshlrev_b32_e32 v3, 2, v2
	v_cmp_eq_u32_e32 vcc, 0, v2
	s_waitcnt vmcnt(11)
	v_add_f32_e32 v1, v1, v11
	s_waitcnt vmcnt(10)
	v_add_f32_e32 v1, v1, v12
	;; [unrolled: 2-line block ×12, first 2 shown]
	v_or_b32_e32 v4, 0xfc, v3
	s_nop 0
	v_add_f32_dpp v1, v1, v1 quad_perm:[1,0,3,2] row_mask:0xf bank_mask:0xf bound_ctrl:1
	s_nop 1
	v_add_f32_dpp v1, v1, v1 quad_perm:[2,3,0,1] row_mask:0xf bank_mask:0xf bound_ctrl:1
	s_nop 1
	v_add_f32_dpp v1, v1, v1 row_ror:4 row_mask:0xf bank_mask:0xf bound_ctrl:1
	s_nop 1
	v_add_f32_dpp v1, v1, v1 row_ror:8 row_mask:0xf bank_mask:0xf bound_ctrl:1
	s_nop 1
	v_add_f32_dpp v1, v1, v1 row_bcast:15 row_mask:0xf bank_mask:0xf bound_ctrl:1
	s_nop 1
	v_add_f32_dpp v1, v1, v1 row_bcast:31 row_mask:0xf bank_mask:0xf bound_ctrl:1
	ds_bpermute_b32 v1, v4, v1
	s_and_saveexec_b64 s[6:7], vcc
	s_cbranch_execz .LBB48_19
; %bb.18:
	v_lshrrev_b32_e32 v4, 4, v0
	v_and_b32_e32 v4, 12, v4
	s_waitcnt lgkmcnt(0)
	ds_write_b32 v4, v1
.LBB48_19:
	s_or_b64 exec, exec, s[6:7]
	v_cmp_gt_u32_e32 vcc, 64, v0
	s_waitcnt lgkmcnt(0)
	s_barrier
	s_and_saveexec_b64 s[6:7], vcc
	s_cbranch_execz .LBB48_21
; %bb.20:
	v_and_b32_e32 v1, 3, v2
	v_lshlrev_b32_e32 v4, 2, v1
	ds_read_b32 v4, v4
	v_cmp_ne_u32_e32 vcc, 3, v1
	s_nop 1
	v_addc_co_u32_e32 v1, vcc, 0, v2, vcc
	v_lshlrev_b32_e32 v1, 2, v1
	s_waitcnt lgkmcnt(0)
	ds_bpermute_b32 v1, v1, v4
	v_or_b32_e32 v2, 8, v3
	s_waitcnt lgkmcnt(0)
	v_add_f32_e32 v1, v4, v1
	ds_bpermute_b32 v2, v2, v1
	s_waitcnt lgkmcnt(0)
	v_add_f32_e32 v1, v1, v2
.LBB48_21:
	s_or_b64 exec, exec, s[6:7]
	s_mov_b64 s[6:7], 0
	s_branch .LBB48_95
.LBB48_22:
                                        ; implicit-def: $vgpr1
	s_branch .LBB48_142
.LBB48_23:
                                        ; implicit-def: $vgpr1
	s_cbranch_execz .LBB48_10
; %bb.24:
	s_sub_i32 s76, s70, s4
	v_mov_b32_e32 v2, 0
	v_cmp_gt_u32_e32 vcc, s76, v0
	v_mov_b32_e32 v3, v2
	v_mov_b32_e32 v4, v2
	;; [unrolled: 1-line block ×31, first 2 shown]
	s_and_saveexec_b64 s[4:5], vcc
	s_cbranch_execz .LBB48_26
; %bb.25:
	v_lshlrev_b32_e32 v1, 2, v0
	global_load_dword v4, v1, s[72:73]
	v_mov_b32_e32 v5, v2
	v_mov_b32_e32 v6, v2
	;; [unrolled: 1-line block ×31, first 2 shown]
	s_waitcnt vmcnt(0)
	v_mov_b64_e32 v[2:3], v[4:5]
	v_mov_b64_e32 v[4:5], v[6:7]
	;; [unrolled: 1-line block ×16, first 2 shown]
.LBB48_26:
	s_or_b64 exec, exec, s[4:5]
	v_or_b32_e32 v1, 0x100, v0
	v_cmp_gt_u32_e32 vcc, s76, v1
	s_and_saveexec_b64 s[4:5], vcc
	s_cbranch_execz .LBB48_28
; %bb.27:
	v_lshlrev_b32_e32 v1, 2, v0
	global_load_dword v3, v1, s[72:73] offset:1024
.LBB48_28:
	s_or_b64 exec, exec, s[4:5]
	v_or_b32_e32 v1, 0x200, v0
	v_cmp_gt_u32_e64 s[4:5], s76, v1
	s_and_saveexec_b64 s[6:7], s[4:5]
	s_cbranch_execz .LBB48_30
; %bb.29:
	v_lshlrev_b32_e32 v1, 2, v0
	global_load_dword v4, v1, s[72:73] offset:2048
.LBB48_30:
	s_or_b64 exec, exec, s[6:7]
	v_or_b32_e32 v1, 0x300, v0
	v_cmp_gt_u32_e64 s[6:7], s76, v1
	s_and_saveexec_b64 s[8:9], s[6:7]
	;; [unrolled: 9-line block ×3, first 2 shown]
	s_cbranch_execz .LBB48_34
; %bb.33:
	v_lshlrev_b32_e32 v1, 2, v1
	global_load_dword v6, v1, s[72:73]
.LBB48_34:
	s_or_b64 exec, exec, s[10:11]
	v_or_b32_e32 v1, 0x500, v0
	v_cmp_gt_u32_e64 s[10:11], s76, v1
	s_and_saveexec_b64 s[12:13], s[10:11]
	s_cbranch_execz .LBB48_36
; %bb.35:
	v_lshlrev_b32_e32 v1, 2, v1
	global_load_dword v7, v1, s[72:73]
.LBB48_36:
	s_or_b64 exec, exec, s[12:13]
	v_or_b32_e32 v1, 0x600, v0
	v_cmp_gt_u32_e64 s[12:13], s76, v1
	s_and_saveexec_b64 s[14:15], s[12:13]
	;; [unrolled: 9-line block ×27, first 2 shown]
	s_cbranch_execz .LBB48_88
; %bb.87:
	v_lshlrev_b32_e32 v1, 2, v1
	global_load_dword v33, v1, s[72:73]
.LBB48_88:
	s_or_b64 exec, exec, s[74:75]
	s_waitcnt vmcnt(0)
	v_add_f32_e32 v1, v2, v3
	v_cndmask_b32_e32 v1, v2, v1, vcc
	v_add_f32_e32 v2, v4, v1
	v_cndmask_b32_e64 v1, v1, v2, s[4:5]
	v_add_f32_e32 v2, v5, v1
	v_cndmask_b32_e64 v1, v1, v2, s[6:7]
	;; [unrolled: 2-line block ×30, first 2 shown]
	v_mbcnt_lo_u32_b32 v2, -1, 0
	v_mbcnt_hi_u32_b32 v2, -1, v2
	v_and_b32_e32 v4, 63, v2
	v_cmp_ne_u32_e32 vcc, 63, v4
	s_min_u32 s8, s76, 0x100
	v_and_b32_e32 v5, 0xc0, v0
	v_addc_co_u32_e32 v3, vcc, 0, v2, vcc
	v_lshlrev_b32_e32 v3, 2, v3
	ds_bpermute_b32 v3, v3, v1
	v_sub_u32_e64 v5, s8, v5 clamp
	v_add_u32_e32 v6, 1, v4
	v_cmp_gt_u32_e64 s[4:5], 62, v4
	v_cmp_lt_u32_e32 vcc, v6, v5
	s_waitcnt lgkmcnt(0)
	v_add_f32_e32 v3, v1, v3
	v_cndmask_b32_e64 v6, 0, 2, s[4:5]
	v_cndmask_b32_e32 v3, v1, v3, vcc
	v_add_lshl_u32 v6, v6, v2, 2
	ds_bpermute_b32 v6, v6, v3
	v_add_u32_e32 v7, 2, v4
	v_cmp_lt_u32_e64 s[4:5], v7, v5
	v_add_u32_e32 v7, 4, v4
	s_waitcnt lgkmcnt(0)
	v_add_f32_e32 v6, v3, v6
	v_cndmask_b32_e64 v3, v3, v6, s[4:5]
	v_cmp_gt_u32_e64 s[4:5], 60, v4
	s_nop 1
	v_cndmask_b32_e64 v6, 0, 4, s[4:5]
	v_add_lshl_u32 v6, v6, v2, 2
	ds_bpermute_b32 v6, v6, v3
	v_cmp_lt_u32_e64 s[4:5], v7, v5
	v_add_u32_e32 v7, 8, v4
	s_waitcnt lgkmcnt(0)
	v_add_f32_e32 v6, v3, v6
	v_cndmask_b32_e64 v3, v3, v6, s[4:5]
	v_cmp_gt_u32_e64 s[4:5], 56, v4
	s_nop 1
	v_cndmask_b32_e64 v6, 0, 8, s[4:5]
	v_add_lshl_u32 v6, v6, v2, 2
	ds_bpermute_b32 v6, v6, v3
	v_cmp_lt_u32_e64 s[4:5], v7, v5
	v_add_u32_e32 v7, 16, v4
	s_waitcnt lgkmcnt(0)
	v_add_f32_e32 v6, v3, v6
	v_cndmask_b32_e64 v3, v3, v6, s[4:5]
	v_cmp_gt_u32_e64 s[4:5], 48, v4
	v_add_u32_e32 v4, 32, v4
	s_nop 0
	v_cndmask_b32_e64 v6, 0, 16, s[4:5]
	v_add_lshl_u32 v6, v6, v2, 2
	ds_bpermute_b32 v6, v6, v3
	v_cmp_lt_u32_e64 s[4:5], v7, v5
	s_waitcnt lgkmcnt(0)
	v_add_f32_e32 v6, v3, v6
	v_cndmask_b32_e64 v6, v3, v6, s[4:5]
	v_lshlrev_b32_e32 v3, 2, v2
	v_or_b32_e32 v7, 0x80, v3
	ds_bpermute_b32 v7, v7, v6
	v_cmp_lt_u32_e64 s[4:5], v4, v5
	s_waitcnt lgkmcnt(0)
	v_add_f32_e32 v7, v6, v7
	v_cndmask_b32_e64 v4, v6, v7, s[4:5]
	v_cndmask_b32_e32 v1, v1, v4, vcc
	v_cmp_eq_u32_e32 vcc, 0, v2
	s_and_saveexec_b64 s[4:5], vcc
; %bb.89:
	v_lshrrev_b32_e32 v4, 4, v0
	v_and_b32_e32 v4, 12, v4
	ds_write_b32 v4, v1 offset:96
; %bb.90:
	s_or_b64 exec, exec, s[4:5]
	v_cmp_gt_u32_e32 vcc, 4, v0
	s_waitcnt lgkmcnt(0)
	s_barrier
	s_and_saveexec_b64 s[6:7], vcc
	s_cbranch_execz .LBB48_92
; %bb.91:
	ds_read_b32 v1, v3 offset:96
	v_and_b32_e32 v4, 3, v2
	v_cmp_ne_u32_e32 vcc, 3, v4
	s_add_i32 s8, s8, 63
	s_lshr_b32 s4, s8, 6
	v_addc_co_u32_e32 v2, vcc, 0, v2, vcc
	v_lshlrev_b32_e32 v2, 2, v2
	s_waitcnt lgkmcnt(0)
	ds_bpermute_b32 v2, v2, v1
	v_add_u32_e32 v5, 1, v4
	v_cmp_gt_u32_e32 vcc, s4, v5
	v_or_b32_e32 v3, 8, v3
	v_add_u32_e32 v4, 2, v4
	s_waitcnt lgkmcnt(0)
	v_add_f32_e32 v2, v1, v2
	v_cndmask_b32_e32 v2, v1, v2, vcc
	ds_bpermute_b32 v3, v3, v2
	v_cmp_gt_u32_e64 s[4:5], s4, v4
	s_waitcnt lgkmcnt(0)
	v_add_f32_e32 v3, v2, v3
	v_cndmask_b32_e64 v2, v2, v3, s[4:5]
	v_cndmask_b32_e32 v1, v1, v2, vcc
.LBB48_92:
	s_or_b64 exec, exec, s[6:7]
	v_cmp_eq_u32_e64 s[4:5], 0, v0
	s_and_b64 vcc, exec, s[66:67]
	s_cbranch_vccnz .LBB48_15
.LBB48_93:
	s_branch .LBB48_142
.LBB48_94:
	s_mov_b64 s[6:7], -1
                                        ; implicit-def: $vgpr1
.LBB48_95:
	s_and_b64 vcc, exec, s[6:7]
	s_cbranch_vccz .LBB48_133
; %bb.96:
	s_sub_i32 s38, s70, s4
	v_mov_b32_e32 v2, 0
	v_cmp_gt_u32_e32 vcc, s38, v0
	v_mov_b32_e32 v3, v2
	v_mov_b32_e32 v4, v2
	;; [unrolled: 1-line block ×15, first 2 shown]
	s_and_saveexec_b64 s[4:5], vcc
	s_cbranch_execz .LBB48_98
; %bb.97:
	v_lshlrev_b32_e32 v1, 2, v0
	global_load_dword v4, v1, s[34:35]
	v_mov_b32_e32 v5, v2
	v_mov_b32_e32 v6, v2
	;; [unrolled: 1-line block ×15, first 2 shown]
	s_waitcnt vmcnt(0)
	v_mov_b64_e32 v[2:3], v[4:5]
	v_mov_b64_e32 v[4:5], v[6:7]
	;; [unrolled: 1-line block ×8, first 2 shown]
.LBB48_98:
	s_or_b64 exec, exec, s[4:5]
	v_or_b32_e32 v1, 0x100, v0
	v_cmp_gt_u32_e32 vcc, s38, v1
	s_and_saveexec_b64 s[4:5], vcc
	s_cbranch_execz .LBB48_100
; %bb.99:
	v_lshlrev_b32_e32 v1, 2, v0
	global_load_dword v3, v1, s[34:35] offset:1024
.LBB48_100:
	s_or_b64 exec, exec, s[4:5]
	v_or_b32_e32 v1, 0x200, v0
	v_cmp_gt_u32_e64 s[4:5], s38, v1
	s_and_saveexec_b64 s[6:7], s[4:5]
	s_cbranch_execz .LBB48_102
; %bb.101:
	v_lshlrev_b32_e32 v1, 2, v0
	global_load_dword v4, v1, s[34:35] offset:2048
.LBB48_102:
	s_or_b64 exec, exec, s[6:7]
	v_or_b32_e32 v1, 0x300, v0
	v_cmp_gt_u32_e64 s[6:7], s38, v1
	s_and_saveexec_b64 s[8:9], s[6:7]
	;; [unrolled: 9-line block ×3, first 2 shown]
	s_cbranch_execz .LBB48_106
; %bb.105:
	v_lshlrev_b32_e32 v1, 2, v1
	global_load_dword v6, v1, s[34:35]
.LBB48_106:
	s_or_b64 exec, exec, s[10:11]
	v_or_b32_e32 v1, 0x500, v0
	v_cmp_gt_u32_e64 s[10:11], s38, v1
	s_and_saveexec_b64 s[12:13], s[10:11]
	s_cbranch_execz .LBB48_108
; %bb.107:
	v_lshlrev_b32_e32 v1, 2, v1
	global_load_dword v7, v1, s[34:35]
.LBB48_108:
	s_or_b64 exec, exec, s[12:13]
	v_or_b32_e32 v1, 0x600, v0
	v_cmp_gt_u32_e64 s[12:13], s38, v1
	s_and_saveexec_b64 s[14:15], s[12:13]
	;; [unrolled: 9-line block ×11, first 2 shown]
	s_cbranch_execz .LBB48_128
; %bb.127:
	v_lshlrev_b32_e32 v1, 2, v1
	global_load_dword v17, v1, s[34:35]
.LBB48_128:
	s_or_b64 exec, exec, s[36:37]
	s_waitcnt vmcnt(0)
	v_add_f32_e32 v1, v2, v3
	v_cndmask_b32_e32 v1, v2, v1, vcc
	v_add_f32_e32 v2, v4, v1
	v_cndmask_b32_e64 v1, v1, v2, s[4:5]
	v_add_f32_e32 v2, v5, v1
	v_cndmask_b32_e64 v1, v1, v2, s[6:7]
	;; [unrolled: 2-line block ×14, first 2 shown]
	v_mbcnt_lo_u32_b32 v2, -1, 0
	v_mbcnt_hi_u32_b32 v2, -1, v2
	v_and_b32_e32 v4, 63, v2
	v_cmp_ne_u32_e32 vcc, 63, v4
	s_min_u32 s8, s38, 0x100
	v_and_b32_e32 v5, 0xc0, v0
	v_addc_co_u32_e32 v3, vcc, 0, v2, vcc
	v_lshlrev_b32_e32 v3, 2, v3
	ds_bpermute_b32 v3, v3, v1
	v_sub_u32_e64 v5, s8, v5 clamp
	v_add_u32_e32 v6, 1, v4
	v_cmp_gt_u32_e64 s[4:5], 62, v4
	v_cmp_lt_u32_e32 vcc, v6, v5
	s_waitcnt lgkmcnt(0)
	v_add_f32_e32 v3, v1, v3
	v_cndmask_b32_e64 v6, 0, 2, s[4:5]
	v_cndmask_b32_e32 v3, v1, v3, vcc
	v_add_lshl_u32 v6, v6, v2, 2
	ds_bpermute_b32 v6, v6, v3
	v_add_u32_e32 v7, 2, v4
	v_cmp_lt_u32_e64 s[4:5], v7, v5
	v_add_u32_e32 v7, 4, v4
	s_waitcnt lgkmcnt(0)
	v_add_f32_e32 v6, v3, v6
	v_cndmask_b32_e64 v3, v3, v6, s[4:5]
	v_cmp_gt_u32_e64 s[4:5], 60, v4
	s_nop 1
	v_cndmask_b32_e64 v6, 0, 4, s[4:5]
	v_add_lshl_u32 v6, v6, v2, 2
	ds_bpermute_b32 v6, v6, v3
	v_cmp_lt_u32_e64 s[4:5], v7, v5
	v_add_u32_e32 v7, 8, v4
	s_waitcnt lgkmcnt(0)
	v_add_f32_e32 v6, v3, v6
	v_cndmask_b32_e64 v3, v3, v6, s[4:5]
	v_cmp_gt_u32_e64 s[4:5], 56, v4
	s_nop 1
	v_cndmask_b32_e64 v6, 0, 8, s[4:5]
	v_add_lshl_u32 v6, v6, v2, 2
	ds_bpermute_b32 v6, v6, v3
	v_cmp_lt_u32_e64 s[4:5], v7, v5
	v_add_u32_e32 v7, 16, v4
	s_waitcnt lgkmcnt(0)
	v_add_f32_e32 v6, v3, v6
	v_cndmask_b32_e64 v3, v3, v6, s[4:5]
	v_cmp_gt_u32_e64 s[4:5], 48, v4
	v_add_u32_e32 v4, 32, v4
	s_nop 0
	v_cndmask_b32_e64 v6, 0, 16, s[4:5]
	v_add_lshl_u32 v6, v6, v2, 2
	ds_bpermute_b32 v6, v6, v3
	v_cmp_lt_u32_e64 s[4:5], v7, v5
	s_waitcnt lgkmcnt(0)
	v_add_f32_e32 v6, v3, v6
	v_cndmask_b32_e64 v6, v3, v6, s[4:5]
	v_lshlrev_b32_e32 v3, 2, v2
	v_or_b32_e32 v7, 0x80, v3
	ds_bpermute_b32 v7, v7, v6
	v_cmp_lt_u32_e64 s[4:5], v4, v5
	s_waitcnt lgkmcnt(0)
	v_add_f32_e32 v7, v6, v7
	v_cndmask_b32_e64 v4, v6, v7, s[4:5]
	v_cndmask_b32_e32 v1, v1, v4, vcc
	v_cmp_eq_u32_e32 vcc, 0, v2
	s_and_saveexec_b64 s[4:5], vcc
; %bb.129:
	v_lshrrev_b32_e32 v4, 4, v0
	v_and_b32_e32 v4, 12, v4
	ds_write_b32 v4, v1 offset:96
; %bb.130:
	s_or_b64 exec, exec, s[4:5]
	v_cmp_gt_u32_e32 vcc, 4, v0
	s_waitcnt lgkmcnt(0)
	s_barrier
	s_and_saveexec_b64 s[6:7], vcc
	s_cbranch_execz .LBB48_132
; %bb.131:
	ds_read_b32 v1, v3 offset:96
	v_and_b32_e32 v4, 3, v2
	v_cmp_ne_u32_e32 vcc, 3, v4
	s_add_i32 s8, s8, 63
	s_lshr_b32 s4, s8, 6
	v_addc_co_u32_e32 v2, vcc, 0, v2, vcc
	v_lshlrev_b32_e32 v2, 2, v2
	s_waitcnt lgkmcnt(0)
	ds_bpermute_b32 v2, v2, v1
	v_add_u32_e32 v5, 1, v4
	v_cmp_gt_u32_e32 vcc, s4, v5
	v_or_b32_e32 v3, 8, v3
	v_add_u32_e32 v4, 2, v4
	s_waitcnt lgkmcnt(0)
	v_add_f32_e32 v2, v1, v2
	v_cndmask_b32_e32 v2, v1, v2, vcc
	ds_bpermute_b32 v3, v3, v2
	v_cmp_gt_u32_e64 s[4:5], s4, v4
	s_waitcnt lgkmcnt(0)
	v_add_f32_e32 v3, v2, v3
	v_cndmask_b32_e64 v2, v2, v3, s[4:5]
	v_cndmask_b32_e32 v1, v1, v2, vcc
.LBB48_132:
	s_or_b64 exec, exec, s[6:7]
.LBB48_133:
	v_cmp_eq_u32_e64 s[4:5], 0, v0
	s_branch .LBB48_142
.LBB48_134:
	s_cmp_eq_u32 s33, 8
	s_cbranch_scc0 .LBB48_141
; %bb.135:
	s_mov_b32 s3, 0
	s_lshl_b32 s4, s2, 11
	s_mov_b32 s5, s3
	s_lshr_b64 s[6:7], s[70:71], 11
	s_lshl_b64 s[8:9], s[4:5], 2
	s_add_u32 s16, s68, s8
	s_addc_u32 s17, s69, s9
	s_cmp_lg_u64 s[6:7], s[2:3]
	s_cbranch_scc0 .LBB48_143
; %bb.136:
	v_lshlrev_b32_e32 v2, 2, v0
	v_mov_b32_e32 v3, 0
	v_lshl_add_u64 v[4:5], s[16:17], 0, v[2:3]
	v_add_co_u32_e32 v4, vcc, 0x1000, v4
	s_nop 1
	v_addc_co_u32_e32 v5, vcc, 0, v5, vcc
	global_load_dword v1, v2, s[16:17]
	global_load_dword v6, v2, s[16:17] offset:1024
	global_load_dword v7, v2, s[16:17] offset:2048
	;; [unrolled: 1-line block ×3, first 2 shown]
	global_load_dword v9, v[4:5], off
	global_load_dword v10, v[4:5], off offset:1024
	global_load_dword v11, v[4:5], off offset:2048
	;; [unrolled: 1-line block ×3, first 2 shown]
	v_mbcnt_lo_u32_b32 v2, -1, 0
	v_mbcnt_hi_u32_b32 v2, -1, v2
	v_lshlrev_b32_e32 v3, 2, v2
	v_or_b32_e32 v4, 0xfc, v3
	v_cmp_eq_u32_e32 vcc, 0, v2
	s_waitcnt vmcnt(6)
	v_add_f32_e32 v1, v1, v6
	s_waitcnt vmcnt(5)
	v_add_f32_e32 v1, v1, v7
	;; [unrolled: 2-line block ×7, first 2 shown]
	s_nop 1
	v_add_f32_dpp v1, v1, v1 quad_perm:[1,0,3,2] row_mask:0xf bank_mask:0xf bound_ctrl:1
	s_nop 1
	v_add_f32_dpp v1, v1, v1 quad_perm:[2,3,0,1] row_mask:0xf bank_mask:0xf bound_ctrl:1
	s_nop 1
	v_add_f32_dpp v1, v1, v1 row_ror:4 row_mask:0xf bank_mask:0xf bound_ctrl:1
	s_nop 1
	v_add_f32_dpp v1, v1, v1 row_ror:8 row_mask:0xf bank_mask:0xf bound_ctrl:1
	s_nop 1
	v_add_f32_dpp v1, v1, v1 row_bcast:15 row_mask:0xf bank_mask:0xf bound_ctrl:1
	s_nop 1
	v_add_f32_dpp v1, v1, v1 row_bcast:31 row_mask:0xf bank_mask:0xf bound_ctrl:1
	ds_bpermute_b32 v1, v4, v1
	s_and_saveexec_b64 s[6:7], vcc
	s_cbranch_execz .LBB48_138
; %bb.137:
	v_lshrrev_b32_e32 v4, 4, v0
	v_and_b32_e32 v4, 12, v4
	s_waitcnt lgkmcnt(0)
	ds_write_b32 v4, v1 offset:80
.LBB48_138:
	s_or_b64 exec, exec, s[6:7]
	v_cmp_gt_u32_e32 vcc, 64, v0
	s_waitcnt lgkmcnt(0)
	s_barrier
	s_and_saveexec_b64 s[6:7], vcc
	s_cbranch_execz .LBB48_140
; %bb.139:
	v_and_b32_e32 v1, 3, v2
	v_lshlrev_b32_e32 v4, 2, v1
	ds_read_b32 v4, v4 offset:80
	v_cmp_ne_u32_e32 vcc, 3, v1
	s_nop 1
	v_addc_co_u32_e32 v1, vcc, 0, v2, vcc
	v_lshlrev_b32_e32 v1, 2, v1
	s_waitcnt lgkmcnt(0)
	ds_bpermute_b32 v1, v1, v4
	v_or_b32_e32 v2, 8, v3
	s_waitcnt lgkmcnt(0)
	v_add_f32_e32 v1, v4, v1
	ds_bpermute_b32 v2, v2, v1
	s_waitcnt lgkmcnt(0)
	v_add_f32_e32 v1, v1, v2
.LBB48_140:
	s_or_b64 exec, exec, s[6:7]
	s_branch .LBB48_165
.LBB48_141:
                                        ; implicit-def: $vgpr1
.LBB48_142:
	s_branch .LBB48_224
.LBB48_143:
                                        ; implicit-def: $vgpr1
	s_cbranch_execz .LBB48_165
; %bb.144:
	s_sub_i32 s20, s70, s4
	v_mov_b32_e32 v2, 0
	v_cmp_gt_u32_e32 vcc, s20, v0
	v_mov_b32_e32 v3, v2
	v_mov_b32_e32 v4, v2
	;; [unrolled: 1-line block ×7, first 2 shown]
	s_and_saveexec_b64 s[4:5], vcc
	s_cbranch_execz .LBB48_146
; %bb.145:
	v_lshlrev_b32_e32 v1, 2, v0
	global_load_dword v4, v1, s[16:17]
	v_mov_b32_e32 v5, v2
	v_mov_b32_e32 v6, v2
	v_mov_b32_e32 v7, v2
	v_mov_b32_e32 v8, v2
	v_mov_b32_e32 v9, v2
	v_mov_b32_e32 v10, v2
	v_mov_b32_e32 v11, v2
	s_waitcnt vmcnt(0)
	v_mov_b64_e32 v[2:3], v[4:5]
	v_mov_b64_e32 v[4:5], v[6:7]
	;; [unrolled: 1-line block ×4, first 2 shown]
.LBB48_146:
	s_or_b64 exec, exec, s[4:5]
	v_or_b32_e32 v1, 0x100, v0
	v_cmp_gt_u32_e32 vcc, s20, v1
	s_and_saveexec_b64 s[4:5], vcc
	s_cbranch_execz .LBB48_148
; %bb.147:
	v_lshlrev_b32_e32 v1, 2, v0
	global_load_dword v3, v1, s[16:17] offset:1024
.LBB48_148:
	s_or_b64 exec, exec, s[4:5]
	v_or_b32_e32 v1, 0x200, v0
	v_cmp_gt_u32_e64 s[4:5], s20, v1
	s_and_saveexec_b64 s[6:7], s[4:5]
	s_cbranch_execz .LBB48_150
; %bb.149:
	v_lshlrev_b32_e32 v1, 2, v0
	global_load_dword v4, v1, s[16:17] offset:2048
.LBB48_150:
	s_or_b64 exec, exec, s[6:7]
	v_or_b32_e32 v1, 0x300, v0
	v_cmp_gt_u32_e64 s[6:7], s20, v1
	s_and_saveexec_b64 s[8:9], s[6:7]
	;; [unrolled: 9-line block ×3, first 2 shown]
	s_cbranch_execz .LBB48_154
; %bb.153:
	v_lshlrev_b32_e32 v1, 2, v1
	global_load_dword v6, v1, s[16:17]
.LBB48_154:
	s_or_b64 exec, exec, s[10:11]
	v_or_b32_e32 v1, 0x500, v0
	v_cmp_gt_u32_e64 s[10:11], s20, v1
	s_and_saveexec_b64 s[12:13], s[10:11]
	s_cbranch_execz .LBB48_156
; %bb.155:
	v_lshlrev_b32_e32 v1, 2, v1
	global_load_dword v7, v1, s[16:17]
.LBB48_156:
	s_or_b64 exec, exec, s[12:13]
	v_or_b32_e32 v1, 0x600, v0
	v_cmp_gt_u32_e64 s[12:13], s20, v1
	s_and_saveexec_b64 s[14:15], s[12:13]
	;; [unrolled: 9-line block ×3, first 2 shown]
	s_cbranch_execz .LBB48_160
; %bb.159:
	v_lshlrev_b32_e32 v1, 2, v1
	global_load_dword v9, v1, s[16:17]
.LBB48_160:
	s_or_b64 exec, exec, s[18:19]
	s_waitcnt vmcnt(0)
	v_add_f32_e32 v1, v2, v3
	v_cndmask_b32_e32 v1, v2, v1, vcc
	v_add_f32_e32 v2, v4, v1
	v_cndmask_b32_e64 v1, v1, v2, s[4:5]
	v_add_f32_e32 v2, v5, v1
	v_cndmask_b32_e64 v1, v1, v2, s[6:7]
	;; [unrolled: 2-line block ×6, first 2 shown]
	v_mbcnt_lo_u32_b32 v2, -1, 0
	v_mbcnt_hi_u32_b32 v2, -1, v2
	v_and_b32_e32 v4, 63, v2
	v_cmp_ne_u32_e32 vcc, 63, v4
	s_min_u32 s8, s20, 0x100
	v_and_b32_e32 v5, 0xc0, v0
	v_addc_co_u32_e32 v3, vcc, 0, v2, vcc
	v_lshlrev_b32_e32 v3, 2, v3
	ds_bpermute_b32 v3, v3, v1
	v_sub_u32_e64 v5, s8, v5 clamp
	v_add_u32_e32 v6, 1, v4
	v_cmp_gt_u32_e64 s[4:5], 62, v4
	v_cmp_lt_u32_e32 vcc, v6, v5
	s_waitcnt lgkmcnt(0)
	v_add_f32_e32 v3, v1, v3
	v_cndmask_b32_e64 v6, 0, 2, s[4:5]
	v_cndmask_b32_e32 v3, v1, v3, vcc
	v_add_lshl_u32 v6, v6, v2, 2
	ds_bpermute_b32 v6, v6, v3
	v_add_u32_e32 v7, 2, v4
	v_cmp_lt_u32_e64 s[4:5], v7, v5
	v_add_u32_e32 v7, 4, v4
	s_waitcnt lgkmcnt(0)
	v_add_f32_e32 v6, v3, v6
	v_cndmask_b32_e64 v3, v3, v6, s[4:5]
	v_cmp_gt_u32_e64 s[4:5], 60, v4
	s_nop 1
	v_cndmask_b32_e64 v6, 0, 4, s[4:5]
	v_add_lshl_u32 v6, v6, v2, 2
	ds_bpermute_b32 v6, v6, v3
	v_cmp_lt_u32_e64 s[4:5], v7, v5
	v_add_u32_e32 v7, 8, v4
	s_waitcnt lgkmcnt(0)
	v_add_f32_e32 v6, v3, v6
	v_cndmask_b32_e64 v3, v3, v6, s[4:5]
	v_cmp_gt_u32_e64 s[4:5], 56, v4
	s_nop 1
	v_cndmask_b32_e64 v6, 0, 8, s[4:5]
	v_add_lshl_u32 v6, v6, v2, 2
	ds_bpermute_b32 v6, v6, v3
	v_cmp_lt_u32_e64 s[4:5], v7, v5
	v_add_u32_e32 v7, 16, v4
	s_waitcnt lgkmcnt(0)
	v_add_f32_e32 v6, v3, v6
	v_cndmask_b32_e64 v3, v3, v6, s[4:5]
	v_cmp_gt_u32_e64 s[4:5], 48, v4
	v_add_u32_e32 v4, 32, v4
	s_nop 0
	v_cndmask_b32_e64 v6, 0, 16, s[4:5]
	v_add_lshl_u32 v6, v6, v2, 2
	ds_bpermute_b32 v6, v6, v3
	v_cmp_lt_u32_e64 s[4:5], v7, v5
	s_waitcnt lgkmcnt(0)
	v_add_f32_e32 v6, v3, v6
	v_cndmask_b32_e64 v6, v3, v6, s[4:5]
	v_lshlrev_b32_e32 v3, 2, v2
	v_or_b32_e32 v7, 0x80, v3
	ds_bpermute_b32 v7, v7, v6
	v_cmp_lt_u32_e64 s[4:5], v4, v5
	s_waitcnt lgkmcnt(0)
	v_add_f32_e32 v7, v6, v7
	v_cndmask_b32_e64 v4, v6, v7, s[4:5]
	v_cndmask_b32_e32 v1, v1, v4, vcc
	v_cmp_eq_u32_e32 vcc, 0, v2
	s_and_saveexec_b64 s[4:5], vcc
; %bb.161:
	v_lshrrev_b32_e32 v4, 4, v0
	v_and_b32_e32 v4, 12, v4
	ds_write_b32 v4, v1 offset:96
; %bb.162:
	s_or_b64 exec, exec, s[4:5]
	v_cmp_gt_u32_e32 vcc, 4, v0
	s_waitcnt lgkmcnt(0)
	s_barrier
	s_and_saveexec_b64 s[6:7], vcc
	s_cbranch_execz .LBB48_164
; %bb.163:
	ds_read_b32 v1, v3 offset:96
	v_and_b32_e32 v4, 3, v2
	v_cmp_ne_u32_e32 vcc, 3, v4
	s_add_i32 s8, s8, 63
	s_lshr_b32 s4, s8, 6
	v_addc_co_u32_e32 v2, vcc, 0, v2, vcc
	v_lshlrev_b32_e32 v2, 2, v2
	s_waitcnt lgkmcnt(0)
	ds_bpermute_b32 v2, v2, v1
	v_add_u32_e32 v5, 1, v4
	v_cmp_gt_u32_e32 vcc, s4, v5
	v_or_b32_e32 v3, 8, v3
	v_add_u32_e32 v4, 2, v4
	s_waitcnt lgkmcnt(0)
	v_add_f32_e32 v2, v1, v2
	v_cndmask_b32_e32 v2, v1, v2, vcc
	ds_bpermute_b32 v3, v3, v2
	v_cmp_gt_u32_e64 s[4:5], s4, v4
	s_waitcnt lgkmcnt(0)
	v_add_f32_e32 v3, v2, v3
	v_cndmask_b32_e64 v2, v2, v3, s[4:5]
	v_cndmask_b32_e32 v1, v1, v2, vcc
.LBB48_164:
	s_or_b64 exec, exec, s[6:7]
.LBB48_165:
	v_cmp_eq_u32_e64 s[4:5], 0, v0
	s_branch .LBB48_224
.LBB48_166:
	s_cmp_gt_i32 s33, 1
	s_cbranch_scc0 .LBB48_175
; %bb.167:
	s_cmp_gt_i32 s33, 3
	s_cbranch_scc0 .LBB48_176
; %bb.168:
	s_cmp_eq_u32 s33, 4
	s_cbranch_scc0 .LBB48_177
; %bb.169:
	s_mov_b32 s3, 0
	s_lshl_b32 s4, s2, 10
	s_mov_b32 s5, s3
	s_lshr_b64 s[6:7], s[70:71], 10
	s_lshl_b64 s[8:9], s[4:5], 2
	s_add_u32 s8, s68, s8
	s_addc_u32 s9, s69, s9
	s_cmp_lg_u64 s[6:7], s[2:3]
	s_cbranch_scc0 .LBB48_179
; %bb.170:
	v_lshlrev_b32_e32 v1, 2, v0
	global_load_dword v4, v1, s[8:9]
	global_load_dword v5, v1, s[8:9] offset:1024
	global_load_dword v6, v1, s[8:9] offset:2048
	;; [unrolled: 1-line block ×3, first 2 shown]
	v_mbcnt_lo_u32_b32 v1, -1, 0
	v_mbcnt_hi_u32_b32 v2, -1, v1
	v_lshlrev_b32_e32 v3, 2, v2
	v_cmp_eq_u32_e32 vcc, 0, v2
	s_waitcnt vmcnt(2)
	v_add_f32_e32 v1, v4, v5
	s_waitcnt vmcnt(1)
	v_add_f32_e32 v1, v1, v6
	;; [unrolled: 2-line block ×3, first 2 shown]
	v_or_b32_e32 v4, 0xfc, v3
	s_nop 0
	v_add_f32_dpp v1, v1, v1 quad_perm:[1,0,3,2] row_mask:0xf bank_mask:0xf bound_ctrl:1
	s_nop 1
	v_add_f32_dpp v1, v1, v1 quad_perm:[2,3,0,1] row_mask:0xf bank_mask:0xf bound_ctrl:1
	s_nop 1
	v_add_f32_dpp v1, v1, v1 row_ror:4 row_mask:0xf bank_mask:0xf bound_ctrl:1
	s_nop 1
	v_add_f32_dpp v1, v1, v1 row_ror:8 row_mask:0xf bank_mask:0xf bound_ctrl:1
	s_nop 1
	v_add_f32_dpp v1, v1, v1 row_bcast:15 row_mask:0xf bank_mask:0xf bound_ctrl:1
	s_nop 1
	v_add_f32_dpp v1, v1, v1 row_bcast:31 row_mask:0xf bank_mask:0xf bound_ctrl:1
	ds_bpermute_b32 v1, v4, v1
	s_and_saveexec_b64 s[6:7], vcc
	s_cbranch_execz .LBB48_172
; %bb.171:
	v_lshrrev_b32_e32 v4, 4, v0
	v_and_b32_e32 v4, 12, v4
	s_waitcnt lgkmcnt(0)
	ds_write_b32 v4, v1 offset:64
.LBB48_172:
	s_or_b64 exec, exec, s[6:7]
	v_cmp_gt_u32_e32 vcc, 64, v0
	s_waitcnt lgkmcnt(0)
	s_barrier
	s_and_saveexec_b64 s[6:7], vcc
	s_cbranch_execz .LBB48_174
; %bb.173:
	v_and_b32_e32 v1, 3, v2
	v_lshlrev_b32_e32 v4, 2, v1
	ds_read_b32 v4, v4 offset:64
	v_cmp_ne_u32_e32 vcc, 3, v1
	s_nop 1
	v_addc_co_u32_e32 v1, vcc, 0, v2, vcc
	v_lshlrev_b32_e32 v1, 2, v1
	s_waitcnt lgkmcnt(0)
	ds_bpermute_b32 v1, v1, v4
	v_or_b32_e32 v2, 8, v3
	s_waitcnt lgkmcnt(0)
	v_add_f32_e32 v1, v4, v1
	ds_bpermute_b32 v2, v2, v1
	s_waitcnt lgkmcnt(0)
	v_add_f32_e32 v1, v1, v2
.LBB48_174:
	s_or_b64 exec, exec, s[6:7]
	s_mov_b64 s[6:7], 0
	s_branch .LBB48_180
.LBB48_175:
                                        ; implicit-def: $vgpr1
	s_cbranch_execnz .LBB48_215
	s_branch .LBB48_224
.LBB48_176:
                                        ; implicit-def: $vgpr1
	s_cbranch_execz .LBB48_178
	s_branch .LBB48_195
.LBB48_177:
                                        ; implicit-def: $vgpr1
.LBB48_178:
	s_branch .LBB48_224
.LBB48_179:
	s_mov_b64 s[6:7], -1
                                        ; implicit-def: $vgpr1
.LBB48_180:
	s_and_b64 vcc, exec, s[6:7]
	s_cbranch_vccz .LBB48_194
; %bb.181:
	s_sub_i32 s12, s70, s4
	v_mov_b32_e32 v2, 0
	v_cmp_gt_u32_e32 vcc, s12, v0
	v_mov_b32_e32 v3, v2
	v_mov_b32_e32 v4, v2
	;; [unrolled: 1-line block ×3, first 2 shown]
	s_and_saveexec_b64 s[4:5], vcc
	s_cbranch_execz .LBB48_183
; %bb.182:
	v_lshlrev_b32_e32 v1, 2, v0
	global_load_dword v4, v1, s[8:9]
	v_mov_b32_e32 v5, v2
	v_mov_b32_e32 v6, v2
	;; [unrolled: 1-line block ×3, first 2 shown]
	s_waitcnt vmcnt(0)
	v_mov_b64_e32 v[2:3], v[4:5]
	v_mov_b64_e32 v[4:5], v[6:7]
.LBB48_183:
	s_or_b64 exec, exec, s[4:5]
	v_or_b32_e32 v1, 0x100, v0
	v_cmp_gt_u32_e32 vcc, s12, v1
	s_and_saveexec_b64 s[4:5], vcc
	s_cbranch_execz .LBB48_185
; %bb.184:
	v_lshlrev_b32_e32 v1, 2, v0
	global_load_dword v3, v1, s[8:9] offset:1024
.LBB48_185:
	s_or_b64 exec, exec, s[4:5]
	v_or_b32_e32 v1, 0x200, v0
	v_cmp_gt_u32_e64 s[4:5], s12, v1
	s_and_saveexec_b64 s[6:7], s[4:5]
	s_cbranch_execz .LBB48_187
; %bb.186:
	v_lshlrev_b32_e32 v1, 2, v0
	global_load_dword v4, v1, s[8:9] offset:2048
.LBB48_187:
	s_or_b64 exec, exec, s[6:7]
	v_or_b32_e32 v1, 0x300, v0
	v_cmp_gt_u32_e64 s[6:7], s12, v1
	s_and_saveexec_b64 s[10:11], s[6:7]
	s_cbranch_execz .LBB48_189
; %bb.188:
	v_lshlrev_b32_e32 v1, 2, v0
	global_load_dword v5, v1, s[8:9] offset:3072
.LBB48_189:
	s_or_b64 exec, exec, s[10:11]
	s_waitcnt vmcnt(0)
	v_add_f32_e32 v1, v2, v3
	v_cndmask_b32_e32 v1, v2, v1, vcc
	v_add_f32_e32 v2, v4, v1
	v_cndmask_b32_e64 v1, v1, v2, s[4:5]
	v_add_f32_e32 v2, v5, v1
	v_cndmask_b32_e64 v1, v1, v2, s[6:7]
	v_mbcnt_lo_u32_b32 v2, -1, 0
	v_mbcnt_hi_u32_b32 v2, -1, v2
	v_and_b32_e32 v4, 63, v2
	v_cmp_ne_u32_e32 vcc, 63, v4
	s_min_u32 s8, s12, 0x100
	v_and_b32_e32 v5, 0xc0, v0
	v_addc_co_u32_e32 v3, vcc, 0, v2, vcc
	v_lshlrev_b32_e32 v3, 2, v3
	ds_bpermute_b32 v3, v3, v1
	v_sub_u32_e64 v5, s8, v5 clamp
	v_add_u32_e32 v6, 1, v4
	v_cmp_gt_u32_e64 s[4:5], 62, v4
	v_cmp_lt_u32_e32 vcc, v6, v5
	s_waitcnt lgkmcnt(0)
	v_add_f32_e32 v3, v1, v3
	v_cndmask_b32_e64 v6, 0, 2, s[4:5]
	v_cndmask_b32_e32 v3, v1, v3, vcc
	v_add_lshl_u32 v6, v6, v2, 2
	ds_bpermute_b32 v6, v6, v3
	v_add_u32_e32 v7, 2, v4
	v_cmp_lt_u32_e64 s[4:5], v7, v5
	v_add_u32_e32 v7, 4, v4
	s_waitcnt lgkmcnt(0)
	v_add_f32_e32 v6, v3, v6
	v_cndmask_b32_e64 v3, v3, v6, s[4:5]
	v_cmp_gt_u32_e64 s[4:5], 60, v4
	s_nop 1
	v_cndmask_b32_e64 v6, 0, 4, s[4:5]
	v_add_lshl_u32 v6, v6, v2, 2
	ds_bpermute_b32 v6, v6, v3
	v_cmp_lt_u32_e64 s[4:5], v7, v5
	v_add_u32_e32 v7, 8, v4
	s_waitcnt lgkmcnt(0)
	v_add_f32_e32 v6, v3, v6
	v_cndmask_b32_e64 v3, v3, v6, s[4:5]
	v_cmp_gt_u32_e64 s[4:5], 56, v4
	s_nop 1
	v_cndmask_b32_e64 v6, 0, 8, s[4:5]
	v_add_lshl_u32 v6, v6, v2, 2
	ds_bpermute_b32 v6, v6, v3
	v_cmp_lt_u32_e64 s[4:5], v7, v5
	v_add_u32_e32 v7, 16, v4
	s_waitcnt lgkmcnt(0)
	v_add_f32_e32 v6, v3, v6
	v_cndmask_b32_e64 v3, v3, v6, s[4:5]
	v_cmp_gt_u32_e64 s[4:5], 48, v4
	v_add_u32_e32 v4, 32, v4
	s_nop 0
	v_cndmask_b32_e64 v6, 0, 16, s[4:5]
	v_add_lshl_u32 v6, v6, v2, 2
	ds_bpermute_b32 v6, v6, v3
	v_cmp_lt_u32_e64 s[4:5], v7, v5
	s_waitcnt lgkmcnt(0)
	v_add_f32_e32 v6, v3, v6
	v_cndmask_b32_e64 v6, v3, v6, s[4:5]
	v_lshlrev_b32_e32 v3, 2, v2
	v_or_b32_e32 v7, 0x80, v3
	ds_bpermute_b32 v7, v7, v6
	v_cmp_lt_u32_e64 s[4:5], v4, v5
	s_waitcnt lgkmcnt(0)
	v_add_f32_e32 v7, v6, v7
	v_cndmask_b32_e64 v4, v6, v7, s[4:5]
	v_cndmask_b32_e32 v1, v1, v4, vcc
	v_cmp_eq_u32_e32 vcc, 0, v2
	s_and_saveexec_b64 s[4:5], vcc
; %bb.190:
	v_lshrrev_b32_e32 v4, 4, v0
	v_and_b32_e32 v4, 12, v4
	ds_write_b32 v4, v1 offset:96
; %bb.191:
	s_or_b64 exec, exec, s[4:5]
	v_cmp_gt_u32_e32 vcc, 4, v0
	s_waitcnt lgkmcnt(0)
	s_barrier
	s_and_saveexec_b64 s[6:7], vcc
	s_cbranch_execz .LBB48_193
; %bb.192:
	ds_read_b32 v1, v3 offset:96
	v_and_b32_e32 v4, 3, v2
	v_cmp_ne_u32_e32 vcc, 3, v4
	s_add_i32 s8, s8, 63
	s_lshr_b32 s4, s8, 6
	v_addc_co_u32_e32 v2, vcc, 0, v2, vcc
	v_lshlrev_b32_e32 v2, 2, v2
	s_waitcnt lgkmcnt(0)
	ds_bpermute_b32 v2, v2, v1
	v_add_u32_e32 v5, 1, v4
	v_cmp_gt_u32_e32 vcc, s4, v5
	v_or_b32_e32 v3, 8, v3
	v_add_u32_e32 v4, 2, v4
	s_waitcnt lgkmcnt(0)
	v_add_f32_e32 v2, v1, v2
	v_cndmask_b32_e32 v2, v1, v2, vcc
	ds_bpermute_b32 v3, v3, v2
	v_cmp_gt_u32_e64 s[4:5], s4, v4
	s_waitcnt lgkmcnt(0)
	v_add_f32_e32 v3, v2, v3
	v_cndmask_b32_e64 v2, v2, v3, s[4:5]
	v_cndmask_b32_e32 v1, v1, v2, vcc
.LBB48_193:
	s_or_b64 exec, exec, s[6:7]
.LBB48_194:
	v_cmp_eq_u32_e64 s[4:5], 0, v0
	s_branch .LBB48_178
.LBB48_195:
	s_cmp_eq_u32 s33, 2
	s_cbranch_scc0 .LBB48_202
; %bb.196:
	s_mov_b32 s3, 0
	s_lshl_b32 s6, s2, 9
	s_mov_b32 s7, s3
	s_lshr_b64 s[8:9], s[70:71], 9
	s_lshl_b64 s[4:5], s[6:7], 2
	s_add_u32 s4, s68, s4
	s_addc_u32 s5, s69, s5
	s_cmp_lg_u64 s[8:9], s[2:3]
	s_cbranch_scc0 .LBB48_203
; %bb.197:
	v_lshlrev_b32_e32 v1, 2, v0
	global_load_dword v4, v1, s[4:5]
	global_load_dword v5, v1, s[4:5] offset:1024
	v_mbcnt_lo_u32_b32 v1, -1, 0
	v_mbcnt_hi_u32_b32 v2, -1, v1
	v_lshlrev_b32_e32 v3, 2, v2
	v_cmp_eq_u32_e32 vcc, 0, v2
	s_waitcnt vmcnt(0)
	v_add_f32_e32 v1, v4, v5
	s_nop 1
	v_add_f32_dpp v1, v1, v1 quad_perm:[1,0,3,2] row_mask:0xf bank_mask:0xf bound_ctrl:1
	v_or_b32_e32 v4, 0xfc, v3
	s_nop 0
	v_add_f32_dpp v1, v1, v1 quad_perm:[2,3,0,1] row_mask:0xf bank_mask:0xf bound_ctrl:1
	s_nop 1
	v_add_f32_dpp v1, v1, v1 row_ror:4 row_mask:0xf bank_mask:0xf bound_ctrl:1
	s_nop 1
	v_add_f32_dpp v1, v1, v1 row_ror:8 row_mask:0xf bank_mask:0xf bound_ctrl:1
	s_nop 1
	v_add_f32_dpp v1, v1, v1 row_bcast:15 row_mask:0xf bank_mask:0xf bound_ctrl:1
	s_nop 1
	v_add_f32_dpp v1, v1, v1 row_bcast:31 row_mask:0xf bank_mask:0xf bound_ctrl:1
	ds_bpermute_b32 v1, v4, v1
	s_and_saveexec_b64 s[8:9], vcc
	s_cbranch_execz .LBB48_199
; %bb.198:
	v_lshrrev_b32_e32 v4, 4, v0
	v_and_b32_e32 v4, 12, v4
	s_waitcnt lgkmcnt(0)
	ds_write_b32 v4, v1 offset:32
.LBB48_199:
	s_or_b64 exec, exec, s[8:9]
	v_cmp_gt_u32_e32 vcc, 64, v0
	s_waitcnt lgkmcnt(0)
	s_barrier
	s_and_saveexec_b64 s[8:9], vcc
	s_cbranch_execz .LBB48_201
; %bb.200:
	v_and_b32_e32 v1, 3, v2
	v_lshlrev_b32_e32 v4, 2, v1
	ds_read_b32 v4, v4 offset:32
	v_cmp_ne_u32_e32 vcc, 3, v1
	s_nop 1
	v_addc_co_u32_e32 v1, vcc, 0, v2, vcc
	v_lshlrev_b32_e32 v1, 2, v1
	s_waitcnt lgkmcnt(0)
	ds_bpermute_b32 v1, v1, v4
	v_or_b32_e32 v2, 8, v3
	s_waitcnt lgkmcnt(0)
	v_add_f32_e32 v1, v4, v1
	ds_bpermute_b32 v2, v2, v1
	s_waitcnt lgkmcnt(0)
	v_add_f32_e32 v1, v1, v2
.LBB48_201:
	s_or_b64 exec, exec, s[8:9]
	s_mov_b64 s[8:9], 0
	s_branch .LBB48_204
.LBB48_202:
                                        ; implicit-def: $vgpr1
	s_branch .LBB48_224
.LBB48_203:
	s_mov_b64 s[8:9], -1
                                        ; implicit-def: $vgpr1
.LBB48_204:
	s_and_b64 vcc, exec, s[8:9]
	s_cbranch_vccz .LBB48_214
; %bb.205:
	s_sub_i32 s8, s70, s6
	v_mov_b32_e32 v2, 0
	v_cmp_gt_u32_e32 vcc, s8, v0
	v_mov_b32_e32 v3, v2
	s_and_saveexec_b64 s[6:7], vcc
	s_cbranch_execz .LBB48_207
; %bb.206:
	v_lshlrev_b32_e32 v1, 2, v0
	global_load_dword v4, v1, s[4:5]
	v_mov_b32_e32 v5, v2
	s_waitcnt vmcnt(0)
	v_mov_b64_e32 v[2:3], v[4:5]
.LBB48_207:
	s_or_b64 exec, exec, s[6:7]
	v_or_b32_e32 v1, 0x100, v0
	v_cmp_gt_u32_e32 vcc, s8, v1
	s_and_saveexec_b64 s[6:7], vcc
	s_cbranch_execz .LBB48_209
; %bb.208:
	v_lshlrev_b32_e32 v1, 2, v0
	global_load_dword v3, v1, s[4:5] offset:1024
.LBB48_209:
	s_or_b64 exec, exec, s[6:7]
	s_waitcnt vmcnt(0)
	v_add_f32_e32 v1, v3, v2
	v_cndmask_b32_e32 v1, v2, v1, vcc
	v_mbcnt_lo_u32_b32 v2, -1, 0
	v_mbcnt_hi_u32_b32 v2, -1, v2
	v_and_b32_e32 v4, 63, v2
	v_cmp_ne_u32_e32 vcc, 63, v4
	s_min_u32 s8, s8, 0x100
	v_and_b32_e32 v5, 0xc0, v0
	v_addc_co_u32_e32 v3, vcc, 0, v2, vcc
	v_lshlrev_b32_e32 v3, 2, v3
	ds_bpermute_b32 v3, v3, v1
	v_sub_u32_e64 v5, s8, v5 clamp
	v_add_u32_e32 v6, 1, v4
	v_cmp_gt_u32_e64 s[4:5], 62, v4
	v_cmp_lt_u32_e32 vcc, v6, v5
	s_waitcnt lgkmcnt(0)
	v_add_f32_e32 v3, v1, v3
	v_cndmask_b32_e64 v6, 0, 2, s[4:5]
	v_cndmask_b32_e32 v3, v1, v3, vcc
	v_add_lshl_u32 v6, v6, v2, 2
	ds_bpermute_b32 v6, v6, v3
	v_add_u32_e32 v7, 2, v4
	v_cmp_lt_u32_e64 s[4:5], v7, v5
	v_add_u32_e32 v7, 4, v4
	s_waitcnt lgkmcnt(0)
	v_add_f32_e32 v6, v3, v6
	v_cndmask_b32_e64 v3, v3, v6, s[4:5]
	v_cmp_gt_u32_e64 s[4:5], 60, v4
	s_nop 1
	v_cndmask_b32_e64 v6, 0, 4, s[4:5]
	v_add_lshl_u32 v6, v6, v2, 2
	ds_bpermute_b32 v6, v6, v3
	v_cmp_lt_u32_e64 s[4:5], v7, v5
	v_add_u32_e32 v7, 8, v4
	s_waitcnt lgkmcnt(0)
	v_add_f32_e32 v6, v3, v6
	v_cndmask_b32_e64 v3, v3, v6, s[4:5]
	v_cmp_gt_u32_e64 s[4:5], 56, v4
	s_nop 1
	v_cndmask_b32_e64 v6, 0, 8, s[4:5]
	v_add_lshl_u32 v6, v6, v2, 2
	ds_bpermute_b32 v6, v6, v3
	v_cmp_lt_u32_e64 s[4:5], v7, v5
	v_add_u32_e32 v7, 16, v4
	s_waitcnt lgkmcnt(0)
	v_add_f32_e32 v6, v3, v6
	v_cndmask_b32_e64 v3, v3, v6, s[4:5]
	v_cmp_gt_u32_e64 s[4:5], 48, v4
	v_add_u32_e32 v4, 32, v4
	s_nop 0
	v_cndmask_b32_e64 v6, 0, 16, s[4:5]
	v_add_lshl_u32 v6, v6, v2, 2
	ds_bpermute_b32 v6, v6, v3
	v_cmp_lt_u32_e64 s[4:5], v7, v5
	s_waitcnt lgkmcnt(0)
	v_add_f32_e32 v6, v3, v6
	v_cndmask_b32_e64 v6, v3, v6, s[4:5]
	v_lshlrev_b32_e32 v3, 2, v2
	v_or_b32_e32 v7, 0x80, v3
	ds_bpermute_b32 v7, v7, v6
	v_cmp_lt_u32_e64 s[4:5], v4, v5
	s_waitcnt lgkmcnt(0)
	v_add_f32_e32 v7, v6, v7
	v_cndmask_b32_e64 v4, v6, v7, s[4:5]
	v_cndmask_b32_e32 v1, v1, v4, vcc
	v_cmp_eq_u32_e32 vcc, 0, v2
	s_and_saveexec_b64 s[4:5], vcc
; %bb.210:
	v_lshrrev_b32_e32 v4, 4, v0
	v_and_b32_e32 v4, 12, v4
	ds_write_b32 v4, v1 offset:96
; %bb.211:
	s_or_b64 exec, exec, s[4:5]
	v_cmp_gt_u32_e32 vcc, 4, v0
	s_waitcnt lgkmcnt(0)
	s_barrier
	s_and_saveexec_b64 s[6:7], vcc
	s_cbranch_execz .LBB48_213
; %bb.212:
	ds_read_b32 v1, v3 offset:96
	v_and_b32_e32 v4, 3, v2
	v_cmp_ne_u32_e32 vcc, 3, v4
	s_add_i32 s8, s8, 63
	s_lshr_b32 s4, s8, 6
	v_addc_co_u32_e32 v2, vcc, 0, v2, vcc
	v_lshlrev_b32_e32 v2, 2, v2
	s_waitcnt lgkmcnt(0)
	ds_bpermute_b32 v2, v2, v1
	v_add_u32_e32 v5, 1, v4
	v_cmp_gt_u32_e32 vcc, s4, v5
	v_or_b32_e32 v3, 8, v3
	v_add_u32_e32 v4, 2, v4
	s_waitcnt lgkmcnt(0)
	v_add_f32_e32 v2, v1, v2
	v_cndmask_b32_e32 v2, v1, v2, vcc
	ds_bpermute_b32 v3, v3, v2
	v_cmp_gt_u32_e64 s[4:5], s4, v4
	s_waitcnt lgkmcnt(0)
	v_add_f32_e32 v3, v2, v3
	v_cndmask_b32_e64 v2, v2, v3, s[4:5]
	v_cndmask_b32_e32 v1, v1, v2, vcc
.LBB48_213:
	s_or_b64 exec, exec, s[6:7]
.LBB48_214:
	v_cmp_eq_u32_e64 s[4:5], 0, v0
	s_branch .LBB48_224
.LBB48_215:
	s_cmp_eq_u32 s33, 1
	s_cbranch_scc0 .LBB48_223
; %bb.216:
	s_mov_b32 s5, 0
	s_lshl_b32 s4, s2, 8
	s_mov_b32 s3, s5
	s_lshr_b64 s[6:7], s[70:71], 8
	s_cmp_lg_u64 s[6:7], s[2:3]
	v_mbcnt_lo_u32_b32 v2, -1, 0
	s_cbranch_scc0 .LBB48_227
; %bb.217:
	s_lshl_b64 s[6:7], s[4:5], 2
	s_add_u32 s6, s68, s6
	s_addc_u32 s7, s69, s7
	v_lshlrev_b32_e32 v1, 2, v0
	global_load_dword v1, v1, s[6:7]
	v_mbcnt_hi_u32_b32 v3, -1, v2
	v_lshlrev_b32_e32 v4, 2, v3
	v_or_b32_e32 v5, 0xfc, v4
	v_cmp_eq_u32_e32 vcc, 0, v3
	s_waitcnt vmcnt(0)
	v_add_f32_dpp v1, v1, v1 quad_perm:[1,0,3,2] row_mask:0xf bank_mask:0xf bound_ctrl:1
	s_nop 1
	v_add_f32_dpp v1, v1, v1 quad_perm:[2,3,0,1] row_mask:0xf bank_mask:0xf bound_ctrl:1
	s_nop 1
	v_add_f32_dpp v1, v1, v1 row_ror:4 row_mask:0xf bank_mask:0xf bound_ctrl:1
	s_nop 1
	v_add_f32_dpp v1, v1, v1 row_ror:8 row_mask:0xf bank_mask:0xf bound_ctrl:1
	s_nop 1
	v_add_f32_dpp v1, v1, v1 row_bcast:15 row_mask:0xf bank_mask:0xf bound_ctrl:1
	s_nop 1
	v_add_f32_dpp v1, v1, v1 row_bcast:31 row_mask:0xf bank_mask:0xf bound_ctrl:1
	ds_bpermute_b32 v1, v5, v1
	s_and_saveexec_b64 s[6:7], vcc
	s_cbranch_execz .LBB48_219
; %bb.218:
	v_lshrrev_b32_e32 v5, 4, v0
	v_and_b32_e32 v5, 12, v5
	s_waitcnt lgkmcnt(0)
	ds_write_b32 v5, v1 offset:16
.LBB48_219:
	s_or_b64 exec, exec, s[6:7]
	v_cmp_gt_u32_e32 vcc, 64, v0
	s_waitcnt lgkmcnt(0)
	s_barrier
	s_and_saveexec_b64 s[6:7], vcc
	s_cbranch_execz .LBB48_221
; %bb.220:
	v_and_b32_e32 v1, 3, v3
	v_lshlrev_b32_e32 v5, 2, v1
	ds_read_b32 v5, v5 offset:16
	v_cmp_ne_u32_e32 vcc, 3, v1
	s_nop 1
	v_addc_co_u32_e32 v1, vcc, 0, v3, vcc
	v_lshlrev_b32_e32 v1, 2, v1
	s_waitcnt lgkmcnt(0)
	ds_bpermute_b32 v1, v1, v5
	v_or_b32_e32 v3, 8, v4
	s_waitcnt lgkmcnt(0)
	v_add_f32_e32 v1, v5, v1
	ds_bpermute_b32 v3, v3, v1
	s_waitcnt lgkmcnt(0)
	v_add_f32_e32 v1, v1, v3
.LBB48_221:
	s_or_b64 exec, exec, s[6:7]
.LBB48_222:
	v_cmp_eq_u32_e64 s[4:5], 0, v0
	s_and_saveexec_b64 s[6:7], s[4:5]
	s_cbranch_execnz .LBB48_225
	s_branch .LBB48_226
.LBB48_223:
                                        ; implicit-def: $vgpr1
                                        ; implicit-def: $sgpr2_sgpr3
.LBB48_224:
	s_and_saveexec_b64 s[6:7], s[4:5]
	s_cbranch_execz .LBB48_226
.LBB48_225:
	s_load_dwordx2 s[4:5], s[0:1], 0x18
	s_load_dword s6, s[0:1], 0x20
	s_lshl_b64 s[0:1], s[2:3], 2
	v_mov_b32_e32 v0, 0
	s_waitcnt lgkmcnt(0)
	s_add_u32 s0, s4, s0
	s_addc_u32 s1, s5, s1
	s_cmp_eq_u64 s[70:71], 0
	v_add_f32_e32 v1, s6, v1
	v_mov_b32_e32 v2, s6
	s_cselect_b64 vcc, -1, 0
	v_cndmask_b32_e32 v1, v1, v2, vcc
	global_store_dword v0, v1, s[0:1]
.LBB48_226:
	s_endpgm
.LBB48_227:
                                        ; implicit-def: $vgpr1
	s_cbranch_execz .LBB48_222
; %bb.228:
	s_sub_i32 s8, s70, s4
	v_cmp_gt_u32_e32 vcc, s8, v0
                                        ; implicit-def: $vgpr1
	s_and_saveexec_b64 s[6:7], vcc
	s_cbranch_execz .LBB48_230
; %bb.229:
	s_lshl_b64 s[4:5], s[4:5], 2
	s_add_u32 s4, s68, s4
	s_addc_u32 s5, s69, s5
	v_lshlrev_b32_e32 v1, 2, v0
	global_load_dword v1, v1, s[4:5]
.LBB48_230:
	s_or_b64 exec, exec, s[6:7]
	v_mbcnt_hi_u32_b32 v2, -1, v2
	v_and_b32_e32 v4, 63, v2
	v_cmp_ne_u32_e32 vcc, 63, v4
	s_min_u32 s8, s8, 0x100
	v_and_b32_e32 v5, 0xc0, v0
	v_addc_co_u32_e32 v3, vcc, 0, v2, vcc
	v_lshlrev_b32_e32 v3, 2, v3
	s_waitcnt vmcnt(0)
	ds_bpermute_b32 v3, v3, v1
	v_sub_u32_e64 v5, s8, v5 clamp
	v_add_u32_e32 v6, 1, v4
	v_cmp_gt_u32_e64 s[4:5], 62, v4
	v_cmp_lt_u32_e32 vcc, v6, v5
	s_waitcnt lgkmcnt(0)
	v_add_f32_e32 v3, v1, v3
	v_cndmask_b32_e64 v6, 0, 2, s[4:5]
	v_cndmask_b32_e32 v3, v1, v3, vcc
	v_add_lshl_u32 v6, v6, v2, 2
	ds_bpermute_b32 v6, v6, v3
	v_add_u32_e32 v7, 2, v4
	v_cmp_lt_u32_e64 s[4:5], v7, v5
	v_add_u32_e32 v7, 4, v4
	s_waitcnt lgkmcnt(0)
	v_add_f32_e32 v6, v3, v6
	v_cndmask_b32_e64 v3, v3, v6, s[4:5]
	v_cmp_gt_u32_e64 s[4:5], 60, v4
	s_nop 1
	v_cndmask_b32_e64 v6, 0, 4, s[4:5]
	v_add_lshl_u32 v6, v6, v2, 2
	ds_bpermute_b32 v6, v6, v3
	v_cmp_lt_u32_e64 s[4:5], v7, v5
	v_add_u32_e32 v7, 8, v4
	s_waitcnt lgkmcnt(0)
	v_add_f32_e32 v6, v3, v6
	v_cndmask_b32_e64 v3, v3, v6, s[4:5]
	v_cmp_gt_u32_e64 s[4:5], 56, v4
	s_nop 1
	v_cndmask_b32_e64 v6, 0, 8, s[4:5]
	v_add_lshl_u32 v6, v6, v2, 2
	ds_bpermute_b32 v6, v6, v3
	v_cmp_lt_u32_e64 s[4:5], v7, v5
	v_add_u32_e32 v7, 16, v4
	s_waitcnt lgkmcnt(0)
	v_add_f32_e32 v6, v3, v6
	v_cndmask_b32_e64 v3, v3, v6, s[4:5]
	v_cmp_gt_u32_e64 s[4:5], 48, v4
	v_add_u32_e32 v4, 32, v4
	s_nop 0
	v_cndmask_b32_e64 v6, 0, 16, s[4:5]
	v_add_lshl_u32 v6, v6, v2, 2
	ds_bpermute_b32 v6, v6, v3
	v_cmp_lt_u32_e64 s[4:5], v7, v5
	s_waitcnt lgkmcnt(0)
	v_add_f32_e32 v6, v3, v6
	v_cndmask_b32_e64 v6, v3, v6, s[4:5]
	v_lshlrev_b32_e32 v3, 2, v2
	v_or_b32_e32 v7, 0x80, v3
	ds_bpermute_b32 v7, v7, v6
	v_cmp_lt_u32_e64 s[4:5], v4, v5
	s_waitcnt lgkmcnt(0)
	v_add_f32_e32 v7, v6, v7
	v_cndmask_b32_e64 v4, v6, v7, s[4:5]
	v_cndmask_b32_e32 v1, v1, v4, vcc
	v_cmp_eq_u32_e32 vcc, 0, v2
	s_and_saveexec_b64 s[4:5], vcc
; %bb.231:
	v_lshrrev_b32_e32 v4, 4, v0
	v_and_b32_e32 v4, 12, v4
	ds_write_b32 v4, v1 offset:96
; %bb.232:
	s_or_b64 exec, exec, s[4:5]
	v_cmp_gt_u32_e32 vcc, 4, v0
	s_waitcnt lgkmcnt(0)
	s_barrier
	s_and_saveexec_b64 s[6:7], vcc
	s_cbranch_execz .LBB48_234
; %bb.233:
	ds_read_b32 v1, v3 offset:96
	v_and_b32_e32 v4, 3, v2
	v_cmp_ne_u32_e32 vcc, 3, v4
	s_add_i32 s8, s8, 63
	s_lshr_b32 s4, s8, 6
	v_addc_co_u32_e32 v2, vcc, 0, v2, vcc
	v_lshlrev_b32_e32 v2, 2, v2
	s_waitcnt lgkmcnt(0)
	ds_bpermute_b32 v2, v2, v1
	v_add_u32_e32 v5, 1, v4
	v_cmp_gt_u32_e32 vcc, s4, v5
	v_or_b32_e32 v3, 8, v3
	v_add_u32_e32 v4, 2, v4
	s_waitcnt lgkmcnt(0)
	v_add_f32_e32 v2, v1, v2
	v_cndmask_b32_e32 v2, v1, v2, vcc
	ds_bpermute_b32 v3, v3, v2
	v_cmp_gt_u32_e64 s[4:5], s4, v4
	s_waitcnt lgkmcnt(0)
	v_add_f32_e32 v3, v2, v3
	v_cndmask_b32_e64 v2, v2, v3, s[4:5]
	v_cndmask_b32_e32 v1, v1, v2, vcc
.LBB48_234:
	s_or_b64 exec, exec, s[6:7]
	v_cmp_eq_u32_e64 s[4:5], 0, v0
	s_and_saveexec_b64 s[6:7], s[4:5]
	s_cbranch_execnz .LBB48_225
	s_branch .LBB48_226
	.section	.rodata,"a",@progbits
	.p2align	6, 0x0
	.amdhsa_kernel _ZN7rocprim17ROCPRIM_400000_NS6detail17trampoline_kernelINS0_14default_configENS1_22reduce_config_selectorIfEEZNS1_11reduce_implILb1ES3_PfS7_fN6thrust23THRUST_200600_302600_NS4plusIfEEEE10hipError_tPvRmT1_T2_T3_mT4_P12ihipStream_tbEUlT_E1_NS1_11comp_targetILNS1_3genE0ELNS1_11target_archE4294967295ELNS1_3gpuE0ELNS1_3repE0EEENS1_30default_config_static_selectorELNS0_4arch9wavefront6targetE1EEEvSF_
		.amdhsa_group_segment_fixed_size 112
		.amdhsa_private_segment_fixed_size 0
		.amdhsa_kernarg_size 40
		.amdhsa_user_sgpr_count 2
		.amdhsa_user_sgpr_dispatch_ptr 0
		.amdhsa_user_sgpr_queue_ptr 0
		.amdhsa_user_sgpr_kernarg_segment_ptr 1
		.amdhsa_user_sgpr_dispatch_id 0
		.amdhsa_user_sgpr_kernarg_preload_length 0
		.amdhsa_user_sgpr_kernarg_preload_offset 0
		.amdhsa_user_sgpr_private_segment_size 0
		.amdhsa_uses_dynamic_stack 0
		.amdhsa_enable_private_segment 0
		.amdhsa_system_sgpr_workgroup_id_x 1
		.amdhsa_system_sgpr_workgroup_id_y 0
		.amdhsa_system_sgpr_workgroup_id_z 0
		.amdhsa_system_sgpr_workgroup_info 0
		.amdhsa_system_vgpr_workitem_id 0
		.amdhsa_next_free_vgpr 36
		.amdhsa_next_free_sgpr 77
		.amdhsa_accum_offset 36
		.amdhsa_reserve_vcc 1
		.amdhsa_float_round_mode_32 0
		.amdhsa_float_round_mode_16_64 0
		.amdhsa_float_denorm_mode_32 3
		.amdhsa_float_denorm_mode_16_64 3
		.amdhsa_dx10_clamp 1
		.amdhsa_ieee_mode 1
		.amdhsa_fp16_overflow 0
		.amdhsa_tg_split 0
		.amdhsa_exception_fp_ieee_invalid_op 0
		.amdhsa_exception_fp_denorm_src 0
		.amdhsa_exception_fp_ieee_div_zero 0
		.amdhsa_exception_fp_ieee_overflow 0
		.amdhsa_exception_fp_ieee_underflow 0
		.amdhsa_exception_fp_ieee_inexact 0
		.amdhsa_exception_int_div_zero 0
	.end_amdhsa_kernel
	.section	.text._ZN7rocprim17ROCPRIM_400000_NS6detail17trampoline_kernelINS0_14default_configENS1_22reduce_config_selectorIfEEZNS1_11reduce_implILb1ES3_PfS7_fN6thrust23THRUST_200600_302600_NS4plusIfEEEE10hipError_tPvRmT1_T2_T3_mT4_P12ihipStream_tbEUlT_E1_NS1_11comp_targetILNS1_3genE0ELNS1_11target_archE4294967295ELNS1_3gpuE0ELNS1_3repE0EEENS1_30default_config_static_selectorELNS0_4arch9wavefront6targetE1EEEvSF_,"axG",@progbits,_ZN7rocprim17ROCPRIM_400000_NS6detail17trampoline_kernelINS0_14default_configENS1_22reduce_config_selectorIfEEZNS1_11reduce_implILb1ES3_PfS7_fN6thrust23THRUST_200600_302600_NS4plusIfEEEE10hipError_tPvRmT1_T2_T3_mT4_P12ihipStream_tbEUlT_E1_NS1_11comp_targetILNS1_3genE0ELNS1_11target_archE4294967295ELNS1_3gpuE0ELNS1_3repE0EEENS1_30default_config_static_selectorELNS0_4arch9wavefront6targetE1EEEvSF_,comdat
.Lfunc_end48:
	.size	_ZN7rocprim17ROCPRIM_400000_NS6detail17trampoline_kernelINS0_14default_configENS1_22reduce_config_selectorIfEEZNS1_11reduce_implILb1ES3_PfS7_fN6thrust23THRUST_200600_302600_NS4plusIfEEEE10hipError_tPvRmT1_T2_T3_mT4_P12ihipStream_tbEUlT_E1_NS1_11comp_targetILNS1_3genE0ELNS1_11target_archE4294967295ELNS1_3gpuE0ELNS1_3repE0EEENS1_30default_config_static_selectorELNS0_4arch9wavefront6targetE1EEEvSF_, .Lfunc_end48-_ZN7rocprim17ROCPRIM_400000_NS6detail17trampoline_kernelINS0_14default_configENS1_22reduce_config_selectorIfEEZNS1_11reduce_implILb1ES3_PfS7_fN6thrust23THRUST_200600_302600_NS4plusIfEEEE10hipError_tPvRmT1_T2_T3_mT4_P12ihipStream_tbEUlT_E1_NS1_11comp_targetILNS1_3genE0ELNS1_11target_archE4294967295ELNS1_3gpuE0ELNS1_3repE0EEENS1_30default_config_static_selectorELNS0_4arch9wavefront6targetE1EEEvSF_
                                        ; -- End function
	.set _ZN7rocprim17ROCPRIM_400000_NS6detail17trampoline_kernelINS0_14default_configENS1_22reduce_config_selectorIfEEZNS1_11reduce_implILb1ES3_PfS7_fN6thrust23THRUST_200600_302600_NS4plusIfEEEE10hipError_tPvRmT1_T2_T3_mT4_P12ihipStream_tbEUlT_E1_NS1_11comp_targetILNS1_3genE0ELNS1_11target_archE4294967295ELNS1_3gpuE0ELNS1_3repE0EEENS1_30default_config_static_selectorELNS0_4arch9wavefront6targetE1EEEvSF_.num_vgpr, 36
	.set _ZN7rocprim17ROCPRIM_400000_NS6detail17trampoline_kernelINS0_14default_configENS1_22reduce_config_selectorIfEEZNS1_11reduce_implILb1ES3_PfS7_fN6thrust23THRUST_200600_302600_NS4plusIfEEEE10hipError_tPvRmT1_T2_T3_mT4_P12ihipStream_tbEUlT_E1_NS1_11comp_targetILNS1_3genE0ELNS1_11target_archE4294967295ELNS1_3gpuE0ELNS1_3repE0EEENS1_30default_config_static_selectorELNS0_4arch9wavefront6targetE1EEEvSF_.num_agpr, 0
	.set _ZN7rocprim17ROCPRIM_400000_NS6detail17trampoline_kernelINS0_14default_configENS1_22reduce_config_selectorIfEEZNS1_11reduce_implILb1ES3_PfS7_fN6thrust23THRUST_200600_302600_NS4plusIfEEEE10hipError_tPvRmT1_T2_T3_mT4_P12ihipStream_tbEUlT_E1_NS1_11comp_targetILNS1_3genE0ELNS1_11target_archE4294967295ELNS1_3gpuE0ELNS1_3repE0EEENS1_30default_config_static_selectorELNS0_4arch9wavefront6targetE1EEEvSF_.numbered_sgpr, 77
	.set _ZN7rocprim17ROCPRIM_400000_NS6detail17trampoline_kernelINS0_14default_configENS1_22reduce_config_selectorIfEEZNS1_11reduce_implILb1ES3_PfS7_fN6thrust23THRUST_200600_302600_NS4plusIfEEEE10hipError_tPvRmT1_T2_T3_mT4_P12ihipStream_tbEUlT_E1_NS1_11comp_targetILNS1_3genE0ELNS1_11target_archE4294967295ELNS1_3gpuE0ELNS1_3repE0EEENS1_30default_config_static_selectorELNS0_4arch9wavefront6targetE1EEEvSF_.num_named_barrier, 0
	.set _ZN7rocprim17ROCPRIM_400000_NS6detail17trampoline_kernelINS0_14default_configENS1_22reduce_config_selectorIfEEZNS1_11reduce_implILb1ES3_PfS7_fN6thrust23THRUST_200600_302600_NS4plusIfEEEE10hipError_tPvRmT1_T2_T3_mT4_P12ihipStream_tbEUlT_E1_NS1_11comp_targetILNS1_3genE0ELNS1_11target_archE4294967295ELNS1_3gpuE0ELNS1_3repE0EEENS1_30default_config_static_selectorELNS0_4arch9wavefront6targetE1EEEvSF_.private_seg_size, 0
	.set _ZN7rocprim17ROCPRIM_400000_NS6detail17trampoline_kernelINS0_14default_configENS1_22reduce_config_selectorIfEEZNS1_11reduce_implILb1ES3_PfS7_fN6thrust23THRUST_200600_302600_NS4plusIfEEEE10hipError_tPvRmT1_T2_T3_mT4_P12ihipStream_tbEUlT_E1_NS1_11comp_targetILNS1_3genE0ELNS1_11target_archE4294967295ELNS1_3gpuE0ELNS1_3repE0EEENS1_30default_config_static_selectorELNS0_4arch9wavefront6targetE1EEEvSF_.uses_vcc, 1
	.set _ZN7rocprim17ROCPRIM_400000_NS6detail17trampoline_kernelINS0_14default_configENS1_22reduce_config_selectorIfEEZNS1_11reduce_implILb1ES3_PfS7_fN6thrust23THRUST_200600_302600_NS4plusIfEEEE10hipError_tPvRmT1_T2_T3_mT4_P12ihipStream_tbEUlT_E1_NS1_11comp_targetILNS1_3genE0ELNS1_11target_archE4294967295ELNS1_3gpuE0ELNS1_3repE0EEENS1_30default_config_static_selectorELNS0_4arch9wavefront6targetE1EEEvSF_.uses_flat_scratch, 0
	.set _ZN7rocprim17ROCPRIM_400000_NS6detail17trampoline_kernelINS0_14default_configENS1_22reduce_config_selectorIfEEZNS1_11reduce_implILb1ES3_PfS7_fN6thrust23THRUST_200600_302600_NS4plusIfEEEE10hipError_tPvRmT1_T2_T3_mT4_P12ihipStream_tbEUlT_E1_NS1_11comp_targetILNS1_3genE0ELNS1_11target_archE4294967295ELNS1_3gpuE0ELNS1_3repE0EEENS1_30default_config_static_selectorELNS0_4arch9wavefront6targetE1EEEvSF_.has_dyn_sized_stack, 0
	.set _ZN7rocprim17ROCPRIM_400000_NS6detail17trampoline_kernelINS0_14default_configENS1_22reduce_config_selectorIfEEZNS1_11reduce_implILb1ES3_PfS7_fN6thrust23THRUST_200600_302600_NS4plusIfEEEE10hipError_tPvRmT1_T2_T3_mT4_P12ihipStream_tbEUlT_E1_NS1_11comp_targetILNS1_3genE0ELNS1_11target_archE4294967295ELNS1_3gpuE0ELNS1_3repE0EEENS1_30default_config_static_selectorELNS0_4arch9wavefront6targetE1EEEvSF_.has_recursion, 0
	.set _ZN7rocprim17ROCPRIM_400000_NS6detail17trampoline_kernelINS0_14default_configENS1_22reduce_config_selectorIfEEZNS1_11reduce_implILb1ES3_PfS7_fN6thrust23THRUST_200600_302600_NS4plusIfEEEE10hipError_tPvRmT1_T2_T3_mT4_P12ihipStream_tbEUlT_E1_NS1_11comp_targetILNS1_3genE0ELNS1_11target_archE4294967295ELNS1_3gpuE0ELNS1_3repE0EEENS1_30default_config_static_selectorELNS0_4arch9wavefront6targetE1EEEvSF_.has_indirect_call, 0
	.section	.AMDGPU.csdata,"",@progbits
; Kernel info:
; codeLenInByte = 10328
; TotalNumSgprs: 83
; NumVgprs: 36
; NumAgprs: 0
; TotalNumVgprs: 36
; ScratchSize: 0
; MemoryBound: 0
; FloatMode: 240
; IeeeMode: 1
; LDSByteSize: 112 bytes/workgroup (compile time only)
; SGPRBlocks: 10
; VGPRBlocks: 4
; NumSGPRsForWavesPerEU: 83
; NumVGPRsForWavesPerEU: 36
; AccumOffset: 36
; Occupancy: 8
; WaveLimiterHint : 1
; COMPUTE_PGM_RSRC2:SCRATCH_EN: 0
; COMPUTE_PGM_RSRC2:USER_SGPR: 2
; COMPUTE_PGM_RSRC2:TRAP_HANDLER: 0
; COMPUTE_PGM_RSRC2:TGID_X_EN: 1
; COMPUTE_PGM_RSRC2:TGID_Y_EN: 0
; COMPUTE_PGM_RSRC2:TGID_Z_EN: 0
; COMPUTE_PGM_RSRC2:TIDIG_COMP_CNT: 0
; COMPUTE_PGM_RSRC3_GFX90A:ACCUM_OFFSET: 8
; COMPUTE_PGM_RSRC3_GFX90A:TG_SPLIT: 0
	.section	.text._ZN7rocprim17ROCPRIM_400000_NS6detail17trampoline_kernelINS0_14default_configENS1_22reduce_config_selectorIfEEZNS1_11reduce_implILb1ES3_PfS7_fN6thrust23THRUST_200600_302600_NS4plusIfEEEE10hipError_tPvRmT1_T2_T3_mT4_P12ihipStream_tbEUlT_E1_NS1_11comp_targetILNS1_3genE5ELNS1_11target_archE942ELNS1_3gpuE9ELNS1_3repE0EEENS1_30default_config_static_selectorELNS0_4arch9wavefront6targetE1EEEvSF_,"axG",@progbits,_ZN7rocprim17ROCPRIM_400000_NS6detail17trampoline_kernelINS0_14default_configENS1_22reduce_config_selectorIfEEZNS1_11reduce_implILb1ES3_PfS7_fN6thrust23THRUST_200600_302600_NS4plusIfEEEE10hipError_tPvRmT1_T2_T3_mT4_P12ihipStream_tbEUlT_E1_NS1_11comp_targetILNS1_3genE5ELNS1_11target_archE942ELNS1_3gpuE9ELNS1_3repE0EEENS1_30default_config_static_selectorELNS0_4arch9wavefront6targetE1EEEvSF_,comdat
	.protected	_ZN7rocprim17ROCPRIM_400000_NS6detail17trampoline_kernelINS0_14default_configENS1_22reduce_config_selectorIfEEZNS1_11reduce_implILb1ES3_PfS7_fN6thrust23THRUST_200600_302600_NS4plusIfEEEE10hipError_tPvRmT1_T2_T3_mT4_P12ihipStream_tbEUlT_E1_NS1_11comp_targetILNS1_3genE5ELNS1_11target_archE942ELNS1_3gpuE9ELNS1_3repE0EEENS1_30default_config_static_selectorELNS0_4arch9wavefront6targetE1EEEvSF_ ; -- Begin function _ZN7rocprim17ROCPRIM_400000_NS6detail17trampoline_kernelINS0_14default_configENS1_22reduce_config_selectorIfEEZNS1_11reduce_implILb1ES3_PfS7_fN6thrust23THRUST_200600_302600_NS4plusIfEEEE10hipError_tPvRmT1_T2_T3_mT4_P12ihipStream_tbEUlT_E1_NS1_11comp_targetILNS1_3genE5ELNS1_11target_archE942ELNS1_3gpuE9ELNS1_3repE0EEENS1_30default_config_static_selectorELNS0_4arch9wavefront6targetE1EEEvSF_
	.globl	_ZN7rocprim17ROCPRIM_400000_NS6detail17trampoline_kernelINS0_14default_configENS1_22reduce_config_selectorIfEEZNS1_11reduce_implILb1ES3_PfS7_fN6thrust23THRUST_200600_302600_NS4plusIfEEEE10hipError_tPvRmT1_T2_T3_mT4_P12ihipStream_tbEUlT_E1_NS1_11comp_targetILNS1_3genE5ELNS1_11target_archE942ELNS1_3gpuE9ELNS1_3repE0EEENS1_30default_config_static_selectorELNS0_4arch9wavefront6targetE1EEEvSF_
	.p2align	8
	.type	_ZN7rocprim17ROCPRIM_400000_NS6detail17trampoline_kernelINS0_14default_configENS1_22reduce_config_selectorIfEEZNS1_11reduce_implILb1ES3_PfS7_fN6thrust23THRUST_200600_302600_NS4plusIfEEEE10hipError_tPvRmT1_T2_T3_mT4_P12ihipStream_tbEUlT_E1_NS1_11comp_targetILNS1_3genE5ELNS1_11target_archE942ELNS1_3gpuE9ELNS1_3repE0EEENS1_30default_config_static_selectorELNS0_4arch9wavefront6targetE1EEEvSF_,@function
_ZN7rocprim17ROCPRIM_400000_NS6detail17trampoline_kernelINS0_14default_configENS1_22reduce_config_selectorIfEEZNS1_11reduce_implILb1ES3_PfS7_fN6thrust23THRUST_200600_302600_NS4plusIfEEEE10hipError_tPvRmT1_T2_T3_mT4_P12ihipStream_tbEUlT_E1_NS1_11comp_targetILNS1_3genE5ELNS1_11target_archE942ELNS1_3gpuE9ELNS1_3repE0EEENS1_30default_config_static_selectorELNS0_4arch9wavefront6targetE1EEEvSF_: ; @_ZN7rocprim17ROCPRIM_400000_NS6detail17trampoline_kernelINS0_14default_configENS1_22reduce_config_selectorIfEEZNS1_11reduce_implILb1ES3_PfS7_fN6thrust23THRUST_200600_302600_NS4plusIfEEEE10hipError_tPvRmT1_T2_T3_mT4_P12ihipStream_tbEUlT_E1_NS1_11comp_targetILNS1_3genE5ELNS1_11target_archE942ELNS1_3gpuE9ELNS1_3repE0EEENS1_30default_config_static_selectorELNS0_4arch9wavefront6targetE1EEEvSF_
; %bb.0:
	.section	.rodata,"a",@progbits
	.p2align	6, 0x0
	.amdhsa_kernel _ZN7rocprim17ROCPRIM_400000_NS6detail17trampoline_kernelINS0_14default_configENS1_22reduce_config_selectorIfEEZNS1_11reduce_implILb1ES3_PfS7_fN6thrust23THRUST_200600_302600_NS4plusIfEEEE10hipError_tPvRmT1_T2_T3_mT4_P12ihipStream_tbEUlT_E1_NS1_11comp_targetILNS1_3genE5ELNS1_11target_archE942ELNS1_3gpuE9ELNS1_3repE0EEENS1_30default_config_static_selectorELNS0_4arch9wavefront6targetE1EEEvSF_
		.amdhsa_group_segment_fixed_size 0
		.amdhsa_private_segment_fixed_size 0
		.amdhsa_kernarg_size 40
		.amdhsa_user_sgpr_count 2
		.amdhsa_user_sgpr_dispatch_ptr 0
		.amdhsa_user_sgpr_queue_ptr 0
		.amdhsa_user_sgpr_kernarg_segment_ptr 1
		.amdhsa_user_sgpr_dispatch_id 0
		.amdhsa_user_sgpr_kernarg_preload_length 0
		.amdhsa_user_sgpr_kernarg_preload_offset 0
		.amdhsa_user_sgpr_private_segment_size 0
		.amdhsa_uses_dynamic_stack 0
		.amdhsa_enable_private_segment 0
		.amdhsa_system_sgpr_workgroup_id_x 1
		.amdhsa_system_sgpr_workgroup_id_y 0
		.amdhsa_system_sgpr_workgroup_id_z 0
		.amdhsa_system_sgpr_workgroup_info 0
		.amdhsa_system_vgpr_workitem_id 0
		.amdhsa_next_free_vgpr 1
		.amdhsa_next_free_sgpr 0
		.amdhsa_accum_offset 4
		.amdhsa_reserve_vcc 0
		.amdhsa_float_round_mode_32 0
		.amdhsa_float_round_mode_16_64 0
		.amdhsa_float_denorm_mode_32 3
		.amdhsa_float_denorm_mode_16_64 3
		.amdhsa_dx10_clamp 1
		.amdhsa_ieee_mode 1
		.amdhsa_fp16_overflow 0
		.amdhsa_tg_split 0
		.amdhsa_exception_fp_ieee_invalid_op 0
		.amdhsa_exception_fp_denorm_src 0
		.amdhsa_exception_fp_ieee_div_zero 0
		.amdhsa_exception_fp_ieee_overflow 0
		.amdhsa_exception_fp_ieee_underflow 0
		.amdhsa_exception_fp_ieee_inexact 0
		.amdhsa_exception_int_div_zero 0
	.end_amdhsa_kernel
	.section	.text._ZN7rocprim17ROCPRIM_400000_NS6detail17trampoline_kernelINS0_14default_configENS1_22reduce_config_selectorIfEEZNS1_11reduce_implILb1ES3_PfS7_fN6thrust23THRUST_200600_302600_NS4plusIfEEEE10hipError_tPvRmT1_T2_T3_mT4_P12ihipStream_tbEUlT_E1_NS1_11comp_targetILNS1_3genE5ELNS1_11target_archE942ELNS1_3gpuE9ELNS1_3repE0EEENS1_30default_config_static_selectorELNS0_4arch9wavefront6targetE1EEEvSF_,"axG",@progbits,_ZN7rocprim17ROCPRIM_400000_NS6detail17trampoline_kernelINS0_14default_configENS1_22reduce_config_selectorIfEEZNS1_11reduce_implILb1ES3_PfS7_fN6thrust23THRUST_200600_302600_NS4plusIfEEEE10hipError_tPvRmT1_T2_T3_mT4_P12ihipStream_tbEUlT_E1_NS1_11comp_targetILNS1_3genE5ELNS1_11target_archE942ELNS1_3gpuE9ELNS1_3repE0EEENS1_30default_config_static_selectorELNS0_4arch9wavefront6targetE1EEEvSF_,comdat
.Lfunc_end49:
	.size	_ZN7rocprim17ROCPRIM_400000_NS6detail17trampoline_kernelINS0_14default_configENS1_22reduce_config_selectorIfEEZNS1_11reduce_implILb1ES3_PfS7_fN6thrust23THRUST_200600_302600_NS4plusIfEEEE10hipError_tPvRmT1_T2_T3_mT4_P12ihipStream_tbEUlT_E1_NS1_11comp_targetILNS1_3genE5ELNS1_11target_archE942ELNS1_3gpuE9ELNS1_3repE0EEENS1_30default_config_static_selectorELNS0_4arch9wavefront6targetE1EEEvSF_, .Lfunc_end49-_ZN7rocprim17ROCPRIM_400000_NS6detail17trampoline_kernelINS0_14default_configENS1_22reduce_config_selectorIfEEZNS1_11reduce_implILb1ES3_PfS7_fN6thrust23THRUST_200600_302600_NS4plusIfEEEE10hipError_tPvRmT1_T2_T3_mT4_P12ihipStream_tbEUlT_E1_NS1_11comp_targetILNS1_3genE5ELNS1_11target_archE942ELNS1_3gpuE9ELNS1_3repE0EEENS1_30default_config_static_selectorELNS0_4arch9wavefront6targetE1EEEvSF_
                                        ; -- End function
	.set _ZN7rocprim17ROCPRIM_400000_NS6detail17trampoline_kernelINS0_14default_configENS1_22reduce_config_selectorIfEEZNS1_11reduce_implILb1ES3_PfS7_fN6thrust23THRUST_200600_302600_NS4plusIfEEEE10hipError_tPvRmT1_T2_T3_mT4_P12ihipStream_tbEUlT_E1_NS1_11comp_targetILNS1_3genE5ELNS1_11target_archE942ELNS1_3gpuE9ELNS1_3repE0EEENS1_30default_config_static_selectorELNS0_4arch9wavefront6targetE1EEEvSF_.num_vgpr, 0
	.set _ZN7rocprim17ROCPRIM_400000_NS6detail17trampoline_kernelINS0_14default_configENS1_22reduce_config_selectorIfEEZNS1_11reduce_implILb1ES3_PfS7_fN6thrust23THRUST_200600_302600_NS4plusIfEEEE10hipError_tPvRmT1_T2_T3_mT4_P12ihipStream_tbEUlT_E1_NS1_11comp_targetILNS1_3genE5ELNS1_11target_archE942ELNS1_3gpuE9ELNS1_3repE0EEENS1_30default_config_static_selectorELNS0_4arch9wavefront6targetE1EEEvSF_.num_agpr, 0
	.set _ZN7rocprim17ROCPRIM_400000_NS6detail17trampoline_kernelINS0_14default_configENS1_22reduce_config_selectorIfEEZNS1_11reduce_implILb1ES3_PfS7_fN6thrust23THRUST_200600_302600_NS4plusIfEEEE10hipError_tPvRmT1_T2_T3_mT4_P12ihipStream_tbEUlT_E1_NS1_11comp_targetILNS1_3genE5ELNS1_11target_archE942ELNS1_3gpuE9ELNS1_3repE0EEENS1_30default_config_static_selectorELNS0_4arch9wavefront6targetE1EEEvSF_.numbered_sgpr, 0
	.set _ZN7rocprim17ROCPRIM_400000_NS6detail17trampoline_kernelINS0_14default_configENS1_22reduce_config_selectorIfEEZNS1_11reduce_implILb1ES3_PfS7_fN6thrust23THRUST_200600_302600_NS4plusIfEEEE10hipError_tPvRmT1_T2_T3_mT4_P12ihipStream_tbEUlT_E1_NS1_11comp_targetILNS1_3genE5ELNS1_11target_archE942ELNS1_3gpuE9ELNS1_3repE0EEENS1_30default_config_static_selectorELNS0_4arch9wavefront6targetE1EEEvSF_.num_named_barrier, 0
	.set _ZN7rocprim17ROCPRIM_400000_NS6detail17trampoline_kernelINS0_14default_configENS1_22reduce_config_selectorIfEEZNS1_11reduce_implILb1ES3_PfS7_fN6thrust23THRUST_200600_302600_NS4plusIfEEEE10hipError_tPvRmT1_T2_T3_mT4_P12ihipStream_tbEUlT_E1_NS1_11comp_targetILNS1_3genE5ELNS1_11target_archE942ELNS1_3gpuE9ELNS1_3repE0EEENS1_30default_config_static_selectorELNS0_4arch9wavefront6targetE1EEEvSF_.private_seg_size, 0
	.set _ZN7rocprim17ROCPRIM_400000_NS6detail17trampoline_kernelINS0_14default_configENS1_22reduce_config_selectorIfEEZNS1_11reduce_implILb1ES3_PfS7_fN6thrust23THRUST_200600_302600_NS4plusIfEEEE10hipError_tPvRmT1_T2_T3_mT4_P12ihipStream_tbEUlT_E1_NS1_11comp_targetILNS1_3genE5ELNS1_11target_archE942ELNS1_3gpuE9ELNS1_3repE0EEENS1_30default_config_static_selectorELNS0_4arch9wavefront6targetE1EEEvSF_.uses_vcc, 0
	.set _ZN7rocprim17ROCPRIM_400000_NS6detail17trampoline_kernelINS0_14default_configENS1_22reduce_config_selectorIfEEZNS1_11reduce_implILb1ES3_PfS7_fN6thrust23THRUST_200600_302600_NS4plusIfEEEE10hipError_tPvRmT1_T2_T3_mT4_P12ihipStream_tbEUlT_E1_NS1_11comp_targetILNS1_3genE5ELNS1_11target_archE942ELNS1_3gpuE9ELNS1_3repE0EEENS1_30default_config_static_selectorELNS0_4arch9wavefront6targetE1EEEvSF_.uses_flat_scratch, 0
	.set _ZN7rocprim17ROCPRIM_400000_NS6detail17trampoline_kernelINS0_14default_configENS1_22reduce_config_selectorIfEEZNS1_11reduce_implILb1ES3_PfS7_fN6thrust23THRUST_200600_302600_NS4plusIfEEEE10hipError_tPvRmT1_T2_T3_mT4_P12ihipStream_tbEUlT_E1_NS1_11comp_targetILNS1_3genE5ELNS1_11target_archE942ELNS1_3gpuE9ELNS1_3repE0EEENS1_30default_config_static_selectorELNS0_4arch9wavefront6targetE1EEEvSF_.has_dyn_sized_stack, 0
	.set _ZN7rocprim17ROCPRIM_400000_NS6detail17trampoline_kernelINS0_14default_configENS1_22reduce_config_selectorIfEEZNS1_11reduce_implILb1ES3_PfS7_fN6thrust23THRUST_200600_302600_NS4plusIfEEEE10hipError_tPvRmT1_T2_T3_mT4_P12ihipStream_tbEUlT_E1_NS1_11comp_targetILNS1_3genE5ELNS1_11target_archE942ELNS1_3gpuE9ELNS1_3repE0EEENS1_30default_config_static_selectorELNS0_4arch9wavefront6targetE1EEEvSF_.has_recursion, 0
	.set _ZN7rocprim17ROCPRIM_400000_NS6detail17trampoline_kernelINS0_14default_configENS1_22reduce_config_selectorIfEEZNS1_11reduce_implILb1ES3_PfS7_fN6thrust23THRUST_200600_302600_NS4plusIfEEEE10hipError_tPvRmT1_T2_T3_mT4_P12ihipStream_tbEUlT_E1_NS1_11comp_targetILNS1_3genE5ELNS1_11target_archE942ELNS1_3gpuE9ELNS1_3repE0EEENS1_30default_config_static_selectorELNS0_4arch9wavefront6targetE1EEEvSF_.has_indirect_call, 0
	.section	.AMDGPU.csdata,"",@progbits
; Kernel info:
; codeLenInByte = 0
; TotalNumSgprs: 6
; NumVgprs: 0
; NumAgprs: 0
; TotalNumVgprs: 0
; ScratchSize: 0
; MemoryBound: 0
; FloatMode: 240
; IeeeMode: 1
; LDSByteSize: 0 bytes/workgroup (compile time only)
; SGPRBlocks: 0
; VGPRBlocks: 0
; NumSGPRsForWavesPerEU: 6
; NumVGPRsForWavesPerEU: 1
; AccumOffset: 4
; Occupancy: 8
; WaveLimiterHint : 0
; COMPUTE_PGM_RSRC2:SCRATCH_EN: 0
; COMPUTE_PGM_RSRC2:USER_SGPR: 2
; COMPUTE_PGM_RSRC2:TRAP_HANDLER: 0
; COMPUTE_PGM_RSRC2:TGID_X_EN: 1
; COMPUTE_PGM_RSRC2:TGID_Y_EN: 0
; COMPUTE_PGM_RSRC2:TGID_Z_EN: 0
; COMPUTE_PGM_RSRC2:TIDIG_COMP_CNT: 0
; COMPUTE_PGM_RSRC3_GFX90A:ACCUM_OFFSET: 0
; COMPUTE_PGM_RSRC3_GFX90A:TG_SPLIT: 0
	.section	.text._ZN7rocprim17ROCPRIM_400000_NS6detail17trampoline_kernelINS0_14default_configENS1_22reduce_config_selectorIfEEZNS1_11reduce_implILb1ES3_PfS7_fN6thrust23THRUST_200600_302600_NS4plusIfEEEE10hipError_tPvRmT1_T2_T3_mT4_P12ihipStream_tbEUlT_E1_NS1_11comp_targetILNS1_3genE4ELNS1_11target_archE910ELNS1_3gpuE8ELNS1_3repE0EEENS1_30default_config_static_selectorELNS0_4arch9wavefront6targetE1EEEvSF_,"axG",@progbits,_ZN7rocprim17ROCPRIM_400000_NS6detail17trampoline_kernelINS0_14default_configENS1_22reduce_config_selectorIfEEZNS1_11reduce_implILb1ES3_PfS7_fN6thrust23THRUST_200600_302600_NS4plusIfEEEE10hipError_tPvRmT1_T2_T3_mT4_P12ihipStream_tbEUlT_E1_NS1_11comp_targetILNS1_3genE4ELNS1_11target_archE910ELNS1_3gpuE8ELNS1_3repE0EEENS1_30default_config_static_selectorELNS0_4arch9wavefront6targetE1EEEvSF_,comdat
	.protected	_ZN7rocprim17ROCPRIM_400000_NS6detail17trampoline_kernelINS0_14default_configENS1_22reduce_config_selectorIfEEZNS1_11reduce_implILb1ES3_PfS7_fN6thrust23THRUST_200600_302600_NS4plusIfEEEE10hipError_tPvRmT1_T2_T3_mT4_P12ihipStream_tbEUlT_E1_NS1_11comp_targetILNS1_3genE4ELNS1_11target_archE910ELNS1_3gpuE8ELNS1_3repE0EEENS1_30default_config_static_selectorELNS0_4arch9wavefront6targetE1EEEvSF_ ; -- Begin function _ZN7rocprim17ROCPRIM_400000_NS6detail17trampoline_kernelINS0_14default_configENS1_22reduce_config_selectorIfEEZNS1_11reduce_implILb1ES3_PfS7_fN6thrust23THRUST_200600_302600_NS4plusIfEEEE10hipError_tPvRmT1_T2_T3_mT4_P12ihipStream_tbEUlT_E1_NS1_11comp_targetILNS1_3genE4ELNS1_11target_archE910ELNS1_3gpuE8ELNS1_3repE0EEENS1_30default_config_static_selectorELNS0_4arch9wavefront6targetE1EEEvSF_
	.globl	_ZN7rocprim17ROCPRIM_400000_NS6detail17trampoline_kernelINS0_14default_configENS1_22reduce_config_selectorIfEEZNS1_11reduce_implILb1ES3_PfS7_fN6thrust23THRUST_200600_302600_NS4plusIfEEEE10hipError_tPvRmT1_T2_T3_mT4_P12ihipStream_tbEUlT_E1_NS1_11comp_targetILNS1_3genE4ELNS1_11target_archE910ELNS1_3gpuE8ELNS1_3repE0EEENS1_30default_config_static_selectorELNS0_4arch9wavefront6targetE1EEEvSF_
	.p2align	8
	.type	_ZN7rocprim17ROCPRIM_400000_NS6detail17trampoline_kernelINS0_14default_configENS1_22reduce_config_selectorIfEEZNS1_11reduce_implILb1ES3_PfS7_fN6thrust23THRUST_200600_302600_NS4plusIfEEEE10hipError_tPvRmT1_T2_T3_mT4_P12ihipStream_tbEUlT_E1_NS1_11comp_targetILNS1_3genE4ELNS1_11target_archE910ELNS1_3gpuE8ELNS1_3repE0EEENS1_30default_config_static_selectorELNS0_4arch9wavefront6targetE1EEEvSF_,@function
_ZN7rocprim17ROCPRIM_400000_NS6detail17trampoline_kernelINS0_14default_configENS1_22reduce_config_selectorIfEEZNS1_11reduce_implILb1ES3_PfS7_fN6thrust23THRUST_200600_302600_NS4plusIfEEEE10hipError_tPvRmT1_T2_T3_mT4_P12ihipStream_tbEUlT_E1_NS1_11comp_targetILNS1_3genE4ELNS1_11target_archE910ELNS1_3gpuE8ELNS1_3repE0EEENS1_30default_config_static_selectorELNS0_4arch9wavefront6targetE1EEEvSF_: ; @_ZN7rocprim17ROCPRIM_400000_NS6detail17trampoline_kernelINS0_14default_configENS1_22reduce_config_selectorIfEEZNS1_11reduce_implILb1ES3_PfS7_fN6thrust23THRUST_200600_302600_NS4plusIfEEEE10hipError_tPvRmT1_T2_T3_mT4_P12ihipStream_tbEUlT_E1_NS1_11comp_targetILNS1_3genE4ELNS1_11target_archE910ELNS1_3gpuE8ELNS1_3repE0EEENS1_30default_config_static_selectorELNS0_4arch9wavefront6targetE1EEEvSF_
; %bb.0:
	.section	.rodata,"a",@progbits
	.p2align	6, 0x0
	.amdhsa_kernel _ZN7rocprim17ROCPRIM_400000_NS6detail17trampoline_kernelINS0_14default_configENS1_22reduce_config_selectorIfEEZNS1_11reduce_implILb1ES3_PfS7_fN6thrust23THRUST_200600_302600_NS4plusIfEEEE10hipError_tPvRmT1_T2_T3_mT4_P12ihipStream_tbEUlT_E1_NS1_11comp_targetILNS1_3genE4ELNS1_11target_archE910ELNS1_3gpuE8ELNS1_3repE0EEENS1_30default_config_static_selectorELNS0_4arch9wavefront6targetE1EEEvSF_
		.amdhsa_group_segment_fixed_size 0
		.amdhsa_private_segment_fixed_size 0
		.amdhsa_kernarg_size 40
		.amdhsa_user_sgpr_count 2
		.amdhsa_user_sgpr_dispatch_ptr 0
		.amdhsa_user_sgpr_queue_ptr 0
		.amdhsa_user_sgpr_kernarg_segment_ptr 1
		.amdhsa_user_sgpr_dispatch_id 0
		.amdhsa_user_sgpr_kernarg_preload_length 0
		.amdhsa_user_sgpr_kernarg_preload_offset 0
		.amdhsa_user_sgpr_private_segment_size 0
		.amdhsa_uses_dynamic_stack 0
		.amdhsa_enable_private_segment 0
		.amdhsa_system_sgpr_workgroup_id_x 1
		.amdhsa_system_sgpr_workgroup_id_y 0
		.amdhsa_system_sgpr_workgroup_id_z 0
		.amdhsa_system_sgpr_workgroup_info 0
		.amdhsa_system_vgpr_workitem_id 0
		.amdhsa_next_free_vgpr 1
		.amdhsa_next_free_sgpr 0
		.amdhsa_accum_offset 4
		.amdhsa_reserve_vcc 0
		.amdhsa_float_round_mode_32 0
		.amdhsa_float_round_mode_16_64 0
		.amdhsa_float_denorm_mode_32 3
		.amdhsa_float_denorm_mode_16_64 3
		.amdhsa_dx10_clamp 1
		.amdhsa_ieee_mode 1
		.amdhsa_fp16_overflow 0
		.amdhsa_tg_split 0
		.amdhsa_exception_fp_ieee_invalid_op 0
		.amdhsa_exception_fp_denorm_src 0
		.amdhsa_exception_fp_ieee_div_zero 0
		.amdhsa_exception_fp_ieee_overflow 0
		.amdhsa_exception_fp_ieee_underflow 0
		.amdhsa_exception_fp_ieee_inexact 0
		.amdhsa_exception_int_div_zero 0
	.end_amdhsa_kernel
	.section	.text._ZN7rocprim17ROCPRIM_400000_NS6detail17trampoline_kernelINS0_14default_configENS1_22reduce_config_selectorIfEEZNS1_11reduce_implILb1ES3_PfS7_fN6thrust23THRUST_200600_302600_NS4plusIfEEEE10hipError_tPvRmT1_T2_T3_mT4_P12ihipStream_tbEUlT_E1_NS1_11comp_targetILNS1_3genE4ELNS1_11target_archE910ELNS1_3gpuE8ELNS1_3repE0EEENS1_30default_config_static_selectorELNS0_4arch9wavefront6targetE1EEEvSF_,"axG",@progbits,_ZN7rocprim17ROCPRIM_400000_NS6detail17trampoline_kernelINS0_14default_configENS1_22reduce_config_selectorIfEEZNS1_11reduce_implILb1ES3_PfS7_fN6thrust23THRUST_200600_302600_NS4plusIfEEEE10hipError_tPvRmT1_T2_T3_mT4_P12ihipStream_tbEUlT_E1_NS1_11comp_targetILNS1_3genE4ELNS1_11target_archE910ELNS1_3gpuE8ELNS1_3repE0EEENS1_30default_config_static_selectorELNS0_4arch9wavefront6targetE1EEEvSF_,comdat
.Lfunc_end50:
	.size	_ZN7rocprim17ROCPRIM_400000_NS6detail17trampoline_kernelINS0_14default_configENS1_22reduce_config_selectorIfEEZNS1_11reduce_implILb1ES3_PfS7_fN6thrust23THRUST_200600_302600_NS4plusIfEEEE10hipError_tPvRmT1_T2_T3_mT4_P12ihipStream_tbEUlT_E1_NS1_11comp_targetILNS1_3genE4ELNS1_11target_archE910ELNS1_3gpuE8ELNS1_3repE0EEENS1_30default_config_static_selectorELNS0_4arch9wavefront6targetE1EEEvSF_, .Lfunc_end50-_ZN7rocprim17ROCPRIM_400000_NS6detail17trampoline_kernelINS0_14default_configENS1_22reduce_config_selectorIfEEZNS1_11reduce_implILb1ES3_PfS7_fN6thrust23THRUST_200600_302600_NS4plusIfEEEE10hipError_tPvRmT1_T2_T3_mT4_P12ihipStream_tbEUlT_E1_NS1_11comp_targetILNS1_3genE4ELNS1_11target_archE910ELNS1_3gpuE8ELNS1_3repE0EEENS1_30default_config_static_selectorELNS0_4arch9wavefront6targetE1EEEvSF_
                                        ; -- End function
	.set _ZN7rocprim17ROCPRIM_400000_NS6detail17trampoline_kernelINS0_14default_configENS1_22reduce_config_selectorIfEEZNS1_11reduce_implILb1ES3_PfS7_fN6thrust23THRUST_200600_302600_NS4plusIfEEEE10hipError_tPvRmT1_T2_T3_mT4_P12ihipStream_tbEUlT_E1_NS1_11comp_targetILNS1_3genE4ELNS1_11target_archE910ELNS1_3gpuE8ELNS1_3repE0EEENS1_30default_config_static_selectorELNS0_4arch9wavefront6targetE1EEEvSF_.num_vgpr, 0
	.set _ZN7rocprim17ROCPRIM_400000_NS6detail17trampoline_kernelINS0_14default_configENS1_22reduce_config_selectorIfEEZNS1_11reduce_implILb1ES3_PfS7_fN6thrust23THRUST_200600_302600_NS4plusIfEEEE10hipError_tPvRmT1_T2_T3_mT4_P12ihipStream_tbEUlT_E1_NS1_11comp_targetILNS1_3genE4ELNS1_11target_archE910ELNS1_3gpuE8ELNS1_3repE0EEENS1_30default_config_static_selectorELNS0_4arch9wavefront6targetE1EEEvSF_.num_agpr, 0
	.set _ZN7rocprim17ROCPRIM_400000_NS6detail17trampoline_kernelINS0_14default_configENS1_22reduce_config_selectorIfEEZNS1_11reduce_implILb1ES3_PfS7_fN6thrust23THRUST_200600_302600_NS4plusIfEEEE10hipError_tPvRmT1_T2_T3_mT4_P12ihipStream_tbEUlT_E1_NS1_11comp_targetILNS1_3genE4ELNS1_11target_archE910ELNS1_3gpuE8ELNS1_3repE0EEENS1_30default_config_static_selectorELNS0_4arch9wavefront6targetE1EEEvSF_.numbered_sgpr, 0
	.set _ZN7rocprim17ROCPRIM_400000_NS6detail17trampoline_kernelINS0_14default_configENS1_22reduce_config_selectorIfEEZNS1_11reduce_implILb1ES3_PfS7_fN6thrust23THRUST_200600_302600_NS4plusIfEEEE10hipError_tPvRmT1_T2_T3_mT4_P12ihipStream_tbEUlT_E1_NS1_11comp_targetILNS1_3genE4ELNS1_11target_archE910ELNS1_3gpuE8ELNS1_3repE0EEENS1_30default_config_static_selectorELNS0_4arch9wavefront6targetE1EEEvSF_.num_named_barrier, 0
	.set _ZN7rocprim17ROCPRIM_400000_NS6detail17trampoline_kernelINS0_14default_configENS1_22reduce_config_selectorIfEEZNS1_11reduce_implILb1ES3_PfS7_fN6thrust23THRUST_200600_302600_NS4plusIfEEEE10hipError_tPvRmT1_T2_T3_mT4_P12ihipStream_tbEUlT_E1_NS1_11comp_targetILNS1_3genE4ELNS1_11target_archE910ELNS1_3gpuE8ELNS1_3repE0EEENS1_30default_config_static_selectorELNS0_4arch9wavefront6targetE1EEEvSF_.private_seg_size, 0
	.set _ZN7rocprim17ROCPRIM_400000_NS6detail17trampoline_kernelINS0_14default_configENS1_22reduce_config_selectorIfEEZNS1_11reduce_implILb1ES3_PfS7_fN6thrust23THRUST_200600_302600_NS4plusIfEEEE10hipError_tPvRmT1_T2_T3_mT4_P12ihipStream_tbEUlT_E1_NS1_11comp_targetILNS1_3genE4ELNS1_11target_archE910ELNS1_3gpuE8ELNS1_3repE0EEENS1_30default_config_static_selectorELNS0_4arch9wavefront6targetE1EEEvSF_.uses_vcc, 0
	.set _ZN7rocprim17ROCPRIM_400000_NS6detail17trampoline_kernelINS0_14default_configENS1_22reduce_config_selectorIfEEZNS1_11reduce_implILb1ES3_PfS7_fN6thrust23THRUST_200600_302600_NS4plusIfEEEE10hipError_tPvRmT1_T2_T3_mT4_P12ihipStream_tbEUlT_E1_NS1_11comp_targetILNS1_3genE4ELNS1_11target_archE910ELNS1_3gpuE8ELNS1_3repE0EEENS1_30default_config_static_selectorELNS0_4arch9wavefront6targetE1EEEvSF_.uses_flat_scratch, 0
	.set _ZN7rocprim17ROCPRIM_400000_NS6detail17trampoline_kernelINS0_14default_configENS1_22reduce_config_selectorIfEEZNS1_11reduce_implILb1ES3_PfS7_fN6thrust23THRUST_200600_302600_NS4plusIfEEEE10hipError_tPvRmT1_T2_T3_mT4_P12ihipStream_tbEUlT_E1_NS1_11comp_targetILNS1_3genE4ELNS1_11target_archE910ELNS1_3gpuE8ELNS1_3repE0EEENS1_30default_config_static_selectorELNS0_4arch9wavefront6targetE1EEEvSF_.has_dyn_sized_stack, 0
	.set _ZN7rocprim17ROCPRIM_400000_NS6detail17trampoline_kernelINS0_14default_configENS1_22reduce_config_selectorIfEEZNS1_11reduce_implILb1ES3_PfS7_fN6thrust23THRUST_200600_302600_NS4plusIfEEEE10hipError_tPvRmT1_T2_T3_mT4_P12ihipStream_tbEUlT_E1_NS1_11comp_targetILNS1_3genE4ELNS1_11target_archE910ELNS1_3gpuE8ELNS1_3repE0EEENS1_30default_config_static_selectorELNS0_4arch9wavefront6targetE1EEEvSF_.has_recursion, 0
	.set _ZN7rocprim17ROCPRIM_400000_NS6detail17trampoline_kernelINS0_14default_configENS1_22reduce_config_selectorIfEEZNS1_11reduce_implILb1ES3_PfS7_fN6thrust23THRUST_200600_302600_NS4plusIfEEEE10hipError_tPvRmT1_T2_T3_mT4_P12ihipStream_tbEUlT_E1_NS1_11comp_targetILNS1_3genE4ELNS1_11target_archE910ELNS1_3gpuE8ELNS1_3repE0EEENS1_30default_config_static_selectorELNS0_4arch9wavefront6targetE1EEEvSF_.has_indirect_call, 0
	.section	.AMDGPU.csdata,"",@progbits
; Kernel info:
; codeLenInByte = 0
; TotalNumSgprs: 6
; NumVgprs: 0
; NumAgprs: 0
; TotalNumVgprs: 0
; ScratchSize: 0
; MemoryBound: 0
; FloatMode: 240
; IeeeMode: 1
; LDSByteSize: 0 bytes/workgroup (compile time only)
; SGPRBlocks: 0
; VGPRBlocks: 0
; NumSGPRsForWavesPerEU: 6
; NumVGPRsForWavesPerEU: 1
; AccumOffset: 4
; Occupancy: 8
; WaveLimiterHint : 0
; COMPUTE_PGM_RSRC2:SCRATCH_EN: 0
; COMPUTE_PGM_RSRC2:USER_SGPR: 2
; COMPUTE_PGM_RSRC2:TRAP_HANDLER: 0
; COMPUTE_PGM_RSRC2:TGID_X_EN: 1
; COMPUTE_PGM_RSRC2:TGID_Y_EN: 0
; COMPUTE_PGM_RSRC2:TGID_Z_EN: 0
; COMPUTE_PGM_RSRC2:TIDIG_COMP_CNT: 0
; COMPUTE_PGM_RSRC3_GFX90A:ACCUM_OFFSET: 0
; COMPUTE_PGM_RSRC3_GFX90A:TG_SPLIT: 0
	.section	.text._ZN7rocprim17ROCPRIM_400000_NS6detail17trampoline_kernelINS0_14default_configENS1_22reduce_config_selectorIfEEZNS1_11reduce_implILb1ES3_PfS7_fN6thrust23THRUST_200600_302600_NS4plusIfEEEE10hipError_tPvRmT1_T2_T3_mT4_P12ihipStream_tbEUlT_E1_NS1_11comp_targetILNS1_3genE3ELNS1_11target_archE908ELNS1_3gpuE7ELNS1_3repE0EEENS1_30default_config_static_selectorELNS0_4arch9wavefront6targetE1EEEvSF_,"axG",@progbits,_ZN7rocprim17ROCPRIM_400000_NS6detail17trampoline_kernelINS0_14default_configENS1_22reduce_config_selectorIfEEZNS1_11reduce_implILb1ES3_PfS7_fN6thrust23THRUST_200600_302600_NS4plusIfEEEE10hipError_tPvRmT1_T2_T3_mT4_P12ihipStream_tbEUlT_E1_NS1_11comp_targetILNS1_3genE3ELNS1_11target_archE908ELNS1_3gpuE7ELNS1_3repE0EEENS1_30default_config_static_selectorELNS0_4arch9wavefront6targetE1EEEvSF_,comdat
	.protected	_ZN7rocprim17ROCPRIM_400000_NS6detail17trampoline_kernelINS0_14default_configENS1_22reduce_config_selectorIfEEZNS1_11reduce_implILb1ES3_PfS7_fN6thrust23THRUST_200600_302600_NS4plusIfEEEE10hipError_tPvRmT1_T2_T3_mT4_P12ihipStream_tbEUlT_E1_NS1_11comp_targetILNS1_3genE3ELNS1_11target_archE908ELNS1_3gpuE7ELNS1_3repE0EEENS1_30default_config_static_selectorELNS0_4arch9wavefront6targetE1EEEvSF_ ; -- Begin function _ZN7rocprim17ROCPRIM_400000_NS6detail17trampoline_kernelINS0_14default_configENS1_22reduce_config_selectorIfEEZNS1_11reduce_implILb1ES3_PfS7_fN6thrust23THRUST_200600_302600_NS4plusIfEEEE10hipError_tPvRmT1_T2_T3_mT4_P12ihipStream_tbEUlT_E1_NS1_11comp_targetILNS1_3genE3ELNS1_11target_archE908ELNS1_3gpuE7ELNS1_3repE0EEENS1_30default_config_static_selectorELNS0_4arch9wavefront6targetE1EEEvSF_
	.globl	_ZN7rocprim17ROCPRIM_400000_NS6detail17trampoline_kernelINS0_14default_configENS1_22reduce_config_selectorIfEEZNS1_11reduce_implILb1ES3_PfS7_fN6thrust23THRUST_200600_302600_NS4plusIfEEEE10hipError_tPvRmT1_T2_T3_mT4_P12ihipStream_tbEUlT_E1_NS1_11comp_targetILNS1_3genE3ELNS1_11target_archE908ELNS1_3gpuE7ELNS1_3repE0EEENS1_30default_config_static_selectorELNS0_4arch9wavefront6targetE1EEEvSF_
	.p2align	8
	.type	_ZN7rocprim17ROCPRIM_400000_NS6detail17trampoline_kernelINS0_14default_configENS1_22reduce_config_selectorIfEEZNS1_11reduce_implILb1ES3_PfS7_fN6thrust23THRUST_200600_302600_NS4plusIfEEEE10hipError_tPvRmT1_T2_T3_mT4_P12ihipStream_tbEUlT_E1_NS1_11comp_targetILNS1_3genE3ELNS1_11target_archE908ELNS1_3gpuE7ELNS1_3repE0EEENS1_30default_config_static_selectorELNS0_4arch9wavefront6targetE1EEEvSF_,@function
_ZN7rocprim17ROCPRIM_400000_NS6detail17trampoline_kernelINS0_14default_configENS1_22reduce_config_selectorIfEEZNS1_11reduce_implILb1ES3_PfS7_fN6thrust23THRUST_200600_302600_NS4plusIfEEEE10hipError_tPvRmT1_T2_T3_mT4_P12ihipStream_tbEUlT_E1_NS1_11comp_targetILNS1_3genE3ELNS1_11target_archE908ELNS1_3gpuE7ELNS1_3repE0EEENS1_30default_config_static_selectorELNS0_4arch9wavefront6targetE1EEEvSF_: ; @_ZN7rocprim17ROCPRIM_400000_NS6detail17trampoline_kernelINS0_14default_configENS1_22reduce_config_selectorIfEEZNS1_11reduce_implILb1ES3_PfS7_fN6thrust23THRUST_200600_302600_NS4plusIfEEEE10hipError_tPvRmT1_T2_T3_mT4_P12ihipStream_tbEUlT_E1_NS1_11comp_targetILNS1_3genE3ELNS1_11target_archE908ELNS1_3gpuE7ELNS1_3repE0EEENS1_30default_config_static_selectorELNS0_4arch9wavefront6targetE1EEEvSF_
; %bb.0:
	.section	.rodata,"a",@progbits
	.p2align	6, 0x0
	.amdhsa_kernel _ZN7rocprim17ROCPRIM_400000_NS6detail17trampoline_kernelINS0_14default_configENS1_22reduce_config_selectorIfEEZNS1_11reduce_implILb1ES3_PfS7_fN6thrust23THRUST_200600_302600_NS4plusIfEEEE10hipError_tPvRmT1_T2_T3_mT4_P12ihipStream_tbEUlT_E1_NS1_11comp_targetILNS1_3genE3ELNS1_11target_archE908ELNS1_3gpuE7ELNS1_3repE0EEENS1_30default_config_static_selectorELNS0_4arch9wavefront6targetE1EEEvSF_
		.amdhsa_group_segment_fixed_size 0
		.amdhsa_private_segment_fixed_size 0
		.amdhsa_kernarg_size 40
		.amdhsa_user_sgpr_count 2
		.amdhsa_user_sgpr_dispatch_ptr 0
		.amdhsa_user_sgpr_queue_ptr 0
		.amdhsa_user_sgpr_kernarg_segment_ptr 1
		.amdhsa_user_sgpr_dispatch_id 0
		.amdhsa_user_sgpr_kernarg_preload_length 0
		.amdhsa_user_sgpr_kernarg_preload_offset 0
		.amdhsa_user_sgpr_private_segment_size 0
		.amdhsa_uses_dynamic_stack 0
		.amdhsa_enable_private_segment 0
		.amdhsa_system_sgpr_workgroup_id_x 1
		.amdhsa_system_sgpr_workgroup_id_y 0
		.amdhsa_system_sgpr_workgroup_id_z 0
		.amdhsa_system_sgpr_workgroup_info 0
		.amdhsa_system_vgpr_workitem_id 0
		.amdhsa_next_free_vgpr 1
		.amdhsa_next_free_sgpr 0
		.amdhsa_accum_offset 4
		.amdhsa_reserve_vcc 0
		.amdhsa_float_round_mode_32 0
		.amdhsa_float_round_mode_16_64 0
		.amdhsa_float_denorm_mode_32 3
		.amdhsa_float_denorm_mode_16_64 3
		.amdhsa_dx10_clamp 1
		.amdhsa_ieee_mode 1
		.amdhsa_fp16_overflow 0
		.amdhsa_tg_split 0
		.amdhsa_exception_fp_ieee_invalid_op 0
		.amdhsa_exception_fp_denorm_src 0
		.amdhsa_exception_fp_ieee_div_zero 0
		.amdhsa_exception_fp_ieee_overflow 0
		.amdhsa_exception_fp_ieee_underflow 0
		.amdhsa_exception_fp_ieee_inexact 0
		.amdhsa_exception_int_div_zero 0
	.end_amdhsa_kernel
	.section	.text._ZN7rocprim17ROCPRIM_400000_NS6detail17trampoline_kernelINS0_14default_configENS1_22reduce_config_selectorIfEEZNS1_11reduce_implILb1ES3_PfS7_fN6thrust23THRUST_200600_302600_NS4plusIfEEEE10hipError_tPvRmT1_T2_T3_mT4_P12ihipStream_tbEUlT_E1_NS1_11comp_targetILNS1_3genE3ELNS1_11target_archE908ELNS1_3gpuE7ELNS1_3repE0EEENS1_30default_config_static_selectorELNS0_4arch9wavefront6targetE1EEEvSF_,"axG",@progbits,_ZN7rocprim17ROCPRIM_400000_NS6detail17trampoline_kernelINS0_14default_configENS1_22reduce_config_selectorIfEEZNS1_11reduce_implILb1ES3_PfS7_fN6thrust23THRUST_200600_302600_NS4plusIfEEEE10hipError_tPvRmT1_T2_T3_mT4_P12ihipStream_tbEUlT_E1_NS1_11comp_targetILNS1_3genE3ELNS1_11target_archE908ELNS1_3gpuE7ELNS1_3repE0EEENS1_30default_config_static_selectorELNS0_4arch9wavefront6targetE1EEEvSF_,comdat
.Lfunc_end51:
	.size	_ZN7rocprim17ROCPRIM_400000_NS6detail17trampoline_kernelINS0_14default_configENS1_22reduce_config_selectorIfEEZNS1_11reduce_implILb1ES3_PfS7_fN6thrust23THRUST_200600_302600_NS4plusIfEEEE10hipError_tPvRmT1_T2_T3_mT4_P12ihipStream_tbEUlT_E1_NS1_11comp_targetILNS1_3genE3ELNS1_11target_archE908ELNS1_3gpuE7ELNS1_3repE0EEENS1_30default_config_static_selectorELNS0_4arch9wavefront6targetE1EEEvSF_, .Lfunc_end51-_ZN7rocprim17ROCPRIM_400000_NS6detail17trampoline_kernelINS0_14default_configENS1_22reduce_config_selectorIfEEZNS1_11reduce_implILb1ES3_PfS7_fN6thrust23THRUST_200600_302600_NS4plusIfEEEE10hipError_tPvRmT1_T2_T3_mT4_P12ihipStream_tbEUlT_E1_NS1_11comp_targetILNS1_3genE3ELNS1_11target_archE908ELNS1_3gpuE7ELNS1_3repE0EEENS1_30default_config_static_selectorELNS0_4arch9wavefront6targetE1EEEvSF_
                                        ; -- End function
	.set _ZN7rocprim17ROCPRIM_400000_NS6detail17trampoline_kernelINS0_14default_configENS1_22reduce_config_selectorIfEEZNS1_11reduce_implILb1ES3_PfS7_fN6thrust23THRUST_200600_302600_NS4plusIfEEEE10hipError_tPvRmT1_T2_T3_mT4_P12ihipStream_tbEUlT_E1_NS1_11comp_targetILNS1_3genE3ELNS1_11target_archE908ELNS1_3gpuE7ELNS1_3repE0EEENS1_30default_config_static_selectorELNS0_4arch9wavefront6targetE1EEEvSF_.num_vgpr, 0
	.set _ZN7rocprim17ROCPRIM_400000_NS6detail17trampoline_kernelINS0_14default_configENS1_22reduce_config_selectorIfEEZNS1_11reduce_implILb1ES3_PfS7_fN6thrust23THRUST_200600_302600_NS4plusIfEEEE10hipError_tPvRmT1_T2_T3_mT4_P12ihipStream_tbEUlT_E1_NS1_11comp_targetILNS1_3genE3ELNS1_11target_archE908ELNS1_3gpuE7ELNS1_3repE0EEENS1_30default_config_static_selectorELNS0_4arch9wavefront6targetE1EEEvSF_.num_agpr, 0
	.set _ZN7rocprim17ROCPRIM_400000_NS6detail17trampoline_kernelINS0_14default_configENS1_22reduce_config_selectorIfEEZNS1_11reduce_implILb1ES3_PfS7_fN6thrust23THRUST_200600_302600_NS4plusIfEEEE10hipError_tPvRmT1_T2_T3_mT4_P12ihipStream_tbEUlT_E1_NS1_11comp_targetILNS1_3genE3ELNS1_11target_archE908ELNS1_3gpuE7ELNS1_3repE0EEENS1_30default_config_static_selectorELNS0_4arch9wavefront6targetE1EEEvSF_.numbered_sgpr, 0
	.set _ZN7rocprim17ROCPRIM_400000_NS6detail17trampoline_kernelINS0_14default_configENS1_22reduce_config_selectorIfEEZNS1_11reduce_implILb1ES3_PfS7_fN6thrust23THRUST_200600_302600_NS4plusIfEEEE10hipError_tPvRmT1_T2_T3_mT4_P12ihipStream_tbEUlT_E1_NS1_11comp_targetILNS1_3genE3ELNS1_11target_archE908ELNS1_3gpuE7ELNS1_3repE0EEENS1_30default_config_static_selectorELNS0_4arch9wavefront6targetE1EEEvSF_.num_named_barrier, 0
	.set _ZN7rocprim17ROCPRIM_400000_NS6detail17trampoline_kernelINS0_14default_configENS1_22reduce_config_selectorIfEEZNS1_11reduce_implILb1ES3_PfS7_fN6thrust23THRUST_200600_302600_NS4plusIfEEEE10hipError_tPvRmT1_T2_T3_mT4_P12ihipStream_tbEUlT_E1_NS1_11comp_targetILNS1_3genE3ELNS1_11target_archE908ELNS1_3gpuE7ELNS1_3repE0EEENS1_30default_config_static_selectorELNS0_4arch9wavefront6targetE1EEEvSF_.private_seg_size, 0
	.set _ZN7rocprim17ROCPRIM_400000_NS6detail17trampoline_kernelINS0_14default_configENS1_22reduce_config_selectorIfEEZNS1_11reduce_implILb1ES3_PfS7_fN6thrust23THRUST_200600_302600_NS4plusIfEEEE10hipError_tPvRmT1_T2_T3_mT4_P12ihipStream_tbEUlT_E1_NS1_11comp_targetILNS1_3genE3ELNS1_11target_archE908ELNS1_3gpuE7ELNS1_3repE0EEENS1_30default_config_static_selectorELNS0_4arch9wavefront6targetE1EEEvSF_.uses_vcc, 0
	.set _ZN7rocprim17ROCPRIM_400000_NS6detail17trampoline_kernelINS0_14default_configENS1_22reduce_config_selectorIfEEZNS1_11reduce_implILb1ES3_PfS7_fN6thrust23THRUST_200600_302600_NS4plusIfEEEE10hipError_tPvRmT1_T2_T3_mT4_P12ihipStream_tbEUlT_E1_NS1_11comp_targetILNS1_3genE3ELNS1_11target_archE908ELNS1_3gpuE7ELNS1_3repE0EEENS1_30default_config_static_selectorELNS0_4arch9wavefront6targetE1EEEvSF_.uses_flat_scratch, 0
	.set _ZN7rocprim17ROCPRIM_400000_NS6detail17trampoline_kernelINS0_14default_configENS1_22reduce_config_selectorIfEEZNS1_11reduce_implILb1ES3_PfS7_fN6thrust23THRUST_200600_302600_NS4plusIfEEEE10hipError_tPvRmT1_T2_T3_mT4_P12ihipStream_tbEUlT_E1_NS1_11comp_targetILNS1_3genE3ELNS1_11target_archE908ELNS1_3gpuE7ELNS1_3repE0EEENS1_30default_config_static_selectorELNS0_4arch9wavefront6targetE1EEEvSF_.has_dyn_sized_stack, 0
	.set _ZN7rocprim17ROCPRIM_400000_NS6detail17trampoline_kernelINS0_14default_configENS1_22reduce_config_selectorIfEEZNS1_11reduce_implILb1ES3_PfS7_fN6thrust23THRUST_200600_302600_NS4plusIfEEEE10hipError_tPvRmT1_T2_T3_mT4_P12ihipStream_tbEUlT_E1_NS1_11comp_targetILNS1_3genE3ELNS1_11target_archE908ELNS1_3gpuE7ELNS1_3repE0EEENS1_30default_config_static_selectorELNS0_4arch9wavefront6targetE1EEEvSF_.has_recursion, 0
	.set _ZN7rocprim17ROCPRIM_400000_NS6detail17trampoline_kernelINS0_14default_configENS1_22reduce_config_selectorIfEEZNS1_11reduce_implILb1ES3_PfS7_fN6thrust23THRUST_200600_302600_NS4plusIfEEEE10hipError_tPvRmT1_T2_T3_mT4_P12ihipStream_tbEUlT_E1_NS1_11comp_targetILNS1_3genE3ELNS1_11target_archE908ELNS1_3gpuE7ELNS1_3repE0EEENS1_30default_config_static_selectorELNS0_4arch9wavefront6targetE1EEEvSF_.has_indirect_call, 0
	.section	.AMDGPU.csdata,"",@progbits
; Kernel info:
; codeLenInByte = 0
; TotalNumSgprs: 6
; NumVgprs: 0
; NumAgprs: 0
; TotalNumVgprs: 0
; ScratchSize: 0
; MemoryBound: 0
; FloatMode: 240
; IeeeMode: 1
; LDSByteSize: 0 bytes/workgroup (compile time only)
; SGPRBlocks: 0
; VGPRBlocks: 0
; NumSGPRsForWavesPerEU: 6
; NumVGPRsForWavesPerEU: 1
; AccumOffset: 4
; Occupancy: 8
; WaveLimiterHint : 0
; COMPUTE_PGM_RSRC2:SCRATCH_EN: 0
; COMPUTE_PGM_RSRC2:USER_SGPR: 2
; COMPUTE_PGM_RSRC2:TRAP_HANDLER: 0
; COMPUTE_PGM_RSRC2:TGID_X_EN: 1
; COMPUTE_PGM_RSRC2:TGID_Y_EN: 0
; COMPUTE_PGM_RSRC2:TGID_Z_EN: 0
; COMPUTE_PGM_RSRC2:TIDIG_COMP_CNT: 0
; COMPUTE_PGM_RSRC3_GFX90A:ACCUM_OFFSET: 0
; COMPUTE_PGM_RSRC3_GFX90A:TG_SPLIT: 0
	.section	.text._ZN7rocprim17ROCPRIM_400000_NS6detail17trampoline_kernelINS0_14default_configENS1_22reduce_config_selectorIfEEZNS1_11reduce_implILb1ES3_PfS7_fN6thrust23THRUST_200600_302600_NS4plusIfEEEE10hipError_tPvRmT1_T2_T3_mT4_P12ihipStream_tbEUlT_E1_NS1_11comp_targetILNS1_3genE2ELNS1_11target_archE906ELNS1_3gpuE6ELNS1_3repE0EEENS1_30default_config_static_selectorELNS0_4arch9wavefront6targetE1EEEvSF_,"axG",@progbits,_ZN7rocprim17ROCPRIM_400000_NS6detail17trampoline_kernelINS0_14default_configENS1_22reduce_config_selectorIfEEZNS1_11reduce_implILb1ES3_PfS7_fN6thrust23THRUST_200600_302600_NS4plusIfEEEE10hipError_tPvRmT1_T2_T3_mT4_P12ihipStream_tbEUlT_E1_NS1_11comp_targetILNS1_3genE2ELNS1_11target_archE906ELNS1_3gpuE6ELNS1_3repE0EEENS1_30default_config_static_selectorELNS0_4arch9wavefront6targetE1EEEvSF_,comdat
	.protected	_ZN7rocprim17ROCPRIM_400000_NS6detail17trampoline_kernelINS0_14default_configENS1_22reduce_config_selectorIfEEZNS1_11reduce_implILb1ES3_PfS7_fN6thrust23THRUST_200600_302600_NS4plusIfEEEE10hipError_tPvRmT1_T2_T3_mT4_P12ihipStream_tbEUlT_E1_NS1_11comp_targetILNS1_3genE2ELNS1_11target_archE906ELNS1_3gpuE6ELNS1_3repE0EEENS1_30default_config_static_selectorELNS0_4arch9wavefront6targetE1EEEvSF_ ; -- Begin function _ZN7rocprim17ROCPRIM_400000_NS6detail17trampoline_kernelINS0_14default_configENS1_22reduce_config_selectorIfEEZNS1_11reduce_implILb1ES3_PfS7_fN6thrust23THRUST_200600_302600_NS4plusIfEEEE10hipError_tPvRmT1_T2_T3_mT4_P12ihipStream_tbEUlT_E1_NS1_11comp_targetILNS1_3genE2ELNS1_11target_archE906ELNS1_3gpuE6ELNS1_3repE0EEENS1_30default_config_static_selectorELNS0_4arch9wavefront6targetE1EEEvSF_
	.globl	_ZN7rocprim17ROCPRIM_400000_NS6detail17trampoline_kernelINS0_14default_configENS1_22reduce_config_selectorIfEEZNS1_11reduce_implILb1ES3_PfS7_fN6thrust23THRUST_200600_302600_NS4plusIfEEEE10hipError_tPvRmT1_T2_T3_mT4_P12ihipStream_tbEUlT_E1_NS1_11comp_targetILNS1_3genE2ELNS1_11target_archE906ELNS1_3gpuE6ELNS1_3repE0EEENS1_30default_config_static_selectorELNS0_4arch9wavefront6targetE1EEEvSF_
	.p2align	8
	.type	_ZN7rocprim17ROCPRIM_400000_NS6detail17trampoline_kernelINS0_14default_configENS1_22reduce_config_selectorIfEEZNS1_11reduce_implILb1ES3_PfS7_fN6thrust23THRUST_200600_302600_NS4plusIfEEEE10hipError_tPvRmT1_T2_T3_mT4_P12ihipStream_tbEUlT_E1_NS1_11comp_targetILNS1_3genE2ELNS1_11target_archE906ELNS1_3gpuE6ELNS1_3repE0EEENS1_30default_config_static_selectorELNS0_4arch9wavefront6targetE1EEEvSF_,@function
_ZN7rocprim17ROCPRIM_400000_NS6detail17trampoline_kernelINS0_14default_configENS1_22reduce_config_selectorIfEEZNS1_11reduce_implILb1ES3_PfS7_fN6thrust23THRUST_200600_302600_NS4plusIfEEEE10hipError_tPvRmT1_T2_T3_mT4_P12ihipStream_tbEUlT_E1_NS1_11comp_targetILNS1_3genE2ELNS1_11target_archE906ELNS1_3gpuE6ELNS1_3repE0EEENS1_30default_config_static_selectorELNS0_4arch9wavefront6targetE1EEEvSF_: ; @_ZN7rocprim17ROCPRIM_400000_NS6detail17trampoline_kernelINS0_14default_configENS1_22reduce_config_selectorIfEEZNS1_11reduce_implILb1ES3_PfS7_fN6thrust23THRUST_200600_302600_NS4plusIfEEEE10hipError_tPvRmT1_T2_T3_mT4_P12ihipStream_tbEUlT_E1_NS1_11comp_targetILNS1_3genE2ELNS1_11target_archE906ELNS1_3gpuE6ELNS1_3repE0EEENS1_30default_config_static_selectorELNS0_4arch9wavefront6targetE1EEEvSF_
; %bb.0:
	.section	.rodata,"a",@progbits
	.p2align	6, 0x0
	.amdhsa_kernel _ZN7rocprim17ROCPRIM_400000_NS6detail17trampoline_kernelINS0_14default_configENS1_22reduce_config_selectorIfEEZNS1_11reduce_implILb1ES3_PfS7_fN6thrust23THRUST_200600_302600_NS4plusIfEEEE10hipError_tPvRmT1_T2_T3_mT4_P12ihipStream_tbEUlT_E1_NS1_11comp_targetILNS1_3genE2ELNS1_11target_archE906ELNS1_3gpuE6ELNS1_3repE0EEENS1_30default_config_static_selectorELNS0_4arch9wavefront6targetE1EEEvSF_
		.amdhsa_group_segment_fixed_size 0
		.amdhsa_private_segment_fixed_size 0
		.amdhsa_kernarg_size 40
		.amdhsa_user_sgpr_count 2
		.amdhsa_user_sgpr_dispatch_ptr 0
		.amdhsa_user_sgpr_queue_ptr 0
		.amdhsa_user_sgpr_kernarg_segment_ptr 1
		.amdhsa_user_sgpr_dispatch_id 0
		.amdhsa_user_sgpr_kernarg_preload_length 0
		.amdhsa_user_sgpr_kernarg_preload_offset 0
		.amdhsa_user_sgpr_private_segment_size 0
		.amdhsa_uses_dynamic_stack 0
		.amdhsa_enable_private_segment 0
		.amdhsa_system_sgpr_workgroup_id_x 1
		.amdhsa_system_sgpr_workgroup_id_y 0
		.amdhsa_system_sgpr_workgroup_id_z 0
		.amdhsa_system_sgpr_workgroup_info 0
		.amdhsa_system_vgpr_workitem_id 0
		.amdhsa_next_free_vgpr 1
		.amdhsa_next_free_sgpr 0
		.amdhsa_accum_offset 4
		.amdhsa_reserve_vcc 0
		.amdhsa_float_round_mode_32 0
		.amdhsa_float_round_mode_16_64 0
		.amdhsa_float_denorm_mode_32 3
		.amdhsa_float_denorm_mode_16_64 3
		.amdhsa_dx10_clamp 1
		.amdhsa_ieee_mode 1
		.amdhsa_fp16_overflow 0
		.amdhsa_tg_split 0
		.amdhsa_exception_fp_ieee_invalid_op 0
		.amdhsa_exception_fp_denorm_src 0
		.amdhsa_exception_fp_ieee_div_zero 0
		.amdhsa_exception_fp_ieee_overflow 0
		.amdhsa_exception_fp_ieee_underflow 0
		.amdhsa_exception_fp_ieee_inexact 0
		.amdhsa_exception_int_div_zero 0
	.end_amdhsa_kernel
	.section	.text._ZN7rocprim17ROCPRIM_400000_NS6detail17trampoline_kernelINS0_14default_configENS1_22reduce_config_selectorIfEEZNS1_11reduce_implILb1ES3_PfS7_fN6thrust23THRUST_200600_302600_NS4plusIfEEEE10hipError_tPvRmT1_T2_T3_mT4_P12ihipStream_tbEUlT_E1_NS1_11comp_targetILNS1_3genE2ELNS1_11target_archE906ELNS1_3gpuE6ELNS1_3repE0EEENS1_30default_config_static_selectorELNS0_4arch9wavefront6targetE1EEEvSF_,"axG",@progbits,_ZN7rocprim17ROCPRIM_400000_NS6detail17trampoline_kernelINS0_14default_configENS1_22reduce_config_selectorIfEEZNS1_11reduce_implILb1ES3_PfS7_fN6thrust23THRUST_200600_302600_NS4plusIfEEEE10hipError_tPvRmT1_T2_T3_mT4_P12ihipStream_tbEUlT_E1_NS1_11comp_targetILNS1_3genE2ELNS1_11target_archE906ELNS1_3gpuE6ELNS1_3repE0EEENS1_30default_config_static_selectorELNS0_4arch9wavefront6targetE1EEEvSF_,comdat
.Lfunc_end52:
	.size	_ZN7rocprim17ROCPRIM_400000_NS6detail17trampoline_kernelINS0_14default_configENS1_22reduce_config_selectorIfEEZNS1_11reduce_implILb1ES3_PfS7_fN6thrust23THRUST_200600_302600_NS4plusIfEEEE10hipError_tPvRmT1_T2_T3_mT4_P12ihipStream_tbEUlT_E1_NS1_11comp_targetILNS1_3genE2ELNS1_11target_archE906ELNS1_3gpuE6ELNS1_3repE0EEENS1_30default_config_static_selectorELNS0_4arch9wavefront6targetE1EEEvSF_, .Lfunc_end52-_ZN7rocprim17ROCPRIM_400000_NS6detail17trampoline_kernelINS0_14default_configENS1_22reduce_config_selectorIfEEZNS1_11reduce_implILb1ES3_PfS7_fN6thrust23THRUST_200600_302600_NS4plusIfEEEE10hipError_tPvRmT1_T2_T3_mT4_P12ihipStream_tbEUlT_E1_NS1_11comp_targetILNS1_3genE2ELNS1_11target_archE906ELNS1_3gpuE6ELNS1_3repE0EEENS1_30default_config_static_selectorELNS0_4arch9wavefront6targetE1EEEvSF_
                                        ; -- End function
	.set _ZN7rocprim17ROCPRIM_400000_NS6detail17trampoline_kernelINS0_14default_configENS1_22reduce_config_selectorIfEEZNS1_11reduce_implILb1ES3_PfS7_fN6thrust23THRUST_200600_302600_NS4plusIfEEEE10hipError_tPvRmT1_T2_T3_mT4_P12ihipStream_tbEUlT_E1_NS1_11comp_targetILNS1_3genE2ELNS1_11target_archE906ELNS1_3gpuE6ELNS1_3repE0EEENS1_30default_config_static_selectorELNS0_4arch9wavefront6targetE1EEEvSF_.num_vgpr, 0
	.set _ZN7rocprim17ROCPRIM_400000_NS6detail17trampoline_kernelINS0_14default_configENS1_22reduce_config_selectorIfEEZNS1_11reduce_implILb1ES3_PfS7_fN6thrust23THRUST_200600_302600_NS4plusIfEEEE10hipError_tPvRmT1_T2_T3_mT4_P12ihipStream_tbEUlT_E1_NS1_11comp_targetILNS1_3genE2ELNS1_11target_archE906ELNS1_3gpuE6ELNS1_3repE0EEENS1_30default_config_static_selectorELNS0_4arch9wavefront6targetE1EEEvSF_.num_agpr, 0
	.set _ZN7rocprim17ROCPRIM_400000_NS6detail17trampoline_kernelINS0_14default_configENS1_22reduce_config_selectorIfEEZNS1_11reduce_implILb1ES3_PfS7_fN6thrust23THRUST_200600_302600_NS4plusIfEEEE10hipError_tPvRmT1_T2_T3_mT4_P12ihipStream_tbEUlT_E1_NS1_11comp_targetILNS1_3genE2ELNS1_11target_archE906ELNS1_3gpuE6ELNS1_3repE0EEENS1_30default_config_static_selectorELNS0_4arch9wavefront6targetE1EEEvSF_.numbered_sgpr, 0
	.set _ZN7rocprim17ROCPRIM_400000_NS6detail17trampoline_kernelINS0_14default_configENS1_22reduce_config_selectorIfEEZNS1_11reduce_implILb1ES3_PfS7_fN6thrust23THRUST_200600_302600_NS4plusIfEEEE10hipError_tPvRmT1_T2_T3_mT4_P12ihipStream_tbEUlT_E1_NS1_11comp_targetILNS1_3genE2ELNS1_11target_archE906ELNS1_3gpuE6ELNS1_3repE0EEENS1_30default_config_static_selectorELNS0_4arch9wavefront6targetE1EEEvSF_.num_named_barrier, 0
	.set _ZN7rocprim17ROCPRIM_400000_NS6detail17trampoline_kernelINS0_14default_configENS1_22reduce_config_selectorIfEEZNS1_11reduce_implILb1ES3_PfS7_fN6thrust23THRUST_200600_302600_NS4plusIfEEEE10hipError_tPvRmT1_T2_T3_mT4_P12ihipStream_tbEUlT_E1_NS1_11comp_targetILNS1_3genE2ELNS1_11target_archE906ELNS1_3gpuE6ELNS1_3repE0EEENS1_30default_config_static_selectorELNS0_4arch9wavefront6targetE1EEEvSF_.private_seg_size, 0
	.set _ZN7rocprim17ROCPRIM_400000_NS6detail17trampoline_kernelINS0_14default_configENS1_22reduce_config_selectorIfEEZNS1_11reduce_implILb1ES3_PfS7_fN6thrust23THRUST_200600_302600_NS4plusIfEEEE10hipError_tPvRmT1_T2_T3_mT4_P12ihipStream_tbEUlT_E1_NS1_11comp_targetILNS1_3genE2ELNS1_11target_archE906ELNS1_3gpuE6ELNS1_3repE0EEENS1_30default_config_static_selectorELNS0_4arch9wavefront6targetE1EEEvSF_.uses_vcc, 0
	.set _ZN7rocprim17ROCPRIM_400000_NS6detail17trampoline_kernelINS0_14default_configENS1_22reduce_config_selectorIfEEZNS1_11reduce_implILb1ES3_PfS7_fN6thrust23THRUST_200600_302600_NS4plusIfEEEE10hipError_tPvRmT1_T2_T3_mT4_P12ihipStream_tbEUlT_E1_NS1_11comp_targetILNS1_3genE2ELNS1_11target_archE906ELNS1_3gpuE6ELNS1_3repE0EEENS1_30default_config_static_selectorELNS0_4arch9wavefront6targetE1EEEvSF_.uses_flat_scratch, 0
	.set _ZN7rocprim17ROCPRIM_400000_NS6detail17trampoline_kernelINS0_14default_configENS1_22reduce_config_selectorIfEEZNS1_11reduce_implILb1ES3_PfS7_fN6thrust23THRUST_200600_302600_NS4plusIfEEEE10hipError_tPvRmT1_T2_T3_mT4_P12ihipStream_tbEUlT_E1_NS1_11comp_targetILNS1_3genE2ELNS1_11target_archE906ELNS1_3gpuE6ELNS1_3repE0EEENS1_30default_config_static_selectorELNS0_4arch9wavefront6targetE1EEEvSF_.has_dyn_sized_stack, 0
	.set _ZN7rocprim17ROCPRIM_400000_NS6detail17trampoline_kernelINS0_14default_configENS1_22reduce_config_selectorIfEEZNS1_11reduce_implILb1ES3_PfS7_fN6thrust23THRUST_200600_302600_NS4plusIfEEEE10hipError_tPvRmT1_T2_T3_mT4_P12ihipStream_tbEUlT_E1_NS1_11comp_targetILNS1_3genE2ELNS1_11target_archE906ELNS1_3gpuE6ELNS1_3repE0EEENS1_30default_config_static_selectorELNS0_4arch9wavefront6targetE1EEEvSF_.has_recursion, 0
	.set _ZN7rocprim17ROCPRIM_400000_NS6detail17trampoline_kernelINS0_14default_configENS1_22reduce_config_selectorIfEEZNS1_11reduce_implILb1ES3_PfS7_fN6thrust23THRUST_200600_302600_NS4plusIfEEEE10hipError_tPvRmT1_T2_T3_mT4_P12ihipStream_tbEUlT_E1_NS1_11comp_targetILNS1_3genE2ELNS1_11target_archE906ELNS1_3gpuE6ELNS1_3repE0EEENS1_30default_config_static_selectorELNS0_4arch9wavefront6targetE1EEEvSF_.has_indirect_call, 0
	.section	.AMDGPU.csdata,"",@progbits
; Kernel info:
; codeLenInByte = 0
; TotalNumSgprs: 6
; NumVgprs: 0
; NumAgprs: 0
; TotalNumVgprs: 0
; ScratchSize: 0
; MemoryBound: 0
; FloatMode: 240
; IeeeMode: 1
; LDSByteSize: 0 bytes/workgroup (compile time only)
; SGPRBlocks: 0
; VGPRBlocks: 0
; NumSGPRsForWavesPerEU: 6
; NumVGPRsForWavesPerEU: 1
; AccumOffset: 4
; Occupancy: 8
; WaveLimiterHint : 0
; COMPUTE_PGM_RSRC2:SCRATCH_EN: 0
; COMPUTE_PGM_RSRC2:USER_SGPR: 2
; COMPUTE_PGM_RSRC2:TRAP_HANDLER: 0
; COMPUTE_PGM_RSRC2:TGID_X_EN: 1
; COMPUTE_PGM_RSRC2:TGID_Y_EN: 0
; COMPUTE_PGM_RSRC2:TGID_Z_EN: 0
; COMPUTE_PGM_RSRC2:TIDIG_COMP_CNT: 0
; COMPUTE_PGM_RSRC3_GFX90A:ACCUM_OFFSET: 0
; COMPUTE_PGM_RSRC3_GFX90A:TG_SPLIT: 0
	.section	.text._ZN7rocprim17ROCPRIM_400000_NS6detail17trampoline_kernelINS0_14default_configENS1_22reduce_config_selectorIfEEZNS1_11reduce_implILb1ES3_PfS7_fN6thrust23THRUST_200600_302600_NS4plusIfEEEE10hipError_tPvRmT1_T2_T3_mT4_P12ihipStream_tbEUlT_E1_NS1_11comp_targetILNS1_3genE10ELNS1_11target_archE1201ELNS1_3gpuE5ELNS1_3repE0EEENS1_30default_config_static_selectorELNS0_4arch9wavefront6targetE1EEEvSF_,"axG",@progbits,_ZN7rocprim17ROCPRIM_400000_NS6detail17trampoline_kernelINS0_14default_configENS1_22reduce_config_selectorIfEEZNS1_11reduce_implILb1ES3_PfS7_fN6thrust23THRUST_200600_302600_NS4plusIfEEEE10hipError_tPvRmT1_T2_T3_mT4_P12ihipStream_tbEUlT_E1_NS1_11comp_targetILNS1_3genE10ELNS1_11target_archE1201ELNS1_3gpuE5ELNS1_3repE0EEENS1_30default_config_static_selectorELNS0_4arch9wavefront6targetE1EEEvSF_,comdat
	.protected	_ZN7rocprim17ROCPRIM_400000_NS6detail17trampoline_kernelINS0_14default_configENS1_22reduce_config_selectorIfEEZNS1_11reduce_implILb1ES3_PfS7_fN6thrust23THRUST_200600_302600_NS4plusIfEEEE10hipError_tPvRmT1_T2_T3_mT4_P12ihipStream_tbEUlT_E1_NS1_11comp_targetILNS1_3genE10ELNS1_11target_archE1201ELNS1_3gpuE5ELNS1_3repE0EEENS1_30default_config_static_selectorELNS0_4arch9wavefront6targetE1EEEvSF_ ; -- Begin function _ZN7rocprim17ROCPRIM_400000_NS6detail17trampoline_kernelINS0_14default_configENS1_22reduce_config_selectorIfEEZNS1_11reduce_implILb1ES3_PfS7_fN6thrust23THRUST_200600_302600_NS4plusIfEEEE10hipError_tPvRmT1_T2_T3_mT4_P12ihipStream_tbEUlT_E1_NS1_11comp_targetILNS1_3genE10ELNS1_11target_archE1201ELNS1_3gpuE5ELNS1_3repE0EEENS1_30default_config_static_selectorELNS0_4arch9wavefront6targetE1EEEvSF_
	.globl	_ZN7rocprim17ROCPRIM_400000_NS6detail17trampoline_kernelINS0_14default_configENS1_22reduce_config_selectorIfEEZNS1_11reduce_implILb1ES3_PfS7_fN6thrust23THRUST_200600_302600_NS4plusIfEEEE10hipError_tPvRmT1_T2_T3_mT4_P12ihipStream_tbEUlT_E1_NS1_11comp_targetILNS1_3genE10ELNS1_11target_archE1201ELNS1_3gpuE5ELNS1_3repE0EEENS1_30default_config_static_selectorELNS0_4arch9wavefront6targetE1EEEvSF_
	.p2align	8
	.type	_ZN7rocprim17ROCPRIM_400000_NS6detail17trampoline_kernelINS0_14default_configENS1_22reduce_config_selectorIfEEZNS1_11reduce_implILb1ES3_PfS7_fN6thrust23THRUST_200600_302600_NS4plusIfEEEE10hipError_tPvRmT1_T2_T3_mT4_P12ihipStream_tbEUlT_E1_NS1_11comp_targetILNS1_3genE10ELNS1_11target_archE1201ELNS1_3gpuE5ELNS1_3repE0EEENS1_30default_config_static_selectorELNS0_4arch9wavefront6targetE1EEEvSF_,@function
_ZN7rocprim17ROCPRIM_400000_NS6detail17trampoline_kernelINS0_14default_configENS1_22reduce_config_selectorIfEEZNS1_11reduce_implILb1ES3_PfS7_fN6thrust23THRUST_200600_302600_NS4plusIfEEEE10hipError_tPvRmT1_T2_T3_mT4_P12ihipStream_tbEUlT_E1_NS1_11comp_targetILNS1_3genE10ELNS1_11target_archE1201ELNS1_3gpuE5ELNS1_3repE0EEENS1_30default_config_static_selectorELNS0_4arch9wavefront6targetE1EEEvSF_: ; @_ZN7rocprim17ROCPRIM_400000_NS6detail17trampoline_kernelINS0_14default_configENS1_22reduce_config_selectorIfEEZNS1_11reduce_implILb1ES3_PfS7_fN6thrust23THRUST_200600_302600_NS4plusIfEEEE10hipError_tPvRmT1_T2_T3_mT4_P12ihipStream_tbEUlT_E1_NS1_11comp_targetILNS1_3genE10ELNS1_11target_archE1201ELNS1_3gpuE5ELNS1_3repE0EEENS1_30default_config_static_selectorELNS0_4arch9wavefront6targetE1EEEvSF_
; %bb.0:
	.section	.rodata,"a",@progbits
	.p2align	6, 0x0
	.amdhsa_kernel _ZN7rocprim17ROCPRIM_400000_NS6detail17trampoline_kernelINS0_14default_configENS1_22reduce_config_selectorIfEEZNS1_11reduce_implILb1ES3_PfS7_fN6thrust23THRUST_200600_302600_NS4plusIfEEEE10hipError_tPvRmT1_T2_T3_mT4_P12ihipStream_tbEUlT_E1_NS1_11comp_targetILNS1_3genE10ELNS1_11target_archE1201ELNS1_3gpuE5ELNS1_3repE0EEENS1_30default_config_static_selectorELNS0_4arch9wavefront6targetE1EEEvSF_
		.amdhsa_group_segment_fixed_size 0
		.amdhsa_private_segment_fixed_size 0
		.amdhsa_kernarg_size 40
		.amdhsa_user_sgpr_count 2
		.amdhsa_user_sgpr_dispatch_ptr 0
		.amdhsa_user_sgpr_queue_ptr 0
		.amdhsa_user_sgpr_kernarg_segment_ptr 1
		.amdhsa_user_sgpr_dispatch_id 0
		.amdhsa_user_sgpr_kernarg_preload_length 0
		.amdhsa_user_sgpr_kernarg_preload_offset 0
		.amdhsa_user_sgpr_private_segment_size 0
		.amdhsa_uses_dynamic_stack 0
		.amdhsa_enable_private_segment 0
		.amdhsa_system_sgpr_workgroup_id_x 1
		.amdhsa_system_sgpr_workgroup_id_y 0
		.amdhsa_system_sgpr_workgroup_id_z 0
		.amdhsa_system_sgpr_workgroup_info 0
		.amdhsa_system_vgpr_workitem_id 0
		.amdhsa_next_free_vgpr 1
		.amdhsa_next_free_sgpr 0
		.amdhsa_accum_offset 4
		.amdhsa_reserve_vcc 0
		.amdhsa_float_round_mode_32 0
		.amdhsa_float_round_mode_16_64 0
		.amdhsa_float_denorm_mode_32 3
		.amdhsa_float_denorm_mode_16_64 3
		.amdhsa_dx10_clamp 1
		.amdhsa_ieee_mode 1
		.amdhsa_fp16_overflow 0
		.amdhsa_tg_split 0
		.amdhsa_exception_fp_ieee_invalid_op 0
		.amdhsa_exception_fp_denorm_src 0
		.amdhsa_exception_fp_ieee_div_zero 0
		.amdhsa_exception_fp_ieee_overflow 0
		.amdhsa_exception_fp_ieee_underflow 0
		.amdhsa_exception_fp_ieee_inexact 0
		.amdhsa_exception_int_div_zero 0
	.end_amdhsa_kernel
	.section	.text._ZN7rocprim17ROCPRIM_400000_NS6detail17trampoline_kernelINS0_14default_configENS1_22reduce_config_selectorIfEEZNS1_11reduce_implILb1ES3_PfS7_fN6thrust23THRUST_200600_302600_NS4plusIfEEEE10hipError_tPvRmT1_T2_T3_mT4_P12ihipStream_tbEUlT_E1_NS1_11comp_targetILNS1_3genE10ELNS1_11target_archE1201ELNS1_3gpuE5ELNS1_3repE0EEENS1_30default_config_static_selectorELNS0_4arch9wavefront6targetE1EEEvSF_,"axG",@progbits,_ZN7rocprim17ROCPRIM_400000_NS6detail17trampoline_kernelINS0_14default_configENS1_22reduce_config_selectorIfEEZNS1_11reduce_implILb1ES3_PfS7_fN6thrust23THRUST_200600_302600_NS4plusIfEEEE10hipError_tPvRmT1_T2_T3_mT4_P12ihipStream_tbEUlT_E1_NS1_11comp_targetILNS1_3genE10ELNS1_11target_archE1201ELNS1_3gpuE5ELNS1_3repE0EEENS1_30default_config_static_selectorELNS0_4arch9wavefront6targetE1EEEvSF_,comdat
.Lfunc_end53:
	.size	_ZN7rocprim17ROCPRIM_400000_NS6detail17trampoline_kernelINS0_14default_configENS1_22reduce_config_selectorIfEEZNS1_11reduce_implILb1ES3_PfS7_fN6thrust23THRUST_200600_302600_NS4plusIfEEEE10hipError_tPvRmT1_T2_T3_mT4_P12ihipStream_tbEUlT_E1_NS1_11comp_targetILNS1_3genE10ELNS1_11target_archE1201ELNS1_3gpuE5ELNS1_3repE0EEENS1_30default_config_static_selectorELNS0_4arch9wavefront6targetE1EEEvSF_, .Lfunc_end53-_ZN7rocprim17ROCPRIM_400000_NS6detail17trampoline_kernelINS0_14default_configENS1_22reduce_config_selectorIfEEZNS1_11reduce_implILb1ES3_PfS7_fN6thrust23THRUST_200600_302600_NS4plusIfEEEE10hipError_tPvRmT1_T2_T3_mT4_P12ihipStream_tbEUlT_E1_NS1_11comp_targetILNS1_3genE10ELNS1_11target_archE1201ELNS1_3gpuE5ELNS1_3repE0EEENS1_30default_config_static_selectorELNS0_4arch9wavefront6targetE1EEEvSF_
                                        ; -- End function
	.set _ZN7rocprim17ROCPRIM_400000_NS6detail17trampoline_kernelINS0_14default_configENS1_22reduce_config_selectorIfEEZNS1_11reduce_implILb1ES3_PfS7_fN6thrust23THRUST_200600_302600_NS4plusIfEEEE10hipError_tPvRmT1_T2_T3_mT4_P12ihipStream_tbEUlT_E1_NS1_11comp_targetILNS1_3genE10ELNS1_11target_archE1201ELNS1_3gpuE5ELNS1_3repE0EEENS1_30default_config_static_selectorELNS0_4arch9wavefront6targetE1EEEvSF_.num_vgpr, 0
	.set _ZN7rocprim17ROCPRIM_400000_NS6detail17trampoline_kernelINS0_14default_configENS1_22reduce_config_selectorIfEEZNS1_11reduce_implILb1ES3_PfS7_fN6thrust23THRUST_200600_302600_NS4plusIfEEEE10hipError_tPvRmT1_T2_T3_mT4_P12ihipStream_tbEUlT_E1_NS1_11comp_targetILNS1_3genE10ELNS1_11target_archE1201ELNS1_3gpuE5ELNS1_3repE0EEENS1_30default_config_static_selectorELNS0_4arch9wavefront6targetE1EEEvSF_.num_agpr, 0
	.set _ZN7rocprim17ROCPRIM_400000_NS6detail17trampoline_kernelINS0_14default_configENS1_22reduce_config_selectorIfEEZNS1_11reduce_implILb1ES3_PfS7_fN6thrust23THRUST_200600_302600_NS4plusIfEEEE10hipError_tPvRmT1_T2_T3_mT4_P12ihipStream_tbEUlT_E1_NS1_11comp_targetILNS1_3genE10ELNS1_11target_archE1201ELNS1_3gpuE5ELNS1_3repE0EEENS1_30default_config_static_selectorELNS0_4arch9wavefront6targetE1EEEvSF_.numbered_sgpr, 0
	.set _ZN7rocprim17ROCPRIM_400000_NS6detail17trampoline_kernelINS0_14default_configENS1_22reduce_config_selectorIfEEZNS1_11reduce_implILb1ES3_PfS7_fN6thrust23THRUST_200600_302600_NS4plusIfEEEE10hipError_tPvRmT1_T2_T3_mT4_P12ihipStream_tbEUlT_E1_NS1_11comp_targetILNS1_3genE10ELNS1_11target_archE1201ELNS1_3gpuE5ELNS1_3repE0EEENS1_30default_config_static_selectorELNS0_4arch9wavefront6targetE1EEEvSF_.num_named_barrier, 0
	.set _ZN7rocprim17ROCPRIM_400000_NS6detail17trampoline_kernelINS0_14default_configENS1_22reduce_config_selectorIfEEZNS1_11reduce_implILb1ES3_PfS7_fN6thrust23THRUST_200600_302600_NS4plusIfEEEE10hipError_tPvRmT1_T2_T3_mT4_P12ihipStream_tbEUlT_E1_NS1_11comp_targetILNS1_3genE10ELNS1_11target_archE1201ELNS1_3gpuE5ELNS1_3repE0EEENS1_30default_config_static_selectorELNS0_4arch9wavefront6targetE1EEEvSF_.private_seg_size, 0
	.set _ZN7rocprim17ROCPRIM_400000_NS6detail17trampoline_kernelINS0_14default_configENS1_22reduce_config_selectorIfEEZNS1_11reduce_implILb1ES3_PfS7_fN6thrust23THRUST_200600_302600_NS4plusIfEEEE10hipError_tPvRmT1_T2_T3_mT4_P12ihipStream_tbEUlT_E1_NS1_11comp_targetILNS1_3genE10ELNS1_11target_archE1201ELNS1_3gpuE5ELNS1_3repE0EEENS1_30default_config_static_selectorELNS0_4arch9wavefront6targetE1EEEvSF_.uses_vcc, 0
	.set _ZN7rocprim17ROCPRIM_400000_NS6detail17trampoline_kernelINS0_14default_configENS1_22reduce_config_selectorIfEEZNS1_11reduce_implILb1ES3_PfS7_fN6thrust23THRUST_200600_302600_NS4plusIfEEEE10hipError_tPvRmT1_T2_T3_mT4_P12ihipStream_tbEUlT_E1_NS1_11comp_targetILNS1_3genE10ELNS1_11target_archE1201ELNS1_3gpuE5ELNS1_3repE0EEENS1_30default_config_static_selectorELNS0_4arch9wavefront6targetE1EEEvSF_.uses_flat_scratch, 0
	.set _ZN7rocprim17ROCPRIM_400000_NS6detail17trampoline_kernelINS0_14default_configENS1_22reduce_config_selectorIfEEZNS1_11reduce_implILb1ES3_PfS7_fN6thrust23THRUST_200600_302600_NS4plusIfEEEE10hipError_tPvRmT1_T2_T3_mT4_P12ihipStream_tbEUlT_E1_NS1_11comp_targetILNS1_3genE10ELNS1_11target_archE1201ELNS1_3gpuE5ELNS1_3repE0EEENS1_30default_config_static_selectorELNS0_4arch9wavefront6targetE1EEEvSF_.has_dyn_sized_stack, 0
	.set _ZN7rocprim17ROCPRIM_400000_NS6detail17trampoline_kernelINS0_14default_configENS1_22reduce_config_selectorIfEEZNS1_11reduce_implILb1ES3_PfS7_fN6thrust23THRUST_200600_302600_NS4plusIfEEEE10hipError_tPvRmT1_T2_T3_mT4_P12ihipStream_tbEUlT_E1_NS1_11comp_targetILNS1_3genE10ELNS1_11target_archE1201ELNS1_3gpuE5ELNS1_3repE0EEENS1_30default_config_static_selectorELNS0_4arch9wavefront6targetE1EEEvSF_.has_recursion, 0
	.set _ZN7rocprim17ROCPRIM_400000_NS6detail17trampoline_kernelINS0_14default_configENS1_22reduce_config_selectorIfEEZNS1_11reduce_implILb1ES3_PfS7_fN6thrust23THRUST_200600_302600_NS4plusIfEEEE10hipError_tPvRmT1_T2_T3_mT4_P12ihipStream_tbEUlT_E1_NS1_11comp_targetILNS1_3genE10ELNS1_11target_archE1201ELNS1_3gpuE5ELNS1_3repE0EEENS1_30default_config_static_selectorELNS0_4arch9wavefront6targetE1EEEvSF_.has_indirect_call, 0
	.section	.AMDGPU.csdata,"",@progbits
; Kernel info:
; codeLenInByte = 0
; TotalNumSgprs: 6
; NumVgprs: 0
; NumAgprs: 0
; TotalNumVgprs: 0
; ScratchSize: 0
; MemoryBound: 0
; FloatMode: 240
; IeeeMode: 1
; LDSByteSize: 0 bytes/workgroup (compile time only)
; SGPRBlocks: 0
; VGPRBlocks: 0
; NumSGPRsForWavesPerEU: 6
; NumVGPRsForWavesPerEU: 1
; AccumOffset: 4
; Occupancy: 8
; WaveLimiterHint : 0
; COMPUTE_PGM_RSRC2:SCRATCH_EN: 0
; COMPUTE_PGM_RSRC2:USER_SGPR: 2
; COMPUTE_PGM_RSRC2:TRAP_HANDLER: 0
; COMPUTE_PGM_RSRC2:TGID_X_EN: 1
; COMPUTE_PGM_RSRC2:TGID_Y_EN: 0
; COMPUTE_PGM_RSRC2:TGID_Z_EN: 0
; COMPUTE_PGM_RSRC2:TIDIG_COMP_CNT: 0
; COMPUTE_PGM_RSRC3_GFX90A:ACCUM_OFFSET: 0
; COMPUTE_PGM_RSRC3_GFX90A:TG_SPLIT: 0
	.section	.text._ZN7rocprim17ROCPRIM_400000_NS6detail17trampoline_kernelINS0_14default_configENS1_22reduce_config_selectorIfEEZNS1_11reduce_implILb1ES3_PfS7_fN6thrust23THRUST_200600_302600_NS4plusIfEEEE10hipError_tPvRmT1_T2_T3_mT4_P12ihipStream_tbEUlT_E1_NS1_11comp_targetILNS1_3genE10ELNS1_11target_archE1200ELNS1_3gpuE4ELNS1_3repE0EEENS1_30default_config_static_selectorELNS0_4arch9wavefront6targetE1EEEvSF_,"axG",@progbits,_ZN7rocprim17ROCPRIM_400000_NS6detail17trampoline_kernelINS0_14default_configENS1_22reduce_config_selectorIfEEZNS1_11reduce_implILb1ES3_PfS7_fN6thrust23THRUST_200600_302600_NS4plusIfEEEE10hipError_tPvRmT1_T2_T3_mT4_P12ihipStream_tbEUlT_E1_NS1_11comp_targetILNS1_3genE10ELNS1_11target_archE1200ELNS1_3gpuE4ELNS1_3repE0EEENS1_30default_config_static_selectorELNS0_4arch9wavefront6targetE1EEEvSF_,comdat
	.protected	_ZN7rocprim17ROCPRIM_400000_NS6detail17trampoline_kernelINS0_14default_configENS1_22reduce_config_selectorIfEEZNS1_11reduce_implILb1ES3_PfS7_fN6thrust23THRUST_200600_302600_NS4plusIfEEEE10hipError_tPvRmT1_T2_T3_mT4_P12ihipStream_tbEUlT_E1_NS1_11comp_targetILNS1_3genE10ELNS1_11target_archE1200ELNS1_3gpuE4ELNS1_3repE0EEENS1_30default_config_static_selectorELNS0_4arch9wavefront6targetE1EEEvSF_ ; -- Begin function _ZN7rocprim17ROCPRIM_400000_NS6detail17trampoline_kernelINS0_14default_configENS1_22reduce_config_selectorIfEEZNS1_11reduce_implILb1ES3_PfS7_fN6thrust23THRUST_200600_302600_NS4plusIfEEEE10hipError_tPvRmT1_T2_T3_mT4_P12ihipStream_tbEUlT_E1_NS1_11comp_targetILNS1_3genE10ELNS1_11target_archE1200ELNS1_3gpuE4ELNS1_3repE0EEENS1_30default_config_static_selectorELNS0_4arch9wavefront6targetE1EEEvSF_
	.globl	_ZN7rocprim17ROCPRIM_400000_NS6detail17trampoline_kernelINS0_14default_configENS1_22reduce_config_selectorIfEEZNS1_11reduce_implILb1ES3_PfS7_fN6thrust23THRUST_200600_302600_NS4plusIfEEEE10hipError_tPvRmT1_T2_T3_mT4_P12ihipStream_tbEUlT_E1_NS1_11comp_targetILNS1_3genE10ELNS1_11target_archE1200ELNS1_3gpuE4ELNS1_3repE0EEENS1_30default_config_static_selectorELNS0_4arch9wavefront6targetE1EEEvSF_
	.p2align	8
	.type	_ZN7rocprim17ROCPRIM_400000_NS6detail17trampoline_kernelINS0_14default_configENS1_22reduce_config_selectorIfEEZNS1_11reduce_implILb1ES3_PfS7_fN6thrust23THRUST_200600_302600_NS4plusIfEEEE10hipError_tPvRmT1_T2_T3_mT4_P12ihipStream_tbEUlT_E1_NS1_11comp_targetILNS1_3genE10ELNS1_11target_archE1200ELNS1_3gpuE4ELNS1_3repE0EEENS1_30default_config_static_selectorELNS0_4arch9wavefront6targetE1EEEvSF_,@function
_ZN7rocprim17ROCPRIM_400000_NS6detail17trampoline_kernelINS0_14default_configENS1_22reduce_config_selectorIfEEZNS1_11reduce_implILb1ES3_PfS7_fN6thrust23THRUST_200600_302600_NS4plusIfEEEE10hipError_tPvRmT1_T2_T3_mT4_P12ihipStream_tbEUlT_E1_NS1_11comp_targetILNS1_3genE10ELNS1_11target_archE1200ELNS1_3gpuE4ELNS1_3repE0EEENS1_30default_config_static_selectorELNS0_4arch9wavefront6targetE1EEEvSF_: ; @_ZN7rocprim17ROCPRIM_400000_NS6detail17trampoline_kernelINS0_14default_configENS1_22reduce_config_selectorIfEEZNS1_11reduce_implILb1ES3_PfS7_fN6thrust23THRUST_200600_302600_NS4plusIfEEEE10hipError_tPvRmT1_T2_T3_mT4_P12ihipStream_tbEUlT_E1_NS1_11comp_targetILNS1_3genE10ELNS1_11target_archE1200ELNS1_3gpuE4ELNS1_3repE0EEENS1_30default_config_static_selectorELNS0_4arch9wavefront6targetE1EEEvSF_
; %bb.0:
	.section	.rodata,"a",@progbits
	.p2align	6, 0x0
	.amdhsa_kernel _ZN7rocprim17ROCPRIM_400000_NS6detail17trampoline_kernelINS0_14default_configENS1_22reduce_config_selectorIfEEZNS1_11reduce_implILb1ES3_PfS7_fN6thrust23THRUST_200600_302600_NS4plusIfEEEE10hipError_tPvRmT1_T2_T3_mT4_P12ihipStream_tbEUlT_E1_NS1_11comp_targetILNS1_3genE10ELNS1_11target_archE1200ELNS1_3gpuE4ELNS1_3repE0EEENS1_30default_config_static_selectorELNS0_4arch9wavefront6targetE1EEEvSF_
		.amdhsa_group_segment_fixed_size 0
		.amdhsa_private_segment_fixed_size 0
		.amdhsa_kernarg_size 40
		.amdhsa_user_sgpr_count 2
		.amdhsa_user_sgpr_dispatch_ptr 0
		.amdhsa_user_sgpr_queue_ptr 0
		.amdhsa_user_sgpr_kernarg_segment_ptr 1
		.amdhsa_user_sgpr_dispatch_id 0
		.amdhsa_user_sgpr_kernarg_preload_length 0
		.amdhsa_user_sgpr_kernarg_preload_offset 0
		.amdhsa_user_sgpr_private_segment_size 0
		.amdhsa_uses_dynamic_stack 0
		.amdhsa_enable_private_segment 0
		.amdhsa_system_sgpr_workgroup_id_x 1
		.amdhsa_system_sgpr_workgroup_id_y 0
		.amdhsa_system_sgpr_workgroup_id_z 0
		.amdhsa_system_sgpr_workgroup_info 0
		.amdhsa_system_vgpr_workitem_id 0
		.amdhsa_next_free_vgpr 1
		.amdhsa_next_free_sgpr 0
		.amdhsa_accum_offset 4
		.amdhsa_reserve_vcc 0
		.amdhsa_float_round_mode_32 0
		.amdhsa_float_round_mode_16_64 0
		.amdhsa_float_denorm_mode_32 3
		.amdhsa_float_denorm_mode_16_64 3
		.amdhsa_dx10_clamp 1
		.amdhsa_ieee_mode 1
		.amdhsa_fp16_overflow 0
		.amdhsa_tg_split 0
		.amdhsa_exception_fp_ieee_invalid_op 0
		.amdhsa_exception_fp_denorm_src 0
		.amdhsa_exception_fp_ieee_div_zero 0
		.amdhsa_exception_fp_ieee_overflow 0
		.amdhsa_exception_fp_ieee_underflow 0
		.amdhsa_exception_fp_ieee_inexact 0
		.amdhsa_exception_int_div_zero 0
	.end_amdhsa_kernel
	.section	.text._ZN7rocprim17ROCPRIM_400000_NS6detail17trampoline_kernelINS0_14default_configENS1_22reduce_config_selectorIfEEZNS1_11reduce_implILb1ES3_PfS7_fN6thrust23THRUST_200600_302600_NS4plusIfEEEE10hipError_tPvRmT1_T2_T3_mT4_P12ihipStream_tbEUlT_E1_NS1_11comp_targetILNS1_3genE10ELNS1_11target_archE1200ELNS1_3gpuE4ELNS1_3repE0EEENS1_30default_config_static_selectorELNS0_4arch9wavefront6targetE1EEEvSF_,"axG",@progbits,_ZN7rocprim17ROCPRIM_400000_NS6detail17trampoline_kernelINS0_14default_configENS1_22reduce_config_selectorIfEEZNS1_11reduce_implILb1ES3_PfS7_fN6thrust23THRUST_200600_302600_NS4plusIfEEEE10hipError_tPvRmT1_T2_T3_mT4_P12ihipStream_tbEUlT_E1_NS1_11comp_targetILNS1_3genE10ELNS1_11target_archE1200ELNS1_3gpuE4ELNS1_3repE0EEENS1_30default_config_static_selectorELNS0_4arch9wavefront6targetE1EEEvSF_,comdat
.Lfunc_end54:
	.size	_ZN7rocprim17ROCPRIM_400000_NS6detail17trampoline_kernelINS0_14default_configENS1_22reduce_config_selectorIfEEZNS1_11reduce_implILb1ES3_PfS7_fN6thrust23THRUST_200600_302600_NS4plusIfEEEE10hipError_tPvRmT1_T2_T3_mT4_P12ihipStream_tbEUlT_E1_NS1_11comp_targetILNS1_3genE10ELNS1_11target_archE1200ELNS1_3gpuE4ELNS1_3repE0EEENS1_30default_config_static_selectorELNS0_4arch9wavefront6targetE1EEEvSF_, .Lfunc_end54-_ZN7rocprim17ROCPRIM_400000_NS6detail17trampoline_kernelINS0_14default_configENS1_22reduce_config_selectorIfEEZNS1_11reduce_implILb1ES3_PfS7_fN6thrust23THRUST_200600_302600_NS4plusIfEEEE10hipError_tPvRmT1_T2_T3_mT4_P12ihipStream_tbEUlT_E1_NS1_11comp_targetILNS1_3genE10ELNS1_11target_archE1200ELNS1_3gpuE4ELNS1_3repE0EEENS1_30default_config_static_selectorELNS0_4arch9wavefront6targetE1EEEvSF_
                                        ; -- End function
	.set _ZN7rocprim17ROCPRIM_400000_NS6detail17trampoline_kernelINS0_14default_configENS1_22reduce_config_selectorIfEEZNS1_11reduce_implILb1ES3_PfS7_fN6thrust23THRUST_200600_302600_NS4plusIfEEEE10hipError_tPvRmT1_T2_T3_mT4_P12ihipStream_tbEUlT_E1_NS1_11comp_targetILNS1_3genE10ELNS1_11target_archE1200ELNS1_3gpuE4ELNS1_3repE0EEENS1_30default_config_static_selectorELNS0_4arch9wavefront6targetE1EEEvSF_.num_vgpr, 0
	.set _ZN7rocprim17ROCPRIM_400000_NS6detail17trampoline_kernelINS0_14default_configENS1_22reduce_config_selectorIfEEZNS1_11reduce_implILb1ES3_PfS7_fN6thrust23THRUST_200600_302600_NS4plusIfEEEE10hipError_tPvRmT1_T2_T3_mT4_P12ihipStream_tbEUlT_E1_NS1_11comp_targetILNS1_3genE10ELNS1_11target_archE1200ELNS1_3gpuE4ELNS1_3repE0EEENS1_30default_config_static_selectorELNS0_4arch9wavefront6targetE1EEEvSF_.num_agpr, 0
	.set _ZN7rocprim17ROCPRIM_400000_NS6detail17trampoline_kernelINS0_14default_configENS1_22reduce_config_selectorIfEEZNS1_11reduce_implILb1ES3_PfS7_fN6thrust23THRUST_200600_302600_NS4plusIfEEEE10hipError_tPvRmT1_T2_T3_mT4_P12ihipStream_tbEUlT_E1_NS1_11comp_targetILNS1_3genE10ELNS1_11target_archE1200ELNS1_3gpuE4ELNS1_3repE0EEENS1_30default_config_static_selectorELNS0_4arch9wavefront6targetE1EEEvSF_.numbered_sgpr, 0
	.set _ZN7rocprim17ROCPRIM_400000_NS6detail17trampoline_kernelINS0_14default_configENS1_22reduce_config_selectorIfEEZNS1_11reduce_implILb1ES3_PfS7_fN6thrust23THRUST_200600_302600_NS4plusIfEEEE10hipError_tPvRmT1_T2_T3_mT4_P12ihipStream_tbEUlT_E1_NS1_11comp_targetILNS1_3genE10ELNS1_11target_archE1200ELNS1_3gpuE4ELNS1_3repE0EEENS1_30default_config_static_selectorELNS0_4arch9wavefront6targetE1EEEvSF_.num_named_barrier, 0
	.set _ZN7rocprim17ROCPRIM_400000_NS6detail17trampoline_kernelINS0_14default_configENS1_22reduce_config_selectorIfEEZNS1_11reduce_implILb1ES3_PfS7_fN6thrust23THRUST_200600_302600_NS4plusIfEEEE10hipError_tPvRmT1_T2_T3_mT4_P12ihipStream_tbEUlT_E1_NS1_11comp_targetILNS1_3genE10ELNS1_11target_archE1200ELNS1_3gpuE4ELNS1_3repE0EEENS1_30default_config_static_selectorELNS0_4arch9wavefront6targetE1EEEvSF_.private_seg_size, 0
	.set _ZN7rocprim17ROCPRIM_400000_NS6detail17trampoline_kernelINS0_14default_configENS1_22reduce_config_selectorIfEEZNS1_11reduce_implILb1ES3_PfS7_fN6thrust23THRUST_200600_302600_NS4plusIfEEEE10hipError_tPvRmT1_T2_T3_mT4_P12ihipStream_tbEUlT_E1_NS1_11comp_targetILNS1_3genE10ELNS1_11target_archE1200ELNS1_3gpuE4ELNS1_3repE0EEENS1_30default_config_static_selectorELNS0_4arch9wavefront6targetE1EEEvSF_.uses_vcc, 0
	.set _ZN7rocprim17ROCPRIM_400000_NS6detail17trampoline_kernelINS0_14default_configENS1_22reduce_config_selectorIfEEZNS1_11reduce_implILb1ES3_PfS7_fN6thrust23THRUST_200600_302600_NS4plusIfEEEE10hipError_tPvRmT1_T2_T3_mT4_P12ihipStream_tbEUlT_E1_NS1_11comp_targetILNS1_3genE10ELNS1_11target_archE1200ELNS1_3gpuE4ELNS1_3repE0EEENS1_30default_config_static_selectorELNS0_4arch9wavefront6targetE1EEEvSF_.uses_flat_scratch, 0
	.set _ZN7rocprim17ROCPRIM_400000_NS6detail17trampoline_kernelINS0_14default_configENS1_22reduce_config_selectorIfEEZNS1_11reduce_implILb1ES3_PfS7_fN6thrust23THRUST_200600_302600_NS4plusIfEEEE10hipError_tPvRmT1_T2_T3_mT4_P12ihipStream_tbEUlT_E1_NS1_11comp_targetILNS1_3genE10ELNS1_11target_archE1200ELNS1_3gpuE4ELNS1_3repE0EEENS1_30default_config_static_selectorELNS0_4arch9wavefront6targetE1EEEvSF_.has_dyn_sized_stack, 0
	.set _ZN7rocprim17ROCPRIM_400000_NS6detail17trampoline_kernelINS0_14default_configENS1_22reduce_config_selectorIfEEZNS1_11reduce_implILb1ES3_PfS7_fN6thrust23THRUST_200600_302600_NS4plusIfEEEE10hipError_tPvRmT1_T2_T3_mT4_P12ihipStream_tbEUlT_E1_NS1_11comp_targetILNS1_3genE10ELNS1_11target_archE1200ELNS1_3gpuE4ELNS1_3repE0EEENS1_30default_config_static_selectorELNS0_4arch9wavefront6targetE1EEEvSF_.has_recursion, 0
	.set _ZN7rocprim17ROCPRIM_400000_NS6detail17trampoline_kernelINS0_14default_configENS1_22reduce_config_selectorIfEEZNS1_11reduce_implILb1ES3_PfS7_fN6thrust23THRUST_200600_302600_NS4plusIfEEEE10hipError_tPvRmT1_T2_T3_mT4_P12ihipStream_tbEUlT_E1_NS1_11comp_targetILNS1_3genE10ELNS1_11target_archE1200ELNS1_3gpuE4ELNS1_3repE0EEENS1_30default_config_static_selectorELNS0_4arch9wavefront6targetE1EEEvSF_.has_indirect_call, 0
	.section	.AMDGPU.csdata,"",@progbits
; Kernel info:
; codeLenInByte = 0
; TotalNumSgprs: 6
; NumVgprs: 0
; NumAgprs: 0
; TotalNumVgprs: 0
; ScratchSize: 0
; MemoryBound: 0
; FloatMode: 240
; IeeeMode: 1
; LDSByteSize: 0 bytes/workgroup (compile time only)
; SGPRBlocks: 0
; VGPRBlocks: 0
; NumSGPRsForWavesPerEU: 6
; NumVGPRsForWavesPerEU: 1
; AccumOffset: 4
; Occupancy: 8
; WaveLimiterHint : 0
; COMPUTE_PGM_RSRC2:SCRATCH_EN: 0
; COMPUTE_PGM_RSRC2:USER_SGPR: 2
; COMPUTE_PGM_RSRC2:TRAP_HANDLER: 0
; COMPUTE_PGM_RSRC2:TGID_X_EN: 1
; COMPUTE_PGM_RSRC2:TGID_Y_EN: 0
; COMPUTE_PGM_RSRC2:TGID_Z_EN: 0
; COMPUTE_PGM_RSRC2:TIDIG_COMP_CNT: 0
; COMPUTE_PGM_RSRC3_GFX90A:ACCUM_OFFSET: 0
; COMPUTE_PGM_RSRC3_GFX90A:TG_SPLIT: 0
	.section	.text._ZN7rocprim17ROCPRIM_400000_NS6detail17trampoline_kernelINS0_14default_configENS1_22reduce_config_selectorIfEEZNS1_11reduce_implILb1ES3_PfS7_fN6thrust23THRUST_200600_302600_NS4plusIfEEEE10hipError_tPvRmT1_T2_T3_mT4_P12ihipStream_tbEUlT_E1_NS1_11comp_targetILNS1_3genE9ELNS1_11target_archE1100ELNS1_3gpuE3ELNS1_3repE0EEENS1_30default_config_static_selectorELNS0_4arch9wavefront6targetE1EEEvSF_,"axG",@progbits,_ZN7rocprim17ROCPRIM_400000_NS6detail17trampoline_kernelINS0_14default_configENS1_22reduce_config_selectorIfEEZNS1_11reduce_implILb1ES3_PfS7_fN6thrust23THRUST_200600_302600_NS4plusIfEEEE10hipError_tPvRmT1_T2_T3_mT4_P12ihipStream_tbEUlT_E1_NS1_11comp_targetILNS1_3genE9ELNS1_11target_archE1100ELNS1_3gpuE3ELNS1_3repE0EEENS1_30default_config_static_selectorELNS0_4arch9wavefront6targetE1EEEvSF_,comdat
	.protected	_ZN7rocprim17ROCPRIM_400000_NS6detail17trampoline_kernelINS0_14default_configENS1_22reduce_config_selectorIfEEZNS1_11reduce_implILb1ES3_PfS7_fN6thrust23THRUST_200600_302600_NS4plusIfEEEE10hipError_tPvRmT1_T2_T3_mT4_P12ihipStream_tbEUlT_E1_NS1_11comp_targetILNS1_3genE9ELNS1_11target_archE1100ELNS1_3gpuE3ELNS1_3repE0EEENS1_30default_config_static_selectorELNS0_4arch9wavefront6targetE1EEEvSF_ ; -- Begin function _ZN7rocprim17ROCPRIM_400000_NS6detail17trampoline_kernelINS0_14default_configENS1_22reduce_config_selectorIfEEZNS1_11reduce_implILb1ES3_PfS7_fN6thrust23THRUST_200600_302600_NS4plusIfEEEE10hipError_tPvRmT1_T2_T3_mT4_P12ihipStream_tbEUlT_E1_NS1_11comp_targetILNS1_3genE9ELNS1_11target_archE1100ELNS1_3gpuE3ELNS1_3repE0EEENS1_30default_config_static_selectorELNS0_4arch9wavefront6targetE1EEEvSF_
	.globl	_ZN7rocprim17ROCPRIM_400000_NS6detail17trampoline_kernelINS0_14default_configENS1_22reduce_config_selectorIfEEZNS1_11reduce_implILb1ES3_PfS7_fN6thrust23THRUST_200600_302600_NS4plusIfEEEE10hipError_tPvRmT1_T2_T3_mT4_P12ihipStream_tbEUlT_E1_NS1_11comp_targetILNS1_3genE9ELNS1_11target_archE1100ELNS1_3gpuE3ELNS1_3repE0EEENS1_30default_config_static_selectorELNS0_4arch9wavefront6targetE1EEEvSF_
	.p2align	8
	.type	_ZN7rocprim17ROCPRIM_400000_NS6detail17trampoline_kernelINS0_14default_configENS1_22reduce_config_selectorIfEEZNS1_11reduce_implILb1ES3_PfS7_fN6thrust23THRUST_200600_302600_NS4plusIfEEEE10hipError_tPvRmT1_T2_T3_mT4_P12ihipStream_tbEUlT_E1_NS1_11comp_targetILNS1_3genE9ELNS1_11target_archE1100ELNS1_3gpuE3ELNS1_3repE0EEENS1_30default_config_static_selectorELNS0_4arch9wavefront6targetE1EEEvSF_,@function
_ZN7rocprim17ROCPRIM_400000_NS6detail17trampoline_kernelINS0_14default_configENS1_22reduce_config_selectorIfEEZNS1_11reduce_implILb1ES3_PfS7_fN6thrust23THRUST_200600_302600_NS4plusIfEEEE10hipError_tPvRmT1_T2_T3_mT4_P12ihipStream_tbEUlT_E1_NS1_11comp_targetILNS1_3genE9ELNS1_11target_archE1100ELNS1_3gpuE3ELNS1_3repE0EEENS1_30default_config_static_selectorELNS0_4arch9wavefront6targetE1EEEvSF_: ; @_ZN7rocprim17ROCPRIM_400000_NS6detail17trampoline_kernelINS0_14default_configENS1_22reduce_config_selectorIfEEZNS1_11reduce_implILb1ES3_PfS7_fN6thrust23THRUST_200600_302600_NS4plusIfEEEE10hipError_tPvRmT1_T2_T3_mT4_P12ihipStream_tbEUlT_E1_NS1_11comp_targetILNS1_3genE9ELNS1_11target_archE1100ELNS1_3gpuE3ELNS1_3repE0EEENS1_30default_config_static_selectorELNS0_4arch9wavefront6targetE1EEEvSF_
; %bb.0:
	.section	.rodata,"a",@progbits
	.p2align	6, 0x0
	.amdhsa_kernel _ZN7rocprim17ROCPRIM_400000_NS6detail17trampoline_kernelINS0_14default_configENS1_22reduce_config_selectorIfEEZNS1_11reduce_implILb1ES3_PfS7_fN6thrust23THRUST_200600_302600_NS4plusIfEEEE10hipError_tPvRmT1_T2_T3_mT4_P12ihipStream_tbEUlT_E1_NS1_11comp_targetILNS1_3genE9ELNS1_11target_archE1100ELNS1_3gpuE3ELNS1_3repE0EEENS1_30default_config_static_selectorELNS0_4arch9wavefront6targetE1EEEvSF_
		.amdhsa_group_segment_fixed_size 0
		.amdhsa_private_segment_fixed_size 0
		.amdhsa_kernarg_size 40
		.amdhsa_user_sgpr_count 2
		.amdhsa_user_sgpr_dispatch_ptr 0
		.amdhsa_user_sgpr_queue_ptr 0
		.amdhsa_user_sgpr_kernarg_segment_ptr 1
		.amdhsa_user_sgpr_dispatch_id 0
		.amdhsa_user_sgpr_kernarg_preload_length 0
		.amdhsa_user_sgpr_kernarg_preload_offset 0
		.amdhsa_user_sgpr_private_segment_size 0
		.amdhsa_uses_dynamic_stack 0
		.amdhsa_enable_private_segment 0
		.amdhsa_system_sgpr_workgroup_id_x 1
		.amdhsa_system_sgpr_workgroup_id_y 0
		.amdhsa_system_sgpr_workgroup_id_z 0
		.amdhsa_system_sgpr_workgroup_info 0
		.amdhsa_system_vgpr_workitem_id 0
		.amdhsa_next_free_vgpr 1
		.amdhsa_next_free_sgpr 0
		.amdhsa_accum_offset 4
		.amdhsa_reserve_vcc 0
		.amdhsa_float_round_mode_32 0
		.amdhsa_float_round_mode_16_64 0
		.amdhsa_float_denorm_mode_32 3
		.amdhsa_float_denorm_mode_16_64 3
		.amdhsa_dx10_clamp 1
		.amdhsa_ieee_mode 1
		.amdhsa_fp16_overflow 0
		.amdhsa_tg_split 0
		.amdhsa_exception_fp_ieee_invalid_op 0
		.amdhsa_exception_fp_denorm_src 0
		.amdhsa_exception_fp_ieee_div_zero 0
		.amdhsa_exception_fp_ieee_overflow 0
		.amdhsa_exception_fp_ieee_underflow 0
		.amdhsa_exception_fp_ieee_inexact 0
		.amdhsa_exception_int_div_zero 0
	.end_amdhsa_kernel
	.section	.text._ZN7rocprim17ROCPRIM_400000_NS6detail17trampoline_kernelINS0_14default_configENS1_22reduce_config_selectorIfEEZNS1_11reduce_implILb1ES3_PfS7_fN6thrust23THRUST_200600_302600_NS4plusIfEEEE10hipError_tPvRmT1_T2_T3_mT4_P12ihipStream_tbEUlT_E1_NS1_11comp_targetILNS1_3genE9ELNS1_11target_archE1100ELNS1_3gpuE3ELNS1_3repE0EEENS1_30default_config_static_selectorELNS0_4arch9wavefront6targetE1EEEvSF_,"axG",@progbits,_ZN7rocprim17ROCPRIM_400000_NS6detail17trampoline_kernelINS0_14default_configENS1_22reduce_config_selectorIfEEZNS1_11reduce_implILb1ES3_PfS7_fN6thrust23THRUST_200600_302600_NS4plusIfEEEE10hipError_tPvRmT1_T2_T3_mT4_P12ihipStream_tbEUlT_E1_NS1_11comp_targetILNS1_3genE9ELNS1_11target_archE1100ELNS1_3gpuE3ELNS1_3repE0EEENS1_30default_config_static_selectorELNS0_4arch9wavefront6targetE1EEEvSF_,comdat
.Lfunc_end55:
	.size	_ZN7rocprim17ROCPRIM_400000_NS6detail17trampoline_kernelINS0_14default_configENS1_22reduce_config_selectorIfEEZNS1_11reduce_implILb1ES3_PfS7_fN6thrust23THRUST_200600_302600_NS4plusIfEEEE10hipError_tPvRmT1_T2_T3_mT4_P12ihipStream_tbEUlT_E1_NS1_11comp_targetILNS1_3genE9ELNS1_11target_archE1100ELNS1_3gpuE3ELNS1_3repE0EEENS1_30default_config_static_selectorELNS0_4arch9wavefront6targetE1EEEvSF_, .Lfunc_end55-_ZN7rocprim17ROCPRIM_400000_NS6detail17trampoline_kernelINS0_14default_configENS1_22reduce_config_selectorIfEEZNS1_11reduce_implILb1ES3_PfS7_fN6thrust23THRUST_200600_302600_NS4plusIfEEEE10hipError_tPvRmT1_T2_T3_mT4_P12ihipStream_tbEUlT_E1_NS1_11comp_targetILNS1_3genE9ELNS1_11target_archE1100ELNS1_3gpuE3ELNS1_3repE0EEENS1_30default_config_static_selectorELNS0_4arch9wavefront6targetE1EEEvSF_
                                        ; -- End function
	.set _ZN7rocprim17ROCPRIM_400000_NS6detail17trampoline_kernelINS0_14default_configENS1_22reduce_config_selectorIfEEZNS1_11reduce_implILb1ES3_PfS7_fN6thrust23THRUST_200600_302600_NS4plusIfEEEE10hipError_tPvRmT1_T2_T3_mT4_P12ihipStream_tbEUlT_E1_NS1_11comp_targetILNS1_3genE9ELNS1_11target_archE1100ELNS1_3gpuE3ELNS1_3repE0EEENS1_30default_config_static_selectorELNS0_4arch9wavefront6targetE1EEEvSF_.num_vgpr, 0
	.set _ZN7rocprim17ROCPRIM_400000_NS6detail17trampoline_kernelINS0_14default_configENS1_22reduce_config_selectorIfEEZNS1_11reduce_implILb1ES3_PfS7_fN6thrust23THRUST_200600_302600_NS4plusIfEEEE10hipError_tPvRmT1_T2_T3_mT4_P12ihipStream_tbEUlT_E1_NS1_11comp_targetILNS1_3genE9ELNS1_11target_archE1100ELNS1_3gpuE3ELNS1_3repE0EEENS1_30default_config_static_selectorELNS0_4arch9wavefront6targetE1EEEvSF_.num_agpr, 0
	.set _ZN7rocprim17ROCPRIM_400000_NS6detail17trampoline_kernelINS0_14default_configENS1_22reduce_config_selectorIfEEZNS1_11reduce_implILb1ES3_PfS7_fN6thrust23THRUST_200600_302600_NS4plusIfEEEE10hipError_tPvRmT1_T2_T3_mT4_P12ihipStream_tbEUlT_E1_NS1_11comp_targetILNS1_3genE9ELNS1_11target_archE1100ELNS1_3gpuE3ELNS1_3repE0EEENS1_30default_config_static_selectorELNS0_4arch9wavefront6targetE1EEEvSF_.numbered_sgpr, 0
	.set _ZN7rocprim17ROCPRIM_400000_NS6detail17trampoline_kernelINS0_14default_configENS1_22reduce_config_selectorIfEEZNS1_11reduce_implILb1ES3_PfS7_fN6thrust23THRUST_200600_302600_NS4plusIfEEEE10hipError_tPvRmT1_T2_T3_mT4_P12ihipStream_tbEUlT_E1_NS1_11comp_targetILNS1_3genE9ELNS1_11target_archE1100ELNS1_3gpuE3ELNS1_3repE0EEENS1_30default_config_static_selectorELNS0_4arch9wavefront6targetE1EEEvSF_.num_named_barrier, 0
	.set _ZN7rocprim17ROCPRIM_400000_NS6detail17trampoline_kernelINS0_14default_configENS1_22reduce_config_selectorIfEEZNS1_11reduce_implILb1ES3_PfS7_fN6thrust23THRUST_200600_302600_NS4plusIfEEEE10hipError_tPvRmT1_T2_T3_mT4_P12ihipStream_tbEUlT_E1_NS1_11comp_targetILNS1_3genE9ELNS1_11target_archE1100ELNS1_3gpuE3ELNS1_3repE0EEENS1_30default_config_static_selectorELNS0_4arch9wavefront6targetE1EEEvSF_.private_seg_size, 0
	.set _ZN7rocprim17ROCPRIM_400000_NS6detail17trampoline_kernelINS0_14default_configENS1_22reduce_config_selectorIfEEZNS1_11reduce_implILb1ES3_PfS7_fN6thrust23THRUST_200600_302600_NS4plusIfEEEE10hipError_tPvRmT1_T2_T3_mT4_P12ihipStream_tbEUlT_E1_NS1_11comp_targetILNS1_3genE9ELNS1_11target_archE1100ELNS1_3gpuE3ELNS1_3repE0EEENS1_30default_config_static_selectorELNS0_4arch9wavefront6targetE1EEEvSF_.uses_vcc, 0
	.set _ZN7rocprim17ROCPRIM_400000_NS6detail17trampoline_kernelINS0_14default_configENS1_22reduce_config_selectorIfEEZNS1_11reduce_implILb1ES3_PfS7_fN6thrust23THRUST_200600_302600_NS4plusIfEEEE10hipError_tPvRmT1_T2_T3_mT4_P12ihipStream_tbEUlT_E1_NS1_11comp_targetILNS1_3genE9ELNS1_11target_archE1100ELNS1_3gpuE3ELNS1_3repE0EEENS1_30default_config_static_selectorELNS0_4arch9wavefront6targetE1EEEvSF_.uses_flat_scratch, 0
	.set _ZN7rocprim17ROCPRIM_400000_NS6detail17trampoline_kernelINS0_14default_configENS1_22reduce_config_selectorIfEEZNS1_11reduce_implILb1ES3_PfS7_fN6thrust23THRUST_200600_302600_NS4plusIfEEEE10hipError_tPvRmT1_T2_T3_mT4_P12ihipStream_tbEUlT_E1_NS1_11comp_targetILNS1_3genE9ELNS1_11target_archE1100ELNS1_3gpuE3ELNS1_3repE0EEENS1_30default_config_static_selectorELNS0_4arch9wavefront6targetE1EEEvSF_.has_dyn_sized_stack, 0
	.set _ZN7rocprim17ROCPRIM_400000_NS6detail17trampoline_kernelINS0_14default_configENS1_22reduce_config_selectorIfEEZNS1_11reduce_implILb1ES3_PfS7_fN6thrust23THRUST_200600_302600_NS4plusIfEEEE10hipError_tPvRmT1_T2_T3_mT4_P12ihipStream_tbEUlT_E1_NS1_11comp_targetILNS1_3genE9ELNS1_11target_archE1100ELNS1_3gpuE3ELNS1_3repE0EEENS1_30default_config_static_selectorELNS0_4arch9wavefront6targetE1EEEvSF_.has_recursion, 0
	.set _ZN7rocprim17ROCPRIM_400000_NS6detail17trampoline_kernelINS0_14default_configENS1_22reduce_config_selectorIfEEZNS1_11reduce_implILb1ES3_PfS7_fN6thrust23THRUST_200600_302600_NS4plusIfEEEE10hipError_tPvRmT1_T2_T3_mT4_P12ihipStream_tbEUlT_E1_NS1_11comp_targetILNS1_3genE9ELNS1_11target_archE1100ELNS1_3gpuE3ELNS1_3repE0EEENS1_30default_config_static_selectorELNS0_4arch9wavefront6targetE1EEEvSF_.has_indirect_call, 0
	.section	.AMDGPU.csdata,"",@progbits
; Kernel info:
; codeLenInByte = 0
; TotalNumSgprs: 6
; NumVgprs: 0
; NumAgprs: 0
; TotalNumVgprs: 0
; ScratchSize: 0
; MemoryBound: 0
; FloatMode: 240
; IeeeMode: 1
; LDSByteSize: 0 bytes/workgroup (compile time only)
; SGPRBlocks: 0
; VGPRBlocks: 0
; NumSGPRsForWavesPerEU: 6
; NumVGPRsForWavesPerEU: 1
; AccumOffset: 4
; Occupancy: 8
; WaveLimiterHint : 0
; COMPUTE_PGM_RSRC2:SCRATCH_EN: 0
; COMPUTE_PGM_RSRC2:USER_SGPR: 2
; COMPUTE_PGM_RSRC2:TRAP_HANDLER: 0
; COMPUTE_PGM_RSRC2:TGID_X_EN: 1
; COMPUTE_PGM_RSRC2:TGID_Y_EN: 0
; COMPUTE_PGM_RSRC2:TGID_Z_EN: 0
; COMPUTE_PGM_RSRC2:TIDIG_COMP_CNT: 0
; COMPUTE_PGM_RSRC3_GFX90A:ACCUM_OFFSET: 0
; COMPUTE_PGM_RSRC3_GFX90A:TG_SPLIT: 0
	.section	.text._ZN7rocprim17ROCPRIM_400000_NS6detail17trampoline_kernelINS0_14default_configENS1_22reduce_config_selectorIfEEZNS1_11reduce_implILb1ES3_PfS7_fN6thrust23THRUST_200600_302600_NS4plusIfEEEE10hipError_tPvRmT1_T2_T3_mT4_P12ihipStream_tbEUlT_E1_NS1_11comp_targetILNS1_3genE8ELNS1_11target_archE1030ELNS1_3gpuE2ELNS1_3repE0EEENS1_30default_config_static_selectorELNS0_4arch9wavefront6targetE1EEEvSF_,"axG",@progbits,_ZN7rocprim17ROCPRIM_400000_NS6detail17trampoline_kernelINS0_14default_configENS1_22reduce_config_selectorIfEEZNS1_11reduce_implILb1ES3_PfS7_fN6thrust23THRUST_200600_302600_NS4plusIfEEEE10hipError_tPvRmT1_T2_T3_mT4_P12ihipStream_tbEUlT_E1_NS1_11comp_targetILNS1_3genE8ELNS1_11target_archE1030ELNS1_3gpuE2ELNS1_3repE0EEENS1_30default_config_static_selectorELNS0_4arch9wavefront6targetE1EEEvSF_,comdat
	.protected	_ZN7rocprim17ROCPRIM_400000_NS6detail17trampoline_kernelINS0_14default_configENS1_22reduce_config_selectorIfEEZNS1_11reduce_implILb1ES3_PfS7_fN6thrust23THRUST_200600_302600_NS4plusIfEEEE10hipError_tPvRmT1_T2_T3_mT4_P12ihipStream_tbEUlT_E1_NS1_11comp_targetILNS1_3genE8ELNS1_11target_archE1030ELNS1_3gpuE2ELNS1_3repE0EEENS1_30default_config_static_selectorELNS0_4arch9wavefront6targetE1EEEvSF_ ; -- Begin function _ZN7rocprim17ROCPRIM_400000_NS6detail17trampoline_kernelINS0_14default_configENS1_22reduce_config_selectorIfEEZNS1_11reduce_implILb1ES3_PfS7_fN6thrust23THRUST_200600_302600_NS4plusIfEEEE10hipError_tPvRmT1_T2_T3_mT4_P12ihipStream_tbEUlT_E1_NS1_11comp_targetILNS1_3genE8ELNS1_11target_archE1030ELNS1_3gpuE2ELNS1_3repE0EEENS1_30default_config_static_selectorELNS0_4arch9wavefront6targetE1EEEvSF_
	.globl	_ZN7rocprim17ROCPRIM_400000_NS6detail17trampoline_kernelINS0_14default_configENS1_22reduce_config_selectorIfEEZNS1_11reduce_implILb1ES3_PfS7_fN6thrust23THRUST_200600_302600_NS4plusIfEEEE10hipError_tPvRmT1_T2_T3_mT4_P12ihipStream_tbEUlT_E1_NS1_11comp_targetILNS1_3genE8ELNS1_11target_archE1030ELNS1_3gpuE2ELNS1_3repE0EEENS1_30default_config_static_selectorELNS0_4arch9wavefront6targetE1EEEvSF_
	.p2align	8
	.type	_ZN7rocprim17ROCPRIM_400000_NS6detail17trampoline_kernelINS0_14default_configENS1_22reduce_config_selectorIfEEZNS1_11reduce_implILb1ES3_PfS7_fN6thrust23THRUST_200600_302600_NS4plusIfEEEE10hipError_tPvRmT1_T2_T3_mT4_P12ihipStream_tbEUlT_E1_NS1_11comp_targetILNS1_3genE8ELNS1_11target_archE1030ELNS1_3gpuE2ELNS1_3repE0EEENS1_30default_config_static_selectorELNS0_4arch9wavefront6targetE1EEEvSF_,@function
_ZN7rocprim17ROCPRIM_400000_NS6detail17trampoline_kernelINS0_14default_configENS1_22reduce_config_selectorIfEEZNS1_11reduce_implILb1ES3_PfS7_fN6thrust23THRUST_200600_302600_NS4plusIfEEEE10hipError_tPvRmT1_T2_T3_mT4_P12ihipStream_tbEUlT_E1_NS1_11comp_targetILNS1_3genE8ELNS1_11target_archE1030ELNS1_3gpuE2ELNS1_3repE0EEENS1_30default_config_static_selectorELNS0_4arch9wavefront6targetE1EEEvSF_: ; @_ZN7rocprim17ROCPRIM_400000_NS6detail17trampoline_kernelINS0_14default_configENS1_22reduce_config_selectorIfEEZNS1_11reduce_implILb1ES3_PfS7_fN6thrust23THRUST_200600_302600_NS4plusIfEEEE10hipError_tPvRmT1_T2_T3_mT4_P12ihipStream_tbEUlT_E1_NS1_11comp_targetILNS1_3genE8ELNS1_11target_archE1030ELNS1_3gpuE2ELNS1_3repE0EEENS1_30default_config_static_selectorELNS0_4arch9wavefront6targetE1EEEvSF_
; %bb.0:
	.section	.rodata,"a",@progbits
	.p2align	6, 0x0
	.amdhsa_kernel _ZN7rocprim17ROCPRIM_400000_NS6detail17trampoline_kernelINS0_14default_configENS1_22reduce_config_selectorIfEEZNS1_11reduce_implILb1ES3_PfS7_fN6thrust23THRUST_200600_302600_NS4plusIfEEEE10hipError_tPvRmT1_T2_T3_mT4_P12ihipStream_tbEUlT_E1_NS1_11comp_targetILNS1_3genE8ELNS1_11target_archE1030ELNS1_3gpuE2ELNS1_3repE0EEENS1_30default_config_static_selectorELNS0_4arch9wavefront6targetE1EEEvSF_
		.amdhsa_group_segment_fixed_size 0
		.amdhsa_private_segment_fixed_size 0
		.amdhsa_kernarg_size 40
		.amdhsa_user_sgpr_count 2
		.amdhsa_user_sgpr_dispatch_ptr 0
		.amdhsa_user_sgpr_queue_ptr 0
		.amdhsa_user_sgpr_kernarg_segment_ptr 1
		.amdhsa_user_sgpr_dispatch_id 0
		.amdhsa_user_sgpr_kernarg_preload_length 0
		.amdhsa_user_sgpr_kernarg_preload_offset 0
		.amdhsa_user_sgpr_private_segment_size 0
		.amdhsa_uses_dynamic_stack 0
		.amdhsa_enable_private_segment 0
		.amdhsa_system_sgpr_workgroup_id_x 1
		.amdhsa_system_sgpr_workgroup_id_y 0
		.amdhsa_system_sgpr_workgroup_id_z 0
		.amdhsa_system_sgpr_workgroup_info 0
		.amdhsa_system_vgpr_workitem_id 0
		.amdhsa_next_free_vgpr 1
		.amdhsa_next_free_sgpr 0
		.amdhsa_accum_offset 4
		.amdhsa_reserve_vcc 0
		.amdhsa_float_round_mode_32 0
		.amdhsa_float_round_mode_16_64 0
		.amdhsa_float_denorm_mode_32 3
		.amdhsa_float_denorm_mode_16_64 3
		.amdhsa_dx10_clamp 1
		.amdhsa_ieee_mode 1
		.amdhsa_fp16_overflow 0
		.amdhsa_tg_split 0
		.amdhsa_exception_fp_ieee_invalid_op 0
		.amdhsa_exception_fp_denorm_src 0
		.amdhsa_exception_fp_ieee_div_zero 0
		.amdhsa_exception_fp_ieee_overflow 0
		.amdhsa_exception_fp_ieee_underflow 0
		.amdhsa_exception_fp_ieee_inexact 0
		.amdhsa_exception_int_div_zero 0
	.end_amdhsa_kernel
	.section	.text._ZN7rocprim17ROCPRIM_400000_NS6detail17trampoline_kernelINS0_14default_configENS1_22reduce_config_selectorIfEEZNS1_11reduce_implILb1ES3_PfS7_fN6thrust23THRUST_200600_302600_NS4plusIfEEEE10hipError_tPvRmT1_T2_T3_mT4_P12ihipStream_tbEUlT_E1_NS1_11comp_targetILNS1_3genE8ELNS1_11target_archE1030ELNS1_3gpuE2ELNS1_3repE0EEENS1_30default_config_static_selectorELNS0_4arch9wavefront6targetE1EEEvSF_,"axG",@progbits,_ZN7rocprim17ROCPRIM_400000_NS6detail17trampoline_kernelINS0_14default_configENS1_22reduce_config_selectorIfEEZNS1_11reduce_implILb1ES3_PfS7_fN6thrust23THRUST_200600_302600_NS4plusIfEEEE10hipError_tPvRmT1_T2_T3_mT4_P12ihipStream_tbEUlT_E1_NS1_11comp_targetILNS1_3genE8ELNS1_11target_archE1030ELNS1_3gpuE2ELNS1_3repE0EEENS1_30default_config_static_selectorELNS0_4arch9wavefront6targetE1EEEvSF_,comdat
.Lfunc_end56:
	.size	_ZN7rocprim17ROCPRIM_400000_NS6detail17trampoline_kernelINS0_14default_configENS1_22reduce_config_selectorIfEEZNS1_11reduce_implILb1ES3_PfS7_fN6thrust23THRUST_200600_302600_NS4plusIfEEEE10hipError_tPvRmT1_T2_T3_mT4_P12ihipStream_tbEUlT_E1_NS1_11comp_targetILNS1_3genE8ELNS1_11target_archE1030ELNS1_3gpuE2ELNS1_3repE0EEENS1_30default_config_static_selectorELNS0_4arch9wavefront6targetE1EEEvSF_, .Lfunc_end56-_ZN7rocprim17ROCPRIM_400000_NS6detail17trampoline_kernelINS0_14default_configENS1_22reduce_config_selectorIfEEZNS1_11reduce_implILb1ES3_PfS7_fN6thrust23THRUST_200600_302600_NS4plusIfEEEE10hipError_tPvRmT1_T2_T3_mT4_P12ihipStream_tbEUlT_E1_NS1_11comp_targetILNS1_3genE8ELNS1_11target_archE1030ELNS1_3gpuE2ELNS1_3repE0EEENS1_30default_config_static_selectorELNS0_4arch9wavefront6targetE1EEEvSF_
                                        ; -- End function
	.set _ZN7rocprim17ROCPRIM_400000_NS6detail17trampoline_kernelINS0_14default_configENS1_22reduce_config_selectorIfEEZNS1_11reduce_implILb1ES3_PfS7_fN6thrust23THRUST_200600_302600_NS4plusIfEEEE10hipError_tPvRmT1_T2_T3_mT4_P12ihipStream_tbEUlT_E1_NS1_11comp_targetILNS1_3genE8ELNS1_11target_archE1030ELNS1_3gpuE2ELNS1_3repE0EEENS1_30default_config_static_selectorELNS0_4arch9wavefront6targetE1EEEvSF_.num_vgpr, 0
	.set _ZN7rocprim17ROCPRIM_400000_NS6detail17trampoline_kernelINS0_14default_configENS1_22reduce_config_selectorIfEEZNS1_11reduce_implILb1ES3_PfS7_fN6thrust23THRUST_200600_302600_NS4plusIfEEEE10hipError_tPvRmT1_T2_T3_mT4_P12ihipStream_tbEUlT_E1_NS1_11comp_targetILNS1_3genE8ELNS1_11target_archE1030ELNS1_3gpuE2ELNS1_3repE0EEENS1_30default_config_static_selectorELNS0_4arch9wavefront6targetE1EEEvSF_.num_agpr, 0
	.set _ZN7rocprim17ROCPRIM_400000_NS6detail17trampoline_kernelINS0_14default_configENS1_22reduce_config_selectorIfEEZNS1_11reduce_implILb1ES3_PfS7_fN6thrust23THRUST_200600_302600_NS4plusIfEEEE10hipError_tPvRmT1_T2_T3_mT4_P12ihipStream_tbEUlT_E1_NS1_11comp_targetILNS1_3genE8ELNS1_11target_archE1030ELNS1_3gpuE2ELNS1_3repE0EEENS1_30default_config_static_selectorELNS0_4arch9wavefront6targetE1EEEvSF_.numbered_sgpr, 0
	.set _ZN7rocprim17ROCPRIM_400000_NS6detail17trampoline_kernelINS0_14default_configENS1_22reduce_config_selectorIfEEZNS1_11reduce_implILb1ES3_PfS7_fN6thrust23THRUST_200600_302600_NS4plusIfEEEE10hipError_tPvRmT1_T2_T3_mT4_P12ihipStream_tbEUlT_E1_NS1_11comp_targetILNS1_3genE8ELNS1_11target_archE1030ELNS1_3gpuE2ELNS1_3repE0EEENS1_30default_config_static_selectorELNS0_4arch9wavefront6targetE1EEEvSF_.num_named_barrier, 0
	.set _ZN7rocprim17ROCPRIM_400000_NS6detail17trampoline_kernelINS0_14default_configENS1_22reduce_config_selectorIfEEZNS1_11reduce_implILb1ES3_PfS7_fN6thrust23THRUST_200600_302600_NS4plusIfEEEE10hipError_tPvRmT1_T2_T3_mT4_P12ihipStream_tbEUlT_E1_NS1_11comp_targetILNS1_3genE8ELNS1_11target_archE1030ELNS1_3gpuE2ELNS1_3repE0EEENS1_30default_config_static_selectorELNS0_4arch9wavefront6targetE1EEEvSF_.private_seg_size, 0
	.set _ZN7rocprim17ROCPRIM_400000_NS6detail17trampoline_kernelINS0_14default_configENS1_22reduce_config_selectorIfEEZNS1_11reduce_implILb1ES3_PfS7_fN6thrust23THRUST_200600_302600_NS4plusIfEEEE10hipError_tPvRmT1_T2_T3_mT4_P12ihipStream_tbEUlT_E1_NS1_11comp_targetILNS1_3genE8ELNS1_11target_archE1030ELNS1_3gpuE2ELNS1_3repE0EEENS1_30default_config_static_selectorELNS0_4arch9wavefront6targetE1EEEvSF_.uses_vcc, 0
	.set _ZN7rocprim17ROCPRIM_400000_NS6detail17trampoline_kernelINS0_14default_configENS1_22reduce_config_selectorIfEEZNS1_11reduce_implILb1ES3_PfS7_fN6thrust23THRUST_200600_302600_NS4plusIfEEEE10hipError_tPvRmT1_T2_T3_mT4_P12ihipStream_tbEUlT_E1_NS1_11comp_targetILNS1_3genE8ELNS1_11target_archE1030ELNS1_3gpuE2ELNS1_3repE0EEENS1_30default_config_static_selectorELNS0_4arch9wavefront6targetE1EEEvSF_.uses_flat_scratch, 0
	.set _ZN7rocprim17ROCPRIM_400000_NS6detail17trampoline_kernelINS0_14default_configENS1_22reduce_config_selectorIfEEZNS1_11reduce_implILb1ES3_PfS7_fN6thrust23THRUST_200600_302600_NS4plusIfEEEE10hipError_tPvRmT1_T2_T3_mT4_P12ihipStream_tbEUlT_E1_NS1_11comp_targetILNS1_3genE8ELNS1_11target_archE1030ELNS1_3gpuE2ELNS1_3repE0EEENS1_30default_config_static_selectorELNS0_4arch9wavefront6targetE1EEEvSF_.has_dyn_sized_stack, 0
	.set _ZN7rocprim17ROCPRIM_400000_NS6detail17trampoline_kernelINS0_14default_configENS1_22reduce_config_selectorIfEEZNS1_11reduce_implILb1ES3_PfS7_fN6thrust23THRUST_200600_302600_NS4plusIfEEEE10hipError_tPvRmT1_T2_T3_mT4_P12ihipStream_tbEUlT_E1_NS1_11comp_targetILNS1_3genE8ELNS1_11target_archE1030ELNS1_3gpuE2ELNS1_3repE0EEENS1_30default_config_static_selectorELNS0_4arch9wavefront6targetE1EEEvSF_.has_recursion, 0
	.set _ZN7rocprim17ROCPRIM_400000_NS6detail17trampoline_kernelINS0_14default_configENS1_22reduce_config_selectorIfEEZNS1_11reduce_implILb1ES3_PfS7_fN6thrust23THRUST_200600_302600_NS4plusIfEEEE10hipError_tPvRmT1_T2_T3_mT4_P12ihipStream_tbEUlT_E1_NS1_11comp_targetILNS1_3genE8ELNS1_11target_archE1030ELNS1_3gpuE2ELNS1_3repE0EEENS1_30default_config_static_selectorELNS0_4arch9wavefront6targetE1EEEvSF_.has_indirect_call, 0
	.section	.AMDGPU.csdata,"",@progbits
; Kernel info:
; codeLenInByte = 0
; TotalNumSgprs: 6
; NumVgprs: 0
; NumAgprs: 0
; TotalNumVgprs: 0
; ScratchSize: 0
; MemoryBound: 0
; FloatMode: 240
; IeeeMode: 1
; LDSByteSize: 0 bytes/workgroup (compile time only)
; SGPRBlocks: 0
; VGPRBlocks: 0
; NumSGPRsForWavesPerEU: 6
; NumVGPRsForWavesPerEU: 1
; AccumOffset: 4
; Occupancy: 8
; WaveLimiterHint : 0
; COMPUTE_PGM_RSRC2:SCRATCH_EN: 0
; COMPUTE_PGM_RSRC2:USER_SGPR: 2
; COMPUTE_PGM_RSRC2:TRAP_HANDLER: 0
; COMPUTE_PGM_RSRC2:TGID_X_EN: 1
; COMPUTE_PGM_RSRC2:TGID_Y_EN: 0
; COMPUTE_PGM_RSRC2:TGID_Z_EN: 0
; COMPUTE_PGM_RSRC2:TIDIG_COMP_CNT: 0
; COMPUTE_PGM_RSRC3_GFX90A:ACCUM_OFFSET: 0
; COMPUTE_PGM_RSRC3_GFX90A:TG_SPLIT: 0
	.section	.text._ZN7rocprim17ROCPRIM_400000_NS6detail17trampoline_kernelINS0_14default_configENS1_22reduce_config_selectorIfEEZNS1_11reduce_implILb1ES3_N6thrust23THRUST_200600_302600_NS6detail15normal_iteratorINS8_10device_ptrIfEEEEPffNS8_4plusIfEEEE10hipError_tPvRmT1_T2_T3_mT4_P12ihipStream_tbEUlT_E0_NS1_11comp_targetILNS1_3genE0ELNS1_11target_archE4294967295ELNS1_3gpuE0ELNS1_3repE0EEENS1_30default_config_static_selectorELNS0_4arch9wavefront6targetE1EEEvSK_,"axG",@progbits,_ZN7rocprim17ROCPRIM_400000_NS6detail17trampoline_kernelINS0_14default_configENS1_22reduce_config_selectorIfEEZNS1_11reduce_implILb1ES3_N6thrust23THRUST_200600_302600_NS6detail15normal_iteratorINS8_10device_ptrIfEEEEPffNS8_4plusIfEEEE10hipError_tPvRmT1_T2_T3_mT4_P12ihipStream_tbEUlT_E0_NS1_11comp_targetILNS1_3genE0ELNS1_11target_archE4294967295ELNS1_3gpuE0ELNS1_3repE0EEENS1_30default_config_static_selectorELNS0_4arch9wavefront6targetE1EEEvSK_,comdat
	.protected	_ZN7rocprim17ROCPRIM_400000_NS6detail17trampoline_kernelINS0_14default_configENS1_22reduce_config_selectorIfEEZNS1_11reduce_implILb1ES3_N6thrust23THRUST_200600_302600_NS6detail15normal_iteratorINS8_10device_ptrIfEEEEPffNS8_4plusIfEEEE10hipError_tPvRmT1_T2_T3_mT4_P12ihipStream_tbEUlT_E0_NS1_11comp_targetILNS1_3genE0ELNS1_11target_archE4294967295ELNS1_3gpuE0ELNS1_3repE0EEENS1_30default_config_static_selectorELNS0_4arch9wavefront6targetE1EEEvSK_ ; -- Begin function _ZN7rocprim17ROCPRIM_400000_NS6detail17trampoline_kernelINS0_14default_configENS1_22reduce_config_selectorIfEEZNS1_11reduce_implILb1ES3_N6thrust23THRUST_200600_302600_NS6detail15normal_iteratorINS8_10device_ptrIfEEEEPffNS8_4plusIfEEEE10hipError_tPvRmT1_T2_T3_mT4_P12ihipStream_tbEUlT_E0_NS1_11comp_targetILNS1_3genE0ELNS1_11target_archE4294967295ELNS1_3gpuE0ELNS1_3repE0EEENS1_30default_config_static_selectorELNS0_4arch9wavefront6targetE1EEEvSK_
	.globl	_ZN7rocprim17ROCPRIM_400000_NS6detail17trampoline_kernelINS0_14default_configENS1_22reduce_config_selectorIfEEZNS1_11reduce_implILb1ES3_N6thrust23THRUST_200600_302600_NS6detail15normal_iteratorINS8_10device_ptrIfEEEEPffNS8_4plusIfEEEE10hipError_tPvRmT1_T2_T3_mT4_P12ihipStream_tbEUlT_E0_NS1_11comp_targetILNS1_3genE0ELNS1_11target_archE4294967295ELNS1_3gpuE0ELNS1_3repE0EEENS1_30default_config_static_selectorELNS0_4arch9wavefront6targetE1EEEvSK_
	.p2align	8
	.type	_ZN7rocprim17ROCPRIM_400000_NS6detail17trampoline_kernelINS0_14default_configENS1_22reduce_config_selectorIfEEZNS1_11reduce_implILb1ES3_N6thrust23THRUST_200600_302600_NS6detail15normal_iteratorINS8_10device_ptrIfEEEEPffNS8_4plusIfEEEE10hipError_tPvRmT1_T2_T3_mT4_P12ihipStream_tbEUlT_E0_NS1_11comp_targetILNS1_3genE0ELNS1_11target_archE4294967295ELNS1_3gpuE0ELNS1_3repE0EEENS1_30default_config_static_selectorELNS0_4arch9wavefront6targetE1EEEvSK_,@function
_ZN7rocprim17ROCPRIM_400000_NS6detail17trampoline_kernelINS0_14default_configENS1_22reduce_config_selectorIfEEZNS1_11reduce_implILb1ES3_N6thrust23THRUST_200600_302600_NS6detail15normal_iteratorINS8_10device_ptrIfEEEEPffNS8_4plusIfEEEE10hipError_tPvRmT1_T2_T3_mT4_P12ihipStream_tbEUlT_E0_NS1_11comp_targetILNS1_3genE0ELNS1_11target_archE4294967295ELNS1_3gpuE0ELNS1_3repE0EEENS1_30default_config_static_selectorELNS0_4arch9wavefront6targetE1EEEvSK_: ; @_ZN7rocprim17ROCPRIM_400000_NS6detail17trampoline_kernelINS0_14default_configENS1_22reduce_config_selectorIfEEZNS1_11reduce_implILb1ES3_N6thrust23THRUST_200600_302600_NS6detail15normal_iteratorINS8_10device_ptrIfEEEEPffNS8_4plusIfEEEE10hipError_tPvRmT1_T2_T3_mT4_P12ihipStream_tbEUlT_E0_NS1_11comp_targetILNS1_3genE0ELNS1_11target_archE4294967295ELNS1_3gpuE0ELNS1_3repE0EEENS1_30default_config_static_selectorELNS0_4arch9wavefront6targetE1EEEvSK_
; %bb.0:
	s_load_dwordx8 s[4:11], s[0:1], 0x0
	s_load_dwordx4 s[12:15], s[0:1], 0x20
	v_lshlrev_b32_e32 v6, 2, v0
	v_mbcnt_lo_u32_b32 v1, -1, 0
	s_waitcnt lgkmcnt(0)
	s_lshl_b64 s[6:7], s[6:7], 2
	s_add_u32 s18, s4, s6
	s_addc_u32 s19, s5, s7
	s_lshl_b32 s4, s2, 10
	s_mov_b32 s5, 0
	s_lshr_b64 s[16:17], s[8:9], 10
	s_lshl_b64 s[6:7], s[4:5], 2
	s_add_u32 s6, s18, s6
	s_mov_b32 s3, s5
	s_addc_u32 s7, s19, s7
	s_cmp_lg_u64 s[16:17], s[2:3]
	s_cbranch_scc0 .LBB57_6
; %bb.1:
	v_mov_b32_e32 v7, 0
	v_lshl_add_u64 v[2:3], s[6:7], 0, v[6:7]
	flat_load_dword v5, v[2:3]
	flat_load_dword v7, v[2:3] offset:1024
	flat_load_dword v8, v[2:3] offset:2048
	;; [unrolled: 1-line block ×3, first 2 shown]
	v_mbcnt_hi_u32_b32 v3, -1, v1
	v_lshlrev_b32_e32 v4, 2, v3
	v_cmp_eq_u32_e32 vcc, 0, v3
	s_waitcnt vmcnt(0) lgkmcnt(0)
	v_add_f32_e32 v2, v5, v7
	v_add_f32_e32 v2, v2, v8
	;; [unrolled: 1-line block ×3, first 2 shown]
	v_or_b32_e32 v5, 0xfc, v4
	s_nop 0
	v_add_f32_dpp v2, v2, v2 quad_perm:[1,0,3,2] row_mask:0xf bank_mask:0xf bound_ctrl:1
	s_nop 1
	v_add_f32_dpp v2, v2, v2 quad_perm:[2,3,0,1] row_mask:0xf bank_mask:0xf bound_ctrl:1
	s_nop 1
	v_add_f32_dpp v2, v2, v2 row_ror:4 row_mask:0xf bank_mask:0xf bound_ctrl:1
	s_nop 1
	v_add_f32_dpp v2, v2, v2 row_ror:8 row_mask:0xf bank_mask:0xf bound_ctrl:1
	s_nop 1
	v_add_f32_dpp v2, v2, v2 row_bcast:15 row_mask:0xf bank_mask:0xf bound_ctrl:1
	s_nop 1
	v_add_f32_dpp v2, v2, v2 row_bcast:31 row_mask:0xf bank_mask:0xf bound_ctrl:1
	ds_bpermute_b32 v2, v5, v2
	s_and_saveexec_b64 s[16:17], vcc
	s_cbranch_execz .LBB57_3
; %bb.2:
	v_lshrrev_b32_e32 v5, 4, v0
	v_and_b32_e32 v5, 12, v5
	s_waitcnt lgkmcnt(0)
	ds_write_b32 v5, v2
.LBB57_3:
	s_or_b64 exec, exec, s[16:17]
	v_cmp_gt_u32_e32 vcc, 64, v0
	s_waitcnt lgkmcnt(0)
	s_barrier
	s_and_saveexec_b64 s[16:17], vcc
	s_cbranch_execz .LBB57_5
; %bb.4:
	v_and_b32_e32 v2, 3, v3
	v_lshlrev_b32_e32 v5, 2, v2
	ds_read_b32 v5, v5
	v_cmp_ne_u32_e32 vcc, 3, v2
	s_nop 1
	v_addc_co_u32_e32 v2, vcc, 0, v3, vcc
	v_lshlrev_b32_e32 v2, 2, v2
	s_waitcnt lgkmcnt(0)
	ds_bpermute_b32 v2, v2, v5
	v_or_b32_e32 v3, 8, v4
	s_waitcnt lgkmcnt(0)
	v_add_f32_e32 v2, v5, v2
	ds_bpermute_b32 v3, v3, v2
	s_waitcnt lgkmcnt(0)
	v_add_f32_e32 v2, v2, v3
.LBB57_5:
	s_or_b64 exec, exec, s[16:17]
	s_load_dword s18, s[0:1], 0x30
	s_branch .LBB57_20
.LBB57_6:
                                        ; implicit-def: $vgpr2
	s_load_dword s18, s[0:1], 0x30
	s_cbranch_execz .LBB57_20
; %bb.7:
	s_sub_i32 s19, s8, s4
	v_mov_b32_e32 v2, 0
	v_cmp_gt_u32_e32 vcc, s19, v0
	v_mov_b32_e32 v3, v2
	v_mov_b32_e32 v4, v2
	;; [unrolled: 1-line block ×3, first 2 shown]
	s_and_saveexec_b64 s[0:1], vcc
	s_cbranch_execz .LBB57_9
; %bb.8:
	v_mov_b32_e32 v7, v2
	v_lshl_add_u64 v[4:5], s[6:7], 0, v[6:7]
	flat_load_dword v8, v[4:5]
	v_mov_b32_e32 v9, v2
	v_mov_b32_e32 v10, v2
	;; [unrolled: 1-line block ×3, first 2 shown]
	s_waitcnt vmcnt(0) lgkmcnt(0)
	v_mov_b64_e32 v[2:3], v[8:9]
	v_mov_b64_e32 v[4:5], v[10:11]
.LBB57_9:
	s_or_b64 exec, exec, s[0:1]
	v_or_b32_e32 v7, 0x100, v0
	v_cmp_gt_u32_e32 vcc, s19, v7
	s_and_saveexec_b64 s[0:1], vcc
	s_cbranch_execz .LBB57_11
; %bb.10:
	v_mov_b32_e32 v7, 0
	v_lshl_add_u64 v[8:9], s[6:7], 0, v[6:7]
	flat_load_dword v3, v[8:9] offset:1024
.LBB57_11:
	s_or_b64 exec, exec, s[0:1]
	v_or_b32_e32 v7, 0x200, v0
	v_cmp_gt_u32_e64 s[0:1], s19, v7
	s_and_saveexec_b64 s[4:5], s[0:1]
	s_cbranch_execz .LBB57_13
; %bb.12:
	v_mov_b32_e32 v7, 0
	v_lshl_add_u64 v[8:9], s[6:7], 0, v[6:7]
	flat_load_dword v4, v[8:9] offset:2048
.LBB57_13:
	s_or_b64 exec, exec, s[4:5]
	v_or_b32_e32 v7, 0x300, v0
	v_cmp_gt_u32_e64 s[4:5], s19, v7
	s_and_saveexec_b64 s[16:17], s[4:5]
	s_cbranch_execz .LBB57_15
; %bb.14:
	v_mov_b32_e32 v7, 0
	v_lshl_add_u64 v[6:7], s[6:7], 0, v[6:7]
	flat_load_dword v5, v[6:7] offset:3072
.LBB57_15:
	s_or_b64 exec, exec, s[16:17]
	s_waitcnt vmcnt(0) lgkmcnt(0)
	v_add_f32_e32 v3, v2, v3
	v_cndmask_b32_e32 v2, v2, v3, vcc
	v_add_f32_e32 v3, v4, v2
	v_mbcnt_hi_u32_b32 v1, -1, v1
	v_cndmask_b32_e64 v2, v2, v3, s[0:1]
	v_and_b32_e32 v4, 63, v1
	v_add_f32_e32 v3, v5, v2
	v_cmp_ne_u32_e32 vcc, 63, v4
	v_cndmask_b32_e64 v2, v2, v3, s[4:5]
	s_min_u32 s6, s19, 0x100
	v_addc_co_u32_e32 v3, vcc, 0, v1, vcc
	v_lshlrev_b32_e32 v3, 2, v3
	ds_bpermute_b32 v3, v3, v2
	v_and_b32_e32 v5, 0xc0, v0
	v_sub_u32_e64 v5, s6, v5 clamp
	v_add_u32_e32 v6, 1, v4
	v_cmp_gt_u32_e64 s[0:1], 62, v4
	s_waitcnt lgkmcnt(0)
	v_add_f32_e32 v3, v2, v3
	v_cmp_lt_u32_e32 vcc, v6, v5
	v_cndmask_b32_e64 v6, 0, 2, s[0:1]
	v_add_lshl_u32 v6, v6, v1, 2
	v_cndmask_b32_e32 v3, v2, v3, vcc
	ds_bpermute_b32 v6, v6, v3
	v_add_u32_e32 v7, 2, v4
	v_cmp_lt_u32_e64 s[0:1], v7, v5
	v_add_u32_e32 v7, 4, v4
	s_waitcnt lgkmcnt(0)
	v_add_f32_e32 v6, v3, v6
	v_cndmask_b32_e64 v3, v3, v6, s[0:1]
	v_cmp_gt_u32_e64 s[0:1], 60, v4
	s_nop 1
	v_cndmask_b32_e64 v6, 0, 4, s[0:1]
	v_add_lshl_u32 v6, v6, v1, 2
	ds_bpermute_b32 v6, v6, v3
	v_cmp_lt_u32_e64 s[0:1], v7, v5
	v_add_u32_e32 v7, 8, v4
	s_waitcnt lgkmcnt(0)
	v_add_f32_e32 v6, v3, v6
	v_cndmask_b32_e64 v3, v3, v6, s[0:1]
	v_cmp_gt_u32_e64 s[0:1], 56, v4
	s_nop 1
	v_cndmask_b32_e64 v6, 0, 8, s[0:1]
	v_add_lshl_u32 v6, v6, v1, 2
	ds_bpermute_b32 v6, v6, v3
	v_cmp_lt_u32_e64 s[0:1], v7, v5
	v_add_u32_e32 v7, 16, v4
	s_waitcnt lgkmcnt(0)
	v_add_f32_e32 v6, v3, v6
	v_cndmask_b32_e64 v3, v3, v6, s[0:1]
	v_cmp_gt_u32_e64 s[0:1], 48, v4
	v_add_u32_e32 v4, 32, v4
	s_nop 0
	v_cndmask_b32_e64 v6, 0, 16, s[0:1]
	v_add_lshl_u32 v6, v6, v1, 2
	ds_bpermute_b32 v6, v6, v3
	v_cmp_lt_u32_e64 s[0:1], v7, v5
	s_waitcnt lgkmcnt(0)
	v_add_f32_e32 v6, v3, v6
	v_cndmask_b32_e64 v6, v3, v6, s[0:1]
	v_lshlrev_b32_e32 v3, 2, v1
	v_or_b32_e32 v7, 0x80, v3
	ds_bpermute_b32 v7, v7, v6
	v_cmp_lt_u32_e64 s[0:1], v4, v5
	s_waitcnt lgkmcnt(0)
	v_add_f32_e32 v7, v6, v7
	v_cndmask_b32_e64 v4, v6, v7, s[0:1]
	v_cndmask_b32_e32 v2, v2, v4, vcc
	v_cmp_eq_u32_e32 vcc, 0, v1
	s_and_saveexec_b64 s[0:1], vcc
; %bb.16:
	v_lshrrev_b32_e32 v4, 4, v0
	v_and_b32_e32 v4, 12, v4
	ds_write_b32 v4, v2 offset:16
; %bb.17:
	s_or_b64 exec, exec, s[0:1]
	v_cmp_gt_u32_e32 vcc, 4, v0
	s_waitcnt lgkmcnt(0)
	s_barrier
	s_and_saveexec_b64 s[4:5], vcc
	s_cbranch_execz .LBB57_19
; %bb.18:
	ds_read_b32 v2, v3 offset:16
	v_and_b32_e32 v4, 3, v1
	v_cmp_ne_u32_e32 vcc, 3, v4
	s_add_i32 s6, s6, 63
	s_lshr_b32 s0, s6, 6
	v_addc_co_u32_e32 v1, vcc, 0, v1, vcc
	v_lshlrev_b32_e32 v1, 2, v1
	s_waitcnt lgkmcnt(0)
	ds_bpermute_b32 v1, v1, v2
	v_add_u32_e32 v5, 1, v4
	v_cmp_gt_u32_e32 vcc, s0, v5
	v_or_b32_e32 v3, 8, v3
	v_add_u32_e32 v4, 2, v4
	s_waitcnt lgkmcnt(0)
	v_add_f32_e32 v1, v2, v1
	v_cndmask_b32_e32 v1, v2, v1, vcc
	ds_bpermute_b32 v3, v3, v1
	v_cmp_gt_u32_e64 s[0:1], s0, v4
	s_waitcnt lgkmcnt(0)
	v_add_f32_e32 v3, v1, v3
	v_cndmask_b32_e64 v1, v1, v3, s[0:1]
	v_cndmask_b32_e32 v2, v2, v1, vcc
.LBB57_19:
	s_or_b64 exec, exec, s[4:5]
.LBB57_20:
	v_cmp_eq_u32_e32 vcc, 0, v0
	s_and_saveexec_b64 s[0:1], vcc
	s_cbranch_execnz .LBB57_22
; %bb.21:
	s_endpgm
.LBB57_22:
	s_mul_i32 s0, s14, s13
	s_mul_hi_u32 s1, s14, s12
	s_add_i32 s0, s1, s0
	s_mul_i32 s1, s15, s12
	s_add_i32 s1, s0, s1
	s_mul_i32 s0, s14, s12
	s_lshl_b64 s[0:1], s[0:1], 2
	s_add_u32 s4, s10, s0
	s_addc_u32 s5, s11, s1
	s_cmp_eq_u64 s[8:9], 0
	s_cselect_b64 vcc, -1, 0
	s_lshl_b64 s[0:1], s[2:3], 2
	s_waitcnt lgkmcnt(0)
	v_mov_b32_e32 v0, s18
	s_add_u32 s0, s4, s0
	v_cndmask_b32_e32 v0, v2, v0, vcc
	s_addc_u32 s1, s5, s1
	v_mov_b32_e32 v1, 0
	global_store_dword v1, v0, s[0:1]
	s_endpgm
	.section	.rodata,"a",@progbits
	.p2align	6, 0x0
	.amdhsa_kernel _ZN7rocprim17ROCPRIM_400000_NS6detail17trampoline_kernelINS0_14default_configENS1_22reduce_config_selectorIfEEZNS1_11reduce_implILb1ES3_N6thrust23THRUST_200600_302600_NS6detail15normal_iteratorINS8_10device_ptrIfEEEEPffNS8_4plusIfEEEE10hipError_tPvRmT1_T2_T3_mT4_P12ihipStream_tbEUlT_E0_NS1_11comp_targetILNS1_3genE0ELNS1_11target_archE4294967295ELNS1_3gpuE0ELNS1_3repE0EEENS1_30default_config_static_selectorELNS0_4arch9wavefront6targetE1EEEvSK_
		.amdhsa_group_segment_fixed_size 32
		.amdhsa_private_segment_fixed_size 0
		.amdhsa_kernarg_size 56
		.amdhsa_user_sgpr_count 2
		.amdhsa_user_sgpr_dispatch_ptr 0
		.amdhsa_user_sgpr_queue_ptr 0
		.amdhsa_user_sgpr_kernarg_segment_ptr 1
		.amdhsa_user_sgpr_dispatch_id 0
		.amdhsa_user_sgpr_kernarg_preload_length 0
		.amdhsa_user_sgpr_kernarg_preload_offset 0
		.amdhsa_user_sgpr_private_segment_size 0
		.amdhsa_uses_dynamic_stack 0
		.amdhsa_enable_private_segment 0
		.amdhsa_system_sgpr_workgroup_id_x 1
		.amdhsa_system_sgpr_workgroup_id_y 0
		.amdhsa_system_sgpr_workgroup_id_z 0
		.amdhsa_system_sgpr_workgroup_info 0
		.amdhsa_system_vgpr_workitem_id 0
		.amdhsa_next_free_vgpr 12
		.amdhsa_next_free_sgpr 20
		.amdhsa_accum_offset 12
		.amdhsa_reserve_vcc 1
		.amdhsa_float_round_mode_32 0
		.amdhsa_float_round_mode_16_64 0
		.amdhsa_float_denorm_mode_32 3
		.amdhsa_float_denorm_mode_16_64 3
		.amdhsa_dx10_clamp 1
		.amdhsa_ieee_mode 1
		.amdhsa_fp16_overflow 0
		.amdhsa_tg_split 0
		.amdhsa_exception_fp_ieee_invalid_op 0
		.amdhsa_exception_fp_denorm_src 0
		.amdhsa_exception_fp_ieee_div_zero 0
		.amdhsa_exception_fp_ieee_overflow 0
		.amdhsa_exception_fp_ieee_underflow 0
		.amdhsa_exception_fp_ieee_inexact 0
		.amdhsa_exception_int_div_zero 0
	.end_amdhsa_kernel
	.section	.text._ZN7rocprim17ROCPRIM_400000_NS6detail17trampoline_kernelINS0_14default_configENS1_22reduce_config_selectorIfEEZNS1_11reduce_implILb1ES3_N6thrust23THRUST_200600_302600_NS6detail15normal_iteratorINS8_10device_ptrIfEEEEPffNS8_4plusIfEEEE10hipError_tPvRmT1_T2_T3_mT4_P12ihipStream_tbEUlT_E0_NS1_11comp_targetILNS1_3genE0ELNS1_11target_archE4294967295ELNS1_3gpuE0ELNS1_3repE0EEENS1_30default_config_static_selectorELNS0_4arch9wavefront6targetE1EEEvSK_,"axG",@progbits,_ZN7rocprim17ROCPRIM_400000_NS6detail17trampoline_kernelINS0_14default_configENS1_22reduce_config_selectorIfEEZNS1_11reduce_implILb1ES3_N6thrust23THRUST_200600_302600_NS6detail15normal_iteratorINS8_10device_ptrIfEEEEPffNS8_4plusIfEEEE10hipError_tPvRmT1_T2_T3_mT4_P12ihipStream_tbEUlT_E0_NS1_11comp_targetILNS1_3genE0ELNS1_11target_archE4294967295ELNS1_3gpuE0ELNS1_3repE0EEENS1_30default_config_static_selectorELNS0_4arch9wavefront6targetE1EEEvSK_,comdat
.Lfunc_end57:
	.size	_ZN7rocprim17ROCPRIM_400000_NS6detail17trampoline_kernelINS0_14default_configENS1_22reduce_config_selectorIfEEZNS1_11reduce_implILb1ES3_N6thrust23THRUST_200600_302600_NS6detail15normal_iteratorINS8_10device_ptrIfEEEEPffNS8_4plusIfEEEE10hipError_tPvRmT1_T2_T3_mT4_P12ihipStream_tbEUlT_E0_NS1_11comp_targetILNS1_3genE0ELNS1_11target_archE4294967295ELNS1_3gpuE0ELNS1_3repE0EEENS1_30default_config_static_selectorELNS0_4arch9wavefront6targetE1EEEvSK_, .Lfunc_end57-_ZN7rocprim17ROCPRIM_400000_NS6detail17trampoline_kernelINS0_14default_configENS1_22reduce_config_selectorIfEEZNS1_11reduce_implILb1ES3_N6thrust23THRUST_200600_302600_NS6detail15normal_iteratorINS8_10device_ptrIfEEEEPffNS8_4plusIfEEEE10hipError_tPvRmT1_T2_T3_mT4_P12ihipStream_tbEUlT_E0_NS1_11comp_targetILNS1_3genE0ELNS1_11target_archE4294967295ELNS1_3gpuE0ELNS1_3repE0EEENS1_30default_config_static_selectorELNS0_4arch9wavefront6targetE1EEEvSK_
                                        ; -- End function
	.set _ZN7rocprim17ROCPRIM_400000_NS6detail17trampoline_kernelINS0_14default_configENS1_22reduce_config_selectorIfEEZNS1_11reduce_implILb1ES3_N6thrust23THRUST_200600_302600_NS6detail15normal_iteratorINS8_10device_ptrIfEEEEPffNS8_4plusIfEEEE10hipError_tPvRmT1_T2_T3_mT4_P12ihipStream_tbEUlT_E0_NS1_11comp_targetILNS1_3genE0ELNS1_11target_archE4294967295ELNS1_3gpuE0ELNS1_3repE0EEENS1_30default_config_static_selectorELNS0_4arch9wavefront6targetE1EEEvSK_.num_vgpr, 12
	.set _ZN7rocprim17ROCPRIM_400000_NS6detail17trampoline_kernelINS0_14default_configENS1_22reduce_config_selectorIfEEZNS1_11reduce_implILb1ES3_N6thrust23THRUST_200600_302600_NS6detail15normal_iteratorINS8_10device_ptrIfEEEEPffNS8_4plusIfEEEE10hipError_tPvRmT1_T2_T3_mT4_P12ihipStream_tbEUlT_E0_NS1_11comp_targetILNS1_3genE0ELNS1_11target_archE4294967295ELNS1_3gpuE0ELNS1_3repE0EEENS1_30default_config_static_selectorELNS0_4arch9wavefront6targetE1EEEvSK_.num_agpr, 0
	.set _ZN7rocprim17ROCPRIM_400000_NS6detail17trampoline_kernelINS0_14default_configENS1_22reduce_config_selectorIfEEZNS1_11reduce_implILb1ES3_N6thrust23THRUST_200600_302600_NS6detail15normal_iteratorINS8_10device_ptrIfEEEEPffNS8_4plusIfEEEE10hipError_tPvRmT1_T2_T3_mT4_P12ihipStream_tbEUlT_E0_NS1_11comp_targetILNS1_3genE0ELNS1_11target_archE4294967295ELNS1_3gpuE0ELNS1_3repE0EEENS1_30default_config_static_selectorELNS0_4arch9wavefront6targetE1EEEvSK_.numbered_sgpr, 20
	.set _ZN7rocprim17ROCPRIM_400000_NS6detail17trampoline_kernelINS0_14default_configENS1_22reduce_config_selectorIfEEZNS1_11reduce_implILb1ES3_N6thrust23THRUST_200600_302600_NS6detail15normal_iteratorINS8_10device_ptrIfEEEEPffNS8_4plusIfEEEE10hipError_tPvRmT1_T2_T3_mT4_P12ihipStream_tbEUlT_E0_NS1_11comp_targetILNS1_3genE0ELNS1_11target_archE4294967295ELNS1_3gpuE0ELNS1_3repE0EEENS1_30default_config_static_selectorELNS0_4arch9wavefront6targetE1EEEvSK_.num_named_barrier, 0
	.set _ZN7rocprim17ROCPRIM_400000_NS6detail17trampoline_kernelINS0_14default_configENS1_22reduce_config_selectorIfEEZNS1_11reduce_implILb1ES3_N6thrust23THRUST_200600_302600_NS6detail15normal_iteratorINS8_10device_ptrIfEEEEPffNS8_4plusIfEEEE10hipError_tPvRmT1_T2_T3_mT4_P12ihipStream_tbEUlT_E0_NS1_11comp_targetILNS1_3genE0ELNS1_11target_archE4294967295ELNS1_3gpuE0ELNS1_3repE0EEENS1_30default_config_static_selectorELNS0_4arch9wavefront6targetE1EEEvSK_.private_seg_size, 0
	.set _ZN7rocprim17ROCPRIM_400000_NS6detail17trampoline_kernelINS0_14default_configENS1_22reduce_config_selectorIfEEZNS1_11reduce_implILb1ES3_N6thrust23THRUST_200600_302600_NS6detail15normal_iteratorINS8_10device_ptrIfEEEEPffNS8_4plusIfEEEE10hipError_tPvRmT1_T2_T3_mT4_P12ihipStream_tbEUlT_E0_NS1_11comp_targetILNS1_3genE0ELNS1_11target_archE4294967295ELNS1_3gpuE0ELNS1_3repE0EEENS1_30default_config_static_selectorELNS0_4arch9wavefront6targetE1EEEvSK_.uses_vcc, 1
	.set _ZN7rocprim17ROCPRIM_400000_NS6detail17trampoline_kernelINS0_14default_configENS1_22reduce_config_selectorIfEEZNS1_11reduce_implILb1ES3_N6thrust23THRUST_200600_302600_NS6detail15normal_iteratorINS8_10device_ptrIfEEEEPffNS8_4plusIfEEEE10hipError_tPvRmT1_T2_T3_mT4_P12ihipStream_tbEUlT_E0_NS1_11comp_targetILNS1_3genE0ELNS1_11target_archE4294967295ELNS1_3gpuE0ELNS1_3repE0EEENS1_30default_config_static_selectorELNS0_4arch9wavefront6targetE1EEEvSK_.uses_flat_scratch, 0
	.set _ZN7rocprim17ROCPRIM_400000_NS6detail17trampoline_kernelINS0_14default_configENS1_22reduce_config_selectorIfEEZNS1_11reduce_implILb1ES3_N6thrust23THRUST_200600_302600_NS6detail15normal_iteratorINS8_10device_ptrIfEEEEPffNS8_4plusIfEEEE10hipError_tPvRmT1_T2_T3_mT4_P12ihipStream_tbEUlT_E0_NS1_11comp_targetILNS1_3genE0ELNS1_11target_archE4294967295ELNS1_3gpuE0ELNS1_3repE0EEENS1_30default_config_static_selectorELNS0_4arch9wavefront6targetE1EEEvSK_.has_dyn_sized_stack, 0
	.set _ZN7rocprim17ROCPRIM_400000_NS6detail17trampoline_kernelINS0_14default_configENS1_22reduce_config_selectorIfEEZNS1_11reduce_implILb1ES3_N6thrust23THRUST_200600_302600_NS6detail15normal_iteratorINS8_10device_ptrIfEEEEPffNS8_4plusIfEEEE10hipError_tPvRmT1_T2_T3_mT4_P12ihipStream_tbEUlT_E0_NS1_11comp_targetILNS1_3genE0ELNS1_11target_archE4294967295ELNS1_3gpuE0ELNS1_3repE0EEENS1_30default_config_static_selectorELNS0_4arch9wavefront6targetE1EEEvSK_.has_recursion, 0
	.set _ZN7rocprim17ROCPRIM_400000_NS6detail17trampoline_kernelINS0_14default_configENS1_22reduce_config_selectorIfEEZNS1_11reduce_implILb1ES3_N6thrust23THRUST_200600_302600_NS6detail15normal_iteratorINS8_10device_ptrIfEEEEPffNS8_4plusIfEEEE10hipError_tPvRmT1_T2_T3_mT4_P12ihipStream_tbEUlT_E0_NS1_11comp_targetILNS1_3genE0ELNS1_11target_archE4294967295ELNS1_3gpuE0ELNS1_3repE0EEENS1_30default_config_static_selectorELNS0_4arch9wavefront6targetE1EEEvSK_.has_indirect_call, 0
	.section	.AMDGPU.csdata,"",@progbits
; Kernel info:
; codeLenInByte = 1292
; TotalNumSgprs: 26
; NumVgprs: 12
; NumAgprs: 0
; TotalNumVgprs: 12
; ScratchSize: 0
; MemoryBound: 0
; FloatMode: 240
; IeeeMode: 1
; LDSByteSize: 32 bytes/workgroup (compile time only)
; SGPRBlocks: 3
; VGPRBlocks: 1
; NumSGPRsForWavesPerEU: 26
; NumVGPRsForWavesPerEU: 12
; AccumOffset: 12
; Occupancy: 8
; WaveLimiterHint : 1
; COMPUTE_PGM_RSRC2:SCRATCH_EN: 0
; COMPUTE_PGM_RSRC2:USER_SGPR: 2
; COMPUTE_PGM_RSRC2:TRAP_HANDLER: 0
; COMPUTE_PGM_RSRC2:TGID_X_EN: 1
; COMPUTE_PGM_RSRC2:TGID_Y_EN: 0
; COMPUTE_PGM_RSRC2:TGID_Z_EN: 0
; COMPUTE_PGM_RSRC2:TIDIG_COMP_CNT: 0
; COMPUTE_PGM_RSRC3_GFX90A:ACCUM_OFFSET: 2
; COMPUTE_PGM_RSRC3_GFX90A:TG_SPLIT: 0
	.section	.text._ZN7rocprim17ROCPRIM_400000_NS6detail17trampoline_kernelINS0_14default_configENS1_22reduce_config_selectorIfEEZNS1_11reduce_implILb1ES3_N6thrust23THRUST_200600_302600_NS6detail15normal_iteratorINS8_10device_ptrIfEEEEPffNS8_4plusIfEEEE10hipError_tPvRmT1_T2_T3_mT4_P12ihipStream_tbEUlT_E0_NS1_11comp_targetILNS1_3genE5ELNS1_11target_archE942ELNS1_3gpuE9ELNS1_3repE0EEENS1_30default_config_static_selectorELNS0_4arch9wavefront6targetE1EEEvSK_,"axG",@progbits,_ZN7rocprim17ROCPRIM_400000_NS6detail17trampoline_kernelINS0_14default_configENS1_22reduce_config_selectorIfEEZNS1_11reduce_implILb1ES3_N6thrust23THRUST_200600_302600_NS6detail15normal_iteratorINS8_10device_ptrIfEEEEPffNS8_4plusIfEEEE10hipError_tPvRmT1_T2_T3_mT4_P12ihipStream_tbEUlT_E0_NS1_11comp_targetILNS1_3genE5ELNS1_11target_archE942ELNS1_3gpuE9ELNS1_3repE0EEENS1_30default_config_static_selectorELNS0_4arch9wavefront6targetE1EEEvSK_,comdat
	.protected	_ZN7rocprim17ROCPRIM_400000_NS6detail17trampoline_kernelINS0_14default_configENS1_22reduce_config_selectorIfEEZNS1_11reduce_implILb1ES3_N6thrust23THRUST_200600_302600_NS6detail15normal_iteratorINS8_10device_ptrIfEEEEPffNS8_4plusIfEEEE10hipError_tPvRmT1_T2_T3_mT4_P12ihipStream_tbEUlT_E0_NS1_11comp_targetILNS1_3genE5ELNS1_11target_archE942ELNS1_3gpuE9ELNS1_3repE0EEENS1_30default_config_static_selectorELNS0_4arch9wavefront6targetE1EEEvSK_ ; -- Begin function _ZN7rocprim17ROCPRIM_400000_NS6detail17trampoline_kernelINS0_14default_configENS1_22reduce_config_selectorIfEEZNS1_11reduce_implILb1ES3_N6thrust23THRUST_200600_302600_NS6detail15normal_iteratorINS8_10device_ptrIfEEEEPffNS8_4plusIfEEEE10hipError_tPvRmT1_T2_T3_mT4_P12ihipStream_tbEUlT_E0_NS1_11comp_targetILNS1_3genE5ELNS1_11target_archE942ELNS1_3gpuE9ELNS1_3repE0EEENS1_30default_config_static_selectorELNS0_4arch9wavefront6targetE1EEEvSK_
	.globl	_ZN7rocprim17ROCPRIM_400000_NS6detail17trampoline_kernelINS0_14default_configENS1_22reduce_config_selectorIfEEZNS1_11reduce_implILb1ES3_N6thrust23THRUST_200600_302600_NS6detail15normal_iteratorINS8_10device_ptrIfEEEEPffNS8_4plusIfEEEE10hipError_tPvRmT1_T2_T3_mT4_P12ihipStream_tbEUlT_E0_NS1_11comp_targetILNS1_3genE5ELNS1_11target_archE942ELNS1_3gpuE9ELNS1_3repE0EEENS1_30default_config_static_selectorELNS0_4arch9wavefront6targetE1EEEvSK_
	.p2align	8
	.type	_ZN7rocprim17ROCPRIM_400000_NS6detail17trampoline_kernelINS0_14default_configENS1_22reduce_config_selectorIfEEZNS1_11reduce_implILb1ES3_N6thrust23THRUST_200600_302600_NS6detail15normal_iteratorINS8_10device_ptrIfEEEEPffNS8_4plusIfEEEE10hipError_tPvRmT1_T2_T3_mT4_P12ihipStream_tbEUlT_E0_NS1_11comp_targetILNS1_3genE5ELNS1_11target_archE942ELNS1_3gpuE9ELNS1_3repE0EEENS1_30default_config_static_selectorELNS0_4arch9wavefront6targetE1EEEvSK_,@function
_ZN7rocprim17ROCPRIM_400000_NS6detail17trampoline_kernelINS0_14default_configENS1_22reduce_config_selectorIfEEZNS1_11reduce_implILb1ES3_N6thrust23THRUST_200600_302600_NS6detail15normal_iteratorINS8_10device_ptrIfEEEEPffNS8_4plusIfEEEE10hipError_tPvRmT1_T2_T3_mT4_P12ihipStream_tbEUlT_E0_NS1_11comp_targetILNS1_3genE5ELNS1_11target_archE942ELNS1_3gpuE9ELNS1_3repE0EEENS1_30default_config_static_selectorELNS0_4arch9wavefront6targetE1EEEvSK_: ; @_ZN7rocprim17ROCPRIM_400000_NS6detail17trampoline_kernelINS0_14default_configENS1_22reduce_config_selectorIfEEZNS1_11reduce_implILb1ES3_N6thrust23THRUST_200600_302600_NS6detail15normal_iteratorINS8_10device_ptrIfEEEEPffNS8_4plusIfEEEE10hipError_tPvRmT1_T2_T3_mT4_P12ihipStream_tbEUlT_E0_NS1_11comp_targetILNS1_3genE5ELNS1_11target_archE942ELNS1_3gpuE9ELNS1_3repE0EEENS1_30default_config_static_selectorELNS0_4arch9wavefront6targetE1EEEvSK_
; %bb.0:
	.section	.rodata,"a",@progbits
	.p2align	6, 0x0
	.amdhsa_kernel _ZN7rocprim17ROCPRIM_400000_NS6detail17trampoline_kernelINS0_14default_configENS1_22reduce_config_selectorIfEEZNS1_11reduce_implILb1ES3_N6thrust23THRUST_200600_302600_NS6detail15normal_iteratorINS8_10device_ptrIfEEEEPffNS8_4plusIfEEEE10hipError_tPvRmT1_T2_T3_mT4_P12ihipStream_tbEUlT_E0_NS1_11comp_targetILNS1_3genE5ELNS1_11target_archE942ELNS1_3gpuE9ELNS1_3repE0EEENS1_30default_config_static_selectorELNS0_4arch9wavefront6targetE1EEEvSK_
		.amdhsa_group_segment_fixed_size 0
		.amdhsa_private_segment_fixed_size 0
		.amdhsa_kernarg_size 56
		.amdhsa_user_sgpr_count 2
		.amdhsa_user_sgpr_dispatch_ptr 0
		.amdhsa_user_sgpr_queue_ptr 0
		.amdhsa_user_sgpr_kernarg_segment_ptr 1
		.amdhsa_user_sgpr_dispatch_id 0
		.amdhsa_user_sgpr_kernarg_preload_length 0
		.amdhsa_user_sgpr_kernarg_preload_offset 0
		.amdhsa_user_sgpr_private_segment_size 0
		.amdhsa_uses_dynamic_stack 0
		.amdhsa_enable_private_segment 0
		.amdhsa_system_sgpr_workgroup_id_x 1
		.amdhsa_system_sgpr_workgroup_id_y 0
		.amdhsa_system_sgpr_workgroup_id_z 0
		.amdhsa_system_sgpr_workgroup_info 0
		.amdhsa_system_vgpr_workitem_id 0
		.amdhsa_next_free_vgpr 1
		.amdhsa_next_free_sgpr 0
		.amdhsa_accum_offset 4
		.amdhsa_reserve_vcc 0
		.amdhsa_float_round_mode_32 0
		.amdhsa_float_round_mode_16_64 0
		.amdhsa_float_denorm_mode_32 3
		.amdhsa_float_denorm_mode_16_64 3
		.amdhsa_dx10_clamp 1
		.amdhsa_ieee_mode 1
		.amdhsa_fp16_overflow 0
		.amdhsa_tg_split 0
		.amdhsa_exception_fp_ieee_invalid_op 0
		.amdhsa_exception_fp_denorm_src 0
		.amdhsa_exception_fp_ieee_div_zero 0
		.amdhsa_exception_fp_ieee_overflow 0
		.amdhsa_exception_fp_ieee_underflow 0
		.amdhsa_exception_fp_ieee_inexact 0
		.amdhsa_exception_int_div_zero 0
	.end_amdhsa_kernel
	.section	.text._ZN7rocprim17ROCPRIM_400000_NS6detail17trampoline_kernelINS0_14default_configENS1_22reduce_config_selectorIfEEZNS1_11reduce_implILb1ES3_N6thrust23THRUST_200600_302600_NS6detail15normal_iteratorINS8_10device_ptrIfEEEEPffNS8_4plusIfEEEE10hipError_tPvRmT1_T2_T3_mT4_P12ihipStream_tbEUlT_E0_NS1_11comp_targetILNS1_3genE5ELNS1_11target_archE942ELNS1_3gpuE9ELNS1_3repE0EEENS1_30default_config_static_selectorELNS0_4arch9wavefront6targetE1EEEvSK_,"axG",@progbits,_ZN7rocprim17ROCPRIM_400000_NS6detail17trampoline_kernelINS0_14default_configENS1_22reduce_config_selectorIfEEZNS1_11reduce_implILb1ES3_N6thrust23THRUST_200600_302600_NS6detail15normal_iteratorINS8_10device_ptrIfEEEEPffNS8_4plusIfEEEE10hipError_tPvRmT1_T2_T3_mT4_P12ihipStream_tbEUlT_E0_NS1_11comp_targetILNS1_3genE5ELNS1_11target_archE942ELNS1_3gpuE9ELNS1_3repE0EEENS1_30default_config_static_selectorELNS0_4arch9wavefront6targetE1EEEvSK_,comdat
.Lfunc_end58:
	.size	_ZN7rocprim17ROCPRIM_400000_NS6detail17trampoline_kernelINS0_14default_configENS1_22reduce_config_selectorIfEEZNS1_11reduce_implILb1ES3_N6thrust23THRUST_200600_302600_NS6detail15normal_iteratorINS8_10device_ptrIfEEEEPffNS8_4plusIfEEEE10hipError_tPvRmT1_T2_T3_mT4_P12ihipStream_tbEUlT_E0_NS1_11comp_targetILNS1_3genE5ELNS1_11target_archE942ELNS1_3gpuE9ELNS1_3repE0EEENS1_30default_config_static_selectorELNS0_4arch9wavefront6targetE1EEEvSK_, .Lfunc_end58-_ZN7rocprim17ROCPRIM_400000_NS6detail17trampoline_kernelINS0_14default_configENS1_22reduce_config_selectorIfEEZNS1_11reduce_implILb1ES3_N6thrust23THRUST_200600_302600_NS6detail15normal_iteratorINS8_10device_ptrIfEEEEPffNS8_4plusIfEEEE10hipError_tPvRmT1_T2_T3_mT4_P12ihipStream_tbEUlT_E0_NS1_11comp_targetILNS1_3genE5ELNS1_11target_archE942ELNS1_3gpuE9ELNS1_3repE0EEENS1_30default_config_static_selectorELNS0_4arch9wavefront6targetE1EEEvSK_
                                        ; -- End function
	.set _ZN7rocprim17ROCPRIM_400000_NS6detail17trampoline_kernelINS0_14default_configENS1_22reduce_config_selectorIfEEZNS1_11reduce_implILb1ES3_N6thrust23THRUST_200600_302600_NS6detail15normal_iteratorINS8_10device_ptrIfEEEEPffNS8_4plusIfEEEE10hipError_tPvRmT1_T2_T3_mT4_P12ihipStream_tbEUlT_E0_NS1_11comp_targetILNS1_3genE5ELNS1_11target_archE942ELNS1_3gpuE9ELNS1_3repE0EEENS1_30default_config_static_selectorELNS0_4arch9wavefront6targetE1EEEvSK_.num_vgpr, 0
	.set _ZN7rocprim17ROCPRIM_400000_NS6detail17trampoline_kernelINS0_14default_configENS1_22reduce_config_selectorIfEEZNS1_11reduce_implILb1ES3_N6thrust23THRUST_200600_302600_NS6detail15normal_iteratorINS8_10device_ptrIfEEEEPffNS8_4plusIfEEEE10hipError_tPvRmT1_T2_T3_mT4_P12ihipStream_tbEUlT_E0_NS1_11comp_targetILNS1_3genE5ELNS1_11target_archE942ELNS1_3gpuE9ELNS1_3repE0EEENS1_30default_config_static_selectorELNS0_4arch9wavefront6targetE1EEEvSK_.num_agpr, 0
	.set _ZN7rocprim17ROCPRIM_400000_NS6detail17trampoline_kernelINS0_14default_configENS1_22reduce_config_selectorIfEEZNS1_11reduce_implILb1ES3_N6thrust23THRUST_200600_302600_NS6detail15normal_iteratorINS8_10device_ptrIfEEEEPffNS8_4plusIfEEEE10hipError_tPvRmT1_T2_T3_mT4_P12ihipStream_tbEUlT_E0_NS1_11comp_targetILNS1_3genE5ELNS1_11target_archE942ELNS1_3gpuE9ELNS1_3repE0EEENS1_30default_config_static_selectorELNS0_4arch9wavefront6targetE1EEEvSK_.numbered_sgpr, 0
	.set _ZN7rocprim17ROCPRIM_400000_NS6detail17trampoline_kernelINS0_14default_configENS1_22reduce_config_selectorIfEEZNS1_11reduce_implILb1ES3_N6thrust23THRUST_200600_302600_NS6detail15normal_iteratorINS8_10device_ptrIfEEEEPffNS8_4plusIfEEEE10hipError_tPvRmT1_T2_T3_mT4_P12ihipStream_tbEUlT_E0_NS1_11comp_targetILNS1_3genE5ELNS1_11target_archE942ELNS1_3gpuE9ELNS1_3repE0EEENS1_30default_config_static_selectorELNS0_4arch9wavefront6targetE1EEEvSK_.num_named_barrier, 0
	.set _ZN7rocprim17ROCPRIM_400000_NS6detail17trampoline_kernelINS0_14default_configENS1_22reduce_config_selectorIfEEZNS1_11reduce_implILb1ES3_N6thrust23THRUST_200600_302600_NS6detail15normal_iteratorINS8_10device_ptrIfEEEEPffNS8_4plusIfEEEE10hipError_tPvRmT1_T2_T3_mT4_P12ihipStream_tbEUlT_E0_NS1_11comp_targetILNS1_3genE5ELNS1_11target_archE942ELNS1_3gpuE9ELNS1_3repE0EEENS1_30default_config_static_selectorELNS0_4arch9wavefront6targetE1EEEvSK_.private_seg_size, 0
	.set _ZN7rocprim17ROCPRIM_400000_NS6detail17trampoline_kernelINS0_14default_configENS1_22reduce_config_selectorIfEEZNS1_11reduce_implILb1ES3_N6thrust23THRUST_200600_302600_NS6detail15normal_iteratorINS8_10device_ptrIfEEEEPffNS8_4plusIfEEEE10hipError_tPvRmT1_T2_T3_mT4_P12ihipStream_tbEUlT_E0_NS1_11comp_targetILNS1_3genE5ELNS1_11target_archE942ELNS1_3gpuE9ELNS1_3repE0EEENS1_30default_config_static_selectorELNS0_4arch9wavefront6targetE1EEEvSK_.uses_vcc, 0
	.set _ZN7rocprim17ROCPRIM_400000_NS6detail17trampoline_kernelINS0_14default_configENS1_22reduce_config_selectorIfEEZNS1_11reduce_implILb1ES3_N6thrust23THRUST_200600_302600_NS6detail15normal_iteratorINS8_10device_ptrIfEEEEPffNS8_4plusIfEEEE10hipError_tPvRmT1_T2_T3_mT4_P12ihipStream_tbEUlT_E0_NS1_11comp_targetILNS1_3genE5ELNS1_11target_archE942ELNS1_3gpuE9ELNS1_3repE0EEENS1_30default_config_static_selectorELNS0_4arch9wavefront6targetE1EEEvSK_.uses_flat_scratch, 0
	.set _ZN7rocprim17ROCPRIM_400000_NS6detail17trampoline_kernelINS0_14default_configENS1_22reduce_config_selectorIfEEZNS1_11reduce_implILb1ES3_N6thrust23THRUST_200600_302600_NS6detail15normal_iteratorINS8_10device_ptrIfEEEEPffNS8_4plusIfEEEE10hipError_tPvRmT1_T2_T3_mT4_P12ihipStream_tbEUlT_E0_NS1_11comp_targetILNS1_3genE5ELNS1_11target_archE942ELNS1_3gpuE9ELNS1_3repE0EEENS1_30default_config_static_selectorELNS0_4arch9wavefront6targetE1EEEvSK_.has_dyn_sized_stack, 0
	.set _ZN7rocprim17ROCPRIM_400000_NS6detail17trampoline_kernelINS0_14default_configENS1_22reduce_config_selectorIfEEZNS1_11reduce_implILb1ES3_N6thrust23THRUST_200600_302600_NS6detail15normal_iteratorINS8_10device_ptrIfEEEEPffNS8_4plusIfEEEE10hipError_tPvRmT1_T2_T3_mT4_P12ihipStream_tbEUlT_E0_NS1_11comp_targetILNS1_3genE5ELNS1_11target_archE942ELNS1_3gpuE9ELNS1_3repE0EEENS1_30default_config_static_selectorELNS0_4arch9wavefront6targetE1EEEvSK_.has_recursion, 0
	.set _ZN7rocprim17ROCPRIM_400000_NS6detail17trampoline_kernelINS0_14default_configENS1_22reduce_config_selectorIfEEZNS1_11reduce_implILb1ES3_N6thrust23THRUST_200600_302600_NS6detail15normal_iteratorINS8_10device_ptrIfEEEEPffNS8_4plusIfEEEE10hipError_tPvRmT1_T2_T3_mT4_P12ihipStream_tbEUlT_E0_NS1_11comp_targetILNS1_3genE5ELNS1_11target_archE942ELNS1_3gpuE9ELNS1_3repE0EEENS1_30default_config_static_selectorELNS0_4arch9wavefront6targetE1EEEvSK_.has_indirect_call, 0
	.section	.AMDGPU.csdata,"",@progbits
; Kernel info:
; codeLenInByte = 0
; TotalNumSgprs: 6
; NumVgprs: 0
; NumAgprs: 0
; TotalNumVgprs: 0
; ScratchSize: 0
; MemoryBound: 0
; FloatMode: 240
; IeeeMode: 1
; LDSByteSize: 0 bytes/workgroup (compile time only)
; SGPRBlocks: 0
; VGPRBlocks: 0
; NumSGPRsForWavesPerEU: 6
; NumVGPRsForWavesPerEU: 1
; AccumOffset: 4
; Occupancy: 8
; WaveLimiterHint : 0
; COMPUTE_PGM_RSRC2:SCRATCH_EN: 0
; COMPUTE_PGM_RSRC2:USER_SGPR: 2
; COMPUTE_PGM_RSRC2:TRAP_HANDLER: 0
; COMPUTE_PGM_RSRC2:TGID_X_EN: 1
; COMPUTE_PGM_RSRC2:TGID_Y_EN: 0
; COMPUTE_PGM_RSRC2:TGID_Z_EN: 0
; COMPUTE_PGM_RSRC2:TIDIG_COMP_CNT: 0
; COMPUTE_PGM_RSRC3_GFX90A:ACCUM_OFFSET: 0
; COMPUTE_PGM_RSRC3_GFX90A:TG_SPLIT: 0
	.section	.text._ZN7rocprim17ROCPRIM_400000_NS6detail17trampoline_kernelINS0_14default_configENS1_22reduce_config_selectorIfEEZNS1_11reduce_implILb1ES3_N6thrust23THRUST_200600_302600_NS6detail15normal_iteratorINS8_10device_ptrIfEEEEPffNS8_4plusIfEEEE10hipError_tPvRmT1_T2_T3_mT4_P12ihipStream_tbEUlT_E0_NS1_11comp_targetILNS1_3genE4ELNS1_11target_archE910ELNS1_3gpuE8ELNS1_3repE0EEENS1_30default_config_static_selectorELNS0_4arch9wavefront6targetE1EEEvSK_,"axG",@progbits,_ZN7rocprim17ROCPRIM_400000_NS6detail17trampoline_kernelINS0_14default_configENS1_22reduce_config_selectorIfEEZNS1_11reduce_implILb1ES3_N6thrust23THRUST_200600_302600_NS6detail15normal_iteratorINS8_10device_ptrIfEEEEPffNS8_4plusIfEEEE10hipError_tPvRmT1_T2_T3_mT4_P12ihipStream_tbEUlT_E0_NS1_11comp_targetILNS1_3genE4ELNS1_11target_archE910ELNS1_3gpuE8ELNS1_3repE0EEENS1_30default_config_static_selectorELNS0_4arch9wavefront6targetE1EEEvSK_,comdat
	.protected	_ZN7rocprim17ROCPRIM_400000_NS6detail17trampoline_kernelINS0_14default_configENS1_22reduce_config_selectorIfEEZNS1_11reduce_implILb1ES3_N6thrust23THRUST_200600_302600_NS6detail15normal_iteratorINS8_10device_ptrIfEEEEPffNS8_4plusIfEEEE10hipError_tPvRmT1_T2_T3_mT4_P12ihipStream_tbEUlT_E0_NS1_11comp_targetILNS1_3genE4ELNS1_11target_archE910ELNS1_3gpuE8ELNS1_3repE0EEENS1_30default_config_static_selectorELNS0_4arch9wavefront6targetE1EEEvSK_ ; -- Begin function _ZN7rocprim17ROCPRIM_400000_NS6detail17trampoline_kernelINS0_14default_configENS1_22reduce_config_selectorIfEEZNS1_11reduce_implILb1ES3_N6thrust23THRUST_200600_302600_NS6detail15normal_iteratorINS8_10device_ptrIfEEEEPffNS8_4plusIfEEEE10hipError_tPvRmT1_T2_T3_mT4_P12ihipStream_tbEUlT_E0_NS1_11comp_targetILNS1_3genE4ELNS1_11target_archE910ELNS1_3gpuE8ELNS1_3repE0EEENS1_30default_config_static_selectorELNS0_4arch9wavefront6targetE1EEEvSK_
	.globl	_ZN7rocprim17ROCPRIM_400000_NS6detail17trampoline_kernelINS0_14default_configENS1_22reduce_config_selectorIfEEZNS1_11reduce_implILb1ES3_N6thrust23THRUST_200600_302600_NS6detail15normal_iteratorINS8_10device_ptrIfEEEEPffNS8_4plusIfEEEE10hipError_tPvRmT1_T2_T3_mT4_P12ihipStream_tbEUlT_E0_NS1_11comp_targetILNS1_3genE4ELNS1_11target_archE910ELNS1_3gpuE8ELNS1_3repE0EEENS1_30default_config_static_selectorELNS0_4arch9wavefront6targetE1EEEvSK_
	.p2align	8
	.type	_ZN7rocprim17ROCPRIM_400000_NS6detail17trampoline_kernelINS0_14default_configENS1_22reduce_config_selectorIfEEZNS1_11reduce_implILb1ES3_N6thrust23THRUST_200600_302600_NS6detail15normal_iteratorINS8_10device_ptrIfEEEEPffNS8_4plusIfEEEE10hipError_tPvRmT1_T2_T3_mT4_P12ihipStream_tbEUlT_E0_NS1_11comp_targetILNS1_3genE4ELNS1_11target_archE910ELNS1_3gpuE8ELNS1_3repE0EEENS1_30default_config_static_selectorELNS0_4arch9wavefront6targetE1EEEvSK_,@function
_ZN7rocprim17ROCPRIM_400000_NS6detail17trampoline_kernelINS0_14default_configENS1_22reduce_config_selectorIfEEZNS1_11reduce_implILb1ES3_N6thrust23THRUST_200600_302600_NS6detail15normal_iteratorINS8_10device_ptrIfEEEEPffNS8_4plusIfEEEE10hipError_tPvRmT1_T2_T3_mT4_P12ihipStream_tbEUlT_E0_NS1_11comp_targetILNS1_3genE4ELNS1_11target_archE910ELNS1_3gpuE8ELNS1_3repE0EEENS1_30default_config_static_selectorELNS0_4arch9wavefront6targetE1EEEvSK_: ; @_ZN7rocprim17ROCPRIM_400000_NS6detail17trampoline_kernelINS0_14default_configENS1_22reduce_config_selectorIfEEZNS1_11reduce_implILb1ES3_N6thrust23THRUST_200600_302600_NS6detail15normal_iteratorINS8_10device_ptrIfEEEEPffNS8_4plusIfEEEE10hipError_tPvRmT1_T2_T3_mT4_P12ihipStream_tbEUlT_E0_NS1_11comp_targetILNS1_3genE4ELNS1_11target_archE910ELNS1_3gpuE8ELNS1_3repE0EEENS1_30default_config_static_selectorELNS0_4arch9wavefront6targetE1EEEvSK_
; %bb.0:
	.section	.rodata,"a",@progbits
	.p2align	6, 0x0
	.amdhsa_kernel _ZN7rocprim17ROCPRIM_400000_NS6detail17trampoline_kernelINS0_14default_configENS1_22reduce_config_selectorIfEEZNS1_11reduce_implILb1ES3_N6thrust23THRUST_200600_302600_NS6detail15normal_iteratorINS8_10device_ptrIfEEEEPffNS8_4plusIfEEEE10hipError_tPvRmT1_T2_T3_mT4_P12ihipStream_tbEUlT_E0_NS1_11comp_targetILNS1_3genE4ELNS1_11target_archE910ELNS1_3gpuE8ELNS1_3repE0EEENS1_30default_config_static_selectorELNS0_4arch9wavefront6targetE1EEEvSK_
		.amdhsa_group_segment_fixed_size 0
		.amdhsa_private_segment_fixed_size 0
		.amdhsa_kernarg_size 56
		.amdhsa_user_sgpr_count 2
		.amdhsa_user_sgpr_dispatch_ptr 0
		.amdhsa_user_sgpr_queue_ptr 0
		.amdhsa_user_sgpr_kernarg_segment_ptr 1
		.amdhsa_user_sgpr_dispatch_id 0
		.amdhsa_user_sgpr_kernarg_preload_length 0
		.amdhsa_user_sgpr_kernarg_preload_offset 0
		.amdhsa_user_sgpr_private_segment_size 0
		.amdhsa_uses_dynamic_stack 0
		.amdhsa_enable_private_segment 0
		.amdhsa_system_sgpr_workgroup_id_x 1
		.amdhsa_system_sgpr_workgroup_id_y 0
		.amdhsa_system_sgpr_workgroup_id_z 0
		.amdhsa_system_sgpr_workgroup_info 0
		.amdhsa_system_vgpr_workitem_id 0
		.amdhsa_next_free_vgpr 1
		.amdhsa_next_free_sgpr 0
		.amdhsa_accum_offset 4
		.amdhsa_reserve_vcc 0
		.amdhsa_float_round_mode_32 0
		.amdhsa_float_round_mode_16_64 0
		.amdhsa_float_denorm_mode_32 3
		.amdhsa_float_denorm_mode_16_64 3
		.amdhsa_dx10_clamp 1
		.amdhsa_ieee_mode 1
		.amdhsa_fp16_overflow 0
		.amdhsa_tg_split 0
		.amdhsa_exception_fp_ieee_invalid_op 0
		.amdhsa_exception_fp_denorm_src 0
		.amdhsa_exception_fp_ieee_div_zero 0
		.amdhsa_exception_fp_ieee_overflow 0
		.amdhsa_exception_fp_ieee_underflow 0
		.amdhsa_exception_fp_ieee_inexact 0
		.amdhsa_exception_int_div_zero 0
	.end_amdhsa_kernel
	.section	.text._ZN7rocprim17ROCPRIM_400000_NS6detail17trampoline_kernelINS0_14default_configENS1_22reduce_config_selectorIfEEZNS1_11reduce_implILb1ES3_N6thrust23THRUST_200600_302600_NS6detail15normal_iteratorINS8_10device_ptrIfEEEEPffNS8_4plusIfEEEE10hipError_tPvRmT1_T2_T3_mT4_P12ihipStream_tbEUlT_E0_NS1_11comp_targetILNS1_3genE4ELNS1_11target_archE910ELNS1_3gpuE8ELNS1_3repE0EEENS1_30default_config_static_selectorELNS0_4arch9wavefront6targetE1EEEvSK_,"axG",@progbits,_ZN7rocprim17ROCPRIM_400000_NS6detail17trampoline_kernelINS0_14default_configENS1_22reduce_config_selectorIfEEZNS1_11reduce_implILb1ES3_N6thrust23THRUST_200600_302600_NS6detail15normal_iteratorINS8_10device_ptrIfEEEEPffNS8_4plusIfEEEE10hipError_tPvRmT1_T2_T3_mT4_P12ihipStream_tbEUlT_E0_NS1_11comp_targetILNS1_3genE4ELNS1_11target_archE910ELNS1_3gpuE8ELNS1_3repE0EEENS1_30default_config_static_selectorELNS0_4arch9wavefront6targetE1EEEvSK_,comdat
.Lfunc_end59:
	.size	_ZN7rocprim17ROCPRIM_400000_NS6detail17trampoline_kernelINS0_14default_configENS1_22reduce_config_selectorIfEEZNS1_11reduce_implILb1ES3_N6thrust23THRUST_200600_302600_NS6detail15normal_iteratorINS8_10device_ptrIfEEEEPffNS8_4plusIfEEEE10hipError_tPvRmT1_T2_T3_mT4_P12ihipStream_tbEUlT_E0_NS1_11comp_targetILNS1_3genE4ELNS1_11target_archE910ELNS1_3gpuE8ELNS1_3repE0EEENS1_30default_config_static_selectorELNS0_4arch9wavefront6targetE1EEEvSK_, .Lfunc_end59-_ZN7rocprim17ROCPRIM_400000_NS6detail17trampoline_kernelINS0_14default_configENS1_22reduce_config_selectorIfEEZNS1_11reduce_implILb1ES3_N6thrust23THRUST_200600_302600_NS6detail15normal_iteratorINS8_10device_ptrIfEEEEPffNS8_4plusIfEEEE10hipError_tPvRmT1_T2_T3_mT4_P12ihipStream_tbEUlT_E0_NS1_11comp_targetILNS1_3genE4ELNS1_11target_archE910ELNS1_3gpuE8ELNS1_3repE0EEENS1_30default_config_static_selectorELNS0_4arch9wavefront6targetE1EEEvSK_
                                        ; -- End function
	.set _ZN7rocprim17ROCPRIM_400000_NS6detail17trampoline_kernelINS0_14default_configENS1_22reduce_config_selectorIfEEZNS1_11reduce_implILb1ES3_N6thrust23THRUST_200600_302600_NS6detail15normal_iteratorINS8_10device_ptrIfEEEEPffNS8_4plusIfEEEE10hipError_tPvRmT1_T2_T3_mT4_P12ihipStream_tbEUlT_E0_NS1_11comp_targetILNS1_3genE4ELNS1_11target_archE910ELNS1_3gpuE8ELNS1_3repE0EEENS1_30default_config_static_selectorELNS0_4arch9wavefront6targetE1EEEvSK_.num_vgpr, 0
	.set _ZN7rocprim17ROCPRIM_400000_NS6detail17trampoline_kernelINS0_14default_configENS1_22reduce_config_selectorIfEEZNS1_11reduce_implILb1ES3_N6thrust23THRUST_200600_302600_NS6detail15normal_iteratorINS8_10device_ptrIfEEEEPffNS8_4plusIfEEEE10hipError_tPvRmT1_T2_T3_mT4_P12ihipStream_tbEUlT_E0_NS1_11comp_targetILNS1_3genE4ELNS1_11target_archE910ELNS1_3gpuE8ELNS1_3repE0EEENS1_30default_config_static_selectorELNS0_4arch9wavefront6targetE1EEEvSK_.num_agpr, 0
	.set _ZN7rocprim17ROCPRIM_400000_NS6detail17trampoline_kernelINS0_14default_configENS1_22reduce_config_selectorIfEEZNS1_11reduce_implILb1ES3_N6thrust23THRUST_200600_302600_NS6detail15normal_iteratorINS8_10device_ptrIfEEEEPffNS8_4plusIfEEEE10hipError_tPvRmT1_T2_T3_mT4_P12ihipStream_tbEUlT_E0_NS1_11comp_targetILNS1_3genE4ELNS1_11target_archE910ELNS1_3gpuE8ELNS1_3repE0EEENS1_30default_config_static_selectorELNS0_4arch9wavefront6targetE1EEEvSK_.numbered_sgpr, 0
	.set _ZN7rocprim17ROCPRIM_400000_NS6detail17trampoline_kernelINS0_14default_configENS1_22reduce_config_selectorIfEEZNS1_11reduce_implILb1ES3_N6thrust23THRUST_200600_302600_NS6detail15normal_iteratorINS8_10device_ptrIfEEEEPffNS8_4plusIfEEEE10hipError_tPvRmT1_T2_T3_mT4_P12ihipStream_tbEUlT_E0_NS1_11comp_targetILNS1_3genE4ELNS1_11target_archE910ELNS1_3gpuE8ELNS1_3repE0EEENS1_30default_config_static_selectorELNS0_4arch9wavefront6targetE1EEEvSK_.num_named_barrier, 0
	.set _ZN7rocprim17ROCPRIM_400000_NS6detail17trampoline_kernelINS0_14default_configENS1_22reduce_config_selectorIfEEZNS1_11reduce_implILb1ES3_N6thrust23THRUST_200600_302600_NS6detail15normal_iteratorINS8_10device_ptrIfEEEEPffNS8_4plusIfEEEE10hipError_tPvRmT1_T2_T3_mT4_P12ihipStream_tbEUlT_E0_NS1_11comp_targetILNS1_3genE4ELNS1_11target_archE910ELNS1_3gpuE8ELNS1_3repE0EEENS1_30default_config_static_selectorELNS0_4arch9wavefront6targetE1EEEvSK_.private_seg_size, 0
	.set _ZN7rocprim17ROCPRIM_400000_NS6detail17trampoline_kernelINS0_14default_configENS1_22reduce_config_selectorIfEEZNS1_11reduce_implILb1ES3_N6thrust23THRUST_200600_302600_NS6detail15normal_iteratorINS8_10device_ptrIfEEEEPffNS8_4plusIfEEEE10hipError_tPvRmT1_T2_T3_mT4_P12ihipStream_tbEUlT_E0_NS1_11comp_targetILNS1_3genE4ELNS1_11target_archE910ELNS1_3gpuE8ELNS1_3repE0EEENS1_30default_config_static_selectorELNS0_4arch9wavefront6targetE1EEEvSK_.uses_vcc, 0
	.set _ZN7rocprim17ROCPRIM_400000_NS6detail17trampoline_kernelINS0_14default_configENS1_22reduce_config_selectorIfEEZNS1_11reduce_implILb1ES3_N6thrust23THRUST_200600_302600_NS6detail15normal_iteratorINS8_10device_ptrIfEEEEPffNS8_4plusIfEEEE10hipError_tPvRmT1_T2_T3_mT4_P12ihipStream_tbEUlT_E0_NS1_11comp_targetILNS1_3genE4ELNS1_11target_archE910ELNS1_3gpuE8ELNS1_3repE0EEENS1_30default_config_static_selectorELNS0_4arch9wavefront6targetE1EEEvSK_.uses_flat_scratch, 0
	.set _ZN7rocprim17ROCPRIM_400000_NS6detail17trampoline_kernelINS0_14default_configENS1_22reduce_config_selectorIfEEZNS1_11reduce_implILb1ES3_N6thrust23THRUST_200600_302600_NS6detail15normal_iteratorINS8_10device_ptrIfEEEEPffNS8_4plusIfEEEE10hipError_tPvRmT1_T2_T3_mT4_P12ihipStream_tbEUlT_E0_NS1_11comp_targetILNS1_3genE4ELNS1_11target_archE910ELNS1_3gpuE8ELNS1_3repE0EEENS1_30default_config_static_selectorELNS0_4arch9wavefront6targetE1EEEvSK_.has_dyn_sized_stack, 0
	.set _ZN7rocprim17ROCPRIM_400000_NS6detail17trampoline_kernelINS0_14default_configENS1_22reduce_config_selectorIfEEZNS1_11reduce_implILb1ES3_N6thrust23THRUST_200600_302600_NS6detail15normal_iteratorINS8_10device_ptrIfEEEEPffNS8_4plusIfEEEE10hipError_tPvRmT1_T2_T3_mT4_P12ihipStream_tbEUlT_E0_NS1_11comp_targetILNS1_3genE4ELNS1_11target_archE910ELNS1_3gpuE8ELNS1_3repE0EEENS1_30default_config_static_selectorELNS0_4arch9wavefront6targetE1EEEvSK_.has_recursion, 0
	.set _ZN7rocprim17ROCPRIM_400000_NS6detail17trampoline_kernelINS0_14default_configENS1_22reduce_config_selectorIfEEZNS1_11reduce_implILb1ES3_N6thrust23THRUST_200600_302600_NS6detail15normal_iteratorINS8_10device_ptrIfEEEEPffNS8_4plusIfEEEE10hipError_tPvRmT1_T2_T3_mT4_P12ihipStream_tbEUlT_E0_NS1_11comp_targetILNS1_3genE4ELNS1_11target_archE910ELNS1_3gpuE8ELNS1_3repE0EEENS1_30default_config_static_selectorELNS0_4arch9wavefront6targetE1EEEvSK_.has_indirect_call, 0
	.section	.AMDGPU.csdata,"",@progbits
; Kernel info:
; codeLenInByte = 0
; TotalNumSgprs: 6
; NumVgprs: 0
; NumAgprs: 0
; TotalNumVgprs: 0
; ScratchSize: 0
; MemoryBound: 0
; FloatMode: 240
; IeeeMode: 1
; LDSByteSize: 0 bytes/workgroup (compile time only)
; SGPRBlocks: 0
; VGPRBlocks: 0
; NumSGPRsForWavesPerEU: 6
; NumVGPRsForWavesPerEU: 1
; AccumOffset: 4
; Occupancy: 8
; WaveLimiterHint : 0
; COMPUTE_PGM_RSRC2:SCRATCH_EN: 0
; COMPUTE_PGM_RSRC2:USER_SGPR: 2
; COMPUTE_PGM_RSRC2:TRAP_HANDLER: 0
; COMPUTE_PGM_RSRC2:TGID_X_EN: 1
; COMPUTE_PGM_RSRC2:TGID_Y_EN: 0
; COMPUTE_PGM_RSRC2:TGID_Z_EN: 0
; COMPUTE_PGM_RSRC2:TIDIG_COMP_CNT: 0
; COMPUTE_PGM_RSRC3_GFX90A:ACCUM_OFFSET: 0
; COMPUTE_PGM_RSRC3_GFX90A:TG_SPLIT: 0
	.section	.text._ZN7rocprim17ROCPRIM_400000_NS6detail17trampoline_kernelINS0_14default_configENS1_22reduce_config_selectorIfEEZNS1_11reduce_implILb1ES3_N6thrust23THRUST_200600_302600_NS6detail15normal_iteratorINS8_10device_ptrIfEEEEPffNS8_4plusIfEEEE10hipError_tPvRmT1_T2_T3_mT4_P12ihipStream_tbEUlT_E0_NS1_11comp_targetILNS1_3genE3ELNS1_11target_archE908ELNS1_3gpuE7ELNS1_3repE0EEENS1_30default_config_static_selectorELNS0_4arch9wavefront6targetE1EEEvSK_,"axG",@progbits,_ZN7rocprim17ROCPRIM_400000_NS6detail17trampoline_kernelINS0_14default_configENS1_22reduce_config_selectorIfEEZNS1_11reduce_implILb1ES3_N6thrust23THRUST_200600_302600_NS6detail15normal_iteratorINS8_10device_ptrIfEEEEPffNS8_4plusIfEEEE10hipError_tPvRmT1_T2_T3_mT4_P12ihipStream_tbEUlT_E0_NS1_11comp_targetILNS1_3genE3ELNS1_11target_archE908ELNS1_3gpuE7ELNS1_3repE0EEENS1_30default_config_static_selectorELNS0_4arch9wavefront6targetE1EEEvSK_,comdat
	.protected	_ZN7rocprim17ROCPRIM_400000_NS6detail17trampoline_kernelINS0_14default_configENS1_22reduce_config_selectorIfEEZNS1_11reduce_implILb1ES3_N6thrust23THRUST_200600_302600_NS6detail15normal_iteratorINS8_10device_ptrIfEEEEPffNS8_4plusIfEEEE10hipError_tPvRmT1_T2_T3_mT4_P12ihipStream_tbEUlT_E0_NS1_11comp_targetILNS1_3genE3ELNS1_11target_archE908ELNS1_3gpuE7ELNS1_3repE0EEENS1_30default_config_static_selectorELNS0_4arch9wavefront6targetE1EEEvSK_ ; -- Begin function _ZN7rocprim17ROCPRIM_400000_NS6detail17trampoline_kernelINS0_14default_configENS1_22reduce_config_selectorIfEEZNS1_11reduce_implILb1ES3_N6thrust23THRUST_200600_302600_NS6detail15normal_iteratorINS8_10device_ptrIfEEEEPffNS8_4plusIfEEEE10hipError_tPvRmT1_T2_T3_mT4_P12ihipStream_tbEUlT_E0_NS1_11comp_targetILNS1_3genE3ELNS1_11target_archE908ELNS1_3gpuE7ELNS1_3repE0EEENS1_30default_config_static_selectorELNS0_4arch9wavefront6targetE1EEEvSK_
	.globl	_ZN7rocprim17ROCPRIM_400000_NS6detail17trampoline_kernelINS0_14default_configENS1_22reduce_config_selectorIfEEZNS1_11reduce_implILb1ES3_N6thrust23THRUST_200600_302600_NS6detail15normal_iteratorINS8_10device_ptrIfEEEEPffNS8_4plusIfEEEE10hipError_tPvRmT1_T2_T3_mT4_P12ihipStream_tbEUlT_E0_NS1_11comp_targetILNS1_3genE3ELNS1_11target_archE908ELNS1_3gpuE7ELNS1_3repE0EEENS1_30default_config_static_selectorELNS0_4arch9wavefront6targetE1EEEvSK_
	.p2align	8
	.type	_ZN7rocprim17ROCPRIM_400000_NS6detail17trampoline_kernelINS0_14default_configENS1_22reduce_config_selectorIfEEZNS1_11reduce_implILb1ES3_N6thrust23THRUST_200600_302600_NS6detail15normal_iteratorINS8_10device_ptrIfEEEEPffNS8_4plusIfEEEE10hipError_tPvRmT1_T2_T3_mT4_P12ihipStream_tbEUlT_E0_NS1_11comp_targetILNS1_3genE3ELNS1_11target_archE908ELNS1_3gpuE7ELNS1_3repE0EEENS1_30default_config_static_selectorELNS0_4arch9wavefront6targetE1EEEvSK_,@function
_ZN7rocprim17ROCPRIM_400000_NS6detail17trampoline_kernelINS0_14default_configENS1_22reduce_config_selectorIfEEZNS1_11reduce_implILb1ES3_N6thrust23THRUST_200600_302600_NS6detail15normal_iteratorINS8_10device_ptrIfEEEEPffNS8_4plusIfEEEE10hipError_tPvRmT1_T2_T3_mT4_P12ihipStream_tbEUlT_E0_NS1_11comp_targetILNS1_3genE3ELNS1_11target_archE908ELNS1_3gpuE7ELNS1_3repE0EEENS1_30default_config_static_selectorELNS0_4arch9wavefront6targetE1EEEvSK_: ; @_ZN7rocprim17ROCPRIM_400000_NS6detail17trampoline_kernelINS0_14default_configENS1_22reduce_config_selectorIfEEZNS1_11reduce_implILb1ES3_N6thrust23THRUST_200600_302600_NS6detail15normal_iteratorINS8_10device_ptrIfEEEEPffNS8_4plusIfEEEE10hipError_tPvRmT1_T2_T3_mT4_P12ihipStream_tbEUlT_E0_NS1_11comp_targetILNS1_3genE3ELNS1_11target_archE908ELNS1_3gpuE7ELNS1_3repE0EEENS1_30default_config_static_selectorELNS0_4arch9wavefront6targetE1EEEvSK_
; %bb.0:
	.section	.rodata,"a",@progbits
	.p2align	6, 0x0
	.amdhsa_kernel _ZN7rocprim17ROCPRIM_400000_NS6detail17trampoline_kernelINS0_14default_configENS1_22reduce_config_selectorIfEEZNS1_11reduce_implILb1ES3_N6thrust23THRUST_200600_302600_NS6detail15normal_iteratorINS8_10device_ptrIfEEEEPffNS8_4plusIfEEEE10hipError_tPvRmT1_T2_T3_mT4_P12ihipStream_tbEUlT_E0_NS1_11comp_targetILNS1_3genE3ELNS1_11target_archE908ELNS1_3gpuE7ELNS1_3repE0EEENS1_30default_config_static_selectorELNS0_4arch9wavefront6targetE1EEEvSK_
		.amdhsa_group_segment_fixed_size 0
		.amdhsa_private_segment_fixed_size 0
		.amdhsa_kernarg_size 56
		.amdhsa_user_sgpr_count 2
		.amdhsa_user_sgpr_dispatch_ptr 0
		.amdhsa_user_sgpr_queue_ptr 0
		.amdhsa_user_sgpr_kernarg_segment_ptr 1
		.amdhsa_user_sgpr_dispatch_id 0
		.amdhsa_user_sgpr_kernarg_preload_length 0
		.amdhsa_user_sgpr_kernarg_preload_offset 0
		.amdhsa_user_sgpr_private_segment_size 0
		.amdhsa_uses_dynamic_stack 0
		.amdhsa_enable_private_segment 0
		.amdhsa_system_sgpr_workgroup_id_x 1
		.amdhsa_system_sgpr_workgroup_id_y 0
		.amdhsa_system_sgpr_workgroup_id_z 0
		.amdhsa_system_sgpr_workgroup_info 0
		.amdhsa_system_vgpr_workitem_id 0
		.amdhsa_next_free_vgpr 1
		.amdhsa_next_free_sgpr 0
		.amdhsa_accum_offset 4
		.amdhsa_reserve_vcc 0
		.amdhsa_float_round_mode_32 0
		.amdhsa_float_round_mode_16_64 0
		.amdhsa_float_denorm_mode_32 3
		.amdhsa_float_denorm_mode_16_64 3
		.amdhsa_dx10_clamp 1
		.amdhsa_ieee_mode 1
		.amdhsa_fp16_overflow 0
		.amdhsa_tg_split 0
		.amdhsa_exception_fp_ieee_invalid_op 0
		.amdhsa_exception_fp_denorm_src 0
		.amdhsa_exception_fp_ieee_div_zero 0
		.amdhsa_exception_fp_ieee_overflow 0
		.amdhsa_exception_fp_ieee_underflow 0
		.amdhsa_exception_fp_ieee_inexact 0
		.amdhsa_exception_int_div_zero 0
	.end_amdhsa_kernel
	.section	.text._ZN7rocprim17ROCPRIM_400000_NS6detail17trampoline_kernelINS0_14default_configENS1_22reduce_config_selectorIfEEZNS1_11reduce_implILb1ES3_N6thrust23THRUST_200600_302600_NS6detail15normal_iteratorINS8_10device_ptrIfEEEEPffNS8_4plusIfEEEE10hipError_tPvRmT1_T2_T3_mT4_P12ihipStream_tbEUlT_E0_NS1_11comp_targetILNS1_3genE3ELNS1_11target_archE908ELNS1_3gpuE7ELNS1_3repE0EEENS1_30default_config_static_selectorELNS0_4arch9wavefront6targetE1EEEvSK_,"axG",@progbits,_ZN7rocprim17ROCPRIM_400000_NS6detail17trampoline_kernelINS0_14default_configENS1_22reduce_config_selectorIfEEZNS1_11reduce_implILb1ES3_N6thrust23THRUST_200600_302600_NS6detail15normal_iteratorINS8_10device_ptrIfEEEEPffNS8_4plusIfEEEE10hipError_tPvRmT1_T2_T3_mT4_P12ihipStream_tbEUlT_E0_NS1_11comp_targetILNS1_3genE3ELNS1_11target_archE908ELNS1_3gpuE7ELNS1_3repE0EEENS1_30default_config_static_selectorELNS0_4arch9wavefront6targetE1EEEvSK_,comdat
.Lfunc_end60:
	.size	_ZN7rocprim17ROCPRIM_400000_NS6detail17trampoline_kernelINS0_14default_configENS1_22reduce_config_selectorIfEEZNS1_11reduce_implILb1ES3_N6thrust23THRUST_200600_302600_NS6detail15normal_iteratorINS8_10device_ptrIfEEEEPffNS8_4plusIfEEEE10hipError_tPvRmT1_T2_T3_mT4_P12ihipStream_tbEUlT_E0_NS1_11comp_targetILNS1_3genE3ELNS1_11target_archE908ELNS1_3gpuE7ELNS1_3repE0EEENS1_30default_config_static_selectorELNS0_4arch9wavefront6targetE1EEEvSK_, .Lfunc_end60-_ZN7rocprim17ROCPRIM_400000_NS6detail17trampoline_kernelINS0_14default_configENS1_22reduce_config_selectorIfEEZNS1_11reduce_implILb1ES3_N6thrust23THRUST_200600_302600_NS6detail15normal_iteratorINS8_10device_ptrIfEEEEPffNS8_4plusIfEEEE10hipError_tPvRmT1_T2_T3_mT4_P12ihipStream_tbEUlT_E0_NS1_11comp_targetILNS1_3genE3ELNS1_11target_archE908ELNS1_3gpuE7ELNS1_3repE0EEENS1_30default_config_static_selectorELNS0_4arch9wavefront6targetE1EEEvSK_
                                        ; -- End function
	.set _ZN7rocprim17ROCPRIM_400000_NS6detail17trampoline_kernelINS0_14default_configENS1_22reduce_config_selectorIfEEZNS1_11reduce_implILb1ES3_N6thrust23THRUST_200600_302600_NS6detail15normal_iteratorINS8_10device_ptrIfEEEEPffNS8_4plusIfEEEE10hipError_tPvRmT1_T2_T3_mT4_P12ihipStream_tbEUlT_E0_NS1_11comp_targetILNS1_3genE3ELNS1_11target_archE908ELNS1_3gpuE7ELNS1_3repE0EEENS1_30default_config_static_selectorELNS0_4arch9wavefront6targetE1EEEvSK_.num_vgpr, 0
	.set _ZN7rocprim17ROCPRIM_400000_NS6detail17trampoline_kernelINS0_14default_configENS1_22reduce_config_selectorIfEEZNS1_11reduce_implILb1ES3_N6thrust23THRUST_200600_302600_NS6detail15normal_iteratorINS8_10device_ptrIfEEEEPffNS8_4plusIfEEEE10hipError_tPvRmT1_T2_T3_mT4_P12ihipStream_tbEUlT_E0_NS1_11comp_targetILNS1_3genE3ELNS1_11target_archE908ELNS1_3gpuE7ELNS1_3repE0EEENS1_30default_config_static_selectorELNS0_4arch9wavefront6targetE1EEEvSK_.num_agpr, 0
	.set _ZN7rocprim17ROCPRIM_400000_NS6detail17trampoline_kernelINS0_14default_configENS1_22reduce_config_selectorIfEEZNS1_11reduce_implILb1ES3_N6thrust23THRUST_200600_302600_NS6detail15normal_iteratorINS8_10device_ptrIfEEEEPffNS8_4plusIfEEEE10hipError_tPvRmT1_T2_T3_mT4_P12ihipStream_tbEUlT_E0_NS1_11comp_targetILNS1_3genE3ELNS1_11target_archE908ELNS1_3gpuE7ELNS1_3repE0EEENS1_30default_config_static_selectorELNS0_4arch9wavefront6targetE1EEEvSK_.numbered_sgpr, 0
	.set _ZN7rocprim17ROCPRIM_400000_NS6detail17trampoline_kernelINS0_14default_configENS1_22reduce_config_selectorIfEEZNS1_11reduce_implILb1ES3_N6thrust23THRUST_200600_302600_NS6detail15normal_iteratorINS8_10device_ptrIfEEEEPffNS8_4plusIfEEEE10hipError_tPvRmT1_T2_T3_mT4_P12ihipStream_tbEUlT_E0_NS1_11comp_targetILNS1_3genE3ELNS1_11target_archE908ELNS1_3gpuE7ELNS1_3repE0EEENS1_30default_config_static_selectorELNS0_4arch9wavefront6targetE1EEEvSK_.num_named_barrier, 0
	.set _ZN7rocprim17ROCPRIM_400000_NS6detail17trampoline_kernelINS0_14default_configENS1_22reduce_config_selectorIfEEZNS1_11reduce_implILb1ES3_N6thrust23THRUST_200600_302600_NS6detail15normal_iteratorINS8_10device_ptrIfEEEEPffNS8_4plusIfEEEE10hipError_tPvRmT1_T2_T3_mT4_P12ihipStream_tbEUlT_E0_NS1_11comp_targetILNS1_3genE3ELNS1_11target_archE908ELNS1_3gpuE7ELNS1_3repE0EEENS1_30default_config_static_selectorELNS0_4arch9wavefront6targetE1EEEvSK_.private_seg_size, 0
	.set _ZN7rocprim17ROCPRIM_400000_NS6detail17trampoline_kernelINS0_14default_configENS1_22reduce_config_selectorIfEEZNS1_11reduce_implILb1ES3_N6thrust23THRUST_200600_302600_NS6detail15normal_iteratorINS8_10device_ptrIfEEEEPffNS8_4plusIfEEEE10hipError_tPvRmT1_T2_T3_mT4_P12ihipStream_tbEUlT_E0_NS1_11comp_targetILNS1_3genE3ELNS1_11target_archE908ELNS1_3gpuE7ELNS1_3repE0EEENS1_30default_config_static_selectorELNS0_4arch9wavefront6targetE1EEEvSK_.uses_vcc, 0
	.set _ZN7rocprim17ROCPRIM_400000_NS6detail17trampoline_kernelINS0_14default_configENS1_22reduce_config_selectorIfEEZNS1_11reduce_implILb1ES3_N6thrust23THRUST_200600_302600_NS6detail15normal_iteratorINS8_10device_ptrIfEEEEPffNS8_4plusIfEEEE10hipError_tPvRmT1_T2_T3_mT4_P12ihipStream_tbEUlT_E0_NS1_11comp_targetILNS1_3genE3ELNS1_11target_archE908ELNS1_3gpuE7ELNS1_3repE0EEENS1_30default_config_static_selectorELNS0_4arch9wavefront6targetE1EEEvSK_.uses_flat_scratch, 0
	.set _ZN7rocprim17ROCPRIM_400000_NS6detail17trampoline_kernelINS0_14default_configENS1_22reduce_config_selectorIfEEZNS1_11reduce_implILb1ES3_N6thrust23THRUST_200600_302600_NS6detail15normal_iteratorINS8_10device_ptrIfEEEEPffNS8_4plusIfEEEE10hipError_tPvRmT1_T2_T3_mT4_P12ihipStream_tbEUlT_E0_NS1_11comp_targetILNS1_3genE3ELNS1_11target_archE908ELNS1_3gpuE7ELNS1_3repE0EEENS1_30default_config_static_selectorELNS0_4arch9wavefront6targetE1EEEvSK_.has_dyn_sized_stack, 0
	.set _ZN7rocprim17ROCPRIM_400000_NS6detail17trampoline_kernelINS0_14default_configENS1_22reduce_config_selectorIfEEZNS1_11reduce_implILb1ES3_N6thrust23THRUST_200600_302600_NS6detail15normal_iteratorINS8_10device_ptrIfEEEEPffNS8_4plusIfEEEE10hipError_tPvRmT1_T2_T3_mT4_P12ihipStream_tbEUlT_E0_NS1_11comp_targetILNS1_3genE3ELNS1_11target_archE908ELNS1_3gpuE7ELNS1_3repE0EEENS1_30default_config_static_selectorELNS0_4arch9wavefront6targetE1EEEvSK_.has_recursion, 0
	.set _ZN7rocprim17ROCPRIM_400000_NS6detail17trampoline_kernelINS0_14default_configENS1_22reduce_config_selectorIfEEZNS1_11reduce_implILb1ES3_N6thrust23THRUST_200600_302600_NS6detail15normal_iteratorINS8_10device_ptrIfEEEEPffNS8_4plusIfEEEE10hipError_tPvRmT1_T2_T3_mT4_P12ihipStream_tbEUlT_E0_NS1_11comp_targetILNS1_3genE3ELNS1_11target_archE908ELNS1_3gpuE7ELNS1_3repE0EEENS1_30default_config_static_selectorELNS0_4arch9wavefront6targetE1EEEvSK_.has_indirect_call, 0
	.section	.AMDGPU.csdata,"",@progbits
; Kernel info:
; codeLenInByte = 0
; TotalNumSgprs: 6
; NumVgprs: 0
; NumAgprs: 0
; TotalNumVgprs: 0
; ScratchSize: 0
; MemoryBound: 0
; FloatMode: 240
; IeeeMode: 1
; LDSByteSize: 0 bytes/workgroup (compile time only)
; SGPRBlocks: 0
; VGPRBlocks: 0
; NumSGPRsForWavesPerEU: 6
; NumVGPRsForWavesPerEU: 1
; AccumOffset: 4
; Occupancy: 8
; WaveLimiterHint : 0
; COMPUTE_PGM_RSRC2:SCRATCH_EN: 0
; COMPUTE_PGM_RSRC2:USER_SGPR: 2
; COMPUTE_PGM_RSRC2:TRAP_HANDLER: 0
; COMPUTE_PGM_RSRC2:TGID_X_EN: 1
; COMPUTE_PGM_RSRC2:TGID_Y_EN: 0
; COMPUTE_PGM_RSRC2:TGID_Z_EN: 0
; COMPUTE_PGM_RSRC2:TIDIG_COMP_CNT: 0
; COMPUTE_PGM_RSRC3_GFX90A:ACCUM_OFFSET: 0
; COMPUTE_PGM_RSRC3_GFX90A:TG_SPLIT: 0
	.section	.text._ZN7rocprim17ROCPRIM_400000_NS6detail17trampoline_kernelINS0_14default_configENS1_22reduce_config_selectorIfEEZNS1_11reduce_implILb1ES3_N6thrust23THRUST_200600_302600_NS6detail15normal_iteratorINS8_10device_ptrIfEEEEPffNS8_4plusIfEEEE10hipError_tPvRmT1_T2_T3_mT4_P12ihipStream_tbEUlT_E0_NS1_11comp_targetILNS1_3genE2ELNS1_11target_archE906ELNS1_3gpuE6ELNS1_3repE0EEENS1_30default_config_static_selectorELNS0_4arch9wavefront6targetE1EEEvSK_,"axG",@progbits,_ZN7rocprim17ROCPRIM_400000_NS6detail17trampoline_kernelINS0_14default_configENS1_22reduce_config_selectorIfEEZNS1_11reduce_implILb1ES3_N6thrust23THRUST_200600_302600_NS6detail15normal_iteratorINS8_10device_ptrIfEEEEPffNS8_4plusIfEEEE10hipError_tPvRmT1_T2_T3_mT4_P12ihipStream_tbEUlT_E0_NS1_11comp_targetILNS1_3genE2ELNS1_11target_archE906ELNS1_3gpuE6ELNS1_3repE0EEENS1_30default_config_static_selectorELNS0_4arch9wavefront6targetE1EEEvSK_,comdat
	.protected	_ZN7rocprim17ROCPRIM_400000_NS6detail17trampoline_kernelINS0_14default_configENS1_22reduce_config_selectorIfEEZNS1_11reduce_implILb1ES3_N6thrust23THRUST_200600_302600_NS6detail15normal_iteratorINS8_10device_ptrIfEEEEPffNS8_4plusIfEEEE10hipError_tPvRmT1_T2_T3_mT4_P12ihipStream_tbEUlT_E0_NS1_11comp_targetILNS1_3genE2ELNS1_11target_archE906ELNS1_3gpuE6ELNS1_3repE0EEENS1_30default_config_static_selectorELNS0_4arch9wavefront6targetE1EEEvSK_ ; -- Begin function _ZN7rocprim17ROCPRIM_400000_NS6detail17trampoline_kernelINS0_14default_configENS1_22reduce_config_selectorIfEEZNS1_11reduce_implILb1ES3_N6thrust23THRUST_200600_302600_NS6detail15normal_iteratorINS8_10device_ptrIfEEEEPffNS8_4plusIfEEEE10hipError_tPvRmT1_T2_T3_mT4_P12ihipStream_tbEUlT_E0_NS1_11comp_targetILNS1_3genE2ELNS1_11target_archE906ELNS1_3gpuE6ELNS1_3repE0EEENS1_30default_config_static_selectorELNS0_4arch9wavefront6targetE1EEEvSK_
	.globl	_ZN7rocprim17ROCPRIM_400000_NS6detail17trampoline_kernelINS0_14default_configENS1_22reduce_config_selectorIfEEZNS1_11reduce_implILb1ES3_N6thrust23THRUST_200600_302600_NS6detail15normal_iteratorINS8_10device_ptrIfEEEEPffNS8_4plusIfEEEE10hipError_tPvRmT1_T2_T3_mT4_P12ihipStream_tbEUlT_E0_NS1_11comp_targetILNS1_3genE2ELNS1_11target_archE906ELNS1_3gpuE6ELNS1_3repE0EEENS1_30default_config_static_selectorELNS0_4arch9wavefront6targetE1EEEvSK_
	.p2align	8
	.type	_ZN7rocprim17ROCPRIM_400000_NS6detail17trampoline_kernelINS0_14default_configENS1_22reduce_config_selectorIfEEZNS1_11reduce_implILb1ES3_N6thrust23THRUST_200600_302600_NS6detail15normal_iteratorINS8_10device_ptrIfEEEEPffNS8_4plusIfEEEE10hipError_tPvRmT1_T2_T3_mT4_P12ihipStream_tbEUlT_E0_NS1_11comp_targetILNS1_3genE2ELNS1_11target_archE906ELNS1_3gpuE6ELNS1_3repE0EEENS1_30default_config_static_selectorELNS0_4arch9wavefront6targetE1EEEvSK_,@function
_ZN7rocprim17ROCPRIM_400000_NS6detail17trampoline_kernelINS0_14default_configENS1_22reduce_config_selectorIfEEZNS1_11reduce_implILb1ES3_N6thrust23THRUST_200600_302600_NS6detail15normal_iteratorINS8_10device_ptrIfEEEEPffNS8_4plusIfEEEE10hipError_tPvRmT1_T2_T3_mT4_P12ihipStream_tbEUlT_E0_NS1_11comp_targetILNS1_3genE2ELNS1_11target_archE906ELNS1_3gpuE6ELNS1_3repE0EEENS1_30default_config_static_selectorELNS0_4arch9wavefront6targetE1EEEvSK_: ; @_ZN7rocprim17ROCPRIM_400000_NS6detail17trampoline_kernelINS0_14default_configENS1_22reduce_config_selectorIfEEZNS1_11reduce_implILb1ES3_N6thrust23THRUST_200600_302600_NS6detail15normal_iteratorINS8_10device_ptrIfEEEEPffNS8_4plusIfEEEE10hipError_tPvRmT1_T2_T3_mT4_P12ihipStream_tbEUlT_E0_NS1_11comp_targetILNS1_3genE2ELNS1_11target_archE906ELNS1_3gpuE6ELNS1_3repE0EEENS1_30default_config_static_selectorELNS0_4arch9wavefront6targetE1EEEvSK_
; %bb.0:
	.section	.rodata,"a",@progbits
	.p2align	6, 0x0
	.amdhsa_kernel _ZN7rocprim17ROCPRIM_400000_NS6detail17trampoline_kernelINS0_14default_configENS1_22reduce_config_selectorIfEEZNS1_11reduce_implILb1ES3_N6thrust23THRUST_200600_302600_NS6detail15normal_iteratorINS8_10device_ptrIfEEEEPffNS8_4plusIfEEEE10hipError_tPvRmT1_T2_T3_mT4_P12ihipStream_tbEUlT_E0_NS1_11comp_targetILNS1_3genE2ELNS1_11target_archE906ELNS1_3gpuE6ELNS1_3repE0EEENS1_30default_config_static_selectorELNS0_4arch9wavefront6targetE1EEEvSK_
		.amdhsa_group_segment_fixed_size 0
		.amdhsa_private_segment_fixed_size 0
		.amdhsa_kernarg_size 56
		.amdhsa_user_sgpr_count 2
		.amdhsa_user_sgpr_dispatch_ptr 0
		.amdhsa_user_sgpr_queue_ptr 0
		.amdhsa_user_sgpr_kernarg_segment_ptr 1
		.amdhsa_user_sgpr_dispatch_id 0
		.amdhsa_user_sgpr_kernarg_preload_length 0
		.amdhsa_user_sgpr_kernarg_preload_offset 0
		.amdhsa_user_sgpr_private_segment_size 0
		.amdhsa_uses_dynamic_stack 0
		.amdhsa_enable_private_segment 0
		.amdhsa_system_sgpr_workgroup_id_x 1
		.amdhsa_system_sgpr_workgroup_id_y 0
		.amdhsa_system_sgpr_workgroup_id_z 0
		.amdhsa_system_sgpr_workgroup_info 0
		.amdhsa_system_vgpr_workitem_id 0
		.amdhsa_next_free_vgpr 1
		.amdhsa_next_free_sgpr 0
		.amdhsa_accum_offset 4
		.amdhsa_reserve_vcc 0
		.amdhsa_float_round_mode_32 0
		.amdhsa_float_round_mode_16_64 0
		.amdhsa_float_denorm_mode_32 3
		.amdhsa_float_denorm_mode_16_64 3
		.amdhsa_dx10_clamp 1
		.amdhsa_ieee_mode 1
		.amdhsa_fp16_overflow 0
		.amdhsa_tg_split 0
		.amdhsa_exception_fp_ieee_invalid_op 0
		.amdhsa_exception_fp_denorm_src 0
		.amdhsa_exception_fp_ieee_div_zero 0
		.amdhsa_exception_fp_ieee_overflow 0
		.amdhsa_exception_fp_ieee_underflow 0
		.amdhsa_exception_fp_ieee_inexact 0
		.amdhsa_exception_int_div_zero 0
	.end_amdhsa_kernel
	.section	.text._ZN7rocprim17ROCPRIM_400000_NS6detail17trampoline_kernelINS0_14default_configENS1_22reduce_config_selectorIfEEZNS1_11reduce_implILb1ES3_N6thrust23THRUST_200600_302600_NS6detail15normal_iteratorINS8_10device_ptrIfEEEEPffNS8_4plusIfEEEE10hipError_tPvRmT1_T2_T3_mT4_P12ihipStream_tbEUlT_E0_NS1_11comp_targetILNS1_3genE2ELNS1_11target_archE906ELNS1_3gpuE6ELNS1_3repE0EEENS1_30default_config_static_selectorELNS0_4arch9wavefront6targetE1EEEvSK_,"axG",@progbits,_ZN7rocprim17ROCPRIM_400000_NS6detail17trampoline_kernelINS0_14default_configENS1_22reduce_config_selectorIfEEZNS1_11reduce_implILb1ES3_N6thrust23THRUST_200600_302600_NS6detail15normal_iteratorINS8_10device_ptrIfEEEEPffNS8_4plusIfEEEE10hipError_tPvRmT1_T2_T3_mT4_P12ihipStream_tbEUlT_E0_NS1_11comp_targetILNS1_3genE2ELNS1_11target_archE906ELNS1_3gpuE6ELNS1_3repE0EEENS1_30default_config_static_selectorELNS0_4arch9wavefront6targetE1EEEvSK_,comdat
.Lfunc_end61:
	.size	_ZN7rocprim17ROCPRIM_400000_NS6detail17trampoline_kernelINS0_14default_configENS1_22reduce_config_selectorIfEEZNS1_11reduce_implILb1ES3_N6thrust23THRUST_200600_302600_NS6detail15normal_iteratorINS8_10device_ptrIfEEEEPffNS8_4plusIfEEEE10hipError_tPvRmT1_T2_T3_mT4_P12ihipStream_tbEUlT_E0_NS1_11comp_targetILNS1_3genE2ELNS1_11target_archE906ELNS1_3gpuE6ELNS1_3repE0EEENS1_30default_config_static_selectorELNS0_4arch9wavefront6targetE1EEEvSK_, .Lfunc_end61-_ZN7rocprim17ROCPRIM_400000_NS6detail17trampoline_kernelINS0_14default_configENS1_22reduce_config_selectorIfEEZNS1_11reduce_implILb1ES3_N6thrust23THRUST_200600_302600_NS6detail15normal_iteratorINS8_10device_ptrIfEEEEPffNS8_4plusIfEEEE10hipError_tPvRmT1_T2_T3_mT4_P12ihipStream_tbEUlT_E0_NS1_11comp_targetILNS1_3genE2ELNS1_11target_archE906ELNS1_3gpuE6ELNS1_3repE0EEENS1_30default_config_static_selectorELNS0_4arch9wavefront6targetE1EEEvSK_
                                        ; -- End function
	.set _ZN7rocprim17ROCPRIM_400000_NS6detail17trampoline_kernelINS0_14default_configENS1_22reduce_config_selectorIfEEZNS1_11reduce_implILb1ES3_N6thrust23THRUST_200600_302600_NS6detail15normal_iteratorINS8_10device_ptrIfEEEEPffNS8_4plusIfEEEE10hipError_tPvRmT1_T2_T3_mT4_P12ihipStream_tbEUlT_E0_NS1_11comp_targetILNS1_3genE2ELNS1_11target_archE906ELNS1_3gpuE6ELNS1_3repE0EEENS1_30default_config_static_selectorELNS0_4arch9wavefront6targetE1EEEvSK_.num_vgpr, 0
	.set _ZN7rocprim17ROCPRIM_400000_NS6detail17trampoline_kernelINS0_14default_configENS1_22reduce_config_selectorIfEEZNS1_11reduce_implILb1ES3_N6thrust23THRUST_200600_302600_NS6detail15normal_iteratorINS8_10device_ptrIfEEEEPffNS8_4plusIfEEEE10hipError_tPvRmT1_T2_T3_mT4_P12ihipStream_tbEUlT_E0_NS1_11comp_targetILNS1_3genE2ELNS1_11target_archE906ELNS1_3gpuE6ELNS1_3repE0EEENS1_30default_config_static_selectorELNS0_4arch9wavefront6targetE1EEEvSK_.num_agpr, 0
	.set _ZN7rocprim17ROCPRIM_400000_NS6detail17trampoline_kernelINS0_14default_configENS1_22reduce_config_selectorIfEEZNS1_11reduce_implILb1ES3_N6thrust23THRUST_200600_302600_NS6detail15normal_iteratorINS8_10device_ptrIfEEEEPffNS8_4plusIfEEEE10hipError_tPvRmT1_T2_T3_mT4_P12ihipStream_tbEUlT_E0_NS1_11comp_targetILNS1_3genE2ELNS1_11target_archE906ELNS1_3gpuE6ELNS1_3repE0EEENS1_30default_config_static_selectorELNS0_4arch9wavefront6targetE1EEEvSK_.numbered_sgpr, 0
	.set _ZN7rocprim17ROCPRIM_400000_NS6detail17trampoline_kernelINS0_14default_configENS1_22reduce_config_selectorIfEEZNS1_11reduce_implILb1ES3_N6thrust23THRUST_200600_302600_NS6detail15normal_iteratorINS8_10device_ptrIfEEEEPffNS8_4plusIfEEEE10hipError_tPvRmT1_T2_T3_mT4_P12ihipStream_tbEUlT_E0_NS1_11comp_targetILNS1_3genE2ELNS1_11target_archE906ELNS1_3gpuE6ELNS1_3repE0EEENS1_30default_config_static_selectorELNS0_4arch9wavefront6targetE1EEEvSK_.num_named_barrier, 0
	.set _ZN7rocprim17ROCPRIM_400000_NS6detail17trampoline_kernelINS0_14default_configENS1_22reduce_config_selectorIfEEZNS1_11reduce_implILb1ES3_N6thrust23THRUST_200600_302600_NS6detail15normal_iteratorINS8_10device_ptrIfEEEEPffNS8_4plusIfEEEE10hipError_tPvRmT1_T2_T3_mT4_P12ihipStream_tbEUlT_E0_NS1_11comp_targetILNS1_3genE2ELNS1_11target_archE906ELNS1_3gpuE6ELNS1_3repE0EEENS1_30default_config_static_selectorELNS0_4arch9wavefront6targetE1EEEvSK_.private_seg_size, 0
	.set _ZN7rocprim17ROCPRIM_400000_NS6detail17trampoline_kernelINS0_14default_configENS1_22reduce_config_selectorIfEEZNS1_11reduce_implILb1ES3_N6thrust23THRUST_200600_302600_NS6detail15normal_iteratorINS8_10device_ptrIfEEEEPffNS8_4plusIfEEEE10hipError_tPvRmT1_T2_T3_mT4_P12ihipStream_tbEUlT_E0_NS1_11comp_targetILNS1_3genE2ELNS1_11target_archE906ELNS1_3gpuE6ELNS1_3repE0EEENS1_30default_config_static_selectorELNS0_4arch9wavefront6targetE1EEEvSK_.uses_vcc, 0
	.set _ZN7rocprim17ROCPRIM_400000_NS6detail17trampoline_kernelINS0_14default_configENS1_22reduce_config_selectorIfEEZNS1_11reduce_implILb1ES3_N6thrust23THRUST_200600_302600_NS6detail15normal_iteratorINS8_10device_ptrIfEEEEPffNS8_4plusIfEEEE10hipError_tPvRmT1_T2_T3_mT4_P12ihipStream_tbEUlT_E0_NS1_11comp_targetILNS1_3genE2ELNS1_11target_archE906ELNS1_3gpuE6ELNS1_3repE0EEENS1_30default_config_static_selectorELNS0_4arch9wavefront6targetE1EEEvSK_.uses_flat_scratch, 0
	.set _ZN7rocprim17ROCPRIM_400000_NS6detail17trampoline_kernelINS0_14default_configENS1_22reduce_config_selectorIfEEZNS1_11reduce_implILb1ES3_N6thrust23THRUST_200600_302600_NS6detail15normal_iteratorINS8_10device_ptrIfEEEEPffNS8_4plusIfEEEE10hipError_tPvRmT1_T2_T3_mT4_P12ihipStream_tbEUlT_E0_NS1_11comp_targetILNS1_3genE2ELNS1_11target_archE906ELNS1_3gpuE6ELNS1_3repE0EEENS1_30default_config_static_selectorELNS0_4arch9wavefront6targetE1EEEvSK_.has_dyn_sized_stack, 0
	.set _ZN7rocprim17ROCPRIM_400000_NS6detail17trampoline_kernelINS0_14default_configENS1_22reduce_config_selectorIfEEZNS1_11reduce_implILb1ES3_N6thrust23THRUST_200600_302600_NS6detail15normal_iteratorINS8_10device_ptrIfEEEEPffNS8_4plusIfEEEE10hipError_tPvRmT1_T2_T3_mT4_P12ihipStream_tbEUlT_E0_NS1_11comp_targetILNS1_3genE2ELNS1_11target_archE906ELNS1_3gpuE6ELNS1_3repE0EEENS1_30default_config_static_selectorELNS0_4arch9wavefront6targetE1EEEvSK_.has_recursion, 0
	.set _ZN7rocprim17ROCPRIM_400000_NS6detail17trampoline_kernelINS0_14default_configENS1_22reduce_config_selectorIfEEZNS1_11reduce_implILb1ES3_N6thrust23THRUST_200600_302600_NS6detail15normal_iteratorINS8_10device_ptrIfEEEEPffNS8_4plusIfEEEE10hipError_tPvRmT1_T2_T3_mT4_P12ihipStream_tbEUlT_E0_NS1_11comp_targetILNS1_3genE2ELNS1_11target_archE906ELNS1_3gpuE6ELNS1_3repE0EEENS1_30default_config_static_selectorELNS0_4arch9wavefront6targetE1EEEvSK_.has_indirect_call, 0
	.section	.AMDGPU.csdata,"",@progbits
; Kernel info:
; codeLenInByte = 0
; TotalNumSgprs: 6
; NumVgprs: 0
; NumAgprs: 0
; TotalNumVgprs: 0
; ScratchSize: 0
; MemoryBound: 0
; FloatMode: 240
; IeeeMode: 1
; LDSByteSize: 0 bytes/workgroup (compile time only)
; SGPRBlocks: 0
; VGPRBlocks: 0
; NumSGPRsForWavesPerEU: 6
; NumVGPRsForWavesPerEU: 1
; AccumOffset: 4
; Occupancy: 8
; WaveLimiterHint : 0
; COMPUTE_PGM_RSRC2:SCRATCH_EN: 0
; COMPUTE_PGM_RSRC2:USER_SGPR: 2
; COMPUTE_PGM_RSRC2:TRAP_HANDLER: 0
; COMPUTE_PGM_RSRC2:TGID_X_EN: 1
; COMPUTE_PGM_RSRC2:TGID_Y_EN: 0
; COMPUTE_PGM_RSRC2:TGID_Z_EN: 0
; COMPUTE_PGM_RSRC2:TIDIG_COMP_CNT: 0
; COMPUTE_PGM_RSRC3_GFX90A:ACCUM_OFFSET: 0
; COMPUTE_PGM_RSRC3_GFX90A:TG_SPLIT: 0
	.section	.text._ZN7rocprim17ROCPRIM_400000_NS6detail17trampoline_kernelINS0_14default_configENS1_22reduce_config_selectorIfEEZNS1_11reduce_implILb1ES3_N6thrust23THRUST_200600_302600_NS6detail15normal_iteratorINS8_10device_ptrIfEEEEPffNS8_4plusIfEEEE10hipError_tPvRmT1_T2_T3_mT4_P12ihipStream_tbEUlT_E0_NS1_11comp_targetILNS1_3genE10ELNS1_11target_archE1201ELNS1_3gpuE5ELNS1_3repE0EEENS1_30default_config_static_selectorELNS0_4arch9wavefront6targetE1EEEvSK_,"axG",@progbits,_ZN7rocprim17ROCPRIM_400000_NS6detail17trampoline_kernelINS0_14default_configENS1_22reduce_config_selectorIfEEZNS1_11reduce_implILb1ES3_N6thrust23THRUST_200600_302600_NS6detail15normal_iteratorINS8_10device_ptrIfEEEEPffNS8_4plusIfEEEE10hipError_tPvRmT1_T2_T3_mT4_P12ihipStream_tbEUlT_E0_NS1_11comp_targetILNS1_3genE10ELNS1_11target_archE1201ELNS1_3gpuE5ELNS1_3repE0EEENS1_30default_config_static_selectorELNS0_4arch9wavefront6targetE1EEEvSK_,comdat
	.protected	_ZN7rocprim17ROCPRIM_400000_NS6detail17trampoline_kernelINS0_14default_configENS1_22reduce_config_selectorIfEEZNS1_11reduce_implILb1ES3_N6thrust23THRUST_200600_302600_NS6detail15normal_iteratorINS8_10device_ptrIfEEEEPffNS8_4plusIfEEEE10hipError_tPvRmT1_T2_T3_mT4_P12ihipStream_tbEUlT_E0_NS1_11comp_targetILNS1_3genE10ELNS1_11target_archE1201ELNS1_3gpuE5ELNS1_3repE0EEENS1_30default_config_static_selectorELNS0_4arch9wavefront6targetE1EEEvSK_ ; -- Begin function _ZN7rocprim17ROCPRIM_400000_NS6detail17trampoline_kernelINS0_14default_configENS1_22reduce_config_selectorIfEEZNS1_11reduce_implILb1ES3_N6thrust23THRUST_200600_302600_NS6detail15normal_iteratorINS8_10device_ptrIfEEEEPffNS8_4plusIfEEEE10hipError_tPvRmT1_T2_T3_mT4_P12ihipStream_tbEUlT_E0_NS1_11comp_targetILNS1_3genE10ELNS1_11target_archE1201ELNS1_3gpuE5ELNS1_3repE0EEENS1_30default_config_static_selectorELNS0_4arch9wavefront6targetE1EEEvSK_
	.globl	_ZN7rocprim17ROCPRIM_400000_NS6detail17trampoline_kernelINS0_14default_configENS1_22reduce_config_selectorIfEEZNS1_11reduce_implILb1ES3_N6thrust23THRUST_200600_302600_NS6detail15normal_iteratorINS8_10device_ptrIfEEEEPffNS8_4plusIfEEEE10hipError_tPvRmT1_T2_T3_mT4_P12ihipStream_tbEUlT_E0_NS1_11comp_targetILNS1_3genE10ELNS1_11target_archE1201ELNS1_3gpuE5ELNS1_3repE0EEENS1_30default_config_static_selectorELNS0_4arch9wavefront6targetE1EEEvSK_
	.p2align	8
	.type	_ZN7rocprim17ROCPRIM_400000_NS6detail17trampoline_kernelINS0_14default_configENS1_22reduce_config_selectorIfEEZNS1_11reduce_implILb1ES3_N6thrust23THRUST_200600_302600_NS6detail15normal_iteratorINS8_10device_ptrIfEEEEPffNS8_4plusIfEEEE10hipError_tPvRmT1_T2_T3_mT4_P12ihipStream_tbEUlT_E0_NS1_11comp_targetILNS1_3genE10ELNS1_11target_archE1201ELNS1_3gpuE5ELNS1_3repE0EEENS1_30default_config_static_selectorELNS0_4arch9wavefront6targetE1EEEvSK_,@function
_ZN7rocprim17ROCPRIM_400000_NS6detail17trampoline_kernelINS0_14default_configENS1_22reduce_config_selectorIfEEZNS1_11reduce_implILb1ES3_N6thrust23THRUST_200600_302600_NS6detail15normal_iteratorINS8_10device_ptrIfEEEEPffNS8_4plusIfEEEE10hipError_tPvRmT1_T2_T3_mT4_P12ihipStream_tbEUlT_E0_NS1_11comp_targetILNS1_3genE10ELNS1_11target_archE1201ELNS1_3gpuE5ELNS1_3repE0EEENS1_30default_config_static_selectorELNS0_4arch9wavefront6targetE1EEEvSK_: ; @_ZN7rocprim17ROCPRIM_400000_NS6detail17trampoline_kernelINS0_14default_configENS1_22reduce_config_selectorIfEEZNS1_11reduce_implILb1ES3_N6thrust23THRUST_200600_302600_NS6detail15normal_iteratorINS8_10device_ptrIfEEEEPffNS8_4plusIfEEEE10hipError_tPvRmT1_T2_T3_mT4_P12ihipStream_tbEUlT_E0_NS1_11comp_targetILNS1_3genE10ELNS1_11target_archE1201ELNS1_3gpuE5ELNS1_3repE0EEENS1_30default_config_static_selectorELNS0_4arch9wavefront6targetE1EEEvSK_
; %bb.0:
	.section	.rodata,"a",@progbits
	.p2align	6, 0x0
	.amdhsa_kernel _ZN7rocprim17ROCPRIM_400000_NS6detail17trampoline_kernelINS0_14default_configENS1_22reduce_config_selectorIfEEZNS1_11reduce_implILb1ES3_N6thrust23THRUST_200600_302600_NS6detail15normal_iteratorINS8_10device_ptrIfEEEEPffNS8_4plusIfEEEE10hipError_tPvRmT1_T2_T3_mT4_P12ihipStream_tbEUlT_E0_NS1_11comp_targetILNS1_3genE10ELNS1_11target_archE1201ELNS1_3gpuE5ELNS1_3repE0EEENS1_30default_config_static_selectorELNS0_4arch9wavefront6targetE1EEEvSK_
		.amdhsa_group_segment_fixed_size 0
		.amdhsa_private_segment_fixed_size 0
		.amdhsa_kernarg_size 56
		.amdhsa_user_sgpr_count 2
		.amdhsa_user_sgpr_dispatch_ptr 0
		.amdhsa_user_sgpr_queue_ptr 0
		.amdhsa_user_sgpr_kernarg_segment_ptr 1
		.amdhsa_user_sgpr_dispatch_id 0
		.amdhsa_user_sgpr_kernarg_preload_length 0
		.amdhsa_user_sgpr_kernarg_preload_offset 0
		.amdhsa_user_sgpr_private_segment_size 0
		.amdhsa_uses_dynamic_stack 0
		.amdhsa_enable_private_segment 0
		.amdhsa_system_sgpr_workgroup_id_x 1
		.amdhsa_system_sgpr_workgroup_id_y 0
		.amdhsa_system_sgpr_workgroup_id_z 0
		.amdhsa_system_sgpr_workgroup_info 0
		.amdhsa_system_vgpr_workitem_id 0
		.amdhsa_next_free_vgpr 1
		.amdhsa_next_free_sgpr 0
		.amdhsa_accum_offset 4
		.amdhsa_reserve_vcc 0
		.amdhsa_float_round_mode_32 0
		.amdhsa_float_round_mode_16_64 0
		.amdhsa_float_denorm_mode_32 3
		.amdhsa_float_denorm_mode_16_64 3
		.amdhsa_dx10_clamp 1
		.amdhsa_ieee_mode 1
		.amdhsa_fp16_overflow 0
		.amdhsa_tg_split 0
		.amdhsa_exception_fp_ieee_invalid_op 0
		.amdhsa_exception_fp_denorm_src 0
		.amdhsa_exception_fp_ieee_div_zero 0
		.amdhsa_exception_fp_ieee_overflow 0
		.amdhsa_exception_fp_ieee_underflow 0
		.amdhsa_exception_fp_ieee_inexact 0
		.amdhsa_exception_int_div_zero 0
	.end_amdhsa_kernel
	.section	.text._ZN7rocprim17ROCPRIM_400000_NS6detail17trampoline_kernelINS0_14default_configENS1_22reduce_config_selectorIfEEZNS1_11reduce_implILb1ES3_N6thrust23THRUST_200600_302600_NS6detail15normal_iteratorINS8_10device_ptrIfEEEEPffNS8_4plusIfEEEE10hipError_tPvRmT1_T2_T3_mT4_P12ihipStream_tbEUlT_E0_NS1_11comp_targetILNS1_3genE10ELNS1_11target_archE1201ELNS1_3gpuE5ELNS1_3repE0EEENS1_30default_config_static_selectorELNS0_4arch9wavefront6targetE1EEEvSK_,"axG",@progbits,_ZN7rocprim17ROCPRIM_400000_NS6detail17trampoline_kernelINS0_14default_configENS1_22reduce_config_selectorIfEEZNS1_11reduce_implILb1ES3_N6thrust23THRUST_200600_302600_NS6detail15normal_iteratorINS8_10device_ptrIfEEEEPffNS8_4plusIfEEEE10hipError_tPvRmT1_T2_T3_mT4_P12ihipStream_tbEUlT_E0_NS1_11comp_targetILNS1_3genE10ELNS1_11target_archE1201ELNS1_3gpuE5ELNS1_3repE0EEENS1_30default_config_static_selectorELNS0_4arch9wavefront6targetE1EEEvSK_,comdat
.Lfunc_end62:
	.size	_ZN7rocprim17ROCPRIM_400000_NS6detail17trampoline_kernelINS0_14default_configENS1_22reduce_config_selectorIfEEZNS1_11reduce_implILb1ES3_N6thrust23THRUST_200600_302600_NS6detail15normal_iteratorINS8_10device_ptrIfEEEEPffNS8_4plusIfEEEE10hipError_tPvRmT1_T2_T3_mT4_P12ihipStream_tbEUlT_E0_NS1_11comp_targetILNS1_3genE10ELNS1_11target_archE1201ELNS1_3gpuE5ELNS1_3repE0EEENS1_30default_config_static_selectorELNS0_4arch9wavefront6targetE1EEEvSK_, .Lfunc_end62-_ZN7rocprim17ROCPRIM_400000_NS6detail17trampoline_kernelINS0_14default_configENS1_22reduce_config_selectorIfEEZNS1_11reduce_implILb1ES3_N6thrust23THRUST_200600_302600_NS6detail15normal_iteratorINS8_10device_ptrIfEEEEPffNS8_4plusIfEEEE10hipError_tPvRmT1_T2_T3_mT4_P12ihipStream_tbEUlT_E0_NS1_11comp_targetILNS1_3genE10ELNS1_11target_archE1201ELNS1_3gpuE5ELNS1_3repE0EEENS1_30default_config_static_selectorELNS0_4arch9wavefront6targetE1EEEvSK_
                                        ; -- End function
	.set _ZN7rocprim17ROCPRIM_400000_NS6detail17trampoline_kernelINS0_14default_configENS1_22reduce_config_selectorIfEEZNS1_11reduce_implILb1ES3_N6thrust23THRUST_200600_302600_NS6detail15normal_iteratorINS8_10device_ptrIfEEEEPffNS8_4plusIfEEEE10hipError_tPvRmT1_T2_T3_mT4_P12ihipStream_tbEUlT_E0_NS1_11comp_targetILNS1_3genE10ELNS1_11target_archE1201ELNS1_3gpuE5ELNS1_3repE0EEENS1_30default_config_static_selectorELNS0_4arch9wavefront6targetE1EEEvSK_.num_vgpr, 0
	.set _ZN7rocprim17ROCPRIM_400000_NS6detail17trampoline_kernelINS0_14default_configENS1_22reduce_config_selectorIfEEZNS1_11reduce_implILb1ES3_N6thrust23THRUST_200600_302600_NS6detail15normal_iteratorINS8_10device_ptrIfEEEEPffNS8_4plusIfEEEE10hipError_tPvRmT1_T2_T3_mT4_P12ihipStream_tbEUlT_E0_NS1_11comp_targetILNS1_3genE10ELNS1_11target_archE1201ELNS1_3gpuE5ELNS1_3repE0EEENS1_30default_config_static_selectorELNS0_4arch9wavefront6targetE1EEEvSK_.num_agpr, 0
	.set _ZN7rocprim17ROCPRIM_400000_NS6detail17trampoline_kernelINS0_14default_configENS1_22reduce_config_selectorIfEEZNS1_11reduce_implILb1ES3_N6thrust23THRUST_200600_302600_NS6detail15normal_iteratorINS8_10device_ptrIfEEEEPffNS8_4plusIfEEEE10hipError_tPvRmT1_T2_T3_mT4_P12ihipStream_tbEUlT_E0_NS1_11comp_targetILNS1_3genE10ELNS1_11target_archE1201ELNS1_3gpuE5ELNS1_3repE0EEENS1_30default_config_static_selectorELNS0_4arch9wavefront6targetE1EEEvSK_.numbered_sgpr, 0
	.set _ZN7rocprim17ROCPRIM_400000_NS6detail17trampoline_kernelINS0_14default_configENS1_22reduce_config_selectorIfEEZNS1_11reduce_implILb1ES3_N6thrust23THRUST_200600_302600_NS6detail15normal_iteratorINS8_10device_ptrIfEEEEPffNS8_4plusIfEEEE10hipError_tPvRmT1_T2_T3_mT4_P12ihipStream_tbEUlT_E0_NS1_11comp_targetILNS1_3genE10ELNS1_11target_archE1201ELNS1_3gpuE5ELNS1_3repE0EEENS1_30default_config_static_selectorELNS0_4arch9wavefront6targetE1EEEvSK_.num_named_barrier, 0
	.set _ZN7rocprim17ROCPRIM_400000_NS6detail17trampoline_kernelINS0_14default_configENS1_22reduce_config_selectorIfEEZNS1_11reduce_implILb1ES3_N6thrust23THRUST_200600_302600_NS6detail15normal_iteratorINS8_10device_ptrIfEEEEPffNS8_4plusIfEEEE10hipError_tPvRmT1_T2_T3_mT4_P12ihipStream_tbEUlT_E0_NS1_11comp_targetILNS1_3genE10ELNS1_11target_archE1201ELNS1_3gpuE5ELNS1_3repE0EEENS1_30default_config_static_selectorELNS0_4arch9wavefront6targetE1EEEvSK_.private_seg_size, 0
	.set _ZN7rocprim17ROCPRIM_400000_NS6detail17trampoline_kernelINS0_14default_configENS1_22reduce_config_selectorIfEEZNS1_11reduce_implILb1ES3_N6thrust23THRUST_200600_302600_NS6detail15normal_iteratorINS8_10device_ptrIfEEEEPffNS8_4plusIfEEEE10hipError_tPvRmT1_T2_T3_mT4_P12ihipStream_tbEUlT_E0_NS1_11comp_targetILNS1_3genE10ELNS1_11target_archE1201ELNS1_3gpuE5ELNS1_3repE0EEENS1_30default_config_static_selectorELNS0_4arch9wavefront6targetE1EEEvSK_.uses_vcc, 0
	.set _ZN7rocprim17ROCPRIM_400000_NS6detail17trampoline_kernelINS0_14default_configENS1_22reduce_config_selectorIfEEZNS1_11reduce_implILb1ES3_N6thrust23THRUST_200600_302600_NS6detail15normal_iteratorINS8_10device_ptrIfEEEEPffNS8_4plusIfEEEE10hipError_tPvRmT1_T2_T3_mT4_P12ihipStream_tbEUlT_E0_NS1_11comp_targetILNS1_3genE10ELNS1_11target_archE1201ELNS1_3gpuE5ELNS1_3repE0EEENS1_30default_config_static_selectorELNS0_4arch9wavefront6targetE1EEEvSK_.uses_flat_scratch, 0
	.set _ZN7rocprim17ROCPRIM_400000_NS6detail17trampoline_kernelINS0_14default_configENS1_22reduce_config_selectorIfEEZNS1_11reduce_implILb1ES3_N6thrust23THRUST_200600_302600_NS6detail15normal_iteratorINS8_10device_ptrIfEEEEPffNS8_4plusIfEEEE10hipError_tPvRmT1_T2_T3_mT4_P12ihipStream_tbEUlT_E0_NS1_11comp_targetILNS1_3genE10ELNS1_11target_archE1201ELNS1_3gpuE5ELNS1_3repE0EEENS1_30default_config_static_selectorELNS0_4arch9wavefront6targetE1EEEvSK_.has_dyn_sized_stack, 0
	.set _ZN7rocprim17ROCPRIM_400000_NS6detail17trampoline_kernelINS0_14default_configENS1_22reduce_config_selectorIfEEZNS1_11reduce_implILb1ES3_N6thrust23THRUST_200600_302600_NS6detail15normal_iteratorINS8_10device_ptrIfEEEEPffNS8_4plusIfEEEE10hipError_tPvRmT1_T2_T3_mT4_P12ihipStream_tbEUlT_E0_NS1_11comp_targetILNS1_3genE10ELNS1_11target_archE1201ELNS1_3gpuE5ELNS1_3repE0EEENS1_30default_config_static_selectorELNS0_4arch9wavefront6targetE1EEEvSK_.has_recursion, 0
	.set _ZN7rocprim17ROCPRIM_400000_NS6detail17trampoline_kernelINS0_14default_configENS1_22reduce_config_selectorIfEEZNS1_11reduce_implILb1ES3_N6thrust23THRUST_200600_302600_NS6detail15normal_iteratorINS8_10device_ptrIfEEEEPffNS8_4plusIfEEEE10hipError_tPvRmT1_T2_T3_mT4_P12ihipStream_tbEUlT_E0_NS1_11comp_targetILNS1_3genE10ELNS1_11target_archE1201ELNS1_3gpuE5ELNS1_3repE0EEENS1_30default_config_static_selectorELNS0_4arch9wavefront6targetE1EEEvSK_.has_indirect_call, 0
	.section	.AMDGPU.csdata,"",@progbits
; Kernel info:
; codeLenInByte = 0
; TotalNumSgprs: 6
; NumVgprs: 0
; NumAgprs: 0
; TotalNumVgprs: 0
; ScratchSize: 0
; MemoryBound: 0
; FloatMode: 240
; IeeeMode: 1
; LDSByteSize: 0 bytes/workgroup (compile time only)
; SGPRBlocks: 0
; VGPRBlocks: 0
; NumSGPRsForWavesPerEU: 6
; NumVGPRsForWavesPerEU: 1
; AccumOffset: 4
; Occupancy: 8
; WaveLimiterHint : 0
; COMPUTE_PGM_RSRC2:SCRATCH_EN: 0
; COMPUTE_PGM_RSRC2:USER_SGPR: 2
; COMPUTE_PGM_RSRC2:TRAP_HANDLER: 0
; COMPUTE_PGM_RSRC2:TGID_X_EN: 1
; COMPUTE_PGM_RSRC2:TGID_Y_EN: 0
; COMPUTE_PGM_RSRC2:TGID_Z_EN: 0
; COMPUTE_PGM_RSRC2:TIDIG_COMP_CNT: 0
; COMPUTE_PGM_RSRC3_GFX90A:ACCUM_OFFSET: 0
; COMPUTE_PGM_RSRC3_GFX90A:TG_SPLIT: 0
	.section	.text._ZN7rocprim17ROCPRIM_400000_NS6detail17trampoline_kernelINS0_14default_configENS1_22reduce_config_selectorIfEEZNS1_11reduce_implILb1ES3_N6thrust23THRUST_200600_302600_NS6detail15normal_iteratorINS8_10device_ptrIfEEEEPffNS8_4plusIfEEEE10hipError_tPvRmT1_T2_T3_mT4_P12ihipStream_tbEUlT_E0_NS1_11comp_targetILNS1_3genE10ELNS1_11target_archE1200ELNS1_3gpuE4ELNS1_3repE0EEENS1_30default_config_static_selectorELNS0_4arch9wavefront6targetE1EEEvSK_,"axG",@progbits,_ZN7rocprim17ROCPRIM_400000_NS6detail17trampoline_kernelINS0_14default_configENS1_22reduce_config_selectorIfEEZNS1_11reduce_implILb1ES3_N6thrust23THRUST_200600_302600_NS6detail15normal_iteratorINS8_10device_ptrIfEEEEPffNS8_4plusIfEEEE10hipError_tPvRmT1_T2_T3_mT4_P12ihipStream_tbEUlT_E0_NS1_11comp_targetILNS1_3genE10ELNS1_11target_archE1200ELNS1_3gpuE4ELNS1_3repE0EEENS1_30default_config_static_selectorELNS0_4arch9wavefront6targetE1EEEvSK_,comdat
	.protected	_ZN7rocprim17ROCPRIM_400000_NS6detail17trampoline_kernelINS0_14default_configENS1_22reduce_config_selectorIfEEZNS1_11reduce_implILb1ES3_N6thrust23THRUST_200600_302600_NS6detail15normal_iteratorINS8_10device_ptrIfEEEEPffNS8_4plusIfEEEE10hipError_tPvRmT1_T2_T3_mT4_P12ihipStream_tbEUlT_E0_NS1_11comp_targetILNS1_3genE10ELNS1_11target_archE1200ELNS1_3gpuE4ELNS1_3repE0EEENS1_30default_config_static_selectorELNS0_4arch9wavefront6targetE1EEEvSK_ ; -- Begin function _ZN7rocprim17ROCPRIM_400000_NS6detail17trampoline_kernelINS0_14default_configENS1_22reduce_config_selectorIfEEZNS1_11reduce_implILb1ES3_N6thrust23THRUST_200600_302600_NS6detail15normal_iteratorINS8_10device_ptrIfEEEEPffNS8_4plusIfEEEE10hipError_tPvRmT1_T2_T3_mT4_P12ihipStream_tbEUlT_E0_NS1_11comp_targetILNS1_3genE10ELNS1_11target_archE1200ELNS1_3gpuE4ELNS1_3repE0EEENS1_30default_config_static_selectorELNS0_4arch9wavefront6targetE1EEEvSK_
	.globl	_ZN7rocprim17ROCPRIM_400000_NS6detail17trampoline_kernelINS0_14default_configENS1_22reduce_config_selectorIfEEZNS1_11reduce_implILb1ES3_N6thrust23THRUST_200600_302600_NS6detail15normal_iteratorINS8_10device_ptrIfEEEEPffNS8_4plusIfEEEE10hipError_tPvRmT1_T2_T3_mT4_P12ihipStream_tbEUlT_E0_NS1_11comp_targetILNS1_3genE10ELNS1_11target_archE1200ELNS1_3gpuE4ELNS1_3repE0EEENS1_30default_config_static_selectorELNS0_4arch9wavefront6targetE1EEEvSK_
	.p2align	8
	.type	_ZN7rocprim17ROCPRIM_400000_NS6detail17trampoline_kernelINS0_14default_configENS1_22reduce_config_selectorIfEEZNS1_11reduce_implILb1ES3_N6thrust23THRUST_200600_302600_NS6detail15normal_iteratorINS8_10device_ptrIfEEEEPffNS8_4plusIfEEEE10hipError_tPvRmT1_T2_T3_mT4_P12ihipStream_tbEUlT_E0_NS1_11comp_targetILNS1_3genE10ELNS1_11target_archE1200ELNS1_3gpuE4ELNS1_3repE0EEENS1_30default_config_static_selectorELNS0_4arch9wavefront6targetE1EEEvSK_,@function
_ZN7rocprim17ROCPRIM_400000_NS6detail17trampoline_kernelINS0_14default_configENS1_22reduce_config_selectorIfEEZNS1_11reduce_implILb1ES3_N6thrust23THRUST_200600_302600_NS6detail15normal_iteratorINS8_10device_ptrIfEEEEPffNS8_4plusIfEEEE10hipError_tPvRmT1_T2_T3_mT4_P12ihipStream_tbEUlT_E0_NS1_11comp_targetILNS1_3genE10ELNS1_11target_archE1200ELNS1_3gpuE4ELNS1_3repE0EEENS1_30default_config_static_selectorELNS0_4arch9wavefront6targetE1EEEvSK_: ; @_ZN7rocprim17ROCPRIM_400000_NS6detail17trampoline_kernelINS0_14default_configENS1_22reduce_config_selectorIfEEZNS1_11reduce_implILb1ES3_N6thrust23THRUST_200600_302600_NS6detail15normal_iteratorINS8_10device_ptrIfEEEEPffNS8_4plusIfEEEE10hipError_tPvRmT1_T2_T3_mT4_P12ihipStream_tbEUlT_E0_NS1_11comp_targetILNS1_3genE10ELNS1_11target_archE1200ELNS1_3gpuE4ELNS1_3repE0EEENS1_30default_config_static_selectorELNS0_4arch9wavefront6targetE1EEEvSK_
; %bb.0:
	.section	.rodata,"a",@progbits
	.p2align	6, 0x0
	.amdhsa_kernel _ZN7rocprim17ROCPRIM_400000_NS6detail17trampoline_kernelINS0_14default_configENS1_22reduce_config_selectorIfEEZNS1_11reduce_implILb1ES3_N6thrust23THRUST_200600_302600_NS6detail15normal_iteratorINS8_10device_ptrIfEEEEPffNS8_4plusIfEEEE10hipError_tPvRmT1_T2_T3_mT4_P12ihipStream_tbEUlT_E0_NS1_11comp_targetILNS1_3genE10ELNS1_11target_archE1200ELNS1_3gpuE4ELNS1_3repE0EEENS1_30default_config_static_selectorELNS0_4arch9wavefront6targetE1EEEvSK_
		.amdhsa_group_segment_fixed_size 0
		.amdhsa_private_segment_fixed_size 0
		.amdhsa_kernarg_size 56
		.amdhsa_user_sgpr_count 2
		.amdhsa_user_sgpr_dispatch_ptr 0
		.amdhsa_user_sgpr_queue_ptr 0
		.amdhsa_user_sgpr_kernarg_segment_ptr 1
		.amdhsa_user_sgpr_dispatch_id 0
		.amdhsa_user_sgpr_kernarg_preload_length 0
		.amdhsa_user_sgpr_kernarg_preload_offset 0
		.amdhsa_user_sgpr_private_segment_size 0
		.amdhsa_uses_dynamic_stack 0
		.amdhsa_enable_private_segment 0
		.amdhsa_system_sgpr_workgroup_id_x 1
		.amdhsa_system_sgpr_workgroup_id_y 0
		.amdhsa_system_sgpr_workgroup_id_z 0
		.amdhsa_system_sgpr_workgroup_info 0
		.amdhsa_system_vgpr_workitem_id 0
		.amdhsa_next_free_vgpr 1
		.amdhsa_next_free_sgpr 0
		.amdhsa_accum_offset 4
		.amdhsa_reserve_vcc 0
		.amdhsa_float_round_mode_32 0
		.amdhsa_float_round_mode_16_64 0
		.amdhsa_float_denorm_mode_32 3
		.amdhsa_float_denorm_mode_16_64 3
		.amdhsa_dx10_clamp 1
		.amdhsa_ieee_mode 1
		.amdhsa_fp16_overflow 0
		.amdhsa_tg_split 0
		.amdhsa_exception_fp_ieee_invalid_op 0
		.amdhsa_exception_fp_denorm_src 0
		.amdhsa_exception_fp_ieee_div_zero 0
		.amdhsa_exception_fp_ieee_overflow 0
		.amdhsa_exception_fp_ieee_underflow 0
		.amdhsa_exception_fp_ieee_inexact 0
		.amdhsa_exception_int_div_zero 0
	.end_amdhsa_kernel
	.section	.text._ZN7rocprim17ROCPRIM_400000_NS6detail17trampoline_kernelINS0_14default_configENS1_22reduce_config_selectorIfEEZNS1_11reduce_implILb1ES3_N6thrust23THRUST_200600_302600_NS6detail15normal_iteratorINS8_10device_ptrIfEEEEPffNS8_4plusIfEEEE10hipError_tPvRmT1_T2_T3_mT4_P12ihipStream_tbEUlT_E0_NS1_11comp_targetILNS1_3genE10ELNS1_11target_archE1200ELNS1_3gpuE4ELNS1_3repE0EEENS1_30default_config_static_selectorELNS0_4arch9wavefront6targetE1EEEvSK_,"axG",@progbits,_ZN7rocprim17ROCPRIM_400000_NS6detail17trampoline_kernelINS0_14default_configENS1_22reduce_config_selectorIfEEZNS1_11reduce_implILb1ES3_N6thrust23THRUST_200600_302600_NS6detail15normal_iteratorINS8_10device_ptrIfEEEEPffNS8_4plusIfEEEE10hipError_tPvRmT1_T2_T3_mT4_P12ihipStream_tbEUlT_E0_NS1_11comp_targetILNS1_3genE10ELNS1_11target_archE1200ELNS1_3gpuE4ELNS1_3repE0EEENS1_30default_config_static_selectorELNS0_4arch9wavefront6targetE1EEEvSK_,comdat
.Lfunc_end63:
	.size	_ZN7rocprim17ROCPRIM_400000_NS6detail17trampoline_kernelINS0_14default_configENS1_22reduce_config_selectorIfEEZNS1_11reduce_implILb1ES3_N6thrust23THRUST_200600_302600_NS6detail15normal_iteratorINS8_10device_ptrIfEEEEPffNS8_4plusIfEEEE10hipError_tPvRmT1_T2_T3_mT4_P12ihipStream_tbEUlT_E0_NS1_11comp_targetILNS1_3genE10ELNS1_11target_archE1200ELNS1_3gpuE4ELNS1_3repE0EEENS1_30default_config_static_selectorELNS0_4arch9wavefront6targetE1EEEvSK_, .Lfunc_end63-_ZN7rocprim17ROCPRIM_400000_NS6detail17trampoline_kernelINS0_14default_configENS1_22reduce_config_selectorIfEEZNS1_11reduce_implILb1ES3_N6thrust23THRUST_200600_302600_NS6detail15normal_iteratorINS8_10device_ptrIfEEEEPffNS8_4plusIfEEEE10hipError_tPvRmT1_T2_T3_mT4_P12ihipStream_tbEUlT_E0_NS1_11comp_targetILNS1_3genE10ELNS1_11target_archE1200ELNS1_3gpuE4ELNS1_3repE0EEENS1_30default_config_static_selectorELNS0_4arch9wavefront6targetE1EEEvSK_
                                        ; -- End function
	.set _ZN7rocprim17ROCPRIM_400000_NS6detail17trampoline_kernelINS0_14default_configENS1_22reduce_config_selectorIfEEZNS1_11reduce_implILb1ES3_N6thrust23THRUST_200600_302600_NS6detail15normal_iteratorINS8_10device_ptrIfEEEEPffNS8_4plusIfEEEE10hipError_tPvRmT1_T2_T3_mT4_P12ihipStream_tbEUlT_E0_NS1_11comp_targetILNS1_3genE10ELNS1_11target_archE1200ELNS1_3gpuE4ELNS1_3repE0EEENS1_30default_config_static_selectorELNS0_4arch9wavefront6targetE1EEEvSK_.num_vgpr, 0
	.set _ZN7rocprim17ROCPRIM_400000_NS6detail17trampoline_kernelINS0_14default_configENS1_22reduce_config_selectorIfEEZNS1_11reduce_implILb1ES3_N6thrust23THRUST_200600_302600_NS6detail15normal_iteratorINS8_10device_ptrIfEEEEPffNS8_4plusIfEEEE10hipError_tPvRmT1_T2_T3_mT4_P12ihipStream_tbEUlT_E0_NS1_11comp_targetILNS1_3genE10ELNS1_11target_archE1200ELNS1_3gpuE4ELNS1_3repE0EEENS1_30default_config_static_selectorELNS0_4arch9wavefront6targetE1EEEvSK_.num_agpr, 0
	.set _ZN7rocprim17ROCPRIM_400000_NS6detail17trampoline_kernelINS0_14default_configENS1_22reduce_config_selectorIfEEZNS1_11reduce_implILb1ES3_N6thrust23THRUST_200600_302600_NS6detail15normal_iteratorINS8_10device_ptrIfEEEEPffNS8_4plusIfEEEE10hipError_tPvRmT1_T2_T3_mT4_P12ihipStream_tbEUlT_E0_NS1_11comp_targetILNS1_3genE10ELNS1_11target_archE1200ELNS1_3gpuE4ELNS1_3repE0EEENS1_30default_config_static_selectorELNS0_4arch9wavefront6targetE1EEEvSK_.numbered_sgpr, 0
	.set _ZN7rocprim17ROCPRIM_400000_NS6detail17trampoline_kernelINS0_14default_configENS1_22reduce_config_selectorIfEEZNS1_11reduce_implILb1ES3_N6thrust23THRUST_200600_302600_NS6detail15normal_iteratorINS8_10device_ptrIfEEEEPffNS8_4plusIfEEEE10hipError_tPvRmT1_T2_T3_mT4_P12ihipStream_tbEUlT_E0_NS1_11comp_targetILNS1_3genE10ELNS1_11target_archE1200ELNS1_3gpuE4ELNS1_3repE0EEENS1_30default_config_static_selectorELNS0_4arch9wavefront6targetE1EEEvSK_.num_named_barrier, 0
	.set _ZN7rocprim17ROCPRIM_400000_NS6detail17trampoline_kernelINS0_14default_configENS1_22reduce_config_selectorIfEEZNS1_11reduce_implILb1ES3_N6thrust23THRUST_200600_302600_NS6detail15normal_iteratorINS8_10device_ptrIfEEEEPffNS8_4plusIfEEEE10hipError_tPvRmT1_T2_T3_mT4_P12ihipStream_tbEUlT_E0_NS1_11comp_targetILNS1_3genE10ELNS1_11target_archE1200ELNS1_3gpuE4ELNS1_3repE0EEENS1_30default_config_static_selectorELNS0_4arch9wavefront6targetE1EEEvSK_.private_seg_size, 0
	.set _ZN7rocprim17ROCPRIM_400000_NS6detail17trampoline_kernelINS0_14default_configENS1_22reduce_config_selectorIfEEZNS1_11reduce_implILb1ES3_N6thrust23THRUST_200600_302600_NS6detail15normal_iteratorINS8_10device_ptrIfEEEEPffNS8_4plusIfEEEE10hipError_tPvRmT1_T2_T3_mT4_P12ihipStream_tbEUlT_E0_NS1_11comp_targetILNS1_3genE10ELNS1_11target_archE1200ELNS1_3gpuE4ELNS1_3repE0EEENS1_30default_config_static_selectorELNS0_4arch9wavefront6targetE1EEEvSK_.uses_vcc, 0
	.set _ZN7rocprim17ROCPRIM_400000_NS6detail17trampoline_kernelINS0_14default_configENS1_22reduce_config_selectorIfEEZNS1_11reduce_implILb1ES3_N6thrust23THRUST_200600_302600_NS6detail15normal_iteratorINS8_10device_ptrIfEEEEPffNS8_4plusIfEEEE10hipError_tPvRmT1_T2_T3_mT4_P12ihipStream_tbEUlT_E0_NS1_11comp_targetILNS1_3genE10ELNS1_11target_archE1200ELNS1_3gpuE4ELNS1_3repE0EEENS1_30default_config_static_selectorELNS0_4arch9wavefront6targetE1EEEvSK_.uses_flat_scratch, 0
	.set _ZN7rocprim17ROCPRIM_400000_NS6detail17trampoline_kernelINS0_14default_configENS1_22reduce_config_selectorIfEEZNS1_11reduce_implILb1ES3_N6thrust23THRUST_200600_302600_NS6detail15normal_iteratorINS8_10device_ptrIfEEEEPffNS8_4plusIfEEEE10hipError_tPvRmT1_T2_T3_mT4_P12ihipStream_tbEUlT_E0_NS1_11comp_targetILNS1_3genE10ELNS1_11target_archE1200ELNS1_3gpuE4ELNS1_3repE0EEENS1_30default_config_static_selectorELNS0_4arch9wavefront6targetE1EEEvSK_.has_dyn_sized_stack, 0
	.set _ZN7rocprim17ROCPRIM_400000_NS6detail17trampoline_kernelINS0_14default_configENS1_22reduce_config_selectorIfEEZNS1_11reduce_implILb1ES3_N6thrust23THRUST_200600_302600_NS6detail15normal_iteratorINS8_10device_ptrIfEEEEPffNS8_4plusIfEEEE10hipError_tPvRmT1_T2_T3_mT4_P12ihipStream_tbEUlT_E0_NS1_11comp_targetILNS1_3genE10ELNS1_11target_archE1200ELNS1_3gpuE4ELNS1_3repE0EEENS1_30default_config_static_selectorELNS0_4arch9wavefront6targetE1EEEvSK_.has_recursion, 0
	.set _ZN7rocprim17ROCPRIM_400000_NS6detail17trampoline_kernelINS0_14default_configENS1_22reduce_config_selectorIfEEZNS1_11reduce_implILb1ES3_N6thrust23THRUST_200600_302600_NS6detail15normal_iteratorINS8_10device_ptrIfEEEEPffNS8_4plusIfEEEE10hipError_tPvRmT1_T2_T3_mT4_P12ihipStream_tbEUlT_E0_NS1_11comp_targetILNS1_3genE10ELNS1_11target_archE1200ELNS1_3gpuE4ELNS1_3repE0EEENS1_30default_config_static_selectorELNS0_4arch9wavefront6targetE1EEEvSK_.has_indirect_call, 0
	.section	.AMDGPU.csdata,"",@progbits
; Kernel info:
; codeLenInByte = 0
; TotalNumSgprs: 6
; NumVgprs: 0
; NumAgprs: 0
; TotalNumVgprs: 0
; ScratchSize: 0
; MemoryBound: 0
; FloatMode: 240
; IeeeMode: 1
; LDSByteSize: 0 bytes/workgroup (compile time only)
; SGPRBlocks: 0
; VGPRBlocks: 0
; NumSGPRsForWavesPerEU: 6
; NumVGPRsForWavesPerEU: 1
; AccumOffset: 4
; Occupancy: 8
; WaveLimiterHint : 0
; COMPUTE_PGM_RSRC2:SCRATCH_EN: 0
; COMPUTE_PGM_RSRC2:USER_SGPR: 2
; COMPUTE_PGM_RSRC2:TRAP_HANDLER: 0
; COMPUTE_PGM_RSRC2:TGID_X_EN: 1
; COMPUTE_PGM_RSRC2:TGID_Y_EN: 0
; COMPUTE_PGM_RSRC2:TGID_Z_EN: 0
; COMPUTE_PGM_RSRC2:TIDIG_COMP_CNT: 0
; COMPUTE_PGM_RSRC3_GFX90A:ACCUM_OFFSET: 0
; COMPUTE_PGM_RSRC3_GFX90A:TG_SPLIT: 0
	.section	.text._ZN7rocprim17ROCPRIM_400000_NS6detail17trampoline_kernelINS0_14default_configENS1_22reduce_config_selectorIfEEZNS1_11reduce_implILb1ES3_N6thrust23THRUST_200600_302600_NS6detail15normal_iteratorINS8_10device_ptrIfEEEEPffNS8_4plusIfEEEE10hipError_tPvRmT1_T2_T3_mT4_P12ihipStream_tbEUlT_E0_NS1_11comp_targetILNS1_3genE9ELNS1_11target_archE1100ELNS1_3gpuE3ELNS1_3repE0EEENS1_30default_config_static_selectorELNS0_4arch9wavefront6targetE1EEEvSK_,"axG",@progbits,_ZN7rocprim17ROCPRIM_400000_NS6detail17trampoline_kernelINS0_14default_configENS1_22reduce_config_selectorIfEEZNS1_11reduce_implILb1ES3_N6thrust23THRUST_200600_302600_NS6detail15normal_iteratorINS8_10device_ptrIfEEEEPffNS8_4plusIfEEEE10hipError_tPvRmT1_T2_T3_mT4_P12ihipStream_tbEUlT_E0_NS1_11comp_targetILNS1_3genE9ELNS1_11target_archE1100ELNS1_3gpuE3ELNS1_3repE0EEENS1_30default_config_static_selectorELNS0_4arch9wavefront6targetE1EEEvSK_,comdat
	.protected	_ZN7rocprim17ROCPRIM_400000_NS6detail17trampoline_kernelINS0_14default_configENS1_22reduce_config_selectorIfEEZNS1_11reduce_implILb1ES3_N6thrust23THRUST_200600_302600_NS6detail15normal_iteratorINS8_10device_ptrIfEEEEPffNS8_4plusIfEEEE10hipError_tPvRmT1_T2_T3_mT4_P12ihipStream_tbEUlT_E0_NS1_11comp_targetILNS1_3genE9ELNS1_11target_archE1100ELNS1_3gpuE3ELNS1_3repE0EEENS1_30default_config_static_selectorELNS0_4arch9wavefront6targetE1EEEvSK_ ; -- Begin function _ZN7rocprim17ROCPRIM_400000_NS6detail17trampoline_kernelINS0_14default_configENS1_22reduce_config_selectorIfEEZNS1_11reduce_implILb1ES3_N6thrust23THRUST_200600_302600_NS6detail15normal_iteratorINS8_10device_ptrIfEEEEPffNS8_4plusIfEEEE10hipError_tPvRmT1_T2_T3_mT4_P12ihipStream_tbEUlT_E0_NS1_11comp_targetILNS1_3genE9ELNS1_11target_archE1100ELNS1_3gpuE3ELNS1_3repE0EEENS1_30default_config_static_selectorELNS0_4arch9wavefront6targetE1EEEvSK_
	.globl	_ZN7rocprim17ROCPRIM_400000_NS6detail17trampoline_kernelINS0_14default_configENS1_22reduce_config_selectorIfEEZNS1_11reduce_implILb1ES3_N6thrust23THRUST_200600_302600_NS6detail15normal_iteratorINS8_10device_ptrIfEEEEPffNS8_4plusIfEEEE10hipError_tPvRmT1_T2_T3_mT4_P12ihipStream_tbEUlT_E0_NS1_11comp_targetILNS1_3genE9ELNS1_11target_archE1100ELNS1_3gpuE3ELNS1_3repE0EEENS1_30default_config_static_selectorELNS0_4arch9wavefront6targetE1EEEvSK_
	.p2align	8
	.type	_ZN7rocprim17ROCPRIM_400000_NS6detail17trampoline_kernelINS0_14default_configENS1_22reduce_config_selectorIfEEZNS1_11reduce_implILb1ES3_N6thrust23THRUST_200600_302600_NS6detail15normal_iteratorINS8_10device_ptrIfEEEEPffNS8_4plusIfEEEE10hipError_tPvRmT1_T2_T3_mT4_P12ihipStream_tbEUlT_E0_NS1_11comp_targetILNS1_3genE9ELNS1_11target_archE1100ELNS1_3gpuE3ELNS1_3repE0EEENS1_30default_config_static_selectorELNS0_4arch9wavefront6targetE1EEEvSK_,@function
_ZN7rocprim17ROCPRIM_400000_NS6detail17trampoline_kernelINS0_14default_configENS1_22reduce_config_selectorIfEEZNS1_11reduce_implILb1ES3_N6thrust23THRUST_200600_302600_NS6detail15normal_iteratorINS8_10device_ptrIfEEEEPffNS8_4plusIfEEEE10hipError_tPvRmT1_T2_T3_mT4_P12ihipStream_tbEUlT_E0_NS1_11comp_targetILNS1_3genE9ELNS1_11target_archE1100ELNS1_3gpuE3ELNS1_3repE0EEENS1_30default_config_static_selectorELNS0_4arch9wavefront6targetE1EEEvSK_: ; @_ZN7rocprim17ROCPRIM_400000_NS6detail17trampoline_kernelINS0_14default_configENS1_22reduce_config_selectorIfEEZNS1_11reduce_implILb1ES3_N6thrust23THRUST_200600_302600_NS6detail15normal_iteratorINS8_10device_ptrIfEEEEPffNS8_4plusIfEEEE10hipError_tPvRmT1_T2_T3_mT4_P12ihipStream_tbEUlT_E0_NS1_11comp_targetILNS1_3genE9ELNS1_11target_archE1100ELNS1_3gpuE3ELNS1_3repE0EEENS1_30default_config_static_selectorELNS0_4arch9wavefront6targetE1EEEvSK_
; %bb.0:
	.section	.rodata,"a",@progbits
	.p2align	6, 0x0
	.amdhsa_kernel _ZN7rocprim17ROCPRIM_400000_NS6detail17trampoline_kernelINS0_14default_configENS1_22reduce_config_selectorIfEEZNS1_11reduce_implILb1ES3_N6thrust23THRUST_200600_302600_NS6detail15normal_iteratorINS8_10device_ptrIfEEEEPffNS8_4plusIfEEEE10hipError_tPvRmT1_T2_T3_mT4_P12ihipStream_tbEUlT_E0_NS1_11comp_targetILNS1_3genE9ELNS1_11target_archE1100ELNS1_3gpuE3ELNS1_3repE0EEENS1_30default_config_static_selectorELNS0_4arch9wavefront6targetE1EEEvSK_
		.amdhsa_group_segment_fixed_size 0
		.amdhsa_private_segment_fixed_size 0
		.amdhsa_kernarg_size 56
		.amdhsa_user_sgpr_count 2
		.amdhsa_user_sgpr_dispatch_ptr 0
		.amdhsa_user_sgpr_queue_ptr 0
		.amdhsa_user_sgpr_kernarg_segment_ptr 1
		.amdhsa_user_sgpr_dispatch_id 0
		.amdhsa_user_sgpr_kernarg_preload_length 0
		.amdhsa_user_sgpr_kernarg_preload_offset 0
		.amdhsa_user_sgpr_private_segment_size 0
		.amdhsa_uses_dynamic_stack 0
		.amdhsa_enable_private_segment 0
		.amdhsa_system_sgpr_workgroup_id_x 1
		.amdhsa_system_sgpr_workgroup_id_y 0
		.amdhsa_system_sgpr_workgroup_id_z 0
		.amdhsa_system_sgpr_workgroup_info 0
		.amdhsa_system_vgpr_workitem_id 0
		.amdhsa_next_free_vgpr 1
		.amdhsa_next_free_sgpr 0
		.amdhsa_accum_offset 4
		.amdhsa_reserve_vcc 0
		.amdhsa_float_round_mode_32 0
		.amdhsa_float_round_mode_16_64 0
		.amdhsa_float_denorm_mode_32 3
		.amdhsa_float_denorm_mode_16_64 3
		.amdhsa_dx10_clamp 1
		.amdhsa_ieee_mode 1
		.amdhsa_fp16_overflow 0
		.amdhsa_tg_split 0
		.amdhsa_exception_fp_ieee_invalid_op 0
		.amdhsa_exception_fp_denorm_src 0
		.amdhsa_exception_fp_ieee_div_zero 0
		.amdhsa_exception_fp_ieee_overflow 0
		.amdhsa_exception_fp_ieee_underflow 0
		.amdhsa_exception_fp_ieee_inexact 0
		.amdhsa_exception_int_div_zero 0
	.end_amdhsa_kernel
	.section	.text._ZN7rocprim17ROCPRIM_400000_NS6detail17trampoline_kernelINS0_14default_configENS1_22reduce_config_selectorIfEEZNS1_11reduce_implILb1ES3_N6thrust23THRUST_200600_302600_NS6detail15normal_iteratorINS8_10device_ptrIfEEEEPffNS8_4plusIfEEEE10hipError_tPvRmT1_T2_T3_mT4_P12ihipStream_tbEUlT_E0_NS1_11comp_targetILNS1_3genE9ELNS1_11target_archE1100ELNS1_3gpuE3ELNS1_3repE0EEENS1_30default_config_static_selectorELNS0_4arch9wavefront6targetE1EEEvSK_,"axG",@progbits,_ZN7rocprim17ROCPRIM_400000_NS6detail17trampoline_kernelINS0_14default_configENS1_22reduce_config_selectorIfEEZNS1_11reduce_implILb1ES3_N6thrust23THRUST_200600_302600_NS6detail15normal_iteratorINS8_10device_ptrIfEEEEPffNS8_4plusIfEEEE10hipError_tPvRmT1_T2_T3_mT4_P12ihipStream_tbEUlT_E0_NS1_11comp_targetILNS1_3genE9ELNS1_11target_archE1100ELNS1_3gpuE3ELNS1_3repE0EEENS1_30default_config_static_selectorELNS0_4arch9wavefront6targetE1EEEvSK_,comdat
.Lfunc_end64:
	.size	_ZN7rocprim17ROCPRIM_400000_NS6detail17trampoline_kernelINS0_14default_configENS1_22reduce_config_selectorIfEEZNS1_11reduce_implILb1ES3_N6thrust23THRUST_200600_302600_NS6detail15normal_iteratorINS8_10device_ptrIfEEEEPffNS8_4plusIfEEEE10hipError_tPvRmT1_T2_T3_mT4_P12ihipStream_tbEUlT_E0_NS1_11comp_targetILNS1_3genE9ELNS1_11target_archE1100ELNS1_3gpuE3ELNS1_3repE0EEENS1_30default_config_static_selectorELNS0_4arch9wavefront6targetE1EEEvSK_, .Lfunc_end64-_ZN7rocprim17ROCPRIM_400000_NS6detail17trampoline_kernelINS0_14default_configENS1_22reduce_config_selectorIfEEZNS1_11reduce_implILb1ES3_N6thrust23THRUST_200600_302600_NS6detail15normal_iteratorINS8_10device_ptrIfEEEEPffNS8_4plusIfEEEE10hipError_tPvRmT1_T2_T3_mT4_P12ihipStream_tbEUlT_E0_NS1_11comp_targetILNS1_3genE9ELNS1_11target_archE1100ELNS1_3gpuE3ELNS1_3repE0EEENS1_30default_config_static_selectorELNS0_4arch9wavefront6targetE1EEEvSK_
                                        ; -- End function
	.set _ZN7rocprim17ROCPRIM_400000_NS6detail17trampoline_kernelINS0_14default_configENS1_22reduce_config_selectorIfEEZNS1_11reduce_implILb1ES3_N6thrust23THRUST_200600_302600_NS6detail15normal_iteratorINS8_10device_ptrIfEEEEPffNS8_4plusIfEEEE10hipError_tPvRmT1_T2_T3_mT4_P12ihipStream_tbEUlT_E0_NS1_11comp_targetILNS1_3genE9ELNS1_11target_archE1100ELNS1_3gpuE3ELNS1_3repE0EEENS1_30default_config_static_selectorELNS0_4arch9wavefront6targetE1EEEvSK_.num_vgpr, 0
	.set _ZN7rocprim17ROCPRIM_400000_NS6detail17trampoline_kernelINS0_14default_configENS1_22reduce_config_selectorIfEEZNS1_11reduce_implILb1ES3_N6thrust23THRUST_200600_302600_NS6detail15normal_iteratorINS8_10device_ptrIfEEEEPffNS8_4plusIfEEEE10hipError_tPvRmT1_T2_T3_mT4_P12ihipStream_tbEUlT_E0_NS1_11comp_targetILNS1_3genE9ELNS1_11target_archE1100ELNS1_3gpuE3ELNS1_3repE0EEENS1_30default_config_static_selectorELNS0_4arch9wavefront6targetE1EEEvSK_.num_agpr, 0
	.set _ZN7rocprim17ROCPRIM_400000_NS6detail17trampoline_kernelINS0_14default_configENS1_22reduce_config_selectorIfEEZNS1_11reduce_implILb1ES3_N6thrust23THRUST_200600_302600_NS6detail15normal_iteratorINS8_10device_ptrIfEEEEPffNS8_4plusIfEEEE10hipError_tPvRmT1_T2_T3_mT4_P12ihipStream_tbEUlT_E0_NS1_11comp_targetILNS1_3genE9ELNS1_11target_archE1100ELNS1_3gpuE3ELNS1_3repE0EEENS1_30default_config_static_selectorELNS0_4arch9wavefront6targetE1EEEvSK_.numbered_sgpr, 0
	.set _ZN7rocprim17ROCPRIM_400000_NS6detail17trampoline_kernelINS0_14default_configENS1_22reduce_config_selectorIfEEZNS1_11reduce_implILb1ES3_N6thrust23THRUST_200600_302600_NS6detail15normal_iteratorINS8_10device_ptrIfEEEEPffNS8_4plusIfEEEE10hipError_tPvRmT1_T2_T3_mT4_P12ihipStream_tbEUlT_E0_NS1_11comp_targetILNS1_3genE9ELNS1_11target_archE1100ELNS1_3gpuE3ELNS1_3repE0EEENS1_30default_config_static_selectorELNS0_4arch9wavefront6targetE1EEEvSK_.num_named_barrier, 0
	.set _ZN7rocprim17ROCPRIM_400000_NS6detail17trampoline_kernelINS0_14default_configENS1_22reduce_config_selectorIfEEZNS1_11reduce_implILb1ES3_N6thrust23THRUST_200600_302600_NS6detail15normal_iteratorINS8_10device_ptrIfEEEEPffNS8_4plusIfEEEE10hipError_tPvRmT1_T2_T3_mT4_P12ihipStream_tbEUlT_E0_NS1_11comp_targetILNS1_3genE9ELNS1_11target_archE1100ELNS1_3gpuE3ELNS1_3repE0EEENS1_30default_config_static_selectorELNS0_4arch9wavefront6targetE1EEEvSK_.private_seg_size, 0
	.set _ZN7rocprim17ROCPRIM_400000_NS6detail17trampoline_kernelINS0_14default_configENS1_22reduce_config_selectorIfEEZNS1_11reduce_implILb1ES3_N6thrust23THRUST_200600_302600_NS6detail15normal_iteratorINS8_10device_ptrIfEEEEPffNS8_4plusIfEEEE10hipError_tPvRmT1_T2_T3_mT4_P12ihipStream_tbEUlT_E0_NS1_11comp_targetILNS1_3genE9ELNS1_11target_archE1100ELNS1_3gpuE3ELNS1_3repE0EEENS1_30default_config_static_selectorELNS0_4arch9wavefront6targetE1EEEvSK_.uses_vcc, 0
	.set _ZN7rocprim17ROCPRIM_400000_NS6detail17trampoline_kernelINS0_14default_configENS1_22reduce_config_selectorIfEEZNS1_11reduce_implILb1ES3_N6thrust23THRUST_200600_302600_NS6detail15normal_iteratorINS8_10device_ptrIfEEEEPffNS8_4plusIfEEEE10hipError_tPvRmT1_T2_T3_mT4_P12ihipStream_tbEUlT_E0_NS1_11comp_targetILNS1_3genE9ELNS1_11target_archE1100ELNS1_3gpuE3ELNS1_3repE0EEENS1_30default_config_static_selectorELNS0_4arch9wavefront6targetE1EEEvSK_.uses_flat_scratch, 0
	.set _ZN7rocprim17ROCPRIM_400000_NS6detail17trampoline_kernelINS0_14default_configENS1_22reduce_config_selectorIfEEZNS1_11reduce_implILb1ES3_N6thrust23THRUST_200600_302600_NS6detail15normal_iteratorINS8_10device_ptrIfEEEEPffNS8_4plusIfEEEE10hipError_tPvRmT1_T2_T3_mT4_P12ihipStream_tbEUlT_E0_NS1_11comp_targetILNS1_3genE9ELNS1_11target_archE1100ELNS1_3gpuE3ELNS1_3repE0EEENS1_30default_config_static_selectorELNS0_4arch9wavefront6targetE1EEEvSK_.has_dyn_sized_stack, 0
	.set _ZN7rocprim17ROCPRIM_400000_NS6detail17trampoline_kernelINS0_14default_configENS1_22reduce_config_selectorIfEEZNS1_11reduce_implILb1ES3_N6thrust23THRUST_200600_302600_NS6detail15normal_iteratorINS8_10device_ptrIfEEEEPffNS8_4plusIfEEEE10hipError_tPvRmT1_T2_T3_mT4_P12ihipStream_tbEUlT_E0_NS1_11comp_targetILNS1_3genE9ELNS1_11target_archE1100ELNS1_3gpuE3ELNS1_3repE0EEENS1_30default_config_static_selectorELNS0_4arch9wavefront6targetE1EEEvSK_.has_recursion, 0
	.set _ZN7rocprim17ROCPRIM_400000_NS6detail17trampoline_kernelINS0_14default_configENS1_22reduce_config_selectorIfEEZNS1_11reduce_implILb1ES3_N6thrust23THRUST_200600_302600_NS6detail15normal_iteratorINS8_10device_ptrIfEEEEPffNS8_4plusIfEEEE10hipError_tPvRmT1_T2_T3_mT4_P12ihipStream_tbEUlT_E0_NS1_11comp_targetILNS1_3genE9ELNS1_11target_archE1100ELNS1_3gpuE3ELNS1_3repE0EEENS1_30default_config_static_selectorELNS0_4arch9wavefront6targetE1EEEvSK_.has_indirect_call, 0
	.section	.AMDGPU.csdata,"",@progbits
; Kernel info:
; codeLenInByte = 0
; TotalNumSgprs: 6
; NumVgprs: 0
; NumAgprs: 0
; TotalNumVgprs: 0
; ScratchSize: 0
; MemoryBound: 0
; FloatMode: 240
; IeeeMode: 1
; LDSByteSize: 0 bytes/workgroup (compile time only)
; SGPRBlocks: 0
; VGPRBlocks: 0
; NumSGPRsForWavesPerEU: 6
; NumVGPRsForWavesPerEU: 1
; AccumOffset: 4
; Occupancy: 8
; WaveLimiterHint : 0
; COMPUTE_PGM_RSRC2:SCRATCH_EN: 0
; COMPUTE_PGM_RSRC2:USER_SGPR: 2
; COMPUTE_PGM_RSRC2:TRAP_HANDLER: 0
; COMPUTE_PGM_RSRC2:TGID_X_EN: 1
; COMPUTE_PGM_RSRC2:TGID_Y_EN: 0
; COMPUTE_PGM_RSRC2:TGID_Z_EN: 0
; COMPUTE_PGM_RSRC2:TIDIG_COMP_CNT: 0
; COMPUTE_PGM_RSRC3_GFX90A:ACCUM_OFFSET: 0
; COMPUTE_PGM_RSRC3_GFX90A:TG_SPLIT: 0
	.section	.text._ZN7rocprim17ROCPRIM_400000_NS6detail17trampoline_kernelINS0_14default_configENS1_22reduce_config_selectorIfEEZNS1_11reduce_implILb1ES3_N6thrust23THRUST_200600_302600_NS6detail15normal_iteratorINS8_10device_ptrIfEEEEPffNS8_4plusIfEEEE10hipError_tPvRmT1_T2_T3_mT4_P12ihipStream_tbEUlT_E0_NS1_11comp_targetILNS1_3genE8ELNS1_11target_archE1030ELNS1_3gpuE2ELNS1_3repE0EEENS1_30default_config_static_selectorELNS0_4arch9wavefront6targetE1EEEvSK_,"axG",@progbits,_ZN7rocprim17ROCPRIM_400000_NS6detail17trampoline_kernelINS0_14default_configENS1_22reduce_config_selectorIfEEZNS1_11reduce_implILb1ES3_N6thrust23THRUST_200600_302600_NS6detail15normal_iteratorINS8_10device_ptrIfEEEEPffNS8_4plusIfEEEE10hipError_tPvRmT1_T2_T3_mT4_P12ihipStream_tbEUlT_E0_NS1_11comp_targetILNS1_3genE8ELNS1_11target_archE1030ELNS1_3gpuE2ELNS1_3repE0EEENS1_30default_config_static_selectorELNS0_4arch9wavefront6targetE1EEEvSK_,comdat
	.protected	_ZN7rocprim17ROCPRIM_400000_NS6detail17trampoline_kernelINS0_14default_configENS1_22reduce_config_selectorIfEEZNS1_11reduce_implILb1ES3_N6thrust23THRUST_200600_302600_NS6detail15normal_iteratorINS8_10device_ptrIfEEEEPffNS8_4plusIfEEEE10hipError_tPvRmT1_T2_T3_mT4_P12ihipStream_tbEUlT_E0_NS1_11comp_targetILNS1_3genE8ELNS1_11target_archE1030ELNS1_3gpuE2ELNS1_3repE0EEENS1_30default_config_static_selectorELNS0_4arch9wavefront6targetE1EEEvSK_ ; -- Begin function _ZN7rocprim17ROCPRIM_400000_NS6detail17trampoline_kernelINS0_14default_configENS1_22reduce_config_selectorIfEEZNS1_11reduce_implILb1ES3_N6thrust23THRUST_200600_302600_NS6detail15normal_iteratorINS8_10device_ptrIfEEEEPffNS8_4plusIfEEEE10hipError_tPvRmT1_T2_T3_mT4_P12ihipStream_tbEUlT_E0_NS1_11comp_targetILNS1_3genE8ELNS1_11target_archE1030ELNS1_3gpuE2ELNS1_3repE0EEENS1_30default_config_static_selectorELNS0_4arch9wavefront6targetE1EEEvSK_
	.globl	_ZN7rocprim17ROCPRIM_400000_NS6detail17trampoline_kernelINS0_14default_configENS1_22reduce_config_selectorIfEEZNS1_11reduce_implILb1ES3_N6thrust23THRUST_200600_302600_NS6detail15normal_iteratorINS8_10device_ptrIfEEEEPffNS8_4plusIfEEEE10hipError_tPvRmT1_T2_T3_mT4_P12ihipStream_tbEUlT_E0_NS1_11comp_targetILNS1_3genE8ELNS1_11target_archE1030ELNS1_3gpuE2ELNS1_3repE0EEENS1_30default_config_static_selectorELNS0_4arch9wavefront6targetE1EEEvSK_
	.p2align	8
	.type	_ZN7rocprim17ROCPRIM_400000_NS6detail17trampoline_kernelINS0_14default_configENS1_22reduce_config_selectorIfEEZNS1_11reduce_implILb1ES3_N6thrust23THRUST_200600_302600_NS6detail15normal_iteratorINS8_10device_ptrIfEEEEPffNS8_4plusIfEEEE10hipError_tPvRmT1_T2_T3_mT4_P12ihipStream_tbEUlT_E0_NS1_11comp_targetILNS1_3genE8ELNS1_11target_archE1030ELNS1_3gpuE2ELNS1_3repE0EEENS1_30default_config_static_selectorELNS0_4arch9wavefront6targetE1EEEvSK_,@function
_ZN7rocprim17ROCPRIM_400000_NS6detail17trampoline_kernelINS0_14default_configENS1_22reduce_config_selectorIfEEZNS1_11reduce_implILb1ES3_N6thrust23THRUST_200600_302600_NS6detail15normal_iteratorINS8_10device_ptrIfEEEEPffNS8_4plusIfEEEE10hipError_tPvRmT1_T2_T3_mT4_P12ihipStream_tbEUlT_E0_NS1_11comp_targetILNS1_3genE8ELNS1_11target_archE1030ELNS1_3gpuE2ELNS1_3repE0EEENS1_30default_config_static_selectorELNS0_4arch9wavefront6targetE1EEEvSK_: ; @_ZN7rocprim17ROCPRIM_400000_NS6detail17trampoline_kernelINS0_14default_configENS1_22reduce_config_selectorIfEEZNS1_11reduce_implILb1ES3_N6thrust23THRUST_200600_302600_NS6detail15normal_iteratorINS8_10device_ptrIfEEEEPffNS8_4plusIfEEEE10hipError_tPvRmT1_T2_T3_mT4_P12ihipStream_tbEUlT_E0_NS1_11comp_targetILNS1_3genE8ELNS1_11target_archE1030ELNS1_3gpuE2ELNS1_3repE0EEENS1_30default_config_static_selectorELNS0_4arch9wavefront6targetE1EEEvSK_
; %bb.0:
	.section	.rodata,"a",@progbits
	.p2align	6, 0x0
	.amdhsa_kernel _ZN7rocprim17ROCPRIM_400000_NS6detail17trampoline_kernelINS0_14default_configENS1_22reduce_config_selectorIfEEZNS1_11reduce_implILb1ES3_N6thrust23THRUST_200600_302600_NS6detail15normal_iteratorINS8_10device_ptrIfEEEEPffNS8_4plusIfEEEE10hipError_tPvRmT1_T2_T3_mT4_P12ihipStream_tbEUlT_E0_NS1_11comp_targetILNS1_3genE8ELNS1_11target_archE1030ELNS1_3gpuE2ELNS1_3repE0EEENS1_30default_config_static_selectorELNS0_4arch9wavefront6targetE1EEEvSK_
		.amdhsa_group_segment_fixed_size 0
		.amdhsa_private_segment_fixed_size 0
		.amdhsa_kernarg_size 56
		.amdhsa_user_sgpr_count 2
		.amdhsa_user_sgpr_dispatch_ptr 0
		.amdhsa_user_sgpr_queue_ptr 0
		.amdhsa_user_sgpr_kernarg_segment_ptr 1
		.amdhsa_user_sgpr_dispatch_id 0
		.amdhsa_user_sgpr_kernarg_preload_length 0
		.amdhsa_user_sgpr_kernarg_preload_offset 0
		.amdhsa_user_sgpr_private_segment_size 0
		.amdhsa_uses_dynamic_stack 0
		.amdhsa_enable_private_segment 0
		.amdhsa_system_sgpr_workgroup_id_x 1
		.amdhsa_system_sgpr_workgroup_id_y 0
		.amdhsa_system_sgpr_workgroup_id_z 0
		.amdhsa_system_sgpr_workgroup_info 0
		.amdhsa_system_vgpr_workitem_id 0
		.amdhsa_next_free_vgpr 1
		.amdhsa_next_free_sgpr 0
		.amdhsa_accum_offset 4
		.amdhsa_reserve_vcc 0
		.amdhsa_float_round_mode_32 0
		.amdhsa_float_round_mode_16_64 0
		.amdhsa_float_denorm_mode_32 3
		.amdhsa_float_denorm_mode_16_64 3
		.amdhsa_dx10_clamp 1
		.amdhsa_ieee_mode 1
		.amdhsa_fp16_overflow 0
		.amdhsa_tg_split 0
		.amdhsa_exception_fp_ieee_invalid_op 0
		.amdhsa_exception_fp_denorm_src 0
		.amdhsa_exception_fp_ieee_div_zero 0
		.amdhsa_exception_fp_ieee_overflow 0
		.amdhsa_exception_fp_ieee_underflow 0
		.amdhsa_exception_fp_ieee_inexact 0
		.amdhsa_exception_int_div_zero 0
	.end_amdhsa_kernel
	.section	.text._ZN7rocprim17ROCPRIM_400000_NS6detail17trampoline_kernelINS0_14default_configENS1_22reduce_config_selectorIfEEZNS1_11reduce_implILb1ES3_N6thrust23THRUST_200600_302600_NS6detail15normal_iteratorINS8_10device_ptrIfEEEEPffNS8_4plusIfEEEE10hipError_tPvRmT1_T2_T3_mT4_P12ihipStream_tbEUlT_E0_NS1_11comp_targetILNS1_3genE8ELNS1_11target_archE1030ELNS1_3gpuE2ELNS1_3repE0EEENS1_30default_config_static_selectorELNS0_4arch9wavefront6targetE1EEEvSK_,"axG",@progbits,_ZN7rocprim17ROCPRIM_400000_NS6detail17trampoline_kernelINS0_14default_configENS1_22reduce_config_selectorIfEEZNS1_11reduce_implILb1ES3_N6thrust23THRUST_200600_302600_NS6detail15normal_iteratorINS8_10device_ptrIfEEEEPffNS8_4plusIfEEEE10hipError_tPvRmT1_T2_T3_mT4_P12ihipStream_tbEUlT_E0_NS1_11comp_targetILNS1_3genE8ELNS1_11target_archE1030ELNS1_3gpuE2ELNS1_3repE0EEENS1_30default_config_static_selectorELNS0_4arch9wavefront6targetE1EEEvSK_,comdat
.Lfunc_end65:
	.size	_ZN7rocprim17ROCPRIM_400000_NS6detail17trampoline_kernelINS0_14default_configENS1_22reduce_config_selectorIfEEZNS1_11reduce_implILb1ES3_N6thrust23THRUST_200600_302600_NS6detail15normal_iteratorINS8_10device_ptrIfEEEEPffNS8_4plusIfEEEE10hipError_tPvRmT1_T2_T3_mT4_P12ihipStream_tbEUlT_E0_NS1_11comp_targetILNS1_3genE8ELNS1_11target_archE1030ELNS1_3gpuE2ELNS1_3repE0EEENS1_30default_config_static_selectorELNS0_4arch9wavefront6targetE1EEEvSK_, .Lfunc_end65-_ZN7rocprim17ROCPRIM_400000_NS6detail17trampoline_kernelINS0_14default_configENS1_22reduce_config_selectorIfEEZNS1_11reduce_implILb1ES3_N6thrust23THRUST_200600_302600_NS6detail15normal_iteratorINS8_10device_ptrIfEEEEPffNS8_4plusIfEEEE10hipError_tPvRmT1_T2_T3_mT4_P12ihipStream_tbEUlT_E0_NS1_11comp_targetILNS1_3genE8ELNS1_11target_archE1030ELNS1_3gpuE2ELNS1_3repE0EEENS1_30default_config_static_selectorELNS0_4arch9wavefront6targetE1EEEvSK_
                                        ; -- End function
	.set _ZN7rocprim17ROCPRIM_400000_NS6detail17trampoline_kernelINS0_14default_configENS1_22reduce_config_selectorIfEEZNS1_11reduce_implILb1ES3_N6thrust23THRUST_200600_302600_NS6detail15normal_iteratorINS8_10device_ptrIfEEEEPffNS8_4plusIfEEEE10hipError_tPvRmT1_T2_T3_mT4_P12ihipStream_tbEUlT_E0_NS1_11comp_targetILNS1_3genE8ELNS1_11target_archE1030ELNS1_3gpuE2ELNS1_3repE0EEENS1_30default_config_static_selectorELNS0_4arch9wavefront6targetE1EEEvSK_.num_vgpr, 0
	.set _ZN7rocprim17ROCPRIM_400000_NS6detail17trampoline_kernelINS0_14default_configENS1_22reduce_config_selectorIfEEZNS1_11reduce_implILb1ES3_N6thrust23THRUST_200600_302600_NS6detail15normal_iteratorINS8_10device_ptrIfEEEEPffNS8_4plusIfEEEE10hipError_tPvRmT1_T2_T3_mT4_P12ihipStream_tbEUlT_E0_NS1_11comp_targetILNS1_3genE8ELNS1_11target_archE1030ELNS1_3gpuE2ELNS1_3repE0EEENS1_30default_config_static_selectorELNS0_4arch9wavefront6targetE1EEEvSK_.num_agpr, 0
	.set _ZN7rocprim17ROCPRIM_400000_NS6detail17trampoline_kernelINS0_14default_configENS1_22reduce_config_selectorIfEEZNS1_11reduce_implILb1ES3_N6thrust23THRUST_200600_302600_NS6detail15normal_iteratorINS8_10device_ptrIfEEEEPffNS8_4plusIfEEEE10hipError_tPvRmT1_T2_T3_mT4_P12ihipStream_tbEUlT_E0_NS1_11comp_targetILNS1_3genE8ELNS1_11target_archE1030ELNS1_3gpuE2ELNS1_3repE0EEENS1_30default_config_static_selectorELNS0_4arch9wavefront6targetE1EEEvSK_.numbered_sgpr, 0
	.set _ZN7rocprim17ROCPRIM_400000_NS6detail17trampoline_kernelINS0_14default_configENS1_22reduce_config_selectorIfEEZNS1_11reduce_implILb1ES3_N6thrust23THRUST_200600_302600_NS6detail15normal_iteratorINS8_10device_ptrIfEEEEPffNS8_4plusIfEEEE10hipError_tPvRmT1_T2_T3_mT4_P12ihipStream_tbEUlT_E0_NS1_11comp_targetILNS1_3genE8ELNS1_11target_archE1030ELNS1_3gpuE2ELNS1_3repE0EEENS1_30default_config_static_selectorELNS0_4arch9wavefront6targetE1EEEvSK_.num_named_barrier, 0
	.set _ZN7rocprim17ROCPRIM_400000_NS6detail17trampoline_kernelINS0_14default_configENS1_22reduce_config_selectorIfEEZNS1_11reduce_implILb1ES3_N6thrust23THRUST_200600_302600_NS6detail15normal_iteratorINS8_10device_ptrIfEEEEPffNS8_4plusIfEEEE10hipError_tPvRmT1_T2_T3_mT4_P12ihipStream_tbEUlT_E0_NS1_11comp_targetILNS1_3genE8ELNS1_11target_archE1030ELNS1_3gpuE2ELNS1_3repE0EEENS1_30default_config_static_selectorELNS0_4arch9wavefront6targetE1EEEvSK_.private_seg_size, 0
	.set _ZN7rocprim17ROCPRIM_400000_NS6detail17trampoline_kernelINS0_14default_configENS1_22reduce_config_selectorIfEEZNS1_11reduce_implILb1ES3_N6thrust23THRUST_200600_302600_NS6detail15normal_iteratorINS8_10device_ptrIfEEEEPffNS8_4plusIfEEEE10hipError_tPvRmT1_T2_T3_mT4_P12ihipStream_tbEUlT_E0_NS1_11comp_targetILNS1_3genE8ELNS1_11target_archE1030ELNS1_3gpuE2ELNS1_3repE0EEENS1_30default_config_static_selectorELNS0_4arch9wavefront6targetE1EEEvSK_.uses_vcc, 0
	.set _ZN7rocprim17ROCPRIM_400000_NS6detail17trampoline_kernelINS0_14default_configENS1_22reduce_config_selectorIfEEZNS1_11reduce_implILb1ES3_N6thrust23THRUST_200600_302600_NS6detail15normal_iteratorINS8_10device_ptrIfEEEEPffNS8_4plusIfEEEE10hipError_tPvRmT1_T2_T3_mT4_P12ihipStream_tbEUlT_E0_NS1_11comp_targetILNS1_3genE8ELNS1_11target_archE1030ELNS1_3gpuE2ELNS1_3repE0EEENS1_30default_config_static_selectorELNS0_4arch9wavefront6targetE1EEEvSK_.uses_flat_scratch, 0
	.set _ZN7rocprim17ROCPRIM_400000_NS6detail17trampoline_kernelINS0_14default_configENS1_22reduce_config_selectorIfEEZNS1_11reduce_implILb1ES3_N6thrust23THRUST_200600_302600_NS6detail15normal_iteratorINS8_10device_ptrIfEEEEPffNS8_4plusIfEEEE10hipError_tPvRmT1_T2_T3_mT4_P12ihipStream_tbEUlT_E0_NS1_11comp_targetILNS1_3genE8ELNS1_11target_archE1030ELNS1_3gpuE2ELNS1_3repE0EEENS1_30default_config_static_selectorELNS0_4arch9wavefront6targetE1EEEvSK_.has_dyn_sized_stack, 0
	.set _ZN7rocprim17ROCPRIM_400000_NS6detail17trampoline_kernelINS0_14default_configENS1_22reduce_config_selectorIfEEZNS1_11reduce_implILb1ES3_N6thrust23THRUST_200600_302600_NS6detail15normal_iteratorINS8_10device_ptrIfEEEEPffNS8_4plusIfEEEE10hipError_tPvRmT1_T2_T3_mT4_P12ihipStream_tbEUlT_E0_NS1_11comp_targetILNS1_3genE8ELNS1_11target_archE1030ELNS1_3gpuE2ELNS1_3repE0EEENS1_30default_config_static_selectorELNS0_4arch9wavefront6targetE1EEEvSK_.has_recursion, 0
	.set _ZN7rocprim17ROCPRIM_400000_NS6detail17trampoline_kernelINS0_14default_configENS1_22reduce_config_selectorIfEEZNS1_11reduce_implILb1ES3_N6thrust23THRUST_200600_302600_NS6detail15normal_iteratorINS8_10device_ptrIfEEEEPffNS8_4plusIfEEEE10hipError_tPvRmT1_T2_T3_mT4_P12ihipStream_tbEUlT_E0_NS1_11comp_targetILNS1_3genE8ELNS1_11target_archE1030ELNS1_3gpuE2ELNS1_3repE0EEENS1_30default_config_static_selectorELNS0_4arch9wavefront6targetE1EEEvSK_.has_indirect_call, 0
	.section	.AMDGPU.csdata,"",@progbits
; Kernel info:
; codeLenInByte = 0
; TotalNumSgprs: 6
; NumVgprs: 0
; NumAgprs: 0
; TotalNumVgprs: 0
; ScratchSize: 0
; MemoryBound: 0
; FloatMode: 240
; IeeeMode: 1
; LDSByteSize: 0 bytes/workgroup (compile time only)
; SGPRBlocks: 0
; VGPRBlocks: 0
; NumSGPRsForWavesPerEU: 6
; NumVGPRsForWavesPerEU: 1
; AccumOffset: 4
; Occupancy: 8
; WaveLimiterHint : 0
; COMPUTE_PGM_RSRC2:SCRATCH_EN: 0
; COMPUTE_PGM_RSRC2:USER_SGPR: 2
; COMPUTE_PGM_RSRC2:TRAP_HANDLER: 0
; COMPUTE_PGM_RSRC2:TGID_X_EN: 1
; COMPUTE_PGM_RSRC2:TGID_Y_EN: 0
; COMPUTE_PGM_RSRC2:TGID_Z_EN: 0
; COMPUTE_PGM_RSRC2:TIDIG_COMP_CNT: 0
; COMPUTE_PGM_RSRC3_GFX90A:ACCUM_OFFSET: 0
; COMPUTE_PGM_RSRC3_GFX90A:TG_SPLIT: 0
	.section	.text._ZN7rocprim17ROCPRIM_400000_NS6detail17trampoline_kernelINS0_14default_configENS1_22reduce_config_selectorIfEEZNS1_11reduce_implILb1ES3_N6thrust23THRUST_200600_302600_NS6detail15normal_iteratorINS8_10device_ptrIfEEEEPffNS8_4plusIfEEEE10hipError_tPvRmT1_T2_T3_mT4_P12ihipStream_tbEUlT_E1_NS1_11comp_targetILNS1_3genE0ELNS1_11target_archE4294967295ELNS1_3gpuE0ELNS1_3repE0EEENS1_30default_config_static_selectorELNS0_4arch9wavefront6targetE1EEEvSK_,"axG",@progbits,_ZN7rocprim17ROCPRIM_400000_NS6detail17trampoline_kernelINS0_14default_configENS1_22reduce_config_selectorIfEEZNS1_11reduce_implILb1ES3_N6thrust23THRUST_200600_302600_NS6detail15normal_iteratorINS8_10device_ptrIfEEEEPffNS8_4plusIfEEEE10hipError_tPvRmT1_T2_T3_mT4_P12ihipStream_tbEUlT_E1_NS1_11comp_targetILNS1_3genE0ELNS1_11target_archE4294967295ELNS1_3gpuE0ELNS1_3repE0EEENS1_30default_config_static_selectorELNS0_4arch9wavefront6targetE1EEEvSK_,comdat
	.protected	_ZN7rocprim17ROCPRIM_400000_NS6detail17trampoline_kernelINS0_14default_configENS1_22reduce_config_selectorIfEEZNS1_11reduce_implILb1ES3_N6thrust23THRUST_200600_302600_NS6detail15normal_iteratorINS8_10device_ptrIfEEEEPffNS8_4plusIfEEEE10hipError_tPvRmT1_T2_T3_mT4_P12ihipStream_tbEUlT_E1_NS1_11comp_targetILNS1_3genE0ELNS1_11target_archE4294967295ELNS1_3gpuE0ELNS1_3repE0EEENS1_30default_config_static_selectorELNS0_4arch9wavefront6targetE1EEEvSK_ ; -- Begin function _ZN7rocprim17ROCPRIM_400000_NS6detail17trampoline_kernelINS0_14default_configENS1_22reduce_config_selectorIfEEZNS1_11reduce_implILb1ES3_N6thrust23THRUST_200600_302600_NS6detail15normal_iteratorINS8_10device_ptrIfEEEEPffNS8_4plusIfEEEE10hipError_tPvRmT1_T2_T3_mT4_P12ihipStream_tbEUlT_E1_NS1_11comp_targetILNS1_3genE0ELNS1_11target_archE4294967295ELNS1_3gpuE0ELNS1_3repE0EEENS1_30default_config_static_selectorELNS0_4arch9wavefront6targetE1EEEvSK_
	.globl	_ZN7rocprim17ROCPRIM_400000_NS6detail17trampoline_kernelINS0_14default_configENS1_22reduce_config_selectorIfEEZNS1_11reduce_implILb1ES3_N6thrust23THRUST_200600_302600_NS6detail15normal_iteratorINS8_10device_ptrIfEEEEPffNS8_4plusIfEEEE10hipError_tPvRmT1_T2_T3_mT4_P12ihipStream_tbEUlT_E1_NS1_11comp_targetILNS1_3genE0ELNS1_11target_archE4294967295ELNS1_3gpuE0ELNS1_3repE0EEENS1_30default_config_static_selectorELNS0_4arch9wavefront6targetE1EEEvSK_
	.p2align	8
	.type	_ZN7rocprim17ROCPRIM_400000_NS6detail17trampoline_kernelINS0_14default_configENS1_22reduce_config_selectorIfEEZNS1_11reduce_implILb1ES3_N6thrust23THRUST_200600_302600_NS6detail15normal_iteratorINS8_10device_ptrIfEEEEPffNS8_4plusIfEEEE10hipError_tPvRmT1_T2_T3_mT4_P12ihipStream_tbEUlT_E1_NS1_11comp_targetILNS1_3genE0ELNS1_11target_archE4294967295ELNS1_3gpuE0ELNS1_3repE0EEENS1_30default_config_static_selectorELNS0_4arch9wavefront6targetE1EEEvSK_,@function
_ZN7rocprim17ROCPRIM_400000_NS6detail17trampoline_kernelINS0_14default_configENS1_22reduce_config_selectorIfEEZNS1_11reduce_implILb1ES3_N6thrust23THRUST_200600_302600_NS6detail15normal_iteratorINS8_10device_ptrIfEEEEPffNS8_4plusIfEEEE10hipError_tPvRmT1_T2_T3_mT4_P12ihipStream_tbEUlT_E1_NS1_11comp_targetILNS1_3genE0ELNS1_11target_archE4294967295ELNS1_3gpuE0ELNS1_3repE0EEENS1_30default_config_static_selectorELNS0_4arch9wavefront6targetE1EEEvSK_: ; @_ZN7rocprim17ROCPRIM_400000_NS6detail17trampoline_kernelINS0_14default_configENS1_22reduce_config_selectorIfEEZNS1_11reduce_implILb1ES3_N6thrust23THRUST_200600_302600_NS6detail15normal_iteratorINS8_10device_ptrIfEEEEPffNS8_4plusIfEEEE10hipError_tPvRmT1_T2_T3_mT4_P12ihipStream_tbEUlT_E1_NS1_11comp_targetILNS1_3genE0ELNS1_11target_archE4294967295ELNS1_3gpuE0ELNS1_3repE0EEENS1_30default_config_static_selectorELNS0_4arch9wavefront6targetE1EEEvSK_
; %bb.0:
	s_load_dword s33, s[0:1], 0x4
	s_load_dwordx4 s[68:71], s[0:1], 0x8
	s_waitcnt lgkmcnt(0)
	s_cmp_lt_i32 s33, 8
	s_cbranch_scc1 .LBB66_11
; %bb.1:
	s_cmp_gt_i32 s33, 15
	s_cbranch_scc0 .LBB66_12
; %bb.2:
	s_cmp_gt_i32 s33, 31
	s_cbranch_scc0 .LBB66_13
; %bb.3:
	s_cmp_eq_u32 s33, 32
	s_mov_b64 s[66:67], 0
	s_cbranch_scc0 .LBB66_14
; %bb.4:
	s_mov_b32 s3, 0
	s_lshl_b32 s4, s2, 13
	s_mov_b32 s5, s3
	s_lshr_b64 s[6:7], s[70:71], 13
	s_lshl_b64 s[8:9], s[4:5], 2
	s_add_u32 s72, s68, s8
	s_addc_u32 s73, s69, s9
	s_cmp_lg_u64 s[6:7], s[2:3]
	s_cbranch_scc0 .LBB66_23
; %bb.5:
	v_lshlrev_b32_e32 v2, 2, v0
	global_load_dword v1, v2, s[72:73]
	global_load_dword v8, v2, s[72:73] offset:1024
	global_load_dword v9, v2, s[72:73] offset:2048
	;; [unrolled: 1-line block ×3, first 2 shown]
	v_mov_b32_e32 v3, 0
	v_lshl_add_u64 v[4:5], s[72:73], 0, v[2:3]
	v_add_co_u32_e32 v2, vcc, 0x1000, v4
	s_waitcnt vmcnt(2)
	v_add_f32_e32 v1, v1, v8
	v_addc_co_u32_e32 v3, vcc, 0, v5, vcc
	v_add_co_u32_e32 v6, vcc, 0x2000, v4
	s_waitcnt vmcnt(1)
	v_add_f32_e32 v1, v1, v9
	v_addc_co_u32_e32 v7, vcc, 0, v5, vcc
	global_load_dword v11, v[2:3], off
	global_load_dword v12, v[2:3], off offset:1024
	global_load_dword v13, v[2:3], off offset:2048
	global_load_dword v14, v[2:3], off offset:3072
	global_load_dword v15, v[6:7], off
	global_load_dword v16, v[6:7], off offset:1024
	global_load_dword v17, v[6:7], off offset:2048
	global_load_dword v18, v[6:7], off offset:3072
	v_add_co_u32_e32 v2, vcc, 0x3000, v4
	s_waitcnt vmcnt(8)
	v_add_f32_e32 v1, v1, v10
	v_addc_co_u32_e32 v3, vcc, 0, v5, vcc
	v_add_co_u32_e32 v6, vcc, 0x4000, v4
	s_waitcnt vmcnt(7)
	v_add_f32_e32 v1, v1, v11
	v_addc_co_u32_e32 v7, vcc, 0, v5, vcc
	global_load_dword v19, v[2:3], off
	global_load_dword v20, v[2:3], off offset:1024
	global_load_dword v21, v[2:3], off offset:2048
	global_load_dword v22, v[2:3], off offset:3072
	global_load_dword v23, v[6:7], off
	global_load_dword v24, v[6:7], off offset:1024
	global_load_dword v25, v[6:7], off offset:2048
	global_load_dword v26, v[6:7], off offset:3072
	;; [unrolled: 16-line block ×3, first 2 shown]
	v_add_co_u32_e32 v2, vcc, 0x7000, v4
	s_waitcnt vmcnt(20)
	v_add_f32_e32 v1, v1, v14
	v_addc_co_u32_e32 v3, vcc, 0, v5, vcc
	global_load_dword v4, v[2:3], off
	global_load_dword v5, v[2:3], off offset:1024
	global_load_dword v6, v[2:3], off offset:2048
	;; [unrolled: 1-line block ×3, first 2 shown]
	s_waitcnt vmcnt(23)
	v_add_f32_e32 v1, v1, v15
	s_waitcnt vmcnt(22)
	v_add_f32_e32 v1, v1, v16
	;; [unrolled: 2-line block ×4, first 2 shown]
	v_mbcnt_lo_u32_b32 v2, -1, 0
	v_mbcnt_hi_u32_b32 v2, -1, v2
	v_lshlrev_b32_e32 v3, 2, v2
	v_cmp_eq_u32_e32 vcc, 0, v2
	s_waitcnt vmcnt(19)
	v_add_f32_e32 v1, v1, v19
	s_waitcnt vmcnt(18)
	v_add_f32_e32 v1, v1, v20
	;; [unrolled: 2-line block ×20, first 2 shown]
	v_or_b32_e32 v4, 0xfc, v3
	s_nop 0
	v_add_f32_dpp v1, v1, v1 quad_perm:[1,0,3,2] row_mask:0xf bank_mask:0xf bound_ctrl:1
	s_nop 1
	v_add_f32_dpp v1, v1, v1 quad_perm:[2,3,0,1] row_mask:0xf bank_mask:0xf bound_ctrl:1
	s_nop 1
	v_add_f32_dpp v1, v1, v1 row_ror:4 row_mask:0xf bank_mask:0xf bound_ctrl:1
	s_nop 1
	v_add_f32_dpp v1, v1, v1 row_ror:8 row_mask:0xf bank_mask:0xf bound_ctrl:1
	s_nop 1
	v_add_f32_dpp v1, v1, v1 row_bcast:15 row_mask:0xf bank_mask:0xf bound_ctrl:1
	s_nop 1
	v_add_f32_dpp v1, v1, v1 row_bcast:31 row_mask:0xf bank_mask:0xf bound_ctrl:1
	ds_bpermute_b32 v1, v4, v1
	s_and_saveexec_b64 s[6:7], vcc
	s_cbranch_execz .LBB66_7
; %bb.6:
	v_lshrrev_b32_e32 v4, 4, v0
	v_and_b32_e32 v4, 12, v4
	s_waitcnt lgkmcnt(0)
	ds_write_b32 v4, v1 offset:48
.LBB66_7:
	s_or_b64 exec, exec, s[6:7]
	v_cmp_gt_u32_e32 vcc, 64, v0
	s_waitcnt lgkmcnt(0)
	s_barrier
	s_and_saveexec_b64 s[6:7], vcc
	s_cbranch_execz .LBB66_9
; %bb.8:
	v_and_b32_e32 v1, 3, v2
	v_lshlrev_b32_e32 v4, 2, v1
	ds_read_b32 v4, v4 offset:48
	v_cmp_ne_u32_e32 vcc, 3, v1
	s_nop 1
	v_addc_co_u32_e32 v1, vcc, 0, v2, vcc
	v_lshlrev_b32_e32 v1, 2, v1
	s_waitcnt lgkmcnt(0)
	ds_bpermute_b32 v1, v1, v4
	v_or_b32_e32 v2, 8, v3
	s_waitcnt lgkmcnt(0)
	v_add_f32_e32 v1, v4, v1
	ds_bpermute_b32 v2, v2, v1
	s_waitcnt lgkmcnt(0)
	v_add_f32_e32 v1, v1, v2
.LBB66_9:
	s_or_b64 exec, exec, s[6:7]
.LBB66_10:
	v_cmp_eq_u32_e64 s[4:5], 0, v0
	s_and_b64 vcc, exec, s[66:67]
	s_cbranch_vccnz .LBB66_15
	s_branch .LBB66_93
.LBB66_11:
	s_mov_b64 s[4:5], 0
                                        ; implicit-def: $vgpr1
	s_cbranch_execnz .LBB66_166
	s_branch .LBB66_224
.LBB66_12:
	s_mov_b64 s[4:5], 0
                                        ; implicit-def: $vgpr1
	s_cbranch_execnz .LBB66_134
	s_branch .LBB66_142
.LBB66_13:
	s_mov_b64 s[66:67], -1
.LBB66_14:
	s_mov_b64 s[4:5], 0
                                        ; implicit-def: $vgpr1
	s_and_b64 vcc, exec, s[66:67]
	s_cbranch_vccz .LBB66_93
.LBB66_15:
	s_cmp_eq_u32 s33, 16
	s_cbranch_scc0 .LBB66_22
; %bb.16:
	s_mov_b32 s3, 0
	s_lshl_b32 s4, s2, 12
	s_mov_b32 s5, s3
	s_lshr_b64 s[6:7], s[70:71], 12
	s_lshl_b64 s[8:9], s[4:5], 2
	s_add_u32 s34, s68, s8
	s_addc_u32 s35, s69, s9
	s_cmp_lg_u64 s[6:7], s[2:3]
	s_cbranch_scc0 .LBB66_94
; %bb.17:
	v_lshlrev_b32_e32 v2, 2, v0
	global_load_dword v1, v2, s[34:35]
	global_load_dword v8, v2, s[34:35] offset:1024
	global_load_dword v9, v2, s[34:35] offset:2048
	;; [unrolled: 1-line block ×3, first 2 shown]
	v_mov_b32_e32 v3, 0
	v_lshl_add_u64 v[4:5], s[34:35], 0, v[2:3]
	v_add_co_u32_e32 v2, vcc, 0x1000, v4
	s_waitcnt vmcnt(2)
	v_add_f32_e32 v1, v1, v8
	v_addc_co_u32_e32 v3, vcc, 0, v5, vcc
	v_add_co_u32_e32 v6, vcc, 0x2000, v4
	s_waitcnt vmcnt(1)
	v_add_f32_e32 v1, v1, v9
	v_addc_co_u32_e32 v7, vcc, 0, v5, vcc
	global_load_dword v11, v[2:3], off
	global_load_dword v12, v[2:3], off offset:1024
	global_load_dword v13, v[2:3], off offset:2048
	;; [unrolled: 1-line block ×3, first 2 shown]
	global_load_dword v15, v[6:7], off
	global_load_dword v16, v[6:7], off offset:1024
	global_load_dword v17, v[6:7], off offset:2048
	;; [unrolled: 1-line block ×3, first 2 shown]
	v_add_co_u32_e32 v2, vcc, 0x3000, v4
	s_waitcnt vmcnt(8)
	v_add_f32_e32 v1, v1, v10
	v_addc_co_u32_e32 v3, vcc, 0, v5, vcc
	global_load_dword v4, v[2:3], off
	global_load_dword v5, v[2:3], off offset:1024
	global_load_dword v6, v[2:3], off offset:2048
	;; [unrolled: 1-line block ×3, first 2 shown]
	v_mbcnt_lo_u32_b32 v2, -1, 0
	v_mbcnt_hi_u32_b32 v2, -1, v2
	v_lshlrev_b32_e32 v3, 2, v2
	v_cmp_eq_u32_e32 vcc, 0, v2
	s_waitcnt vmcnt(11)
	v_add_f32_e32 v1, v1, v11
	s_waitcnt vmcnt(10)
	v_add_f32_e32 v1, v1, v12
	;; [unrolled: 2-line block ×12, first 2 shown]
	v_or_b32_e32 v4, 0xfc, v3
	s_nop 0
	v_add_f32_dpp v1, v1, v1 quad_perm:[1,0,3,2] row_mask:0xf bank_mask:0xf bound_ctrl:1
	s_nop 1
	v_add_f32_dpp v1, v1, v1 quad_perm:[2,3,0,1] row_mask:0xf bank_mask:0xf bound_ctrl:1
	s_nop 1
	v_add_f32_dpp v1, v1, v1 row_ror:4 row_mask:0xf bank_mask:0xf bound_ctrl:1
	s_nop 1
	v_add_f32_dpp v1, v1, v1 row_ror:8 row_mask:0xf bank_mask:0xf bound_ctrl:1
	s_nop 1
	v_add_f32_dpp v1, v1, v1 row_bcast:15 row_mask:0xf bank_mask:0xf bound_ctrl:1
	s_nop 1
	v_add_f32_dpp v1, v1, v1 row_bcast:31 row_mask:0xf bank_mask:0xf bound_ctrl:1
	ds_bpermute_b32 v1, v4, v1
	s_and_saveexec_b64 s[6:7], vcc
	s_cbranch_execz .LBB66_19
; %bb.18:
	v_lshrrev_b32_e32 v4, 4, v0
	v_and_b32_e32 v4, 12, v4
	s_waitcnt lgkmcnt(0)
	ds_write_b32 v4, v1
.LBB66_19:
	s_or_b64 exec, exec, s[6:7]
	v_cmp_gt_u32_e32 vcc, 64, v0
	s_waitcnt lgkmcnt(0)
	s_barrier
	s_and_saveexec_b64 s[6:7], vcc
	s_cbranch_execz .LBB66_21
; %bb.20:
	v_and_b32_e32 v1, 3, v2
	v_lshlrev_b32_e32 v4, 2, v1
	ds_read_b32 v4, v4
	v_cmp_ne_u32_e32 vcc, 3, v1
	s_nop 1
	v_addc_co_u32_e32 v1, vcc, 0, v2, vcc
	v_lshlrev_b32_e32 v1, 2, v1
	s_waitcnt lgkmcnt(0)
	ds_bpermute_b32 v1, v1, v4
	v_or_b32_e32 v2, 8, v3
	s_waitcnt lgkmcnt(0)
	v_add_f32_e32 v1, v4, v1
	ds_bpermute_b32 v2, v2, v1
	s_waitcnt lgkmcnt(0)
	v_add_f32_e32 v1, v1, v2
.LBB66_21:
	s_or_b64 exec, exec, s[6:7]
	s_mov_b64 s[6:7], 0
	s_branch .LBB66_95
.LBB66_22:
                                        ; implicit-def: $vgpr1
	s_branch .LBB66_142
.LBB66_23:
                                        ; implicit-def: $vgpr1
	s_cbranch_execz .LBB66_10
; %bb.24:
	s_sub_i32 s76, s70, s4
	v_mov_b32_e32 v2, 0
	v_cmp_gt_u32_e32 vcc, s76, v0
	v_mov_b32_e32 v3, v2
	v_mov_b32_e32 v4, v2
	;; [unrolled: 1-line block ×31, first 2 shown]
	s_and_saveexec_b64 s[4:5], vcc
	s_cbranch_execz .LBB66_26
; %bb.25:
	v_lshlrev_b32_e32 v1, 2, v0
	global_load_dword v4, v1, s[72:73]
	v_mov_b32_e32 v5, v2
	v_mov_b32_e32 v6, v2
	;; [unrolled: 1-line block ×31, first 2 shown]
	s_waitcnt vmcnt(0)
	v_mov_b64_e32 v[2:3], v[4:5]
	v_mov_b64_e32 v[4:5], v[6:7]
	;; [unrolled: 1-line block ×16, first 2 shown]
.LBB66_26:
	s_or_b64 exec, exec, s[4:5]
	v_or_b32_e32 v1, 0x100, v0
	v_cmp_gt_u32_e32 vcc, s76, v1
	s_and_saveexec_b64 s[4:5], vcc
	s_cbranch_execz .LBB66_28
; %bb.27:
	v_lshlrev_b32_e32 v1, 2, v0
	global_load_dword v3, v1, s[72:73] offset:1024
.LBB66_28:
	s_or_b64 exec, exec, s[4:5]
	v_or_b32_e32 v1, 0x200, v0
	v_cmp_gt_u32_e64 s[4:5], s76, v1
	s_and_saveexec_b64 s[6:7], s[4:5]
	s_cbranch_execz .LBB66_30
; %bb.29:
	v_lshlrev_b32_e32 v1, 2, v0
	global_load_dword v4, v1, s[72:73] offset:2048
.LBB66_30:
	s_or_b64 exec, exec, s[6:7]
	v_or_b32_e32 v1, 0x300, v0
	v_cmp_gt_u32_e64 s[6:7], s76, v1
	s_and_saveexec_b64 s[8:9], s[6:7]
	s_cbranch_execz .LBB66_32
; %bb.31:
	v_lshlrev_b32_e32 v1, 2, v0
	global_load_dword v5, v1, s[72:73] offset:3072
.LBB66_32:
	s_or_b64 exec, exec, s[8:9]
	v_or_b32_e32 v1, 0x400, v0
	v_cmp_gt_u32_e64 s[8:9], s76, v1
	s_and_saveexec_b64 s[10:11], s[8:9]
	s_cbranch_execz .LBB66_34
; %bb.33:
	v_lshlrev_b32_e32 v1, 2, v1
	global_load_dword v6, v1, s[72:73]
.LBB66_34:
	s_or_b64 exec, exec, s[10:11]
	v_or_b32_e32 v1, 0x500, v0
	v_cmp_gt_u32_e64 s[10:11], s76, v1
	s_and_saveexec_b64 s[12:13], s[10:11]
	s_cbranch_execz .LBB66_36
; %bb.35:
	v_lshlrev_b32_e32 v1, 2, v1
	global_load_dword v7, v1, s[72:73]
.LBB66_36:
	s_or_b64 exec, exec, s[12:13]
	v_or_b32_e32 v1, 0x600, v0
	v_cmp_gt_u32_e64 s[12:13], s76, v1
	s_and_saveexec_b64 s[14:15], s[12:13]
	;; [unrolled: 9-line block ×27, first 2 shown]
	s_cbranch_execz .LBB66_88
; %bb.87:
	v_lshlrev_b32_e32 v1, 2, v1
	global_load_dword v33, v1, s[72:73]
.LBB66_88:
	s_or_b64 exec, exec, s[74:75]
	s_waitcnt vmcnt(0)
	v_add_f32_e32 v1, v2, v3
	v_cndmask_b32_e32 v1, v2, v1, vcc
	v_add_f32_e32 v2, v4, v1
	v_cndmask_b32_e64 v1, v1, v2, s[4:5]
	v_add_f32_e32 v2, v5, v1
	v_cndmask_b32_e64 v1, v1, v2, s[6:7]
	;; [unrolled: 2-line block ×30, first 2 shown]
	v_mbcnt_lo_u32_b32 v2, -1, 0
	v_mbcnt_hi_u32_b32 v2, -1, v2
	v_and_b32_e32 v4, 63, v2
	v_cmp_ne_u32_e32 vcc, 63, v4
	s_min_u32 s8, s76, 0x100
	v_and_b32_e32 v5, 0xc0, v0
	v_addc_co_u32_e32 v3, vcc, 0, v2, vcc
	v_lshlrev_b32_e32 v3, 2, v3
	ds_bpermute_b32 v3, v3, v1
	v_sub_u32_e64 v5, s8, v5 clamp
	v_add_u32_e32 v6, 1, v4
	v_cmp_gt_u32_e64 s[4:5], 62, v4
	v_cmp_lt_u32_e32 vcc, v6, v5
	s_waitcnt lgkmcnt(0)
	v_add_f32_e32 v3, v1, v3
	v_cndmask_b32_e64 v6, 0, 2, s[4:5]
	v_cndmask_b32_e32 v3, v1, v3, vcc
	v_add_lshl_u32 v6, v6, v2, 2
	ds_bpermute_b32 v6, v6, v3
	v_add_u32_e32 v7, 2, v4
	v_cmp_lt_u32_e64 s[4:5], v7, v5
	v_add_u32_e32 v7, 4, v4
	s_waitcnt lgkmcnt(0)
	v_add_f32_e32 v6, v3, v6
	v_cndmask_b32_e64 v3, v3, v6, s[4:5]
	v_cmp_gt_u32_e64 s[4:5], 60, v4
	s_nop 1
	v_cndmask_b32_e64 v6, 0, 4, s[4:5]
	v_add_lshl_u32 v6, v6, v2, 2
	ds_bpermute_b32 v6, v6, v3
	v_cmp_lt_u32_e64 s[4:5], v7, v5
	v_add_u32_e32 v7, 8, v4
	s_waitcnt lgkmcnt(0)
	v_add_f32_e32 v6, v3, v6
	v_cndmask_b32_e64 v3, v3, v6, s[4:5]
	v_cmp_gt_u32_e64 s[4:5], 56, v4
	s_nop 1
	v_cndmask_b32_e64 v6, 0, 8, s[4:5]
	v_add_lshl_u32 v6, v6, v2, 2
	ds_bpermute_b32 v6, v6, v3
	v_cmp_lt_u32_e64 s[4:5], v7, v5
	v_add_u32_e32 v7, 16, v4
	s_waitcnt lgkmcnt(0)
	v_add_f32_e32 v6, v3, v6
	v_cndmask_b32_e64 v3, v3, v6, s[4:5]
	v_cmp_gt_u32_e64 s[4:5], 48, v4
	v_add_u32_e32 v4, 32, v4
	s_nop 0
	v_cndmask_b32_e64 v6, 0, 16, s[4:5]
	v_add_lshl_u32 v6, v6, v2, 2
	ds_bpermute_b32 v6, v6, v3
	v_cmp_lt_u32_e64 s[4:5], v7, v5
	s_waitcnt lgkmcnt(0)
	v_add_f32_e32 v6, v3, v6
	v_cndmask_b32_e64 v6, v3, v6, s[4:5]
	v_lshlrev_b32_e32 v3, 2, v2
	v_or_b32_e32 v7, 0x80, v3
	ds_bpermute_b32 v7, v7, v6
	v_cmp_lt_u32_e64 s[4:5], v4, v5
	s_waitcnt lgkmcnt(0)
	v_add_f32_e32 v7, v6, v7
	v_cndmask_b32_e64 v4, v6, v7, s[4:5]
	v_cndmask_b32_e32 v1, v1, v4, vcc
	v_cmp_eq_u32_e32 vcc, 0, v2
	s_and_saveexec_b64 s[4:5], vcc
; %bb.89:
	v_lshrrev_b32_e32 v4, 4, v0
	v_and_b32_e32 v4, 12, v4
	ds_write_b32 v4, v1 offset:96
; %bb.90:
	s_or_b64 exec, exec, s[4:5]
	v_cmp_gt_u32_e32 vcc, 4, v0
	s_waitcnt lgkmcnt(0)
	s_barrier
	s_and_saveexec_b64 s[6:7], vcc
	s_cbranch_execz .LBB66_92
; %bb.91:
	ds_read_b32 v1, v3 offset:96
	v_and_b32_e32 v4, 3, v2
	v_cmp_ne_u32_e32 vcc, 3, v4
	s_add_i32 s8, s8, 63
	s_lshr_b32 s4, s8, 6
	v_addc_co_u32_e32 v2, vcc, 0, v2, vcc
	v_lshlrev_b32_e32 v2, 2, v2
	s_waitcnt lgkmcnt(0)
	ds_bpermute_b32 v2, v2, v1
	v_add_u32_e32 v5, 1, v4
	v_cmp_gt_u32_e32 vcc, s4, v5
	v_or_b32_e32 v3, 8, v3
	v_add_u32_e32 v4, 2, v4
	s_waitcnt lgkmcnt(0)
	v_add_f32_e32 v2, v1, v2
	v_cndmask_b32_e32 v2, v1, v2, vcc
	ds_bpermute_b32 v3, v3, v2
	v_cmp_gt_u32_e64 s[4:5], s4, v4
	s_waitcnt lgkmcnt(0)
	v_add_f32_e32 v3, v2, v3
	v_cndmask_b32_e64 v2, v2, v3, s[4:5]
	v_cndmask_b32_e32 v1, v1, v2, vcc
.LBB66_92:
	s_or_b64 exec, exec, s[6:7]
	v_cmp_eq_u32_e64 s[4:5], 0, v0
	s_and_b64 vcc, exec, s[66:67]
	s_cbranch_vccnz .LBB66_15
.LBB66_93:
	s_branch .LBB66_142
.LBB66_94:
	s_mov_b64 s[6:7], -1
                                        ; implicit-def: $vgpr1
.LBB66_95:
	s_and_b64 vcc, exec, s[6:7]
	s_cbranch_vccz .LBB66_133
; %bb.96:
	s_sub_i32 s38, s70, s4
	v_mov_b32_e32 v2, 0
	v_cmp_gt_u32_e32 vcc, s38, v0
	v_mov_b32_e32 v3, v2
	v_mov_b32_e32 v4, v2
	;; [unrolled: 1-line block ×15, first 2 shown]
	s_and_saveexec_b64 s[4:5], vcc
	s_cbranch_execz .LBB66_98
; %bb.97:
	v_lshlrev_b32_e32 v1, 2, v0
	global_load_dword v4, v1, s[34:35]
	v_mov_b32_e32 v5, v2
	v_mov_b32_e32 v6, v2
	;; [unrolled: 1-line block ×15, first 2 shown]
	s_waitcnt vmcnt(0)
	v_mov_b64_e32 v[2:3], v[4:5]
	v_mov_b64_e32 v[4:5], v[6:7]
	;; [unrolled: 1-line block ×8, first 2 shown]
.LBB66_98:
	s_or_b64 exec, exec, s[4:5]
	v_or_b32_e32 v1, 0x100, v0
	v_cmp_gt_u32_e32 vcc, s38, v1
	s_and_saveexec_b64 s[4:5], vcc
	s_cbranch_execz .LBB66_100
; %bb.99:
	v_lshlrev_b32_e32 v1, 2, v0
	global_load_dword v3, v1, s[34:35] offset:1024
.LBB66_100:
	s_or_b64 exec, exec, s[4:5]
	v_or_b32_e32 v1, 0x200, v0
	v_cmp_gt_u32_e64 s[4:5], s38, v1
	s_and_saveexec_b64 s[6:7], s[4:5]
	s_cbranch_execz .LBB66_102
; %bb.101:
	v_lshlrev_b32_e32 v1, 2, v0
	global_load_dword v4, v1, s[34:35] offset:2048
.LBB66_102:
	s_or_b64 exec, exec, s[6:7]
	v_or_b32_e32 v1, 0x300, v0
	v_cmp_gt_u32_e64 s[6:7], s38, v1
	s_and_saveexec_b64 s[8:9], s[6:7]
	s_cbranch_execz .LBB66_104
; %bb.103:
	v_lshlrev_b32_e32 v1, 2, v0
	global_load_dword v5, v1, s[34:35] offset:3072
.LBB66_104:
	s_or_b64 exec, exec, s[8:9]
	v_or_b32_e32 v1, 0x400, v0
	v_cmp_gt_u32_e64 s[8:9], s38, v1
	s_and_saveexec_b64 s[10:11], s[8:9]
	s_cbranch_execz .LBB66_106
; %bb.105:
	v_lshlrev_b32_e32 v1, 2, v1
	global_load_dword v6, v1, s[34:35]
.LBB66_106:
	s_or_b64 exec, exec, s[10:11]
	v_or_b32_e32 v1, 0x500, v0
	v_cmp_gt_u32_e64 s[10:11], s38, v1
	s_and_saveexec_b64 s[12:13], s[10:11]
	s_cbranch_execz .LBB66_108
; %bb.107:
	v_lshlrev_b32_e32 v1, 2, v1
	global_load_dword v7, v1, s[34:35]
.LBB66_108:
	s_or_b64 exec, exec, s[12:13]
	v_or_b32_e32 v1, 0x600, v0
	v_cmp_gt_u32_e64 s[12:13], s38, v1
	s_and_saveexec_b64 s[14:15], s[12:13]
	;; [unrolled: 9-line block ×11, first 2 shown]
	s_cbranch_execz .LBB66_128
; %bb.127:
	v_lshlrev_b32_e32 v1, 2, v1
	global_load_dword v17, v1, s[34:35]
.LBB66_128:
	s_or_b64 exec, exec, s[36:37]
	s_waitcnt vmcnt(0)
	v_add_f32_e32 v1, v2, v3
	v_cndmask_b32_e32 v1, v2, v1, vcc
	v_add_f32_e32 v2, v4, v1
	v_cndmask_b32_e64 v1, v1, v2, s[4:5]
	v_add_f32_e32 v2, v5, v1
	v_cndmask_b32_e64 v1, v1, v2, s[6:7]
	;; [unrolled: 2-line block ×14, first 2 shown]
	v_mbcnt_lo_u32_b32 v2, -1, 0
	v_mbcnt_hi_u32_b32 v2, -1, v2
	v_and_b32_e32 v4, 63, v2
	v_cmp_ne_u32_e32 vcc, 63, v4
	s_min_u32 s8, s38, 0x100
	v_and_b32_e32 v5, 0xc0, v0
	v_addc_co_u32_e32 v3, vcc, 0, v2, vcc
	v_lshlrev_b32_e32 v3, 2, v3
	ds_bpermute_b32 v3, v3, v1
	v_sub_u32_e64 v5, s8, v5 clamp
	v_add_u32_e32 v6, 1, v4
	v_cmp_gt_u32_e64 s[4:5], 62, v4
	v_cmp_lt_u32_e32 vcc, v6, v5
	s_waitcnt lgkmcnt(0)
	v_add_f32_e32 v3, v1, v3
	v_cndmask_b32_e64 v6, 0, 2, s[4:5]
	v_cndmask_b32_e32 v3, v1, v3, vcc
	v_add_lshl_u32 v6, v6, v2, 2
	ds_bpermute_b32 v6, v6, v3
	v_add_u32_e32 v7, 2, v4
	v_cmp_lt_u32_e64 s[4:5], v7, v5
	v_add_u32_e32 v7, 4, v4
	s_waitcnt lgkmcnt(0)
	v_add_f32_e32 v6, v3, v6
	v_cndmask_b32_e64 v3, v3, v6, s[4:5]
	v_cmp_gt_u32_e64 s[4:5], 60, v4
	s_nop 1
	v_cndmask_b32_e64 v6, 0, 4, s[4:5]
	v_add_lshl_u32 v6, v6, v2, 2
	ds_bpermute_b32 v6, v6, v3
	v_cmp_lt_u32_e64 s[4:5], v7, v5
	v_add_u32_e32 v7, 8, v4
	s_waitcnt lgkmcnt(0)
	v_add_f32_e32 v6, v3, v6
	v_cndmask_b32_e64 v3, v3, v6, s[4:5]
	v_cmp_gt_u32_e64 s[4:5], 56, v4
	s_nop 1
	v_cndmask_b32_e64 v6, 0, 8, s[4:5]
	v_add_lshl_u32 v6, v6, v2, 2
	ds_bpermute_b32 v6, v6, v3
	v_cmp_lt_u32_e64 s[4:5], v7, v5
	v_add_u32_e32 v7, 16, v4
	s_waitcnt lgkmcnt(0)
	v_add_f32_e32 v6, v3, v6
	v_cndmask_b32_e64 v3, v3, v6, s[4:5]
	v_cmp_gt_u32_e64 s[4:5], 48, v4
	v_add_u32_e32 v4, 32, v4
	s_nop 0
	v_cndmask_b32_e64 v6, 0, 16, s[4:5]
	v_add_lshl_u32 v6, v6, v2, 2
	ds_bpermute_b32 v6, v6, v3
	v_cmp_lt_u32_e64 s[4:5], v7, v5
	s_waitcnt lgkmcnt(0)
	v_add_f32_e32 v6, v3, v6
	v_cndmask_b32_e64 v6, v3, v6, s[4:5]
	v_lshlrev_b32_e32 v3, 2, v2
	v_or_b32_e32 v7, 0x80, v3
	ds_bpermute_b32 v7, v7, v6
	v_cmp_lt_u32_e64 s[4:5], v4, v5
	s_waitcnt lgkmcnt(0)
	v_add_f32_e32 v7, v6, v7
	v_cndmask_b32_e64 v4, v6, v7, s[4:5]
	v_cndmask_b32_e32 v1, v1, v4, vcc
	v_cmp_eq_u32_e32 vcc, 0, v2
	s_and_saveexec_b64 s[4:5], vcc
; %bb.129:
	v_lshrrev_b32_e32 v4, 4, v0
	v_and_b32_e32 v4, 12, v4
	ds_write_b32 v4, v1 offset:96
; %bb.130:
	s_or_b64 exec, exec, s[4:5]
	v_cmp_gt_u32_e32 vcc, 4, v0
	s_waitcnt lgkmcnt(0)
	s_barrier
	s_and_saveexec_b64 s[6:7], vcc
	s_cbranch_execz .LBB66_132
; %bb.131:
	ds_read_b32 v1, v3 offset:96
	v_and_b32_e32 v4, 3, v2
	v_cmp_ne_u32_e32 vcc, 3, v4
	s_add_i32 s8, s8, 63
	s_lshr_b32 s4, s8, 6
	v_addc_co_u32_e32 v2, vcc, 0, v2, vcc
	v_lshlrev_b32_e32 v2, 2, v2
	s_waitcnt lgkmcnt(0)
	ds_bpermute_b32 v2, v2, v1
	v_add_u32_e32 v5, 1, v4
	v_cmp_gt_u32_e32 vcc, s4, v5
	v_or_b32_e32 v3, 8, v3
	v_add_u32_e32 v4, 2, v4
	s_waitcnt lgkmcnt(0)
	v_add_f32_e32 v2, v1, v2
	v_cndmask_b32_e32 v2, v1, v2, vcc
	ds_bpermute_b32 v3, v3, v2
	v_cmp_gt_u32_e64 s[4:5], s4, v4
	s_waitcnt lgkmcnt(0)
	v_add_f32_e32 v3, v2, v3
	v_cndmask_b32_e64 v2, v2, v3, s[4:5]
	v_cndmask_b32_e32 v1, v1, v2, vcc
.LBB66_132:
	s_or_b64 exec, exec, s[6:7]
.LBB66_133:
	v_cmp_eq_u32_e64 s[4:5], 0, v0
	s_branch .LBB66_142
.LBB66_134:
	s_cmp_eq_u32 s33, 8
	s_cbranch_scc0 .LBB66_141
; %bb.135:
	s_mov_b32 s3, 0
	s_lshl_b32 s4, s2, 11
	s_mov_b32 s5, s3
	s_lshr_b64 s[6:7], s[70:71], 11
	s_lshl_b64 s[8:9], s[4:5], 2
	s_add_u32 s16, s68, s8
	s_addc_u32 s17, s69, s9
	s_cmp_lg_u64 s[6:7], s[2:3]
	s_cbranch_scc0 .LBB66_143
; %bb.136:
	v_lshlrev_b32_e32 v2, 2, v0
	v_mov_b32_e32 v3, 0
	v_lshl_add_u64 v[4:5], s[16:17], 0, v[2:3]
	v_add_co_u32_e32 v4, vcc, 0x1000, v4
	s_nop 1
	v_addc_co_u32_e32 v5, vcc, 0, v5, vcc
	global_load_dword v1, v2, s[16:17]
	global_load_dword v6, v2, s[16:17] offset:1024
	global_load_dword v7, v2, s[16:17] offset:2048
	;; [unrolled: 1-line block ×3, first 2 shown]
	global_load_dword v9, v[4:5], off
	global_load_dword v10, v[4:5], off offset:1024
	global_load_dword v11, v[4:5], off offset:2048
	;; [unrolled: 1-line block ×3, first 2 shown]
	v_mbcnt_lo_u32_b32 v2, -1, 0
	v_mbcnt_hi_u32_b32 v2, -1, v2
	v_lshlrev_b32_e32 v3, 2, v2
	v_or_b32_e32 v4, 0xfc, v3
	v_cmp_eq_u32_e32 vcc, 0, v2
	s_waitcnt vmcnt(6)
	v_add_f32_e32 v1, v1, v6
	s_waitcnt vmcnt(5)
	v_add_f32_e32 v1, v1, v7
	;; [unrolled: 2-line block ×7, first 2 shown]
	s_nop 1
	v_add_f32_dpp v1, v1, v1 quad_perm:[1,0,3,2] row_mask:0xf bank_mask:0xf bound_ctrl:1
	s_nop 1
	v_add_f32_dpp v1, v1, v1 quad_perm:[2,3,0,1] row_mask:0xf bank_mask:0xf bound_ctrl:1
	s_nop 1
	v_add_f32_dpp v1, v1, v1 row_ror:4 row_mask:0xf bank_mask:0xf bound_ctrl:1
	s_nop 1
	v_add_f32_dpp v1, v1, v1 row_ror:8 row_mask:0xf bank_mask:0xf bound_ctrl:1
	s_nop 1
	v_add_f32_dpp v1, v1, v1 row_bcast:15 row_mask:0xf bank_mask:0xf bound_ctrl:1
	s_nop 1
	v_add_f32_dpp v1, v1, v1 row_bcast:31 row_mask:0xf bank_mask:0xf bound_ctrl:1
	ds_bpermute_b32 v1, v4, v1
	s_and_saveexec_b64 s[6:7], vcc
	s_cbranch_execz .LBB66_138
; %bb.137:
	v_lshrrev_b32_e32 v4, 4, v0
	v_and_b32_e32 v4, 12, v4
	s_waitcnt lgkmcnt(0)
	ds_write_b32 v4, v1 offset:80
.LBB66_138:
	s_or_b64 exec, exec, s[6:7]
	v_cmp_gt_u32_e32 vcc, 64, v0
	s_waitcnt lgkmcnt(0)
	s_barrier
	s_and_saveexec_b64 s[6:7], vcc
	s_cbranch_execz .LBB66_140
; %bb.139:
	v_and_b32_e32 v1, 3, v2
	v_lshlrev_b32_e32 v4, 2, v1
	ds_read_b32 v4, v4 offset:80
	v_cmp_ne_u32_e32 vcc, 3, v1
	s_nop 1
	v_addc_co_u32_e32 v1, vcc, 0, v2, vcc
	v_lshlrev_b32_e32 v1, 2, v1
	s_waitcnt lgkmcnt(0)
	ds_bpermute_b32 v1, v1, v4
	v_or_b32_e32 v2, 8, v3
	s_waitcnt lgkmcnt(0)
	v_add_f32_e32 v1, v4, v1
	ds_bpermute_b32 v2, v2, v1
	s_waitcnt lgkmcnt(0)
	v_add_f32_e32 v1, v1, v2
.LBB66_140:
	s_or_b64 exec, exec, s[6:7]
	s_branch .LBB66_165
.LBB66_141:
                                        ; implicit-def: $vgpr1
.LBB66_142:
	s_branch .LBB66_224
.LBB66_143:
                                        ; implicit-def: $vgpr1
	s_cbranch_execz .LBB66_165
; %bb.144:
	s_sub_i32 s20, s70, s4
	v_mov_b32_e32 v2, 0
	v_cmp_gt_u32_e32 vcc, s20, v0
	v_mov_b32_e32 v3, v2
	v_mov_b32_e32 v4, v2
	;; [unrolled: 1-line block ×7, first 2 shown]
	s_and_saveexec_b64 s[4:5], vcc
	s_cbranch_execz .LBB66_146
; %bb.145:
	v_lshlrev_b32_e32 v1, 2, v0
	global_load_dword v4, v1, s[16:17]
	v_mov_b32_e32 v5, v2
	v_mov_b32_e32 v6, v2
	;; [unrolled: 1-line block ×7, first 2 shown]
	s_waitcnt vmcnt(0)
	v_mov_b64_e32 v[2:3], v[4:5]
	v_mov_b64_e32 v[4:5], v[6:7]
	;; [unrolled: 1-line block ×4, first 2 shown]
.LBB66_146:
	s_or_b64 exec, exec, s[4:5]
	v_or_b32_e32 v1, 0x100, v0
	v_cmp_gt_u32_e32 vcc, s20, v1
	s_and_saveexec_b64 s[4:5], vcc
	s_cbranch_execz .LBB66_148
; %bb.147:
	v_lshlrev_b32_e32 v1, 2, v0
	global_load_dword v3, v1, s[16:17] offset:1024
.LBB66_148:
	s_or_b64 exec, exec, s[4:5]
	v_or_b32_e32 v1, 0x200, v0
	v_cmp_gt_u32_e64 s[4:5], s20, v1
	s_and_saveexec_b64 s[6:7], s[4:5]
	s_cbranch_execz .LBB66_150
; %bb.149:
	v_lshlrev_b32_e32 v1, 2, v0
	global_load_dword v4, v1, s[16:17] offset:2048
.LBB66_150:
	s_or_b64 exec, exec, s[6:7]
	v_or_b32_e32 v1, 0x300, v0
	v_cmp_gt_u32_e64 s[6:7], s20, v1
	s_and_saveexec_b64 s[8:9], s[6:7]
	;; [unrolled: 9-line block ×3, first 2 shown]
	s_cbranch_execz .LBB66_154
; %bb.153:
	v_lshlrev_b32_e32 v1, 2, v1
	global_load_dword v6, v1, s[16:17]
.LBB66_154:
	s_or_b64 exec, exec, s[10:11]
	v_or_b32_e32 v1, 0x500, v0
	v_cmp_gt_u32_e64 s[10:11], s20, v1
	s_and_saveexec_b64 s[12:13], s[10:11]
	s_cbranch_execz .LBB66_156
; %bb.155:
	v_lshlrev_b32_e32 v1, 2, v1
	global_load_dword v7, v1, s[16:17]
.LBB66_156:
	s_or_b64 exec, exec, s[12:13]
	v_or_b32_e32 v1, 0x600, v0
	v_cmp_gt_u32_e64 s[12:13], s20, v1
	s_and_saveexec_b64 s[14:15], s[12:13]
	s_cbranch_execz .LBB66_158
; %bb.157:
	v_lshlrev_b32_e32 v1, 2, v1
	global_load_dword v8, v1, s[16:17]
.LBB66_158:
	s_or_b64 exec, exec, s[14:15]
	v_or_b32_e32 v1, 0x700, v0
	v_cmp_gt_u32_e64 s[14:15], s20, v1
	s_and_saveexec_b64 s[18:19], s[14:15]
	s_cbranch_execz .LBB66_160
; %bb.159:
	v_lshlrev_b32_e32 v1, 2, v1
	global_load_dword v9, v1, s[16:17]
.LBB66_160:
	s_or_b64 exec, exec, s[18:19]
	s_waitcnt vmcnt(0)
	v_add_f32_e32 v1, v2, v3
	v_cndmask_b32_e32 v1, v2, v1, vcc
	v_add_f32_e32 v2, v4, v1
	v_cndmask_b32_e64 v1, v1, v2, s[4:5]
	v_add_f32_e32 v2, v5, v1
	v_cndmask_b32_e64 v1, v1, v2, s[6:7]
	;; [unrolled: 2-line block ×6, first 2 shown]
	v_mbcnt_lo_u32_b32 v2, -1, 0
	v_mbcnt_hi_u32_b32 v2, -1, v2
	v_and_b32_e32 v4, 63, v2
	v_cmp_ne_u32_e32 vcc, 63, v4
	s_min_u32 s8, s20, 0x100
	v_and_b32_e32 v5, 0xc0, v0
	v_addc_co_u32_e32 v3, vcc, 0, v2, vcc
	v_lshlrev_b32_e32 v3, 2, v3
	ds_bpermute_b32 v3, v3, v1
	v_sub_u32_e64 v5, s8, v5 clamp
	v_add_u32_e32 v6, 1, v4
	v_cmp_gt_u32_e64 s[4:5], 62, v4
	v_cmp_lt_u32_e32 vcc, v6, v5
	s_waitcnt lgkmcnt(0)
	v_add_f32_e32 v3, v1, v3
	v_cndmask_b32_e64 v6, 0, 2, s[4:5]
	v_cndmask_b32_e32 v3, v1, v3, vcc
	v_add_lshl_u32 v6, v6, v2, 2
	ds_bpermute_b32 v6, v6, v3
	v_add_u32_e32 v7, 2, v4
	v_cmp_lt_u32_e64 s[4:5], v7, v5
	v_add_u32_e32 v7, 4, v4
	s_waitcnt lgkmcnt(0)
	v_add_f32_e32 v6, v3, v6
	v_cndmask_b32_e64 v3, v3, v6, s[4:5]
	v_cmp_gt_u32_e64 s[4:5], 60, v4
	s_nop 1
	v_cndmask_b32_e64 v6, 0, 4, s[4:5]
	v_add_lshl_u32 v6, v6, v2, 2
	ds_bpermute_b32 v6, v6, v3
	v_cmp_lt_u32_e64 s[4:5], v7, v5
	v_add_u32_e32 v7, 8, v4
	s_waitcnt lgkmcnt(0)
	v_add_f32_e32 v6, v3, v6
	v_cndmask_b32_e64 v3, v3, v6, s[4:5]
	v_cmp_gt_u32_e64 s[4:5], 56, v4
	s_nop 1
	v_cndmask_b32_e64 v6, 0, 8, s[4:5]
	v_add_lshl_u32 v6, v6, v2, 2
	ds_bpermute_b32 v6, v6, v3
	v_cmp_lt_u32_e64 s[4:5], v7, v5
	v_add_u32_e32 v7, 16, v4
	s_waitcnt lgkmcnt(0)
	v_add_f32_e32 v6, v3, v6
	v_cndmask_b32_e64 v3, v3, v6, s[4:5]
	v_cmp_gt_u32_e64 s[4:5], 48, v4
	v_add_u32_e32 v4, 32, v4
	s_nop 0
	v_cndmask_b32_e64 v6, 0, 16, s[4:5]
	v_add_lshl_u32 v6, v6, v2, 2
	ds_bpermute_b32 v6, v6, v3
	v_cmp_lt_u32_e64 s[4:5], v7, v5
	s_waitcnt lgkmcnt(0)
	v_add_f32_e32 v6, v3, v6
	v_cndmask_b32_e64 v6, v3, v6, s[4:5]
	v_lshlrev_b32_e32 v3, 2, v2
	v_or_b32_e32 v7, 0x80, v3
	ds_bpermute_b32 v7, v7, v6
	v_cmp_lt_u32_e64 s[4:5], v4, v5
	s_waitcnt lgkmcnt(0)
	v_add_f32_e32 v7, v6, v7
	v_cndmask_b32_e64 v4, v6, v7, s[4:5]
	v_cndmask_b32_e32 v1, v1, v4, vcc
	v_cmp_eq_u32_e32 vcc, 0, v2
	s_and_saveexec_b64 s[4:5], vcc
; %bb.161:
	v_lshrrev_b32_e32 v4, 4, v0
	v_and_b32_e32 v4, 12, v4
	ds_write_b32 v4, v1 offset:96
; %bb.162:
	s_or_b64 exec, exec, s[4:5]
	v_cmp_gt_u32_e32 vcc, 4, v0
	s_waitcnt lgkmcnt(0)
	s_barrier
	s_and_saveexec_b64 s[6:7], vcc
	s_cbranch_execz .LBB66_164
; %bb.163:
	ds_read_b32 v1, v3 offset:96
	v_and_b32_e32 v4, 3, v2
	v_cmp_ne_u32_e32 vcc, 3, v4
	s_add_i32 s8, s8, 63
	s_lshr_b32 s4, s8, 6
	v_addc_co_u32_e32 v2, vcc, 0, v2, vcc
	v_lshlrev_b32_e32 v2, 2, v2
	s_waitcnt lgkmcnt(0)
	ds_bpermute_b32 v2, v2, v1
	v_add_u32_e32 v5, 1, v4
	v_cmp_gt_u32_e32 vcc, s4, v5
	v_or_b32_e32 v3, 8, v3
	v_add_u32_e32 v4, 2, v4
	s_waitcnt lgkmcnt(0)
	v_add_f32_e32 v2, v1, v2
	v_cndmask_b32_e32 v2, v1, v2, vcc
	ds_bpermute_b32 v3, v3, v2
	v_cmp_gt_u32_e64 s[4:5], s4, v4
	s_waitcnt lgkmcnt(0)
	v_add_f32_e32 v3, v2, v3
	v_cndmask_b32_e64 v2, v2, v3, s[4:5]
	v_cndmask_b32_e32 v1, v1, v2, vcc
.LBB66_164:
	s_or_b64 exec, exec, s[6:7]
.LBB66_165:
	v_cmp_eq_u32_e64 s[4:5], 0, v0
	s_branch .LBB66_224
.LBB66_166:
	s_cmp_gt_i32 s33, 1
	s_cbranch_scc0 .LBB66_175
; %bb.167:
	s_cmp_gt_i32 s33, 3
	s_cbranch_scc0 .LBB66_176
; %bb.168:
	s_cmp_eq_u32 s33, 4
	s_cbranch_scc0 .LBB66_177
; %bb.169:
	s_mov_b32 s3, 0
	s_lshl_b32 s4, s2, 10
	s_mov_b32 s5, s3
	s_lshr_b64 s[6:7], s[70:71], 10
	s_lshl_b64 s[8:9], s[4:5], 2
	s_add_u32 s8, s68, s8
	s_addc_u32 s9, s69, s9
	s_cmp_lg_u64 s[6:7], s[2:3]
	s_cbranch_scc0 .LBB66_179
; %bb.170:
	v_lshlrev_b32_e32 v1, 2, v0
	global_load_dword v4, v1, s[8:9]
	global_load_dword v5, v1, s[8:9] offset:1024
	global_load_dword v6, v1, s[8:9] offset:2048
	;; [unrolled: 1-line block ×3, first 2 shown]
	v_mbcnt_lo_u32_b32 v1, -1, 0
	v_mbcnt_hi_u32_b32 v2, -1, v1
	v_lshlrev_b32_e32 v3, 2, v2
	v_cmp_eq_u32_e32 vcc, 0, v2
	s_waitcnt vmcnt(2)
	v_add_f32_e32 v1, v4, v5
	s_waitcnt vmcnt(1)
	v_add_f32_e32 v1, v1, v6
	;; [unrolled: 2-line block ×3, first 2 shown]
	v_or_b32_e32 v4, 0xfc, v3
	s_nop 0
	v_add_f32_dpp v1, v1, v1 quad_perm:[1,0,3,2] row_mask:0xf bank_mask:0xf bound_ctrl:1
	s_nop 1
	v_add_f32_dpp v1, v1, v1 quad_perm:[2,3,0,1] row_mask:0xf bank_mask:0xf bound_ctrl:1
	s_nop 1
	v_add_f32_dpp v1, v1, v1 row_ror:4 row_mask:0xf bank_mask:0xf bound_ctrl:1
	s_nop 1
	v_add_f32_dpp v1, v1, v1 row_ror:8 row_mask:0xf bank_mask:0xf bound_ctrl:1
	s_nop 1
	v_add_f32_dpp v1, v1, v1 row_bcast:15 row_mask:0xf bank_mask:0xf bound_ctrl:1
	s_nop 1
	v_add_f32_dpp v1, v1, v1 row_bcast:31 row_mask:0xf bank_mask:0xf bound_ctrl:1
	ds_bpermute_b32 v1, v4, v1
	s_and_saveexec_b64 s[6:7], vcc
	s_cbranch_execz .LBB66_172
; %bb.171:
	v_lshrrev_b32_e32 v4, 4, v0
	v_and_b32_e32 v4, 12, v4
	s_waitcnt lgkmcnt(0)
	ds_write_b32 v4, v1 offset:64
.LBB66_172:
	s_or_b64 exec, exec, s[6:7]
	v_cmp_gt_u32_e32 vcc, 64, v0
	s_waitcnt lgkmcnt(0)
	s_barrier
	s_and_saveexec_b64 s[6:7], vcc
	s_cbranch_execz .LBB66_174
; %bb.173:
	v_and_b32_e32 v1, 3, v2
	v_lshlrev_b32_e32 v4, 2, v1
	ds_read_b32 v4, v4 offset:64
	v_cmp_ne_u32_e32 vcc, 3, v1
	s_nop 1
	v_addc_co_u32_e32 v1, vcc, 0, v2, vcc
	v_lshlrev_b32_e32 v1, 2, v1
	s_waitcnt lgkmcnt(0)
	ds_bpermute_b32 v1, v1, v4
	v_or_b32_e32 v2, 8, v3
	s_waitcnt lgkmcnt(0)
	v_add_f32_e32 v1, v4, v1
	ds_bpermute_b32 v2, v2, v1
	s_waitcnt lgkmcnt(0)
	v_add_f32_e32 v1, v1, v2
.LBB66_174:
	s_or_b64 exec, exec, s[6:7]
	s_mov_b64 s[6:7], 0
	s_branch .LBB66_180
.LBB66_175:
                                        ; implicit-def: $vgpr1
	s_cbranch_execnz .LBB66_215
	s_branch .LBB66_224
.LBB66_176:
                                        ; implicit-def: $vgpr1
	s_cbranch_execz .LBB66_178
	s_branch .LBB66_195
.LBB66_177:
                                        ; implicit-def: $vgpr1
.LBB66_178:
	s_branch .LBB66_224
.LBB66_179:
	s_mov_b64 s[6:7], -1
                                        ; implicit-def: $vgpr1
.LBB66_180:
	s_and_b64 vcc, exec, s[6:7]
	s_cbranch_vccz .LBB66_194
; %bb.181:
	s_sub_i32 s12, s70, s4
	v_mov_b32_e32 v2, 0
	v_cmp_gt_u32_e32 vcc, s12, v0
	v_mov_b32_e32 v3, v2
	v_mov_b32_e32 v4, v2
	v_mov_b32_e32 v5, v2
	s_and_saveexec_b64 s[4:5], vcc
	s_cbranch_execz .LBB66_183
; %bb.182:
	v_lshlrev_b32_e32 v1, 2, v0
	global_load_dword v4, v1, s[8:9]
	v_mov_b32_e32 v5, v2
	v_mov_b32_e32 v6, v2
	;; [unrolled: 1-line block ×3, first 2 shown]
	s_waitcnt vmcnt(0)
	v_mov_b64_e32 v[2:3], v[4:5]
	v_mov_b64_e32 v[4:5], v[6:7]
.LBB66_183:
	s_or_b64 exec, exec, s[4:5]
	v_or_b32_e32 v1, 0x100, v0
	v_cmp_gt_u32_e32 vcc, s12, v1
	s_and_saveexec_b64 s[4:5], vcc
	s_cbranch_execz .LBB66_185
; %bb.184:
	v_lshlrev_b32_e32 v1, 2, v0
	global_load_dword v3, v1, s[8:9] offset:1024
.LBB66_185:
	s_or_b64 exec, exec, s[4:5]
	v_or_b32_e32 v1, 0x200, v0
	v_cmp_gt_u32_e64 s[4:5], s12, v1
	s_and_saveexec_b64 s[6:7], s[4:5]
	s_cbranch_execz .LBB66_187
; %bb.186:
	v_lshlrev_b32_e32 v1, 2, v0
	global_load_dword v4, v1, s[8:9] offset:2048
.LBB66_187:
	s_or_b64 exec, exec, s[6:7]
	v_or_b32_e32 v1, 0x300, v0
	v_cmp_gt_u32_e64 s[6:7], s12, v1
	s_and_saveexec_b64 s[10:11], s[6:7]
	s_cbranch_execz .LBB66_189
; %bb.188:
	v_lshlrev_b32_e32 v1, 2, v0
	global_load_dword v5, v1, s[8:9] offset:3072
.LBB66_189:
	s_or_b64 exec, exec, s[10:11]
	s_waitcnt vmcnt(0)
	v_add_f32_e32 v1, v2, v3
	v_cndmask_b32_e32 v1, v2, v1, vcc
	v_add_f32_e32 v2, v4, v1
	v_cndmask_b32_e64 v1, v1, v2, s[4:5]
	v_add_f32_e32 v2, v5, v1
	v_cndmask_b32_e64 v1, v1, v2, s[6:7]
	v_mbcnt_lo_u32_b32 v2, -1, 0
	v_mbcnt_hi_u32_b32 v2, -1, v2
	v_and_b32_e32 v4, 63, v2
	v_cmp_ne_u32_e32 vcc, 63, v4
	s_min_u32 s8, s12, 0x100
	v_and_b32_e32 v5, 0xc0, v0
	v_addc_co_u32_e32 v3, vcc, 0, v2, vcc
	v_lshlrev_b32_e32 v3, 2, v3
	ds_bpermute_b32 v3, v3, v1
	v_sub_u32_e64 v5, s8, v5 clamp
	v_add_u32_e32 v6, 1, v4
	v_cmp_gt_u32_e64 s[4:5], 62, v4
	v_cmp_lt_u32_e32 vcc, v6, v5
	s_waitcnt lgkmcnt(0)
	v_add_f32_e32 v3, v1, v3
	v_cndmask_b32_e64 v6, 0, 2, s[4:5]
	v_cndmask_b32_e32 v3, v1, v3, vcc
	v_add_lshl_u32 v6, v6, v2, 2
	ds_bpermute_b32 v6, v6, v3
	v_add_u32_e32 v7, 2, v4
	v_cmp_lt_u32_e64 s[4:5], v7, v5
	v_add_u32_e32 v7, 4, v4
	s_waitcnt lgkmcnt(0)
	v_add_f32_e32 v6, v3, v6
	v_cndmask_b32_e64 v3, v3, v6, s[4:5]
	v_cmp_gt_u32_e64 s[4:5], 60, v4
	s_nop 1
	v_cndmask_b32_e64 v6, 0, 4, s[4:5]
	v_add_lshl_u32 v6, v6, v2, 2
	ds_bpermute_b32 v6, v6, v3
	v_cmp_lt_u32_e64 s[4:5], v7, v5
	v_add_u32_e32 v7, 8, v4
	s_waitcnt lgkmcnt(0)
	v_add_f32_e32 v6, v3, v6
	v_cndmask_b32_e64 v3, v3, v6, s[4:5]
	v_cmp_gt_u32_e64 s[4:5], 56, v4
	s_nop 1
	v_cndmask_b32_e64 v6, 0, 8, s[4:5]
	v_add_lshl_u32 v6, v6, v2, 2
	ds_bpermute_b32 v6, v6, v3
	v_cmp_lt_u32_e64 s[4:5], v7, v5
	v_add_u32_e32 v7, 16, v4
	s_waitcnt lgkmcnt(0)
	v_add_f32_e32 v6, v3, v6
	v_cndmask_b32_e64 v3, v3, v6, s[4:5]
	v_cmp_gt_u32_e64 s[4:5], 48, v4
	v_add_u32_e32 v4, 32, v4
	s_nop 0
	v_cndmask_b32_e64 v6, 0, 16, s[4:5]
	v_add_lshl_u32 v6, v6, v2, 2
	ds_bpermute_b32 v6, v6, v3
	v_cmp_lt_u32_e64 s[4:5], v7, v5
	s_waitcnt lgkmcnt(0)
	v_add_f32_e32 v6, v3, v6
	v_cndmask_b32_e64 v6, v3, v6, s[4:5]
	v_lshlrev_b32_e32 v3, 2, v2
	v_or_b32_e32 v7, 0x80, v3
	ds_bpermute_b32 v7, v7, v6
	v_cmp_lt_u32_e64 s[4:5], v4, v5
	s_waitcnt lgkmcnt(0)
	v_add_f32_e32 v7, v6, v7
	v_cndmask_b32_e64 v4, v6, v7, s[4:5]
	v_cndmask_b32_e32 v1, v1, v4, vcc
	v_cmp_eq_u32_e32 vcc, 0, v2
	s_and_saveexec_b64 s[4:5], vcc
; %bb.190:
	v_lshrrev_b32_e32 v4, 4, v0
	v_and_b32_e32 v4, 12, v4
	ds_write_b32 v4, v1 offset:96
; %bb.191:
	s_or_b64 exec, exec, s[4:5]
	v_cmp_gt_u32_e32 vcc, 4, v0
	s_waitcnt lgkmcnt(0)
	s_barrier
	s_and_saveexec_b64 s[6:7], vcc
	s_cbranch_execz .LBB66_193
; %bb.192:
	ds_read_b32 v1, v3 offset:96
	v_and_b32_e32 v4, 3, v2
	v_cmp_ne_u32_e32 vcc, 3, v4
	s_add_i32 s8, s8, 63
	s_lshr_b32 s4, s8, 6
	v_addc_co_u32_e32 v2, vcc, 0, v2, vcc
	v_lshlrev_b32_e32 v2, 2, v2
	s_waitcnt lgkmcnt(0)
	ds_bpermute_b32 v2, v2, v1
	v_add_u32_e32 v5, 1, v4
	v_cmp_gt_u32_e32 vcc, s4, v5
	v_or_b32_e32 v3, 8, v3
	v_add_u32_e32 v4, 2, v4
	s_waitcnt lgkmcnt(0)
	v_add_f32_e32 v2, v1, v2
	v_cndmask_b32_e32 v2, v1, v2, vcc
	ds_bpermute_b32 v3, v3, v2
	v_cmp_gt_u32_e64 s[4:5], s4, v4
	s_waitcnt lgkmcnt(0)
	v_add_f32_e32 v3, v2, v3
	v_cndmask_b32_e64 v2, v2, v3, s[4:5]
	v_cndmask_b32_e32 v1, v1, v2, vcc
.LBB66_193:
	s_or_b64 exec, exec, s[6:7]
.LBB66_194:
	v_cmp_eq_u32_e64 s[4:5], 0, v0
	s_branch .LBB66_178
.LBB66_195:
	s_cmp_eq_u32 s33, 2
	s_cbranch_scc0 .LBB66_202
; %bb.196:
	s_mov_b32 s3, 0
	s_lshl_b32 s6, s2, 9
	s_mov_b32 s7, s3
	s_lshr_b64 s[8:9], s[70:71], 9
	s_lshl_b64 s[4:5], s[6:7], 2
	s_add_u32 s4, s68, s4
	s_addc_u32 s5, s69, s5
	s_cmp_lg_u64 s[8:9], s[2:3]
	s_cbranch_scc0 .LBB66_203
; %bb.197:
	v_lshlrev_b32_e32 v1, 2, v0
	global_load_dword v4, v1, s[4:5]
	global_load_dword v5, v1, s[4:5] offset:1024
	v_mbcnt_lo_u32_b32 v1, -1, 0
	v_mbcnt_hi_u32_b32 v2, -1, v1
	v_lshlrev_b32_e32 v3, 2, v2
	v_cmp_eq_u32_e32 vcc, 0, v2
	s_waitcnt vmcnt(0)
	v_add_f32_e32 v1, v4, v5
	s_nop 1
	v_add_f32_dpp v1, v1, v1 quad_perm:[1,0,3,2] row_mask:0xf bank_mask:0xf bound_ctrl:1
	v_or_b32_e32 v4, 0xfc, v3
	s_nop 0
	v_add_f32_dpp v1, v1, v1 quad_perm:[2,3,0,1] row_mask:0xf bank_mask:0xf bound_ctrl:1
	s_nop 1
	v_add_f32_dpp v1, v1, v1 row_ror:4 row_mask:0xf bank_mask:0xf bound_ctrl:1
	s_nop 1
	v_add_f32_dpp v1, v1, v1 row_ror:8 row_mask:0xf bank_mask:0xf bound_ctrl:1
	s_nop 1
	v_add_f32_dpp v1, v1, v1 row_bcast:15 row_mask:0xf bank_mask:0xf bound_ctrl:1
	s_nop 1
	v_add_f32_dpp v1, v1, v1 row_bcast:31 row_mask:0xf bank_mask:0xf bound_ctrl:1
	ds_bpermute_b32 v1, v4, v1
	s_and_saveexec_b64 s[8:9], vcc
	s_cbranch_execz .LBB66_199
; %bb.198:
	v_lshrrev_b32_e32 v4, 4, v0
	v_and_b32_e32 v4, 12, v4
	s_waitcnt lgkmcnt(0)
	ds_write_b32 v4, v1 offset:32
.LBB66_199:
	s_or_b64 exec, exec, s[8:9]
	v_cmp_gt_u32_e32 vcc, 64, v0
	s_waitcnt lgkmcnt(0)
	s_barrier
	s_and_saveexec_b64 s[8:9], vcc
	s_cbranch_execz .LBB66_201
; %bb.200:
	v_and_b32_e32 v1, 3, v2
	v_lshlrev_b32_e32 v4, 2, v1
	ds_read_b32 v4, v4 offset:32
	v_cmp_ne_u32_e32 vcc, 3, v1
	s_nop 1
	v_addc_co_u32_e32 v1, vcc, 0, v2, vcc
	v_lshlrev_b32_e32 v1, 2, v1
	s_waitcnt lgkmcnt(0)
	ds_bpermute_b32 v1, v1, v4
	v_or_b32_e32 v2, 8, v3
	s_waitcnt lgkmcnt(0)
	v_add_f32_e32 v1, v4, v1
	ds_bpermute_b32 v2, v2, v1
	s_waitcnt lgkmcnt(0)
	v_add_f32_e32 v1, v1, v2
.LBB66_201:
	s_or_b64 exec, exec, s[8:9]
	s_mov_b64 s[8:9], 0
	s_branch .LBB66_204
.LBB66_202:
                                        ; implicit-def: $vgpr1
	s_branch .LBB66_224
.LBB66_203:
	s_mov_b64 s[8:9], -1
                                        ; implicit-def: $vgpr1
.LBB66_204:
	s_and_b64 vcc, exec, s[8:9]
	s_cbranch_vccz .LBB66_214
; %bb.205:
	s_sub_i32 s8, s70, s6
	v_mov_b32_e32 v2, 0
	v_cmp_gt_u32_e32 vcc, s8, v0
	v_mov_b32_e32 v3, v2
	s_and_saveexec_b64 s[6:7], vcc
	s_cbranch_execz .LBB66_207
; %bb.206:
	v_lshlrev_b32_e32 v1, 2, v0
	global_load_dword v4, v1, s[4:5]
	v_mov_b32_e32 v5, v2
	s_waitcnt vmcnt(0)
	v_mov_b64_e32 v[2:3], v[4:5]
.LBB66_207:
	s_or_b64 exec, exec, s[6:7]
	v_or_b32_e32 v1, 0x100, v0
	v_cmp_gt_u32_e32 vcc, s8, v1
	s_and_saveexec_b64 s[6:7], vcc
	s_cbranch_execz .LBB66_209
; %bb.208:
	v_lshlrev_b32_e32 v1, 2, v0
	global_load_dword v3, v1, s[4:5] offset:1024
.LBB66_209:
	s_or_b64 exec, exec, s[6:7]
	s_waitcnt vmcnt(0)
	v_add_f32_e32 v1, v3, v2
	v_cndmask_b32_e32 v1, v2, v1, vcc
	v_mbcnt_lo_u32_b32 v2, -1, 0
	v_mbcnt_hi_u32_b32 v2, -1, v2
	v_and_b32_e32 v4, 63, v2
	v_cmp_ne_u32_e32 vcc, 63, v4
	s_min_u32 s8, s8, 0x100
	v_and_b32_e32 v5, 0xc0, v0
	v_addc_co_u32_e32 v3, vcc, 0, v2, vcc
	v_lshlrev_b32_e32 v3, 2, v3
	ds_bpermute_b32 v3, v3, v1
	v_sub_u32_e64 v5, s8, v5 clamp
	v_add_u32_e32 v6, 1, v4
	v_cmp_gt_u32_e64 s[4:5], 62, v4
	v_cmp_lt_u32_e32 vcc, v6, v5
	s_waitcnt lgkmcnt(0)
	v_add_f32_e32 v3, v1, v3
	v_cndmask_b32_e64 v6, 0, 2, s[4:5]
	v_cndmask_b32_e32 v3, v1, v3, vcc
	v_add_lshl_u32 v6, v6, v2, 2
	ds_bpermute_b32 v6, v6, v3
	v_add_u32_e32 v7, 2, v4
	v_cmp_lt_u32_e64 s[4:5], v7, v5
	v_add_u32_e32 v7, 4, v4
	s_waitcnt lgkmcnt(0)
	v_add_f32_e32 v6, v3, v6
	v_cndmask_b32_e64 v3, v3, v6, s[4:5]
	v_cmp_gt_u32_e64 s[4:5], 60, v4
	s_nop 1
	v_cndmask_b32_e64 v6, 0, 4, s[4:5]
	v_add_lshl_u32 v6, v6, v2, 2
	ds_bpermute_b32 v6, v6, v3
	v_cmp_lt_u32_e64 s[4:5], v7, v5
	v_add_u32_e32 v7, 8, v4
	s_waitcnt lgkmcnt(0)
	v_add_f32_e32 v6, v3, v6
	v_cndmask_b32_e64 v3, v3, v6, s[4:5]
	v_cmp_gt_u32_e64 s[4:5], 56, v4
	s_nop 1
	v_cndmask_b32_e64 v6, 0, 8, s[4:5]
	v_add_lshl_u32 v6, v6, v2, 2
	ds_bpermute_b32 v6, v6, v3
	v_cmp_lt_u32_e64 s[4:5], v7, v5
	v_add_u32_e32 v7, 16, v4
	s_waitcnt lgkmcnt(0)
	v_add_f32_e32 v6, v3, v6
	v_cndmask_b32_e64 v3, v3, v6, s[4:5]
	v_cmp_gt_u32_e64 s[4:5], 48, v4
	v_add_u32_e32 v4, 32, v4
	s_nop 0
	v_cndmask_b32_e64 v6, 0, 16, s[4:5]
	v_add_lshl_u32 v6, v6, v2, 2
	ds_bpermute_b32 v6, v6, v3
	v_cmp_lt_u32_e64 s[4:5], v7, v5
	s_waitcnt lgkmcnt(0)
	v_add_f32_e32 v6, v3, v6
	v_cndmask_b32_e64 v6, v3, v6, s[4:5]
	v_lshlrev_b32_e32 v3, 2, v2
	v_or_b32_e32 v7, 0x80, v3
	ds_bpermute_b32 v7, v7, v6
	v_cmp_lt_u32_e64 s[4:5], v4, v5
	s_waitcnt lgkmcnt(0)
	v_add_f32_e32 v7, v6, v7
	v_cndmask_b32_e64 v4, v6, v7, s[4:5]
	v_cndmask_b32_e32 v1, v1, v4, vcc
	v_cmp_eq_u32_e32 vcc, 0, v2
	s_and_saveexec_b64 s[4:5], vcc
; %bb.210:
	v_lshrrev_b32_e32 v4, 4, v0
	v_and_b32_e32 v4, 12, v4
	ds_write_b32 v4, v1 offset:96
; %bb.211:
	s_or_b64 exec, exec, s[4:5]
	v_cmp_gt_u32_e32 vcc, 4, v0
	s_waitcnt lgkmcnt(0)
	s_barrier
	s_and_saveexec_b64 s[6:7], vcc
	s_cbranch_execz .LBB66_213
; %bb.212:
	ds_read_b32 v1, v3 offset:96
	v_and_b32_e32 v4, 3, v2
	v_cmp_ne_u32_e32 vcc, 3, v4
	s_add_i32 s8, s8, 63
	s_lshr_b32 s4, s8, 6
	v_addc_co_u32_e32 v2, vcc, 0, v2, vcc
	v_lshlrev_b32_e32 v2, 2, v2
	s_waitcnt lgkmcnt(0)
	ds_bpermute_b32 v2, v2, v1
	v_add_u32_e32 v5, 1, v4
	v_cmp_gt_u32_e32 vcc, s4, v5
	v_or_b32_e32 v3, 8, v3
	v_add_u32_e32 v4, 2, v4
	s_waitcnt lgkmcnt(0)
	v_add_f32_e32 v2, v1, v2
	v_cndmask_b32_e32 v2, v1, v2, vcc
	ds_bpermute_b32 v3, v3, v2
	v_cmp_gt_u32_e64 s[4:5], s4, v4
	s_waitcnt lgkmcnt(0)
	v_add_f32_e32 v3, v2, v3
	v_cndmask_b32_e64 v2, v2, v3, s[4:5]
	v_cndmask_b32_e32 v1, v1, v2, vcc
.LBB66_213:
	s_or_b64 exec, exec, s[6:7]
.LBB66_214:
	v_cmp_eq_u32_e64 s[4:5], 0, v0
	s_branch .LBB66_224
.LBB66_215:
	s_cmp_eq_u32 s33, 1
	s_cbranch_scc0 .LBB66_223
; %bb.216:
	s_mov_b32 s5, 0
	s_lshl_b32 s4, s2, 8
	s_mov_b32 s3, s5
	s_lshr_b64 s[6:7], s[70:71], 8
	s_cmp_lg_u64 s[6:7], s[2:3]
	v_mbcnt_lo_u32_b32 v2, -1, 0
	s_cbranch_scc0 .LBB66_227
; %bb.217:
	s_lshl_b64 s[6:7], s[4:5], 2
	s_add_u32 s6, s68, s6
	s_addc_u32 s7, s69, s7
	v_lshlrev_b32_e32 v1, 2, v0
	global_load_dword v1, v1, s[6:7]
	v_mbcnt_hi_u32_b32 v3, -1, v2
	v_lshlrev_b32_e32 v4, 2, v3
	v_or_b32_e32 v5, 0xfc, v4
	v_cmp_eq_u32_e32 vcc, 0, v3
	s_waitcnt vmcnt(0)
	v_add_f32_dpp v1, v1, v1 quad_perm:[1,0,3,2] row_mask:0xf bank_mask:0xf bound_ctrl:1
	s_nop 1
	v_add_f32_dpp v1, v1, v1 quad_perm:[2,3,0,1] row_mask:0xf bank_mask:0xf bound_ctrl:1
	s_nop 1
	v_add_f32_dpp v1, v1, v1 row_ror:4 row_mask:0xf bank_mask:0xf bound_ctrl:1
	s_nop 1
	v_add_f32_dpp v1, v1, v1 row_ror:8 row_mask:0xf bank_mask:0xf bound_ctrl:1
	s_nop 1
	v_add_f32_dpp v1, v1, v1 row_bcast:15 row_mask:0xf bank_mask:0xf bound_ctrl:1
	s_nop 1
	v_add_f32_dpp v1, v1, v1 row_bcast:31 row_mask:0xf bank_mask:0xf bound_ctrl:1
	ds_bpermute_b32 v1, v5, v1
	s_and_saveexec_b64 s[6:7], vcc
	s_cbranch_execz .LBB66_219
; %bb.218:
	v_lshrrev_b32_e32 v5, 4, v0
	v_and_b32_e32 v5, 12, v5
	s_waitcnt lgkmcnt(0)
	ds_write_b32 v5, v1 offset:16
.LBB66_219:
	s_or_b64 exec, exec, s[6:7]
	v_cmp_gt_u32_e32 vcc, 64, v0
	s_waitcnt lgkmcnt(0)
	s_barrier
	s_and_saveexec_b64 s[6:7], vcc
	s_cbranch_execz .LBB66_221
; %bb.220:
	v_and_b32_e32 v1, 3, v3
	v_lshlrev_b32_e32 v5, 2, v1
	ds_read_b32 v5, v5 offset:16
	v_cmp_ne_u32_e32 vcc, 3, v1
	s_nop 1
	v_addc_co_u32_e32 v1, vcc, 0, v3, vcc
	v_lshlrev_b32_e32 v1, 2, v1
	s_waitcnt lgkmcnt(0)
	ds_bpermute_b32 v1, v1, v5
	v_or_b32_e32 v3, 8, v4
	s_waitcnt lgkmcnt(0)
	v_add_f32_e32 v1, v5, v1
	ds_bpermute_b32 v3, v3, v1
	s_waitcnt lgkmcnt(0)
	v_add_f32_e32 v1, v1, v3
.LBB66_221:
	s_or_b64 exec, exec, s[6:7]
.LBB66_222:
	v_cmp_eq_u32_e64 s[4:5], 0, v0
	s_and_saveexec_b64 s[6:7], s[4:5]
	s_cbranch_execnz .LBB66_225
	s_branch .LBB66_226
.LBB66_223:
                                        ; implicit-def: $vgpr1
                                        ; implicit-def: $sgpr2_sgpr3
.LBB66_224:
	s_and_saveexec_b64 s[6:7], s[4:5]
	s_cbranch_execz .LBB66_226
.LBB66_225:
	s_load_dwordx2 s[4:5], s[0:1], 0x18
	s_load_dword s6, s[0:1], 0x20
	s_lshl_b64 s[0:1], s[2:3], 2
	v_mov_b32_e32 v0, 0
	s_waitcnt lgkmcnt(0)
	s_add_u32 s0, s4, s0
	s_addc_u32 s1, s5, s1
	s_cmp_eq_u64 s[70:71], 0
	v_add_f32_e32 v1, s6, v1
	v_mov_b32_e32 v2, s6
	s_cselect_b64 vcc, -1, 0
	v_cndmask_b32_e32 v1, v1, v2, vcc
	global_store_dword v0, v1, s[0:1]
.LBB66_226:
	s_endpgm
.LBB66_227:
                                        ; implicit-def: $vgpr1
	s_cbranch_execz .LBB66_222
; %bb.228:
	s_sub_i32 s8, s70, s4
	v_cmp_gt_u32_e32 vcc, s8, v0
                                        ; implicit-def: $vgpr1
	s_and_saveexec_b64 s[6:7], vcc
	s_cbranch_execz .LBB66_230
; %bb.229:
	s_lshl_b64 s[4:5], s[4:5], 2
	s_add_u32 s4, s68, s4
	s_addc_u32 s5, s69, s5
	v_lshlrev_b32_e32 v1, 2, v0
	global_load_dword v1, v1, s[4:5]
.LBB66_230:
	s_or_b64 exec, exec, s[6:7]
	v_mbcnt_hi_u32_b32 v2, -1, v2
	v_and_b32_e32 v4, 63, v2
	v_cmp_ne_u32_e32 vcc, 63, v4
	s_min_u32 s8, s8, 0x100
	v_and_b32_e32 v5, 0xc0, v0
	v_addc_co_u32_e32 v3, vcc, 0, v2, vcc
	v_lshlrev_b32_e32 v3, 2, v3
	s_waitcnt vmcnt(0)
	ds_bpermute_b32 v3, v3, v1
	v_sub_u32_e64 v5, s8, v5 clamp
	v_add_u32_e32 v6, 1, v4
	v_cmp_gt_u32_e64 s[4:5], 62, v4
	v_cmp_lt_u32_e32 vcc, v6, v5
	s_waitcnt lgkmcnt(0)
	v_add_f32_e32 v3, v1, v3
	v_cndmask_b32_e64 v6, 0, 2, s[4:5]
	v_cndmask_b32_e32 v3, v1, v3, vcc
	v_add_lshl_u32 v6, v6, v2, 2
	ds_bpermute_b32 v6, v6, v3
	v_add_u32_e32 v7, 2, v4
	v_cmp_lt_u32_e64 s[4:5], v7, v5
	v_add_u32_e32 v7, 4, v4
	s_waitcnt lgkmcnt(0)
	v_add_f32_e32 v6, v3, v6
	v_cndmask_b32_e64 v3, v3, v6, s[4:5]
	v_cmp_gt_u32_e64 s[4:5], 60, v4
	s_nop 1
	v_cndmask_b32_e64 v6, 0, 4, s[4:5]
	v_add_lshl_u32 v6, v6, v2, 2
	ds_bpermute_b32 v6, v6, v3
	v_cmp_lt_u32_e64 s[4:5], v7, v5
	v_add_u32_e32 v7, 8, v4
	s_waitcnt lgkmcnt(0)
	v_add_f32_e32 v6, v3, v6
	v_cndmask_b32_e64 v3, v3, v6, s[4:5]
	v_cmp_gt_u32_e64 s[4:5], 56, v4
	s_nop 1
	v_cndmask_b32_e64 v6, 0, 8, s[4:5]
	v_add_lshl_u32 v6, v6, v2, 2
	ds_bpermute_b32 v6, v6, v3
	v_cmp_lt_u32_e64 s[4:5], v7, v5
	v_add_u32_e32 v7, 16, v4
	s_waitcnt lgkmcnt(0)
	v_add_f32_e32 v6, v3, v6
	v_cndmask_b32_e64 v3, v3, v6, s[4:5]
	v_cmp_gt_u32_e64 s[4:5], 48, v4
	v_add_u32_e32 v4, 32, v4
	s_nop 0
	v_cndmask_b32_e64 v6, 0, 16, s[4:5]
	v_add_lshl_u32 v6, v6, v2, 2
	ds_bpermute_b32 v6, v6, v3
	v_cmp_lt_u32_e64 s[4:5], v7, v5
	s_waitcnt lgkmcnt(0)
	v_add_f32_e32 v6, v3, v6
	v_cndmask_b32_e64 v6, v3, v6, s[4:5]
	v_lshlrev_b32_e32 v3, 2, v2
	v_or_b32_e32 v7, 0x80, v3
	ds_bpermute_b32 v7, v7, v6
	v_cmp_lt_u32_e64 s[4:5], v4, v5
	s_waitcnt lgkmcnt(0)
	v_add_f32_e32 v7, v6, v7
	v_cndmask_b32_e64 v4, v6, v7, s[4:5]
	v_cndmask_b32_e32 v1, v1, v4, vcc
	v_cmp_eq_u32_e32 vcc, 0, v2
	s_and_saveexec_b64 s[4:5], vcc
; %bb.231:
	v_lshrrev_b32_e32 v4, 4, v0
	v_and_b32_e32 v4, 12, v4
	ds_write_b32 v4, v1 offset:96
; %bb.232:
	s_or_b64 exec, exec, s[4:5]
	v_cmp_gt_u32_e32 vcc, 4, v0
	s_waitcnt lgkmcnt(0)
	s_barrier
	s_and_saveexec_b64 s[6:7], vcc
	s_cbranch_execz .LBB66_234
; %bb.233:
	ds_read_b32 v1, v3 offset:96
	v_and_b32_e32 v4, 3, v2
	v_cmp_ne_u32_e32 vcc, 3, v4
	s_add_i32 s8, s8, 63
	s_lshr_b32 s4, s8, 6
	v_addc_co_u32_e32 v2, vcc, 0, v2, vcc
	v_lshlrev_b32_e32 v2, 2, v2
	s_waitcnt lgkmcnt(0)
	ds_bpermute_b32 v2, v2, v1
	v_add_u32_e32 v5, 1, v4
	v_cmp_gt_u32_e32 vcc, s4, v5
	v_or_b32_e32 v3, 8, v3
	v_add_u32_e32 v4, 2, v4
	s_waitcnt lgkmcnt(0)
	v_add_f32_e32 v2, v1, v2
	v_cndmask_b32_e32 v2, v1, v2, vcc
	ds_bpermute_b32 v3, v3, v2
	v_cmp_gt_u32_e64 s[4:5], s4, v4
	s_waitcnt lgkmcnt(0)
	v_add_f32_e32 v3, v2, v3
	v_cndmask_b32_e64 v2, v2, v3, s[4:5]
	v_cndmask_b32_e32 v1, v1, v2, vcc
.LBB66_234:
	s_or_b64 exec, exec, s[6:7]
	v_cmp_eq_u32_e64 s[4:5], 0, v0
	s_and_saveexec_b64 s[6:7], s[4:5]
	s_cbranch_execnz .LBB66_225
	s_branch .LBB66_226
	.section	.rodata,"a",@progbits
	.p2align	6, 0x0
	.amdhsa_kernel _ZN7rocprim17ROCPRIM_400000_NS6detail17trampoline_kernelINS0_14default_configENS1_22reduce_config_selectorIfEEZNS1_11reduce_implILb1ES3_N6thrust23THRUST_200600_302600_NS6detail15normal_iteratorINS8_10device_ptrIfEEEEPffNS8_4plusIfEEEE10hipError_tPvRmT1_T2_T3_mT4_P12ihipStream_tbEUlT_E1_NS1_11comp_targetILNS1_3genE0ELNS1_11target_archE4294967295ELNS1_3gpuE0ELNS1_3repE0EEENS1_30default_config_static_selectorELNS0_4arch9wavefront6targetE1EEEvSK_
		.amdhsa_group_segment_fixed_size 112
		.amdhsa_private_segment_fixed_size 0
		.amdhsa_kernarg_size 40
		.amdhsa_user_sgpr_count 2
		.amdhsa_user_sgpr_dispatch_ptr 0
		.amdhsa_user_sgpr_queue_ptr 0
		.amdhsa_user_sgpr_kernarg_segment_ptr 1
		.amdhsa_user_sgpr_dispatch_id 0
		.amdhsa_user_sgpr_kernarg_preload_length 0
		.amdhsa_user_sgpr_kernarg_preload_offset 0
		.amdhsa_user_sgpr_private_segment_size 0
		.amdhsa_uses_dynamic_stack 0
		.amdhsa_enable_private_segment 0
		.amdhsa_system_sgpr_workgroup_id_x 1
		.amdhsa_system_sgpr_workgroup_id_y 0
		.amdhsa_system_sgpr_workgroup_id_z 0
		.amdhsa_system_sgpr_workgroup_info 0
		.amdhsa_system_vgpr_workitem_id 0
		.amdhsa_next_free_vgpr 36
		.amdhsa_next_free_sgpr 77
		.amdhsa_accum_offset 36
		.amdhsa_reserve_vcc 1
		.amdhsa_float_round_mode_32 0
		.amdhsa_float_round_mode_16_64 0
		.amdhsa_float_denorm_mode_32 3
		.amdhsa_float_denorm_mode_16_64 3
		.amdhsa_dx10_clamp 1
		.amdhsa_ieee_mode 1
		.amdhsa_fp16_overflow 0
		.amdhsa_tg_split 0
		.amdhsa_exception_fp_ieee_invalid_op 0
		.amdhsa_exception_fp_denorm_src 0
		.amdhsa_exception_fp_ieee_div_zero 0
		.amdhsa_exception_fp_ieee_overflow 0
		.amdhsa_exception_fp_ieee_underflow 0
		.amdhsa_exception_fp_ieee_inexact 0
		.amdhsa_exception_int_div_zero 0
	.end_amdhsa_kernel
	.section	.text._ZN7rocprim17ROCPRIM_400000_NS6detail17trampoline_kernelINS0_14default_configENS1_22reduce_config_selectorIfEEZNS1_11reduce_implILb1ES3_N6thrust23THRUST_200600_302600_NS6detail15normal_iteratorINS8_10device_ptrIfEEEEPffNS8_4plusIfEEEE10hipError_tPvRmT1_T2_T3_mT4_P12ihipStream_tbEUlT_E1_NS1_11comp_targetILNS1_3genE0ELNS1_11target_archE4294967295ELNS1_3gpuE0ELNS1_3repE0EEENS1_30default_config_static_selectorELNS0_4arch9wavefront6targetE1EEEvSK_,"axG",@progbits,_ZN7rocprim17ROCPRIM_400000_NS6detail17trampoline_kernelINS0_14default_configENS1_22reduce_config_selectorIfEEZNS1_11reduce_implILb1ES3_N6thrust23THRUST_200600_302600_NS6detail15normal_iteratorINS8_10device_ptrIfEEEEPffNS8_4plusIfEEEE10hipError_tPvRmT1_T2_T3_mT4_P12ihipStream_tbEUlT_E1_NS1_11comp_targetILNS1_3genE0ELNS1_11target_archE4294967295ELNS1_3gpuE0ELNS1_3repE0EEENS1_30default_config_static_selectorELNS0_4arch9wavefront6targetE1EEEvSK_,comdat
.Lfunc_end66:
	.size	_ZN7rocprim17ROCPRIM_400000_NS6detail17trampoline_kernelINS0_14default_configENS1_22reduce_config_selectorIfEEZNS1_11reduce_implILb1ES3_N6thrust23THRUST_200600_302600_NS6detail15normal_iteratorINS8_10device_ptrIfEEEEPffNS8_4plusIfEEEE10hipError_tPvRmT1_T2_T3_mT4_P12ihipStream_tbEUlT_E1_NS1_11comp_targetILNS1_3genE0ELNS1_11target_archE4294967295ELNS1_3gpuE0ELNS1_3repE0EEENS1_30default_config_static_selectorELNS0_4arch9wavefront6targetE1EEEvSK_, .Lfunc_end66-_ZN7rocprim17ROCPRIM_400000_NS6detail17trampoline_kernelINS0_14default_configENS1_22reduce_config_selectorIfEEZNS1_11reduce_implILb1ES3_N6thrust23THRUST_200600_302600_NS6detail15normal_iteratorINS8_10device_ptrIfEEEEPffNS8_4plusIfEEEE10hipError_tPvRmT1_T2_T3_mT4_P12ihipStream_tbEUlT_E1_NS1_11comp_targetILNS1_3genE0ELNS1_11target_archE4294967295ELNS1_3gpuE0ELNS1_3repE0EEENS1_30default_config_static_selectorELNS0_4arch9wavefront6targetE1EEEvSK_
                                        ; -- End function
	.set _ZN7rocprim17ROCPRIM_400000_NS6detail17trampoline_kernelINS0_14default_configENS1_22reduce_config_selectorIfEEZNS1_11reduce_implILb1ES3_N6thrust23THRUST_200600_302600_NS6detail15normal_iteratorINS8_10device_ptrIfEEEEPffNS8_4plusIfEEEE10hipError_tPvRmT1_T2_T3_mT4_P12ihipStream_tbEUlT_E1_NS1_11comp_targetILNS1_3genE0ELNS1_11target_archE4294967295ELNS1_3gpuE0ELNS1_3repE0EEENS1_30default_config_static_selectorELNS0_4arch9wavefront6targetE1EEEvSK_.num_vgpr, 36
	.set _ZN7rocprim17ROCPRIM_400000_NS6detail17trampoline_kernelINS0_14default_configENS1_22reduce_config_selectorIfEEZNS1_11reduce_implILb1ES3_N6thrust23THRUST_200600_302600_NS6detail15normal_iteratorINS8_10device_ptrIfEEEEPffNS8_4plusIfEEEE10hipError_tPvRmT1_T2_T3_mT4_P12ihipStream_tbEUlT_E1_NS1_11comp_targetILNS1_3genE0ELNS1_11target_archE4294967295ELNS1_3gpuE0ELNS1_3repE0EEENS1_30default_config_static_selectorELNS0_4arch9wavefront6targetE1EEEvSK_.num_agpr, 0
	.set _ZN7rocprim17ROCPRIM_400000_NS6detail17trampoline_kernelINS0_14default_configENS1_22reduce_config_selectorIfEEZNS1_11reduce_implILb1ES3_N6thrust23THRUST_200600_302600_NS6detail15normal_iteratorINS8_10device_ptrIfEEEEPffNS8_4plusIfEEEE10hipError_tPvRmT1_T2_T3_mT4_P12ihipStream_tbEUlT_E1_NS1_11comp_targetILNS1_3genE0ELNS1_11target_archE4294967295ELNS1_3gpuE0ELNS1_3repE0EEENS1_30default_config_static_selectorELNS0_4arch9wavefront6targetE1EEEvSK_.numbered_sgpr, 77
	.set _ZN7rocprim17ROCPRIM_400000_NS6detail17trampoline_kernelINS0_14default_configENS1_22reduce_config_selectorIfEEZNS1_11reduce_implILb1ES3_N6thrust23THRUST_200600_302600_NS6detail15normal_iteratorINS8_10device_ptrIfEEEEPffNS8_4plusIfEEEE10hipError_tPvRmT1_T2_T3_mT4_P12ihipStream_tbEUlT_E1_NS1_11comp_targetILNS1_3genE0ELNS1_11target_archE4294967295ELNS1_3gpuE0ELNS1_3repE0EEENS1_30default_config_static_selectorELNS0_4arch9wavefront6targetE1EEEvSK_.num_named_barrier, 0
	.set _ZN7rocprim17ROCPRIM_400000_NS6detail17trampoline_kernelINS0_14default_configENS1_22reduce_config_selectorIfEEZNS1_11reduce_implILb1ES3_N6thrust23THRUST_200600_302600_NS6detail15normal_iteratorINS8_10device_ptrIfEEEEPffNS8_4plusIfEEEE10hipError_tPvRmT1_T2_T3_mT4_P12ihipStream_tbEUlT_E1_NS1_11comp_targetILNS1_3genE0ELNS1_11target_archE4294967295ELNS1_3gpuE0ELNS1_3repE0EEENS1_30default_config_static_selectorELNS0_4arch9wavefront6targetE1EEEvSK_.private_seg_size, 0
	.set _ZN7rocprim17ROCPRIM_400000_NS6detail17trampoline_kernelINS0_14default_configENS1_22reduce_config_selectorIfEEZNS1_11reduce_implILb1ES3_N6thrust23THRUST_200600_302600_NS6detail15normal_iteratorINS8_10device_ptrIfEEEEPffNS8_4plusIfEEEE10hipError_tPvRmT1_T2_T3_mT4_P12ihipStream_tbEUlT_E1_NS1_11comp_targetILNS1_3genE0ELNS1_11target_archE4294967295ELNS1_3gpuE0ELNS1_3repE0EEENS1_30default_config_static_selectorELNS0_4arch9wavefront6targetE1EEEvSK_.uses_vcc, 1
	.set _ZN7rocprim17ROCPRIM_400000_NS6detail17trampoline_kernelINS0_14default_configENS1_22reduce_config_selectorIfEEZNS1_11reduce_implILb1ES3_N6thrust23THRUST_200600_302600_NS6detail15normal_iteratorINS8_10device_ptrIfEEEEPffNS8_4plusIfEEEE10hipError_tPvRmT1_T2_T3_mT4_P12ihipStream_tbEUlT_E1_NS1_11comp_targetILNS1_3genE0ELNS1_11target_archE4294967295ELNS1_3gpuE0ELNS1_3repE0EEENS1_30default_config_static_selectorELNS0_4arch9wavefront6targetE1EEEvSK_.uses_flat_scratch, 0
	.set _ZN7rocprim17ROCPRIM_400000_NS6detail17trampoline_kernelINS0_14default_configENS1_22reduce_config_selectorIfEEZNS1_11reduce_implILb1ES3_N6thrust23THRUST_200600_302600_NS6detail15normal_iteratorINS8_10device_ptrIfEEEEPffNS8_4plusIfEEEE10hipError_tPvRmT1_T2_T3_mT4_P12ihipStream_tbEUlT_E1_NS1_11comp_targetILNS1_3genE0ELNS1_11target_archE4294967295ELNS1_3gpuE0ELNS1_3repE0EEENS1_30default_config_static_selectorELNS0_4arch9wavefront6targetE1EEEvSK_.has_dyn_sized_stack, 0
	.set _ZN7rocprim17ROCPRIM_400000_NS6detail17trampoline_kernelINS0_14default_configENS1_22reduce_config_selectorIfEEZNS1_11reduce_implILb1ES3_N6thrust23THRUST_200600_302600_NS6detail15normal_iteratorINS8_10device_ptrIfEEEEPffNS8_4plusIfEEEE10hipError_tPvRmT1_T2_T3_mT4_P12ihipStream_tbEUlT_E1_NS1_11comp_targetILNS1_3genE0ELNS1_11target_archE4294967295ELNS1_3gpuE0ELNS1_3repE0EEENS1_30default_config_static_selectorELNS0_4arch9wavefront6targetE1EEEvSK_.has_recursion, 0
	.set _ZN7rocprim17ROCPRIM_400000_NS6detail17trampoline_kernelINS0_14default_configENS1_22reduce_config_selectorIfEEZNS1_11reduce_implILb1ES3_N6thrust23THRUST_200600_302600_NS6detail15normal_iteratorINS8_10device_ptrIfEEEEPffNS8_4plusIfEEEE10hipError_tPvRmT1_T2_T3_mT4_P12ihipStream_tbEUlT_E1_NS1_11comp_targetILNS1_3genE0ELNS1_11target_archE4294967295ELNS1_3gpuE0ELNS1_3repE0EEENS1_30default_config_static_selectorELNS0_4arch9wavefront6targetE1EEEvSK_.has_indirect_call, 0
	.section	.AMDGPU.csdata,"",@progbits
; Kernel info:
; codeLenInByte = 10328
; TotalNumSgprs: 83
; NumVgprs: 36
; NumAgprs: 0
; TotalNumVgprs: 36
; ScratchSize: 0
; MemoryBound: 0
; FloatMode: 240
; IeeeMode: 1
; LDSByteSize: 112 bytes/workgroup (compile time only)
; SGPRBlocks: 10
; VGPRBlocks: 4
; NumSGPRsForWavesPerEU: 83
; NumVGPRsForWavesPerEU: 36
; AccumOffset: 36
; Occupancy: 8
; WaveLimiterHint : 1
; COMPUTE_PGM_RSRC2:SCRATCH_EN: 0
; COMPUTE_PGM_RSRC2:USER_SGPR: 2
; COMPUTE_PGM_RSRC2:TRAP_HANDLER: 0
; COMPUTE_PGM_RSRC2:TGID_X_EN: 1
; COMPUTE_PGM_RSRC2:TGID_Y_EN: 0
; COMPUTE_PGM_RSRC2:TGID_Z_EN: 0
; COMPUTE_PGM_RSRC2:TIDIG_COMP_CNT: 0
; COMPUTE_PGM_RSRC3_GFX90A:ACCUM_OFFSET: 8
; COMPUTE_PGM_RSRC3_GFX90A:TG_SPLIT: 0
	.section	.text._ZN7rocprim17ROCPRIM_400000_NS6detail17trampoline_kernelINS0_14default_configENS1_22reduce_config_selectorIfEEZNS1_11reduce_implILb1ES3_N6thrust23THRUST_200600_302600_NS6detail15normal_iteratorINS8_10device_ptrIfEEEEPffNS8_4plusIfEEEE10hipError_tPvRmT1_T2_T3_mT4_P12ihipStream_tbEUlT_E1_NS1_11comp_targetILNS1_3genE5ELNS1_11target_archE942ELNS1_3gpuE9ELNS1_3repE0EEENS1_30default_config_static_selectorELNS0_4arch9wavefront6targetE1EEEvSK_,"axG",@progbits,_ZN7rocprim17ROCPRIM_400000_NS6detail17trampoline_kernelINS0_14default_configENS1_22reduce_config_selectorIfEEZNS1_11reduce_implILb1ES3_N6thrust23THRUST_200600_302600_NS6detail15normal_iteratorINS8_10device_ptrIfEEEEPffNS8_4plusIfEEEE10hipError_tPvRmT1_T2_T3_mT4_P12ihipStream_tbEUlT_E1_NS1_11comp_targetILNS1_3genE5ELNS1_11target_archE942ELNS1_3gpuE9ELNS1_3repE0EEENS1_30default_config_static_selectorELNS0_4arch9wavefront6targetE1EEEvSK_,comdat
	.protected	_ZN7rocprim17ROCPRIM_400000_NS6detail17trampoline_kernelINS0_14default_configENS1_22reduce_config_selectorIfEEZNS1_11reduce_implILb1ES3_N6thrust23THRUST_200600_302600_NS6detail15normal_iteratorINS8_10device_ptrIfEEEEPffNS8_4plusIfEEEE10hipError_tPvRmT1_T2_T3_mT4_P12ihipStream_tbEUlT_E1_NS1_11comp_targetILNS1_3genE5ELNS1_11target_archE942ELNS1_3gpuE9ELNS1_3repE0EEENS1_30default_config_static_selectorELNS0_4arch9wavefront6targetE1EEEvSK_ ; -- Begin function _ZN7rocprim17ROCPRIM_400000_NS6detail17trampoline_kernelINS0_14default_configENS1_22reduce_config_selectorIfEEZNS1_11reduce_implILb1ES3_N6thrust23THRUST_200600_302600_NS6detail15normal_iteratorINS8_10device_ptrIfEEEEPffNS8_4plusIfEEEE10hipError_tPvRmT1_T2_T3_mT4_P12ihipStream_tbEUlT_E1_NS1_11comp_targetILNS1_3genE5ELNS1_11target_archE942ELNS1_3gpuE9ELNS1_3repE0EEENS1_30default_config_static_selectorELNS0_4arch9wavefront6targetE1EEEvSK_
	.globl	_ZN7rocprim17ROCPRIM_400000_NS6detail17trampoline_kernelINS0_14default_configENS1_22reduce_config_selectorIfEEZNS1_11reduce_implILb1ES3_N6thrust23THRUST_200600_302600_NS6detail15normal_iteratorINS8_10device_ptrIfEEEEPffNS8_4plusIfEEEE10hipError_tPvRmT1_T2_T3_mT4_P12ihipStream_tbEUlT_E1_NS1_11comp_targetILNS1_3genE5ELNS1_11target_archE942ELNS1_3gpuE9ELNS1_3repE0EEENS1_30default_config_static_selectorELNS0_4arch9wavefront6targetE1EEEvSK_
	.p2align	8
	.type	_ZN7rocprim17ROCPRIM_400000_NS6detail17trampoline_kernelINS0_14default_configENS1_22reduce_config_selectorIfEEZNS1_11reduce_implILb1ES3_N6thrust23THRUST_200600_302600_NS6detail15normal_iteratorINS8_10device_ptrIfEEEEPffNS8_4plusIfEEEE10hipError_tPvRmT1_T2_T3_mT4_P12ihipStream_tbEUlT_E1_NS1_11comp_targetILNS1_3genE5ELNS1_11target_archE942ELNS1_3gpuE9ELNS1_3repE0EEENS1_30default_config_static_selectorELNS0_4arch9wavefront6targetE1EEEvSK_,@function
_ZN7rocprim17ROCPRIM_400000_NS6detail17trampoline_kernelINS0_14default_configENS1_22reduce_config_selectorIfEEZNS1_11reduce_implILb1ES3_N6thrust23THRUST_200600_302600_NS6detail15normal_iteratorINS8_10device_ptrIfEEEEPffNS8_4plusIfEEEE10hipError_tPvRmT1_T2_T3_mT4_P12ihipStream_tbEUlT_E1_NS1_11comp_targetILNS1_3genE5ELNS1_11target_archE942ELNS1_3gpuE9ELNS1_3repE0EEENS1_30default_config_static_selectorELNS0_4arch9wavefront6targetE1EEEvSK_: ; @_ZN7rocprim17ROCPRIM_400000_NS6detail17trampoline_kernelINS0_14default_configENS1_22reduce_config_selectorIfEEZNS1_11reduce_implILb1ES3_N6thrust23THRUST_200600_302600_NS6detail15normal_iteratorINS8_10device_ptrIfEEEEPffNS8_4plusIfEEEE10hipError_tPvRmT1_T2_T3_mT4_P12ihipStream_tbEUlT_E1_NS1_11comp_targetILNS1_3genE5ELNS1_11target_archE942ELNS1_3gpuE9ELNS1_3repE0EEENS1_30default_config_static_selectorELNS0_4arch9wavefront6targetE1EEEvSK_
; %bb.0:
	.section	.rodata,"a",@progbits
	.p2align	6, 0x0
	.amdhsa_kernel _ZN7rocprim17ROCPRIM_400000_NS6detail17trampoline_kernelINS0_14default_configENS1_22reduce_config_selectorIfEEZNS1_11reduce_implILb1ES3_N6thrust23THRUST_200600_302600_NS6detail15normal_iteratorINS8_10device_ptrIfEEEEPffNS8_4plusIfEEEE10hipError_tPvRmT1_T2_T3_mT4_P12ihipStream_tbEUlT_E1_NS1_11comp_targetILNS1_3genE5ELNS1_11target_archE942ELNS1_3gpuE9ELNS1_3repE0EEENS1_30default_config_static_selectorELNS0_4arch9wavefront6targetE1EEEvSK_
		.amdhsa_group_segment_fixed_size 0
		.amdhsa_private_segment_fixed_size 0
		.amdhsa_kernarg_size 40
		.amdhsa_user_sgpr_count 2
		.amdhsa_user_sgpr_dispatch_ptr 0
		.amdhsa_user_sgpr_queue_ptr 0
		.amdhsa_user_sgpr_kernarg_segment_ptr 1
		.amdhsa_user_sgpr_dispatch_id 0
		.amdhsa_user_sgpr_kernarg_preload_length 0
		.amdhsa_user_sgpr_kernarg_preload_offset 0
		.amdhsa_user_sgpr_private_segment_size 0
		.amdhsa_uses_dynamic_stack 0
		.amdhsa_enable_private_segment 0
		.amdhsa_system_sgpr_workgroup_id_x 1
		.amdhsa_system_sgpr_workgroup_id_y 0
		.amdhsa_system_sgpr_workgroup_id_z 0
		.amdhsa_system_sgpr_workgroup_info 0
		.amdhsa_system_vgpr_workitem_id 0
		.amdhsa_next_free_vgpr 1
		.amdhsa_next_free_sgpr 0
		.amdhsa_accum_offset 4
		.amdhsa_reserve_vcc 0
		.amdhsa_float_round_mode_32 0
		.amdhsa_float_round_mode_16_64 0
		.amdhsa_float_denorm_mode_32 3
		.amdhsa_float_denorm_mode_16_64 3
		.amdhsa_dx10_clamp 1
		.amdhsa_ieee_mode 1
		.amdhsa_fp16_overflow 0
		.amdhsa_tg_split 0
		.amdhsa_exception_fp_ieee_invalid_op 0
		.amdhsa_exception_fp_denorm_src 0
		.amdhsa_exception_fp_ieee_div_zero 0
		.amdhsa_exception_fp_ieee_overflow 0
		.amdhsa_exception_fp_ieee_underflow 0
		.amdhsa_exception_fp_ieee_inexact 0
		.amdhsa_exception_int_div_zero 0
	.end_amdhsa_kernel
	.section	.text._ZN7rocprim17ROCPRIM_400000_NS6detail17trampoline_kernelINS0_14default_configENS1_22reduce_config_selectorIfEEZNS1_11reduce_implILb1ES3_N6thrust23THRUST_200600_302600_NS6detail15normal_iteratorINS8_10device_ptrIfEEEEPffNS8_4plusIfEEEE10hipError_tPvRmT1_T2_T3_mT4_P12ihipStream_tbEUlT_E1_NS1_11comp_targetILNS1_3genE5ELNS1_11target_archE942ELNS1_3gpuE9ELNS1_3repE0EEENS1_30default_config_static_selectorELNS0_4arch9wavefront6targetE1EEEvSK_,"axG",@progbits,_ZN7rocprim17ROCPRIM_400000_NS6detail17trampoline_kernelINS0_14default_configENS1_22reduce_config_selectorIfEEZNS1_11reduce_implILb1ES3_N6thrust23THRUST_200600_302600_NS6detail15normal_iteratorINS8_10device_ptrIfEEEEPffNS8_4plusIfEEEE10hipError_tPvRmT1_T2_T3_mT4_P12ihipStream_tbEUlT_E1_NS1_11comp_targetILNS1_3genE5ELNS1_11target_archE942ELNS1_3gpuE9ELNS1_3repE0EEENS1_30default_config_static_selectorELNS0_4arch9wavefront6targetE1EEEvSK_,comdat
.Lfunc_end67:
	.size	_ZN7rocprim17ROCPRIM_400000_NS6detail17trampoline_kernelINS0_14default_configENS1_22reduce_config_selectorIfEEZNS1_11reduce_implILb1ES3_N6thrust23THRUST_200600_302600_NS6detail15normal_iteratorINS8_10device_ptrIfEEEEPffNS8_4plusIfEEEE10hipError_tPvRmT1_T2_T3_mT4_P12ihipStream_tbEUlT_E1_NS1_11comp_targetILNS1_3genE5ELNS1_11target_archE942ELNS1_3gpuE9ELNS1_3repE0EEENS1_30default_config_static_selectorELNS0_4arch9wavefront6targetE1EEEvSK_, .Lfunc_end67-_ZN7rocprim17ROCPRIM_400000_NS6detail17trampoline_kernelINS0_14default_configENS1_22reduce_config_selectorIfEEZNS1_11reduce_implILb1ES3_N6thrust23THRUST_200600_302600_NS6detail15normal_iteratorINS8_10device_ptrIfEEEEPffNS8_4plusIfEEEE10hipError_tPvRmT1_T2_T3_mT4_P12ihipStream_tbEUlT_E1_NS1_11comp_targetILNS1_3genE5ELNS1_11target_archE942ELNS1_3gpuE9ELNS1_3repE0EEENS1_30default_config_static_selectorELNS0_4arch9wavefront6targetE1EEEvSK_
                                        ; -- End function
	.set _ZN7rocprim17ROCPRIM_400000_NS6detail17trampoline_kernelINS0_14default_configENS1_22reduce_config_selectorIfEEZNS1_11reduce_implILb1ES3_N6thrust23THRUST_200600_302600_NS6detail15normal_iteratorINS8_10device_ptrIfEEEEPffNS8_4plusIfEEEE10hipError_tPvRmT1_T2_T3_mT4_P12ihipStream_tbEUlT_E1_NS1_11comp_targetILNS1_3genE5ELNS1_11target_archE942ELNS1_3gpuE9ELNS1_3repE0EEENS1_30default_config_static_selectorELNS0_4arch9wavefront6targetE1EEEvSK_.num_vgpr, 0
	.set _ZN7rocprim17ROCPRIM_400000_NS6detail17trampoline_kernelINS0_14default_configENS1_22reduce_config_selectorIfEEZNS1_11reduce_implILb1ES3_N6thrust23THRUST_200600_302600_NS6detail15normal_iteratorINS8_10device_ptrIfEEEEPffNS8_4plusIfEEEE10hipError_tPvRmT1_T2_T3_mT4_P12ihipStream_tbEUlT_E1_NS1_11comp_targetILNS1_3genE5ELNS1_11target_archE942ELNS1_3gpuE9ELNS1_3repE0EEENS1_30default_config_static_selectorELNS0_4arch9wavefront6targetE1EEEvSK_.num_agpr, 0
	.set _ZN7rocprim17ROCPRIM_400000_NS6detail17trampoline_kernelINS0_14default_configENS1_22reduce_config_selectorIfEEZNS1_11reduce_implILb1ES3_N6thrust23THRUST_200600_302600_NS6detail15normal_iteratorINS8_10device_ptrIfEEEEPffNS8_4plusIfEEEE10hipError_tPvRmT1_T2_T3_mT4_P12ihipStream_tbEUlT_E1_NS1_11comp_targetILNS1_3genE5ELNS1_11target_archE942ELNS1_3gpuE9ELNS1_3repE0EEENS1_30default_config_static_selectorELNS0_4arch9wavefront6targetE1EEEvSK_.numbered_sgpr, 0
	.set _ZN7rocprim17ROCPRIM_400000_NS6detail17trampoline_kernelINS0_14default_configENS1_22reduce_config_selectorIfEEZNS1_11reduce_implILb1ES3_N6thrust23THRUST_200600_302600_NS6detail15normal_iteratorINS8_10device_ptrIfEEEEPffNS8_4plusIfEEEE10hipError_tPvRmT1_T2_T3_mT4_P12ihipStream_tbEUlT_E1_NS1_11comp_targetILNS1_3genE5ELNS1_11target_archE942ELNS1_3gpuE9ELNS1_3repE0EEENS1_30default_config_static_selectorELNS0_4arch9wavefront6targetE1EEEvSK_.num_named_barrier, 0
	.set _ZN7rocprim17ROCPRIM_400000_NS6detail17trampoline_kernelINS0_14default_configENS1_22reduce_config_selectorIfEEZNS1_11reduce_implILb1ES3_N6thrust23THRUST_200600_302600_NS6detail15normal_iteratorINS8_10device_ptrIfEEEEPffNS8_4plusIfEEEE10hipError_tPvRmT1_T2_T3_mT4_P12ihipStream_tbEUlT_E1_NS1_11comp_targetILNS1_3genE5ELNS1_11target_archE942ELNS1_3gpuE9ELNS1_3repE0EEENS1_30default_config_static_selectorELNS0_4arch9wavefront6targetE1EEEvSK_.private_seg_size, 0
	.set _ZN7rocprim17ROCPRIM_400000_NS6detail17trampoline_kernelINS0_14default_configENS1_22reduce_config_selectorIfEEZNS1_11reduce_implILb1ES3_N6thrust23THRUST_200600_302600_NS6detail15normal_iteratorINS8_10device_ptrIfEEEEPffNS8_4plusIfEEEE10hipError_tPvRmT1_T2_T3_mT4_P12ihipStream_tbEUlT_E1_NS1_11comp_targetILNS1_3genE5ELNS1_11target_archE942ELNS1_3gpuE9ELNS1_3repE0EEENS1_30default_config_static_selectorELNS0_4arch9wavefront6targetE1EEEvSK_.uses_vcc, 0
	.set _ZN7rocprim17ROCPRIM_400000_NS6detail17trampoline_kernelINS0_14default_configENS1_22reduce_config_selectorIfEEZNS1_11reduce_implILb1ES3_N6thrust23THRUST_200600_302600_NS6detail15normal_iteratorINS8_10device_ptrIfEEEEPffNS8_4plusIfEEEE10hipError_tPvRmT1_T2_T3_mT4_P12ihipStream_tbEUlT_E1_NS1_11comp_targetILNS1_3genE5ELNS1_11target_archE942ELNS1_3gpuE9ELNS1_3repE0EEENS1_30default_config_static_selectorELNS0_4arch9wavefront6targetE1EEEvSK_.uses_flat_scratch, 0
	.set _ZN7rocprim17ROCPRIM_400000_NS6detail17trampoline_kernelINS0_14default_configENS1_22reduce_config_selectorIfEEZNS1_11reduce_implILb1ES3_N6thrust23THRUST_200600_302600_NS6detail15normal_iteratorINS8_10device_ptrIfEEEEPffNS8_4plusIfEEEE10hipError_tPvRmT1_T2_T3_mT4_P12ihipStream_tbEUlT_E1_NS1_11comp_targetILNS1_3genE5ELNS1_11target_archE942ELNS1_3gpuE9ELNS1_3repE0EEENS1_30default_config_static_selectorELNS0_4arch9wavefront6targetE1EEEvSK_.has_dyn_sized_stack, 0
	.set _ZN7rocprim17ROCPRIM_400000_NS6detail17trampoline_kernelINS0_14default_configENS1_22reduce_config_selectorIfEEZNS1_11reduce_implILb1ES3_N6thrust23THRUST_200600_302600_NS6detail15normal_iteratorINS8_10device_ptrIfEEEEPffNS8_4plusIfEEEE10hipError_tPvRmT1_T2_T3_mT4_P12ihipStream_tbEUlT_E1_NS1_11comp_targetILNS1_3genE5ELNS1_11target_archE942ELNS1_3gpuE9ELNS1_3repE0EEENS1_30default_config_static_selectorELNS0_4arch9wavefront6targetE1EEEvSK_.has_recursion, 0
	.set _ZN7rocprim17ROCPRIM_400000_NS6detail17trampoline_kernelINS0_14default_configENS1_22reduce_config_selectorIfEEZNS1_11reduce_implILb1ES3_N6thrust23THRUST_200600_302600_NS6detail15normal_iteratorINS8_10device_ptrIfEEEEPffNS8_4plusIfEEEE10hipError_tPvRmT1_T2_T3_mT4_P12ihipStream_tbEUlT_E1_NS1_11comp_targetILNS1_3genE5ELNS1_11target_archE942ELNS1_3gpuE9ELNS1_3repE0EEENS1_30default_config_static_selectorELNS0_4arch9wavefront6targetE1EEEvSK_.has_indirect_call, 0
	.section	.AMDGPU.csdata,"",@progbits
; Kernel info:
; codeLenInByte = 0
; TotalNumSgprs: 6
; NumVgprs: 0
; NumAgprs: 0
; TotalNumVgprs: 0
; ScratchSize: 0
; MemoryBound: 0
; FloatMode: 240
; IeeeMode: 1
; LDSByteSize: 0 bytes/workgroup (compile time only)
; SGPRBlocks: 0
; VGPRBlocks: 0
; NumSGPRsForWavesPerEU: 6
; NumVGPRsForWavesPerEU: 1
; AccumOffset: 4
; Occupancy: 8
; WaveLimiterHint : 0
; COMPUTE_PGM_RSRC2:SCRATCH_EN: 0
; COMPUTE_PGM_RSRC2:USER_SGPR: 2
; COMPUTE_PGM_RSRC2:TRAP_HANDLER: 0
; COMPUTE_PGM_RSRC2:TGID_X_EN: 1
; COMPUTE_PGM_RSRC2:TGID_Y_EN: 0
; COMPUTE_PGM_RSRC2:TGID_Z_EN: 0
; COMPUTE_PGM_RSRC2:TIDIG_COMP_CNT: 0
; COMPUTE_PGM_RSRC3_GFX90A:ACCUM_OFFSET: 0
; COMPUTE_PGM_RSRC3_GFX90A:TG_SPLIT: 0
	.section	.text._ZN7rocprim17ROCPRIM_400000_NS6detail17trampoline_kernelINS0_14default_configENS1_22reduce_config_selectorIfEEZNS1_11reduce_implILb1ES3_N6thrust23THRUST_200600_302600_NS6detail15normal_iteratorINS8_10device_ptrIfEEEEPffNS8_4plusIfEEEE10hipError_tPvRmT1_T2_T3_mT4_P12ihipStream_tbEUlT_E1_NS1_11comp_targetILNS1_3genE4ELNS1_11target_archE910ELNS1_3gpuE8ELNS1_3repE0EEENS1_30default_config_static_selectorELNS0_4arch9wavefront6targetE1EEEvSK_,"axG",@progbits,_ZN7rocprim17ROCPRIM_400000_NS6detail17trampoline_kernelINS0_14default_configENS1_22reduce_config_selectorIfEEZNS1_11reduce_implILb1ES3_N6thrust23THRUST_200600_302600_NS6detail15normal_iteratorINS8_10device_ptrIfEEEEPffNS8_4plusIfEEEE10hipError_tPvRmT1_T2_T3_mT4_P12ihipStream_tbEUlT_E1_NS1_11comp_targetILNS1_3genE4ELNS1_11target_archE910ELNS1_3gpuE8ELNS1_3repE0EEENS1_30default_config_static_selectorELNS0_4arch9wavefront6targetE1EEEvSK_,comdat
	.protected	_ZN7rocprim17ROCPRIM_400000_NS6detail17trampoline_kernelINS0_14default_configENS1_22reduce_config_selectorIfEEZNS1_11reduce_implILb1ES3_N6thrust23THRUST_200600_302600_NS6detail15normal_iteratorINS8_10device_ptrIfEEEEPffNS8_4plusIfEEEE10hipError_tPvRmT1_T2_T3_mT4_P12ihipStream_tbEUlT_E1_NS1_11comp_targetILNS1_3genE4ELNS1_11target_archE910ELNS1_3gpuE8ELNS1_3repE0EEENS1_30default_config_static_selectorELNS0_4arch9wavefront6targetE1EEEvSK_ ; -- Begin function _ZN7rocprim17ROCPRIM_400000_NS6detail17trampoline_kernelINS0_14default_configENS1_22reduce_config_selectorIfEEZNS1_11reduce_implILb1ES3_N6thrust23THRUST_200600_302600_NS6detail15normal_iteratorINS8_10device_ptrIfEEEEPffNS8_4plusIfEEEE10hipError_tPvRmT1_T2_T3_mT4_P12ihipStream_tbEUlT_E1_NS1_11comp_targetILNS1_3genE4ELNS1_11target_archE910ELNS1_3gpuE8ELNS1_3repE0EEENS1_30default_config_static_selectorELNS0_4arch9wavefront6targetE1EEEvSK_
	.globl	_ZN7rocprim17ROCPRIM_400000_NS6detail17trampoline_kernelINS0_14default_configENS1_22reduce_config_selectorIfEEZNS1_11reduce_implILb1ES3_N6thrust23THRUST_200600_302600_NS6detail15normal_iteratorINS8_10device_ptrIfEEEEPffNS8_4plusIfEEEE10hipError_tPvRmT1_T2_T3_mT4_P12ihipStream_tbEUlT_E1_NS1_11comp_targetILNS1_3genE4ELNS1_11target_archE910ELNS1_3gpuE8ELNS1_3repE0EEENS1_30default_config_static_selectorELNS0_4arch9wavefront6targetE1EEEvSK_
	.p2align	8
	.type	_ZN7rocprim17ROCPRIM_400000_NS6detail17trampoline_kernelINS0_14default_configENS1_22reduce_config_selectorIfEEZNS1_11reduce_implILb1ES3_N6thrust23THRUST_200600_302600_NS6detail15normal_iteratorINS8_10device_ptrIfEEEEPffNS8_4plusIfEEEE10hipError_tPvRmT1_T2_T3_mT4_P12ihipStream_tbEUlT_E1_NS1_11comp_targetILNS1_3genE4ELNS1_11target_archE910ELNS1_3gpuE8ELNS1_3repE0EEENS1_30default_config_static_selectorELNS0_4arch9wavefront6targetE1EEEvSK_,@function
_ZN7rocprim17ROCPRIM_400000_NS6detail17trampoline_kernelINS0_14default_configENS1_22reduce_config_selectorIfEEZNS1_11reduce_implILb1ES3_N6thrust23THRUST_200600_302600_NS6detail15normal_iteratorINS8_10device_ptrIfEEEEPffNS8_4plusIfEEEE10hipError_tPvRmT1_T2_T3_mT4_P12ihipStream_tbEUlT_E1_NS1_11comp_targetILNS1_3genE4ELNS1_11target_archE910ELNS1_3gpuE8ELNS1_3repE0EEENS1_30default_config_static_selectorELNS0_4arch9wavefront6targetE1EEEvSK_: ; @_ZN7rocprim17ROCPRIM_400000_NS6detail17trampoline_kernelINS0_14default_configENS1_22reduce_config_selectorIfEEZNS1_11reduce_implILb1ES3_N6thrust23THRUST_200600_302600_NS6detail15normal_iteratorINS8_10device_ptrIfEEEEPffNS8_4plusIfEEEE10hipError_tPvRmT1_T2_T3_mT4_P12ihipStream_tbEUlT_E1_NS1_11comp_targetILNS1_3genE4ELNS1_11target_archE910ELNS1_3gpuE8ELNS1_3repE0EEENS1_30default_config_static_selectorELNS0_4arch9wavefront6targetE1EEEvSK_
; %bb.0:
	.section	.rodata,"a",@progbits
	.p2align	6, 0x0
	.amdhsa_kernel _ZN7rocprim17ROCPRIM_400000_NS6detail17trampoline_kernelINS0_14default_configENS1_22reduce_config_selectorIfEEZNS1_11reduce_implILb1ES3_N6thrust23THRUST_200600_302600_NS6detail15normal_iteratorINS8_10device_ptrIfEEEEPffNS8_4plusIfEEEE10hipError_tPvRmT1_T2_T3_mT4_P12ihipStream_tbEUlT_E1_NS1_11comp_targetILNS1_3genE4ELNS1_11target_archE910ELNS1_3gpuE8ELNS1_3repE0EEENS1_30default_config_static_selectorELNS0_4arch9wavefront6targetE1EEEvSK_
		.amdhsa_group_segment_fixed_size 0
		.amdhsa_private_segment_fixed_size 0
		.amdhsa_kernarg_size 40
		.amdhsa_user_sgpr_count 2
		.amdhsa_user_sgpr_dispatch_ptr 0
		.amdhsa_user_sgpr_queue_ptr 0
		.amdhsa_user_sgpr_kernarg_segment_ptr 1
		.amdhsa_user_sgpr_dispatch_id 0
		.amdhsa_user_sgpr_kernarg_preload_length 0
		.amdhsa_user_sgpr_kernarg_preload_offset 0
		.amdhsa_user_sgpr_private_segment_size 0
		.amdhsa_uses_dynamic_stack 0
		.amdhsa_enable_private_segment 0
		.amdhsa_system_sgpr_workgroup_id_x 1
		.amdhsa_system_sgpr_workgroup_id_y 0
		.amdhsa_system_sgpr_workgroup_id_z 0
		.amdhsa_system_sgpr_workgroup_info 0
		.amdhsa_system_vgpr_workitem_id 0
		.amdhsa_next_free_vgpr 1
		.amdhsa_next_free_sgpr 0
		.amdhsa_accum_offset 4
		.amdhsa_reserve_vcc 0
		.amdhsa_float_round_mode_32 0
		.amdhsa_float_round_mode_16_64 0
		.amdhsa_float_denorm_mode_32 3
		.amdhsa_float_denorm_mode_16_64 3
		.amdhsa_dx10_clamp 1
		.amdhsa_ieee_mode 1
		.amdhsa_fp16_overflow 0
		.amdhsa_tg_split 0
		.amdhsa_exception_fp_ieee_invalid_op 0
		.amdhsa_exception_fp_denorm_src 0
		.amdhsa_exception_fp_ieee_div_zero 0
		.amdhsa_exception_fp_ieee_overflow 0
		.amdhsa_exception_fp_ieee_underflow 0
		.amdhsa_exception_fp_ieee_inexact 0
		.amdhsa_exception_int_div_zero 0
	.end_amdhsa_kernel
	.section	.text._ZN7rocprim17ROCPRIM_400000_NS6detail17trampoline_kernelINS0_14default_configENS1_22reduce_config_selectorIfEEZNS1_11reduce_implILb1ES3_N6thrust23THRUST_200600_302600_NS6detail15normal_iteratorINS8_10device_ptrIfEEEEPffNS8_4plusIfEEEE10hipError_tPvRmT1_T2_T3_mT4_P12ihipStream_tbEUlT_E1_NS1_11comp_targetILNS1_3genE4ELNS1_11target_archE910ELNS1_3gpuE8ELNS1_3repE0EEENS1_30default_config_static_selectorELNS0_4arch9wavefront6targetE1EEEvSK_,"axG",@progbits,_ZN7rocprim17ROCPRIM_400000_NS6detail17trampoline_kernelINS0_14default_configENS1_22reduce_config_selectorIfEEZNS1_11reduce_implILb1ES3_N6thrust23THRUST_200600_302600_NS6detail15normal_iteratorINS8_10device_ptrIfEEEEPffNS8_4plusIfEEEE10hipError_tPvRmT1_T2_T3_mT4_P12ihipStream_tbEUlT_E1_NS1_11comp_targetILNS1_3genE4ELNS1_11target_archE910ELNS1_3gpuE8ELNS1_3repE0EEENS1_30default_config_static_selectorELNS0_4arch9wavefront6targetE1EEEvSK_,comdat
.Lfunc_end68:
	.size	_ZN7rocprim17ROCPRIM_400000_NS6detail17trampoline_kernelINS0_14default_configENS1_22reduce_config_selectorIfEEZNS1_11reduce_implILb1ES3_N6thrust23THRUST_200600_302600_NS6detail15normal_iteratorINS8_10device_ptrIfEEEEPffNS8_4plusIfEEEE10hipError_tPvRmT1_T2_T3_mT4_P12ihipStream_tbEUlT_E1_NS1_11comp_targetILNS1_3genE4ELNS1_11target_archE910ELNS1_3gpuE8ELNS1_3repE0EEENS1_30default_config_static_selectorELNS0_4arch9wavefront6targetE1EEEvSK_, .Lfunc_end68-_ZN7rocprim17ROCPRIM_400000_NS6detail17trampoline_kernelINS0_14default_configENS1_22reduce_config_selectorIfEEZNS1_11reduce_implILb1ES3_N6thrust23THRUST_200600_302600_NS6detail15normal_iteratorINS8_10device_ptrIfEEEEPffNS8_4plusIfEEEE10hipError_tPvRmT1_T2_T3_mT4_P12ihipStream_tbEUlT_E1_NS1_11comp_targetILNS1_3genE4ELNS1_11target_archE910ELNS1_3gpuE8ELNS1_3repE0EEENS1_30default_config_static_selectorELNS0_4arch9wavefront6targetE1EEEvSK_
                                        ; -- End function
	.set _ZN7rocprim17ROCPRIM_400000_NS6detail17trampoline_kernelINS0_14default_configENS1_22reduce_config_selectorIfEEZNS1_11reduce_implILb1ES3_N6thrust23THRUST_200600_302600_NS6detail15normal_iteratorINS8_10device_ptrIfEEEEPffNS8_4plusIfEEEE10hipError_tPvRmT1_T2_T3_mT4_P12ihipStream_tbEUlT_E1_NS1_11comp_targetILNS1_3genE4ELNS1_11target_archE910ELNS1_3gpuE8ELNS1_3repE0EEENS1_30default_config_static_selectorELNS0_4arch9wavefront6targetE1EEEvSK_.num_vgpr, 0
	.set _ZN7rocprim17ROCPRIM_400000_NS6detail17trampoline_kernelINS0_14default_configENS1_22reduce_config_selectorIfEEZNS1_11reduce_implILb1ES3_N6thrust23THRUST_200600_302600_NS6detail15normal_iteratorINS8_10device_ptrIfEEEEPffNS8_4plusIfEEEE10hipError_tPvRmT1_T2_T3_mT4_P12ihipStream_tbEUlT_E1_NS1_11comp_targetILNS1_3genE4ELNS1_11target_archE910ELNS1_3gpuE8ELNS1_3repE0EEENS1_30default_config_static_selectorELNS0_4arch9wavefront6targetE1EEEvSK_.num_agpr, 0
	.set _ZN7rocprim17ROCPRIM_400000_NS6detail17trampoline_kernelINS0_14default_configENS1_22reduce_config_selectorIfEEZNS1_11reduce_implILb1ES3_N6thrust23THRUST_200600_302600_NS6detail15normal_iteratorINS8_10device_ptrIfEEEEPffNS8_4plusIfEEEE10hipError_tPvRmT1_T2_T3_mT4_P12ihipStream_tbEUlT_E1_NS1_11comp_targetILNS1_3genE4ELNS1_11target_archE910ELNS1_3gpuE8ELNS1_3repE0EEENS1_30default_config_static_selectorELNS0_4arch9wavefront6targetE1EEEvSK_.numbered_sgpr, 0
	.set _ZN7rocprim17ROCPRIM_400000_NS6detail17trampoline_kernelINS0_14default_configENS1_22reduce_config_selectorIfEEZNS1_11reduce_implILb1ES3_N6thrust23THRUST_200600_302600_NS6detail15normal_iteratorINS8_10device_ptrIfEEEEPffNS8_4plusIfEEEE10hipError_tPvRmT1_T2_T3_mT4_P12ihipStream_tbEUlT_E1_NS1_11comp_targetILNS1_3genE4ELNS1_11target_archE910ELNS1_3gpuE8ELNS1_3repE0EEENS1_30default_config_static_selectorELNS0_4arch9wavefront6targetE1EEEvSK_.num_named_barrier, 0
	.set _ZN7rocprim17ROCPRIM_400000_NS6detail17trampoline_kernelINS0_14default_configENS1_22reduce_config_selectorIfEEZNS1_11reduce_implILb1ES3_N6thrust23THRUST_200600_302600_NS6detail15normal_iteratorINS8_10device_ptrIfEEEEPffNS8_4plusIfEEEE10hipError_tPvRmT1_T2_T3_mT4_P12ihipStream_tbEUlT_E1_NS1_11comp_targetILNS1_3genE4ELNS1_11target_archE910ELNS1_3gpuE8ELNS1_3repE0EEENS1_30default_config_static_selectorELNS0_4arch9wavefront6targetE1EEEvSK_.private_seg_size, 0
	.set _ZN7rocprim17ROCPRIM_400000_NS6detail17trampoline_kernelINS0_14default_configENS1_22reduce_config_selectorIfEEZNS1_11reduce_implILb1ES3_N6thrust23THRUST_200600_302600_NS6detail15normal_iteratorINS8_10device_ptrIfEEEEPffNS8_4plusIfEEEE10hipError_tPvRmT1_T2_T3_mT4_P12ihipStream_tbEUlT_E1_NS1_11comp_targetILNS1_3genE4ELNS1_11target_archE910ELNS1_3gpuE8ELNS1_3repE0EEENS1_30default_config_static_selectorELNS0_4arch9wavefront6targetE1EEEvSK_.uses_vcc, 0
	.set _ZN7rocprim17ROCPRIM_400000_NS6detail17trampoline_kernelINS0_14default_configENS1_22reduce_config_selectorIfEEZNS1_11reduce_implILb1ES3_N6thrust23THRUST_200600_302600_NS6detail15normal_iteratorINS8_10device_ptrIfEEEEPffNS8_4plusIfEEEE10hipError_tPvRmT1_T2_T3_mT4_P12ihipStream_tbEUlT_E1_NS1_11comp_targetILNS1_3genE4ELNS1_11target_archE910ELNS1_3gpuE8ELNS1_3repE0EEENS1_30default_config_static_selectorELNS0_4arch9wavefront6targetE1EEEvSK_.uses_flat_scratch, 0
	.set _ZN7rocprim17ROCPRIM_400000_NS6detail17trampoline_kernelINS0_14default_configENS1_22reduce_config_selectorIfEEZNS1_11reduce_implILb1ES3_N6thrust23THRUST_200600_302600_NS6detail15normal_iteratorINS8_10device_ptrIfEEEEPffNS8_4plusIfEEEE10hipError_tPvRmT1_T2_T3_mT4_P12ihipStream_tbEUlT_E1_NS1_11comp_targetILNS1_3genE4ELNS1_11target_archE910ELNS1_3gpuE8ELNS1_3repE0EEENS1_30default_config_static_selectorELNS0_4arch9wavefront6targetE1EEEvSK_.has_dyn_sized_stack, 0
	.set _ZN7rocprim17ROCPRIM_400000_NS6detail17trampoline_kernelINS0_14default_configENS1_22reduce_config_selectorIfEEZNS1_11reduce_implILb1ES3_N6thrust23THRUST_200600_302600_NS6detail15normal_iteratorINS8_10device_ptrIfEEEEPffNS8_4plusIfEEEE10hipError_tPvRmT1_T2_T3_mT4_P12ihipStream_tbEUlT_E1_NS1_11comp_targetILNS1_3genE4ELNS1_11target_archE910ELNS1_3gpuE8ELNS1_3repE0EEENS1_30default_config_static_selectorELNS0_4arch9wavefront6targetE1EEEvSK_.has_recursion, 0
	.set _ZN7rocprim17ROCPRIM_400000_NS6detail17trampoline_kernelINS0_14default_configENS1_22reduce_config_selectorIfEEZNS1_11reduce_implILb1ES3_N6thrust23THRUST_200600_302600_NS6detail15normal_iteratorINS8_10device_ptrIfEEEEPffNS8_4plusIfEEEE10hipError_tPvRmT1_T2_T3_mT4_P12ihipStream_tbEUlT_E1_NS1_11comp_targetILNS1_3genE4ELNS1_11target_archE910ELNS1_3gpuE8ELNS1_3repE0EEENS1_30default_config_static_selectorELNS0_4arch9wavefront6targetE1EEEvSK_.has_indirect_call, 0
	.section	.AMDGPU.csdata,"",@progbits
; Kernel info:
; codeLenInByte = 0
; TotalNumSgprs: 6
; NumVgprs: 0
; NumAgprs: 0
; TotalNumVgprs: 0
; ScratchSize: 0
; MemoryBound: 0
; FloatMode: 240
; IeeeMode: 1
; LDSByteSize: 0 bytes/workgroup (compile time only)
; SGPRBlocks: 0
; VGPRBlocks: 0
; NumSGPRsForWavesPerEU: 6
; NumVGPRsForWavesPerEU: 1
; AccumOffset: 4
; Occupancy: 8
; WaveLimiterHint : 0
; COMPUTE_PGM_RSRC2:SCRATCH_EN: 0
; COMPUTE_PGM_RSRC2:USER_SGPR: 2
; COMPUTE_PGM_RSRC2:TRAP_HANDLER: 0
; COMPUTE_PGM_RSRC2:TGID_X_EN: 1
; COMPUTE_PGM_RSRC2:TGID_Y_EN: 0
; COMPUTE_PGM_RSRC2:TGID_Z_EN: 0
; COMPUTE_PGM_RSRC2:TIDIG_COMP_CNT: 0
; COMPUTE_PGM_RSRC3_GFX90A:ACCUM_OFFSET: 0
; COMPUTE_PGM_RSRC3_GFX90A:TG_SPLIT: 0
	.section	.text._ZN7rocprim17ROCPRIM_400000_NS6detail17trampoline_kernelINS0_14default_configENS1_22reduce_config_selectorIfEEZNS1_11reduce_implILb1ES3_N6thrust23THRUST_200600_302600_NS6detail15normal_iteratorINS8_10device_ptrIfEEEEPffNS8_4plusIfEEEE10hipError_tPvRmT1_T2_T3_mT4_P12ihipStream_tbEUlT_E1_NS1_11comp_targetILNS1_3genE3ELNS1_11target_archE908ELNS1_3gpuE7ELNS1_3repE0EEENS1_30default_config_static_selectorELNS0_4arch9wavefront6targetE1EEEvSK_,"axG",@progbits,_ZN7rocprim17ROCPRIM_400000_NS6detail17trampoline_kernelINS0_14default_configENS1_22reduce_config_selectorIfEEZNS1_11reduce_implILb1ES3_N6thrust23THRUST_200600_302600_NS6detail15normal_iteratorINS8_10device_ptrIfEEEEPffNS8_4plusIfEEEE10hipError_tPvRmT1_T2_T3_mT4_P12ihipStream_tbEUlT_E1_NS1_11comp_targetILNS1_3genE3ELNS1_11target_archE908ELNS1_3gpuE7ELNS1_3repE0EEENS1_30default_config_static_selectorELNS0_4arch9wavefront6targetE1EEEvSK_,comdat
	.protected	_ZN7rocprim17ROCPRIM_400000_NS6detail17trampoline_kernelINS0_14default_configENS1_22reduce_config_selectorIfEEZNS1_11reduce_implILb1ES3_N6thrust23THRUST_200600_302600_NS6detail15normal_iteratorINS8_10device_ptrIfEEEEPffNS8_4plusIfEEEE10hipError_tPvRmT1_T2_T3_mT4_P12ihipStream_tbEUlT_E1_NS1_11comp_targetILNS1_3genE3ELNS1_11target_archE908ELNS1_3gpuE7ELNS1_3repE0EEENS1_30default_config_static_selectorELNS0_4arch9wavefront6targetE1EEEvSK_ ; -- Begin function _ZN7rocprim17ROCPRIM_400000_NS6detail17trampoline_kernelINS0_14default_configENS1_22reduce_config_selectorIfEEZNS1_11reduce_implILb1ES3_N6thrust23THRUST_200600_302600_NS6detail15normal_iteratorINS8_10device_ptrIfEEEEPffNS8_4plusIfEEEE10hipError_tPvRmT1_T2_T3_mT4_P12ihipStream_tbEUlT_E1_NS1_11comp_targetILNS1_3genE3ELNS1_11target_archE908ELNS1_3gpuE7ELNS1_3repE0EEENS1_30default_config_static_selectorELNS0_4arch9wavefront6targetE1EEEvSK_
	.globl	_ZN7rocprim17ROCPRIM_400000_NS6detail17trampoline_kernelINS0_14default_configENS1_22reduce_config_selectorIfEEZNS1_11reduce_implILb1ES3_N6thrust23THRUST_200600_302600_NS6detail15normal_iteratorINS8_10device_ptrIfEEEEPffNS8_4plusIfEEEE10hipError_tPvRmT1_T2_T3_mT4_P12ihipStream_tbEUlT_E1_NS1_11comp_targetILNS1_3genE3ELNS1_11target_archE908ELNS1_3gpuE7ELNS1_3repE0EEENS1_30default_config_static_selectorELNS0_4arch9wavefront6targetE1EEEvSK_
	.p2align	8
	.type	_ZN7rocprim17ROCPRIM_400000_NS6detail17trampoline_kernelINS0_14default_configENS1_22reduce_config_selectorIfEEZNS1_11reduce_implILb1ES3_N6thrust23THRUST_200600_302600_NS6detail15normal_iteratorINS8_10device_ptrIfEEEEPffNS8_4plusIfEEEE10hipError_tPvRmT1_T2_T3_mT4_P12ihipStream_tbEUlT_E1_NS1_11comp_targetILNS1_3genE3ELNS1_11target_archE908ELNS1_3gpuE7ELNS1_3repE0EEENS1_30default_config_static_selectorELNS0_4arch9wavefront6targetE1EEEvSK_,@function
_ZN7rocprim17ROCPRIM_400000_NS6detail17trampoline_kernelINS0_14default_configENS1_22reduce_config_selectorIfEEZNS1_11reduce_implILb1ES3_N6thrust23THRUST_200600_302600_NS6detail15normal_iteratorINS8_10device_ptrIfEEEEPffNS8_4plusIfEEEE10hipError_tPvRmT1_T2_T3_mT4_P12ihipStream_tbEUlT_E1_NS1_11comp_targetILNS1_3genE3ELNS1_11target_archE908ELNS1_3gpuE7ELNS1_3repE0EEENS1_30default_config_static_selectorELNS0_4arch9wavefront6targetE1EEEvSK_: ; @_ZN7rocprim17ROCPRIM_400000_NS6detail17trampoline_kernelINS0_14default_configENS1_22reduce_config_selectorIfEEZNS1_11reduce_implILb1ES3_N6thrust23THRUST_200600_302600_NS6detail15normal_iteratorINS8_10device_ptrIfEEEEPffNS8_4plusIfEEEE10hipError_tPvRmT1_T2_T3_mT4_P12ihipStream_tbEUlT_E1_NS1_11comp_targetILNS1_3genE3ELNS1_11target_archE908ELNS1_3gpuE7ELNS1_3repE0EEENS1_30default_config_static_selectorELNS0_4arch9wavefront6targetE1EEEvSK_
; %bb.0:
	.section	.rodata,"a",@progbits
	.p2align	6, 0x0
	.amdhsa_kernel _ZN7rocprim17ROCPRIM_400000_NS6detail17trampoline_kernelINS0_14default_configENS1_22reduce_config_selectorIfEEZNS1_11reduce_implILb1ES3_N6thrust23THRUST_200600_302600_NS6detail15normal_iteratorINS8_10device_ptrIfEEEEPffNS8_4plusIfEEEE10hipError_tPvRmT1_T2_T3_mT4_P12ihipStream_tbEUlT_E1_NS1_11comp_targetILNS1_3genE3ELNS1_11target_archE908ELNS1_3gpuE7ELNS1_3repE0EEENS1_30default_config_static_selectorELNS0_4arch9wavefront6targetE1EEEvSK_
		.amdhsa_group_segment_fixed_size 0
		.amdhsa_private_segment_fixed_size 0
		.amdhsa_kernarg_size 40
		.amdhsa_user_sgpr_count 2
		.amdhsa_user_sgpr_dispatch_ptr 0
		.amdhsa_user_sgpr_queue_ptr 0
		.amdhsa_user_sgpr_kernarg_segment_ptr 1
		.amdhsa_user_sgpr_dispatch_id 0
		.amdhsa_user_sgpr_kernarg_preload_length 0
		.amdhsa_user_sgpr_kernarg_preload_offset 0
		.amdhsa_user_sgpr_private_segment_size 0
		.amdhsa_uses_dynamic_stack 0
		.amdhsa_enable_private_segment 0
		.amdhsa_system_sgpr_workgroup_id_x 1
		.amdhsa_system_sgpr_workgroup_id_y 0
		.amdhsa_system_sgpr_workgroup_id_z 0
		.amdhsa_system_sgpr_workgroup_info 0
		.amdhsa_system_vgpr_workitem_id 0
		.amdhsa_next_free_vgpr 1
		.amdhsa_next_free_sgpr 0
		.amdhsa_accum_offset 4
		.amdhsa_reserve_vcc 0
		.amdhsa_float_round_mode_32 0
		.amdhsa_float_round_mode_16_64 0
		.amdhsa_float_denorm_mode_32 3
		.amdhsa_float_denorm_mode_16_64 3
		.amdhsa_dx10_clamp 1
		.amdhsa_ieee_mode 1
		.amdhsa_fp16_overflow 0
		.amdhsa_tg_split 0
		.amdhsa_exception_fp_ieee_invalid_op 0
		.amdhsa_exception_fp_denorm_src 0
		.amdhsa_exception_fp_ieee_div_zero 0
		.amdhsa_exception_fp_ieee_overflow 0
		.amdhsa_exception_fp_ieee_underflow 0
		.amdhsa_exception_fp_ieee_inexact 0
		.amdhsa_exception_int_div_zero 0
	.end_amdhsa_kernel
	.section	.text._ZN7rocprim17ROCPRIM_400000_NS6detail17trampoline_kernelINS0_14default_configENS1_22reduce_config_selectorIfEEZNS1_11reduce_implILb1ES3_N6thrust23THRUST_200600_302600_NS6detail15normal_iteratorINS8_10device_ptrIfEEEEPffNS8_4plusIfEEEE10hipError_tPvRmT1_T2_T3_mT4_P12ihipStream_tbEUlT_E1_NS1_11comp_targetILNS1_3genE3ELNS1_11target_archE908ELNS1_3gpuE7ELNS1_3repE0EEENS1_30default_config_static_selectorELNS0_4arch9wavefront6targetE1EEEvSK_,"axG",@progbits,_ZN7rocprim17ROCPRIM_400000_NS6detail17trampoline_kernelINS0_14default_configENS1_22reduce_config_selectorIfEEZNS1_11reduce_implILb1ES3_N6thrust23THRUST_200600_302600_NS6detail15normal_iteratorINS8_10device_ptrIfEEEEPffNS8_4plusIfEEEE10hipError_tPvRmT1_T2_T3_mT4_P12ihipStream_tbEUlT_E1_NS1_11comp_targetILNS1_3genE3ELNS1_11target_archE908ELNS1_3gpuE7ELNS1_3repE0EEENS1_30default_config_static_selectorELNS0_4arch9wavefront6targetE1EEEvSK_,comdat
.Lfunc_end69:
	.size	_ZN7rocprim17ROCPRIM_400000_NS6detail17trampoline_kernelINS0_14default_configENS1_22reduce_config_selectorIfEEZNS1_11reduce_implILb1ES3_N6thrust23THRUST_200600_302600_NS6detail15normal_iteratorINS8_10device_ptrIfEEEEPffNS8_4plusIfEEEE10hipError_tPvRmT1_T2_T3_mT4_P12ihipStream_tbEUlT_E1_NS1_11comp_targetILNS1_3genE3ELNS1_11target_archE908ELNS1_3gpuE7ELNS1_3repE0EEENS1_30default_config_static_selectorELNS0_4arch9wavefront6targetE1EEEvSK_, .Lfunc_end69-_ZN7rocprim17ROCPRIM_400000_NS6detail17trampoline_kernelINS0_14default_configENS1_22reduce_config_selectorIfEEZNS1_11reduce_implILb1ES3_N6thrust23THRUST_200600_302600_NS6detail15normal_iteratorINS8_10device_ptrIfEEEEPffNS8_4plusIfEEEE10hipError_tPvRmT1_T2_T3_mT4_P12ihipStream_tbEUlT_E1_NS1_11comp_targetILNS1_3genE3ELNS1_11target_archE908ELNS1_3gpuE7ELNS1_3repE0EEENS1_30default_config_static_selectorELNS0_4arch9wavefront6targetE1EEEvSK_
                                        ; -- End function
	.set _ZN7rocprim17ROCPRIM_400000_NS6detail17trampoline_kernelINS0_14default_configENS1_22reduce_config_selectorIfEEZNS1_11reduce_implILb1ES3_N6thrust23THRUST_200600_302600_NS6detail15normal_iteratorINS8_10device_ptrIfEEEEPffNS8_4plusIfEEEE10hipError_tPvRmT1_T2_T3_mT4_P12ihipStream_tbEUlT_E1_NS1_11comp_targetILNS1_3genE3ELNS1_11target_archE908ELNS1_3gpuE7ELNS1_3repE0EEENS1_30default_config_static_selectorELNS0_4arch9wavefront6targetE1EEEvSK_.num_vgpr, 0
	.set _ZN7rocprim17ROCPRIM_400000_NS6detail17trampoline_kernelINS0_14default_configENS1_22reduce_config_selectorIfEEZNS1_11reduce_implILb1ES3_N6thrust23THRUST_200600_302600_NS6detail15normal_iteratorINS8_10device_ptrIfEEEEPffNS8_4plusIfEEEE10hipError_tPvRmT1_T2_T3_mT4_P12ihipStream_tbEUlT_E1_NS1_11comp_targetILNS1_3genE3ELNS1_11target_archE908ELNS1_3gpuE7ELNS1_3repE0EEENS1_30default_config_static_selectorELNS0_4arch9wavefront6targetE1EEEvSK_.num_agpr, 0
	.set _ZN7rocprim17ROCPRIM_400000_NS6detail17trampoline_kernelINS0_14default_configENS1_22reduce_config_selectorIfEEZNS1_11reduce_implILb1ES3_N6thrust23THRUST_200600_302600_NS6detail15normal_iteratorINS8_10device_ptrIfEEEEPffNS8_4plusIfEEEE10hipError_tPvRmT1_T2_T3_mT4_P12ihipStream_tbEUlT_E1_NS1_11comp_targetILNS1_3genE3ELNS1_11target_archE908ELNS1_3gpuE7ELNS1_3repE0EEENS1_30default_config_static_selectorELNS0_4arch9wavefront6targetE1EEEvSK_.numbered_sgpr, 0
	.set _ZN7rocprim17ROCPRIM_400000_NS6detail17trampoline_kernelINS0_14default_configENS1_22reduce_config_selectorIfEEZNS1_11reduce_implILb1ES3_N6thrust23THRUST_200600_302600_NS6detail15normal_iteratorINS8_10device_ptrIfEEEEPffNS8_4plusIfEEEE10hipError_tPvRmT1_T2_T3_mT4_P12ihipStream_tbEUlT_E1_NS1_11comp_targetILNS1_3genE3ELNS1_11target_archE908ELNS1_3gpuE7ELNS1_3repE0EEENS1_30default_config_static_selectorELNS0_4arch9wavefront6targetE1EEEvSK_.num_named_barrier, 0
	.set _ZN7rocprim17ROCPRIM_400000_NS6detail17trampoline_kernelINS0_14default_configENS1_22reduce_config_selectorIfEEZNS1_11reduce_implILb1ES3_N6thrust23THRUST_200600_302600_NS6detail15normal_iteratorINS8_10device_ptrIfEEEEPffNS8_4plusIfEEEE10hipError_tPvRmT1_T2_T3_mT4_P12ihipStream_tbEUlT_E1_NS1_11comp_targetILNS1_3genE3ELNS1_11target_archE908ELNS1_3gpuE7ELNS1_3repE0EEENS1_30default_config_static_selectorELNS0_4arch9wavefront6targetE1EEEvSK_.private_seg_size, 0
	.set _ZN7rocprim17ROCPRIM_400000_NS6detail17trampoline_kernelINS0_14default_configENS1_22reduce_config_selectorIfEEZNS1_11reduce_implILb1ES3_N6thrust23THRUST_200600_302600_NS6detail15normal_iteratorINS8_10device_ptrIfEEEEPffNS8_4plusIfEEEE10hipError_tPvRmT1_T2_T3_mT4_P12ihipStream_tbEUlT_E1_NS1_11comp_targetILNS1_3genE3ELNS1_11target_archE908ELNS1_3gpuE7ELNS1_3repE0EEENS1_30default_config_static_selectorELNS0_4arch9wavefront6targetE1EEEvSK_.uses_vcc, 0
	.set _ZN7rocprim17ROCPRIM_400000_NS6detail17trampoline_kernelINS0_14default_configENS1_22reduce_config_selectorIfEEZNS1_11reduce_implILb1ES3_N6thrust23THRUST_200600_302600_NS6detail15normal_iteratorINS8_10device_ptrIfEEEEPffNS8_4plusIfEEEE10hipError_tPvRmT1_T2_T3_mT4_P12ihipStream_tbEUlT_E1_NS1_11comp_targetILNS1_3genE3ELNS1_11target_archE908ELNS1_3gpuE7ELNS1_3repE0EEENS1_30default_config_static_selectorELNS0_4arch9wavefront6targetE1EEEvSK_.uses_flat_scratch, 0
	.set _ZN7rocprim17ROCPRIM_400000_NS6detail17trampoline_kernelINS0_14default_configENS1_22reduce_config_selectorIfEEZNS1_11reduce_implILb1ES3_N6thrust23THRUST_200600_302600_NS6detail15normal_iteratorINS8_10device_ptrIfEEEEPffNS8_4plusIfEEEE10hipError_tPvRmT1_T2_T3_mT4_P12ihipStream_tbEUlT_E1_NS1_11comp_targetILNS1_3genE3ELNS1_11target_archE908ELNS1_3gpuE7ELNS1_3repE0EEENS1_30default_config_static_selectorELNS0_4arch9wavefront6targetE1EEEvSK_.has_dyn_sized_stack, 0
	.set _ZN7rocprim17ROCPRIM_400000_NS6detail17trampoline_kernelINS0_14default_configENS1_22reduce_config_selectorIfEEZNS1_11reduce_implILb1ES3_N6thrust23THRUST_200600_302600_NS6detail15normal_iteratorINS8_10device_ptrIfEEEEPffNS8_4plusIfEEEE10hipError_tPvRmT1_T2_T3_mT4_P12ihipStream_tbEUlT_E1_NS1_11comp_targetILNS1_3genE3ELNS1_11target_archE908ELNS1_3gpuE7ELNS1_3repE0EEENS1_30default_config_static_selectorELNS0_4arch9wavefront6targetE1EEEvSK_.has_recursion, 0
	.set _ZN7rocprim17ROCPRIM_400000_NS6detail17trampoline_kernelINS0_14default_configENS1_22reduce_config_selectorIfEEZNS1_11reduce_implILb1ES3_N6thrust23THRUST_200600_302600_NS6detail15normal_iteratorINS8_10device_ptrIfEEEEPffNS8_4plusIfEEEE10hipError_tPvRmT1_T2_T3_mT4_P12ihipStream_tbEUlT_E1_NS1_11comp_targetILNS1_3genE3ELNS1_11target_archE908ELNS1_3gpuE7ELNS1_3repE0EEENS1_30default_config_static_selectorELNS0_4arch9wavefront6targetE1EEEvSK_.has_indirect_call, 0
	.section	.AMDGPU.csdata,"",@progbits
; Kernel info:
; codeLenInByte = 0
; TotalNumSgprs: 6
; NumVgprs: 0
; NumAgprs: 0
; TotalNumVgprs: 0
; ScratchSize: 0
; MemoryBound: 0
; FloatMode: 240
; IeeeMode: 1
; LDSByteSize: 0 bytes/workgroup (compile time only)
; SGPRBlocks: 0
; VGPRBlocks: 0
; NumSGPRsForWavesPerEU: 6
; NumVGPRsForWavesPerEU: 1
; AccumOffset: 4
; Occupancy: 8
; WaveLimiterHint : 0
; COMPUTE_PGM_RSRC2:SCRATCH_EN: 0
; COMPUTE_PGM_RSRC2:USER_SGPR: 2
; COMPUTE_PGM_RSRC2:TRAP_HANDLER: 0
; COMPUTE_PGM_RSRC2:TGID_X_EN: 1
; COMPUTE_PGM_RSRC2:TGID_Y_EN: 0
; COMPUTE_PGM_RSRC2:TGID_Z_EN: 0
; COMPUTE_PGM_RSRC2:TIDIG_COMP_CNT: 0
; COMPUTE_PGM_RSRC3_GFX90A:ACCUM_OFFSET: 0
; COMPUTE_PGM_RSRC3_GFX90A:TG_SPLIT: 0
	.section	.text._ZN7rocprim17ROCPRIM_400000_NS6detail17trampoline_kernelINS0_14default_configENS1_22reduce_config_selectorIfEEZNS1_11reduce_implILb1ES3_N6thrust23THRUST_200600_302600_NS6detail15normal_iteratorINS8_10device_ptrIfEEEEPffNS8_4plusIfEEEE10hipError_tPvRmT1_T2_T3_mT4_P12ihipStream_tbEUlT_E1_NS1_11comp_targetILNS1_3genE2ELNS1_11target_archE906ELNS1_3gpuE6ELNS1_3repE0EEENS1_30default_config_static_selectorELNS0_4arch9wavefront6targetE1EEEvSK_,"axG",@progbits,_ZN7rocprim17ROCPRIM_400000_NS6detail17trampoline_kernelINS0_14default_configENS1_22reduce_config_selectorIfEEZNS1_11reduce_implILb1ES3_N6thrust23THRUST_200600_302600_NS6detail15normal_iteratorINS8_10device_ptrIfEEEEPffNS8_4plusIfEEEE10hipError_tPvRmT1_T2_T3_mT4_P12ihipStream_tbEUlT_E1_NS1_11comp_targetILNS1_3genE2ELNS1_11target_archE906ELNS1_3gpuE6ELNS1_3repE0EEENS1_30default_config_static_selectorELNS0_4arch9wavefront6targetE1EEEvSK_,comdat
	.protected	_ZN7rocprim17ROCPRIM_400000_NS6detail17trampoline_kernelINS0_14default_configENS1_22reduce_config_selectorIfEEZNS1_11reduce_implILb1ES3_N6thrust23THRUST_200600_302600_NS6detail15normal_iteratorINS8_10device_ptrIfEEEEPffNS8_4plusIfEEEE10hipError_tPvRmT1_T2_T3_mT4_P12ihipStream_tbEUlT_E1_NS1_11comp_targetILNS1_3genE2ELNS1_11target_archE906ELNS1_3gpuE6ELNS1_3repE0EEENS1_30default_config_static_selectorELNS0_4arch9wavefront6targetE1EEEvSK_ ; -- Begin function _ZN7rocprim17ROCPRIM_400000_NS6detail17trampoline_kernelINS0_14default_configENS1_22reduce_config_selectorIfEEZNS1_11reduce_implILb1ES3_N6thrust23THRUST_200600_302600_NS6detail15normal_iteratorINS8_10device_ptrIfEEEEPffNS8_4plusIfEEEE10hipError_tPvRmT1_T2_T3_mT4_P12ihipStream_tbEUlT_E1_NS1_11comp_targetILNS1_3genE2ELNS1_11target_archE906ELNS1_3gpuE6ELNS1_3repE0EEENS1_30default_config_static_selectorELNS0_4arch9wavefront6targetE1EEEvSK_
	.globl	_ZN7rocprim17ROCPRIM_400000_NS6detail17trampoline_kernelINS0_14default_configENS1_22reduce_config_selectorIfEEZNS1_11reduce_implILb1ES3_N6thrust23THRUST_200600_302600_NS6detail15normal_iteratorINS8_10device_ptrIfEEEEPffNS8_4plusIfEEEE10hipError_tPvRmT1_T2_T3_mT4_P12ihipStream_tbEUlT_E1_NS1_11comp_targetILNS1_3genE2ELNS1_11target_archE906ELNS1_3gpuE6ELNS1_3repE0EEENS1_30default_config_static_selectorELNS0_4arch9wavefront6targetE1EEEvSK_
	.p2align	8
	.type	_ZN7rocprim17ROCPRIM_400000_NS6detail17trampoline_kernelINS0_14default_configENS1_22reduce_config_selectorIfEEZNS1_11reduce_implILb1ES3_N6thrust23THRUST_200600_302600_NS6detail15normal_iteratorINS8_10device_ptrIfEEEEPffNS8_4plusIfEEEE10hipError_tPvRmT1_T2_T3_mT4_P12ihipStream_tbEUlT_E1_NS1_11comp_targetILNS1_3genE2ELNS1_11target_archE906ELNS1_3gpuE6ELNS1_3repE0EEENS1_30default_config_static_selectorELNS0_4arch9wavefront6targetE1EEEvSK_,@function
_ZN7rocprim17ROCPRIM_400000_NS6detail17trampoline_kernelINS0_14default_configENS1_22reduce_config_selectorIfEEZNS1_11reduce_implILb1ES3_N6thrust23THRUST_200600_302600_NS6detail15normal_iteratorINS8_10device_ptrIfEEEEPffNS8_4plusIfEEEE10hipError_tPvRmT1_T2_T3_mT4_P12ihipStream_tbEUlT_E1_NS1_11comp_targetILNS1_3genE2ELNS1_11target_archE906ELNS1_3gpuE6ELNS1_3repE0EEENS1_30default_config_static_selectorELNS0_4arch9wavefront6targetE1EEEvSK_: ; @_ZN7rocprim17ROCPRIM_400000_NS6detail17trampoline_kernelINS0_14default_configENS1_22reduce_config_selectorIfEEZNS1_11reduce_implILb1ES3_N6thrust23THRUST_200600_302600_NS6detail15normal_iteratorINS8_10device_ptrIfEEEEPffNS8_4plusIfEEEE10hipError_tPvRmT1_T2_T3_mT4_P12ihipStream_tbEUlT_E1_NS1_11comp_targetILNS1_3genE2ELNS1_11target_archE906ELNS1_3gpuE6ELNS1_3repE0EEENS1_30default_config_static_selectorELNS0_4arch9wavefront6targetE1EEEvSK_
; %bb.0:
	.section	.rodata,"a",@progbits
	.p2align	6, 0x0
	.amdhsa_kernel _ZN7rocprim17ROCPRIM_400000_NS6detail17trampoline_kernelINS0_14default_configENS1_22reduce_config_selectorIfEEZNS1_11reduce_implILb1ES3_N6thrust23THRUST_200600_302600_NS6detail15normal_iteratorINS8_10device_ptrIfEEEEPffNS8_4plusIfEEEE10hipError_tPvRmT1_T2_T3_mT4_P12ihipStream_tbEUlT_E1_NS1_11comp_targetILNS1_3genE2ELNS1_11target_archE906ELNS1_3gpuE6ELNS1_3repE0EEENS1_30default_config_static_selectorELNS0_4arch9wavefront6targetE1EEEvSK_
		.amdhsa_group_segment_fixed_size 0
		.amdhsa_private_segment_fixed_size 0
		.amdhsa_kernarg_size 40
		.amdhsa_user_sgpr_count 2
		.amdhsa_user_sgpr_dispatch_ptr 0
		.amdhsa_user_sgpr_queue_ptr 0
		.amdhsa_user_sgpr_kernarg_segment_ptr 1
		.amdhsa_user_sgpr_dispatch_id 0
		.amdhsa_user_sgpr_kernarg_preload_length 0
		.amdhsa_user_sgpr_kernarg_preload_offset 0
		.amdhsa_user_sgpr_private_segment_size 0
		.amdhsa_uses_dynamic_stack 0
		.amdhsa_enable_private_segment 0
		.amdhsa_system_sgpr_workgroup_id_x 1
		.amdhsa_system_sgpr_workgroup_id_y 0
		.amdhsa_system_sgpr_workgroup_id_z 0
		.amdhsa_system_sgpr_workgroup_info 0
		.amdhsa_system_vgpr_workitem_id 0
		.amdhsa_next_free_vgpr 1
		.amdhsa_next_free_sgpr 0
		.amdhsa_accum_offset 4
		.amdhsa_reserve_vcc 0
		.amdhsa_float_round_mode_32 0
		.amdhsa_float_round_mode_16_64 0
		.amdhsa_float_denorm_mode_32 3
		.amdhsa_float_denorm_mode_16_64 3
		.amdhsa_dx10_clamp 1
		.amdhsa_ieee_mode 1
		.amdhsa_fp16_overflow 0
		.amdhsa_tg_split 0
		.amdhsa_exception_fp_ieee_invalid_op 0
		.amdhsa_exception_fp_denorm_src 0
		.amdhsa_exception_fp_ieee_div_zero 0
		.amdhsa_exception_fp_ieee_overflow 0
		.amdhsa_exception_fp_ieee_underflow 0
		.amdhsa_exception_fp_ieee_inexact 0
		.amdhsa_exception_int_div_zero 0
	.end_amdhsa_kernel
	.section	.text._ZN7rocprim17ROCPRIM_400000_NS6detail17trampoline_kernelINS0_14default_configENS1_22reduce_config_selectorIfEEZNS1_11reduce_implILb1ES3_N6thrust23THRUST_200600_302600_NS6detail15normal_iteratorINS8_10device_ptrIfEEEEPffNS8_4plusIfEEEE10hipError_tPvRmT1_T2_T3_mT4_P12ihipStream_tbEUlT_E1_NS1_11comp_targetILNS1_3genE2ELNS1_11target_archE906ELNS1_3gpuE6ELNS1_3repE0EEENS1_30default_config_static_selectorELNS0_4arch9wavefront6targetE1EEEvSK_,"axG",@progbits,_ZN7rocprim17ROCPRIM_400000_NS6detail17trampoline_kernelINS0_14default_configENS1_22reduce_config_selectorIfEEZNS1_11reduce_implILb1ES3_N6thrust23THRUST_200600_302600_NS6detail15normal_iteratorINS8_10device_ptrIfEEEEPffNS8_4plusIfEEEE10hipError_tPvRmT1_T2_T3_mT4_P12ihipStream_tbEUlT_E1_NS1_11comp_targetILNS1_3genE2ELNS1_11target_archE906ELNS1_3gpuE6ELNS1_3repE0EEENS1_30default_config_static_selectorELNS0_4arch9wavefront6targetE1EEEvSK_,comdat
.Lfunc_end70:
	.size	_ZN7rocprim17ROCPRIM_400000_NS6detail17trampoline_kernelINS0_14default_configENS1_22reduce_config_selectorIfEEZNS1_11reduce_implILb1ES3_N6thrust23THRUST_200600_302600_NS6detail15normal_iteratorINS8_10device_ptrIfEEEEPffNS8_4plusIfEEEE10hipError_tPvRmT1_T2_T3_mT4_P12ihipStream_tbEUlT_E1_NS1_11comp_targetILNS1_3genE2ELNS1_11target_archE906ELNS1_3gpuE6ELNS1_3repE0EEENS1_30default_config_static_selectorELNS0_4arch9wavefront6targetE1EEEvSK_, .Lfunc_end70-_ZN7rocprim17ROCPRIM_400000_NS6detail17trampoline_kernelINS0_14default_configENS1_22reduce_config_selectorIfEEZNS1_11reduce_implILb1ES3_N6thrust23THRUST_200600_302600_NS6detail15normal_iteratorINS8_10device_ptrIfEEEEPffNS8_4plusIfEEEE10hipError_tPvRmT1_T2_T3_mT4_P12ihipStream_tbEUlT_E1_NS1_11comp_targetILNS1_3genE2ELNS1_11target_archE906ELNS1_3gpuE6ELNS1_3repE0EEENS1_30default_config_static_selectorELNS0_4arch9wavefront6targetE1EEEvSK_
                                        ; -- End function
	.set _ZN7rocprim17ROCPRIM_400000_NS6detail17trampoline_kernelINS0_14default_configENS1_22reduce_config_selectorIfEEZNS1_11reduce_implILb1ES3_N6thrust23THRUST_200600_302600_NS6detail15normal_iteratorINS8_10device_ptrIfEEEEPffNS8_4plusIfEEEE10hipError_tPvRmT1_T2_T3_mT4_P12ihipStream_tbEUlT_E1_NS1_11comp_targetILNS1_3genE2ELNS1_11target_archE906ELNS1_3gpuE6ELNS1_3repE0EEENS1_30default_config_static_selectorELNS0_4arch9wavefront6targetE1EEEvSK_.num_vgpr, 0
	.set _ZN7rocprim17ROCPRIM_400000_NS6detail17trampoline_kernelINS0_14default_configENS1_22reduce_config_selectorIfEEZNS1_11reduce_implILb1ES3_N6thrust23THRUST_200600_302600_NS6detail15normal_iteratorINS8_10device_ptrIfEEEEPffNS8_4plusIfEEEE10hipError_tPvRmT1_T2_T3_mT4_P12ihipStream_tbEUlT_E1_NS1_11comp_targetILNS1_3genE2ELNS1_11target_archE906ELNS1_3gpuE6ELNS1_3repE0EEENS1_30default_config_static_selectorELNS0_4arch9wavefront6targetE1EEEvSK_.num_agpr, 0
	.set _ZN7rocprim17ROCPRIM_400000_NS6detail17trampoline_kernelINS0_14default_configENS1_22reduce_config_selectorIfEEZNS1_11reduce_implILb1ES3_N6thrust23THRUST_200600_302600_NS6detail15normal_iteratorINS8_10device_ptrIfEEEEPffNS8_4plusIfEEEE10hipError_tPvRmT1_T2_T3_mT4_P12ihipStream_tbEUlT_E1_NS1_11comp_targetILNS1_3genE2ELNS1_11target_archE906ELNS1_3gpuE6ELNS1_3repE0EEENS1_30default_config_static_selectorELNS0_4arch9wavefront6targetE1EEEvSK_.numbered_sgpr, 0
	.set _ZN7rocprim17ROCPRIM_400000_NS6detail17trampoline_kernelINS0_14default_configENS1_22reduce_config_selectorIfEEZNS1_11reduce_implILb1ES3_N6thrust23THRUST_200600_302600_NS6detail15normal_iteratorINS8_10device_ptrIfEEEEPffNS8_4plusIfEEEE10hipError_tPvRmT1_T2_T3_mT4_P12ihipStream_tbEUlT_E1_NS1_11comp_targetILNS1_3genE2ELNS1_11target_archE906ELNS1_3gpuE6ELNS1_3repE0EEENS1_30default_config_static_selectorELNS0_4arch9wavefront6targetE1EEEvSK_.num_named_barrier, 0
	.set _ZN7rocprim17ROCPRIM_400000_NS6detail17trampoline_kernelINS0_14default_configENS1_22reduce_config_selectorIfEEZNS1_11reduce_implILb1ES3_N6thrust23THRUST_200600_302600_NS6detail15normal_iteratorINS8_10device_ptrIfEEEEPffNS8_4plusIfEEEE10hipError_tPvRmT1_T2_T3_mT4_P12ihipStream_tbEUlT_E1_NS1_11comp_targetILNS1_3genE2ELNS1_11target_archE906ELNS1_3gpuE6ELNS1_3repE0EEENS1_30default_config_static_selectorELNS0_4arch9wavefront6targetE1EEEvSK_.private_seg_size, 0
	.set _ZN7rocprim17ROCPRIM_400000_NS6detail17trampoline_kernelINS0_14default_configENS1_22reduce_config_selectorIfEEZNS1_11reduce_implILb1ES3_N6thrust23THRUST_200600_302600_NS6detail15normal_iteratorINS8_10device_ptrIfEEEEPffNS8_4plusIfEEEE10hipError_tPvRmT1_T2_T3_mT4_P12ihipStream_tbEUlT_E1_NS1_11comp_targetILNS1_3genE2ELNS1_11target_archE906ELNS1_3gpuE6ELNS1_3repE0EEENS1_30default_config_static_selectorELNS0_4arch9wavefront6targetE1EEEvSK_.uses_vcc, 0
	.set _ZN7rocprim17ROCPRIM_400000_NS6detail17trampoline_kernelINS0_14default_configENS1_22reduce_config_selectorIfEEZNS1_11reduce_implILb1ES3_N6thrust23THRUST_200600_302600_NS6detail15normal_iteratorINS8_10device_ptrIfEEEEPffNS8_4plusIfEEEE10hipError_tPvRmT1_T2_T3_mT4_P12ihipStream_tbEUlT_E1_NS1_11comp_targetILNS1_3genE2ELNS1_11target_archE906ELNS1_3gpuE6ELNS1_3repE0EEENS1_30default_config_static_selectorELNS0_4arch9wavefront6targetE1EEEvSK_.uses_flat_scratch, 0
	.set _ZN7rocprim17ROCPRIM_400000_NS6detail17trampoline_kernelINS0_14default_configENS1_22reduce_config_selectorIfEEZNS1_11reduce_implILb1ES3_N6thrust23THRUST_200600_302600_NS6detail15normal_iteratorINS8_10device_ptrIfEEEEPffNS8_4plusIfEEEE10hipError_tPvRmT1_T2_T3_mT4_P12ihipStream_tbEUlT_E1_NS1_11comp_targetILNS1_3genE2ELNS1_11target_archE906ELNS1_3gpuE6ELNS1_3repE0EEENS1_30default_config_static_selectorELNS0_4arch9wavefront6targetE1EEEvSK_.has_dyn_sized_stack, 0
	.set _ZN7rocprim17ROCPRIM_400000_NS6detail17trampoline_kernelINS0_14default_configENS1_22reduce_config_selectorIfEEZNS1_11reduce_implILb1ES3_N6thrust23THRUST_200600_302600_NS6detail15normal_iteratorINS8_10device_ptrIfEEEEPffNS8_4plusIfEEEE10hipError_tPvRmT1_T2_T3_mT4_P12ihipStream_tbEUlT_E1_NS1_11comp_targetILNS1_3genE2ELNS1_11target_archE906ELNS1_3gpuE6ELNS1_3repE0EEENS1_30default_config_static_selectorELNS0_4arch9wavefront6targetE1EEEvSK_.has_recursion, 0
	.set _ZN7rocprim17ROCPRIM_400000_NS6detail17trampoline_kernelINS0_14default_configENS1_22reduce_config_selectorIfEEZNS1_11reduce_implILb1ES3_N6thrust23THRUST_200600_302600_NS6detail15normal_iteratorINS8_10device_ptrIfEEEEPffNS8_4plusIfEEEE10hipError_tPvRmT1_T2_T3_mT4_P12ihipStream_tbEUlT_E1_NS1_11comp_targetILNS1_3genE2ELNS1_11target_archE906ELNS1_3gpuE6ELNS1_3repE0EEENS1_30default_config_static_selectorELNS0_4arch9wavefront6targetE1EEEvSK_.has_indirect_call, 0
	.section	.AMDGPU.csdata,"",@progbits
; Kernel info:
; codeLenInByte = 0
; TotalNumSgprs: 6
; NumVgprs: 0
; NumAgprs: 0
; TotalNumVgprs: 0
; ScratchSize: 0
; MemoryBound: 0
; FloatMode: 240
; IeeeMode: 1
; LDSByteSize: 0 bytes/workgroup (compile time only)
; SGPRBlocks: 0
; VGPRBlocks: 0
; NumSGPRsForWavesPerEU: 6
; NumVGPRsForWavesPerEU: 1
; AccumOffset: 4
; Occupancy: 8
; WaveLimiterHint : 0
; COMPUTE_PGM_RSRC2:SCRATCH_EN: 0
; COMPUTE_PGM_RSRC2:USER_SGPR: 2
; COMPUTE_PGM_RSRC2:TRAP_HANDLER: 0
; COMPUTE_PGM_RSRC2:TGID_X_EN: 1
; COMPUTE_PGM_RSRC2:TGID_Y_EN: 0
; COMPUTE_PGM_RSRC2:TGID_Z_EN: 0
; COMPUTE_PGM_RSRC2:TIDIG_COMP_CNT: 0
; COMPUTE_PGM_RSRC3_GFX90A:ACCUM_OFFSET: 0
; COMPUTE_PGM_RSRC3_GFX90A:TG_SPLIT: 0
	.section	.text._ZN7rocprim17ROCPRIM_400000_NS6detail17trampoline_kernelINS0_14default_configENS1_22reduce_config_selectorIfEEZNS1_11reduce_implILb1ES3_N6thrust23THRUST_200600_302600_NS6detail15normal_iteratorINS8_10device_ptrIfEEEEPffNS8_4plusIfEEEE10hipError_tPvRmT1_T2_T3_mT4_P12ihipStream_tbEUlT_E1_NS1_11comp_targetILNS1_3genE10ELNS1_11target_archE1201ELNS1_3gpuE5ELNS1_3repE0EEENS1_30default_config_static_selectorELNS0_4arch9wavefront6targetE1EEEvSK_,"axG",@progbits,_ZN7rocprim17ROCPRIM_400000_NS6detail17trampoline_kernelINS0_14default_configENS1_22reduce_config_selectorIfEEZNS1_11reduce_implILb1ES3_N6thrust23THRUST_200600_302600_NS6detail15normal_iteratorINS8_10device_ptrIfEEEEPffNS8_4plusIfEEEE10hipError_tPvRmT1_T2_T3_mT4_P12ihipStream_tbEUlT_E1_NS1_11comp_targetILNS1_3genE10ELNS1_11target_archE1201ELNS1_3gpuE5ELNS1_3repE0EEENS1_30default_config_static_selectorELNS0_4arch9wavefront6targetE1EEEvSK_,comdat
	.protected	_ZN7rocprim17ROCPRIM_400000_NS6detail17trampoline_kernelINS0_14default_configENS1_22reduce_config_selectorIfEEZNS1_11reduce_implILb1ES3_N6thrust23THRUST_200600_302600_NS6detail15normal_iteratorINS8_10device_ptrIfEEEEPffNS8_4plusIfEEEE10hipError_tPvRmT1_T2_T3_mT4_P12ihipStream_tbEUlT_E1_NS1_11comp_targetILNS1_3genE10ELNS1_11target_archE1201ELNS1_3gpuE5ELNS1_3repE0EEENS1_30default_config_static_selectorELNS0_4arch9wavefront6targetE1EEEvSK_ ; -- Begin function _ZN7rocprim17ROCPRIM_400000_NS6detail17trampoline_kernelINS0_14default_configENS1_22reduce_config_selectorIfEEZNS1_11reduce_implILb1ES3_N6thrust23THRUST_200600_302600_NS6detail15normal_iteratorINS8_10device_ptrIfEEEEPffNS8_4plusIfEEEE10hipError_tPvRmT1_T2_T3_mT4_P12ihipStream_tbEUlT_E1_NS1_11comp_targetILNS1_3genE10ELNS1_11target_archE1201ELNS1_3gpuE5ELNS1_3repE0EEENS1_30default_config_static_selectorELNS0_4arch9wavefront6targetE1EEEvSK_
	.globl	_ZN7rocprim17ROCPRIM_400000_NS6detail17trampoline_kernelINS0_14default_configENS1_22reduce_config_selectorIfEEZNS1_11reduce_implILb1ES3_N6thrust23THRUST_200600_302600_NS6detail15normal_iteratorINS8_10device_ptrIfEEEEPffNS8_4plusIfEEEE10hipError_tPvRmT1_T2_T3_mT4_P12ihipStream_tbEUlT_E1_NS1_11comp_targetILNS1_3genE10ELNS1_11target_archE1201ELNS1_3gpuE5ELNS1_3repE0EEENS1_30default_config_static_selectorELNS0_4arch9wavefront6targetE1EEEvSK_
	.p2align	8
	.type	_ZN7rocprim17ROCPRIM_400000_NS6detail17trampoline_kernelINS0_14default_configENS1_22reduce_config_selectorIfEEZNS1_11reduce_implILb1ES3_N6thrust23THRUST_200600_302600_NS6detail15normal_iteratorINS8_10device_ptrIfEEEEPffNS8_4plusIfEEEE10hipError_tPvRmT1_T2_T3_mT4_P12ihipStream_tbEUlT_E1_NS1_11comp_targetILNS1_3genE10ELNS1_11target_archE1201ELNS1_3gpuE5ELNS1_3repE0EEENS1_30default_config_static_selectorELNS0_4arch9wavefront6targetE1EEEvSK_,@function
_ZN7rocprim17ROCPRIM_400000_NS6detail17trampoline_kernelINS0_14default_configENS1_22reduce_config_selectorIfEEZNS1_11reduce_implILb1ES3_N6thrust23THRUST_200600_302600_NS6detail15normal_iteratorINS8_10device_ptrIfEEEEPffNS8_4plusIfEEEE10hipError_tPvRmT1_T2_T3_mT4_P12ihipStream_tbEUlT_E1_NS1_11comp_targetILNS1_3genE10ELNS1_11target_archE1201ELNS1_3gpuE5ELNS1_3repE0EEENS1_30default_config_static_selectorELNS0_4arch9wavefront6targetE1EEEvSK_: ; @_ZN7rocprim17ROCPRIM_400000_NS6detail17trampoline_kernelINS0_14default_configENS1_22reduce_config_selectorIfEEZNS1_11reduce_implILb1ES3_N6thrust23THRUST_200600_302600_NS6detail15normal_iteratorINS8_10device_ptrIfEEEEPffNS8_4plusIfEEEE10hipError_tPvRmT1_T2_T3_mT4_P12ihipStream_tbEUlT_E1_NS1_11comp_targetILNS1_3genE10ELNS1_11target_archE1201ELNS1_3gpuE5ELNS1_3repE0EEENS1_30default_config_static_selectorELNS0_4arch9wavefront6targetE1EEEvSK_
; %bb.0:
	.section	.rodata,"a",@progbits
	.p2align	6, 0x0
	.amdhsa_kernel _ZN7rocprim17ROCPRIM_400000_NS6detail17trampoline_kernelINS0_14default_configENS1_22reduce_config_selectorIfEEZNS1_11reduce_implILb1ES3_N6thrust23THRUST_200600_302600_NS6detail15normal_iteratorINS8_10device_ptrIfEEEEPffNS8_4plusIfEEEE10hipError_tPvRmT1_T2_T3_mT4_P12ihipStream_tbEUlT_E1_NS1_11comp_targetILNS1_3genE10ELNS1_11target_archE1201ELNS1_3gpuE5ELNS1_3repE0EEENS1_30default_config_static_selectorELNS0_4arch9wavefront6targetE1EEEvSK_
		.amdhsa_group_segment_fixed_size 0
		.amdhsa_private_segment_fixed_size 0
		.amdhsa_kernarg_size 40
		.amdhsa_user_sgpr_count 2
		.amdhsa_user_sgpr_dispatch_ptr 0
		.amdhsa_user_sgpr_queue_ptr 0
		.amdhsa_user_sgpr_kernarg_segment_ptr 1
		.amdhsa_user_sgpr_dispatch_id 0
		.amdhsa_user_sgpr_kernarg_preload_length 0
		.amdhsa_user_sgpr_kernarg_preload_offset 0
		.amdhsa_user_sgpr_private_segment_size 0
		.amdhsa_uses_dynamic_stack 0
		.amdhsa_enable_private_segment 0
		.amdhsa_system_sgpr_workgroup_id_x 1
		.amdhsa_system_sgpr_workgroup_id_y 0
		.amdhsa_system_sgpr_workgroup_id_z 0
		.amdhsa_system_sgpr_workgroup_info 0
		.amdhsa_system_vgpr_workitem_id 0
		.amdhsa_next_free_vgpr 1
		.amdhsa_next_free_sgpr 0
		.amdhsa_accum_offset 4
		.amdhsa_reserve_vcc 0
		.amdhsa_float_round_mode_32 0
		.amdhsa_float_round_mode_16_64 0
		.amdhsa_float_denorm_mode_32 3
		.amdhsa_float_denorm_mode_16_64 3
		.amdhsa_dx10_clamp 1
		.amdhsa_ieee_mode 1
		.amdhsa_fp16_overflow 0
		.amdhsa_tg_split 0
		.amdhsa_exception_fp_ieee_invalid_op 0
		.amdhsa_exception_fp_denorm_src 0
		.amdhsa_exception_fp_ieee_div_zero 0
		.amdhsa_exception_fp_ieee_overflow 0
		.amdhsa_exception_fp_ieee_underflow 0
		.amdhsa_exception_fp_ieee_inexact 0
		.amdhsa_exception_int_div_zero 0
	.end_amdhsa_kernel
	.section	.text._ZN7rocprim17ROCPRIM_400000_NS6detail17trampoline_kernelINS0_14default_configENS1_22reduce_config_selectorIfEEZNS1_11reduce_implILb1ES3_N6thrust23THRUST_200600_302600_NS6detail15normal_iteratorINS8_10device_ptrIfEEEEPffNS8_4plusIfEEEE10hipError_tPvRmT1_T2_T3_mT4_P12ihipStream_tbEUlT_E1_NS1_11comp_targetILNS1_3genE10ELNS1_11target_archE1201ELNS1_3gpuE5ELNS1_3repE0EEENS1_30default_config_static_selectorELNS0_4arch9wavefront6targetE1EEEvSK_,"axG",@progbits,_ZN7rocprim17ROCPRIM_400000_NS6detail17trampoline_kernelINS0_14default_configENS1_22reduce_config_selectorIfEEZNS1_11reduce_implILb1ES3_N6thrust23THRUST_200600_302600_NS6detail15normal_iteratorINS8_10device_ptrIfEEEEPffNS8_4plusIfEEEE10hipError_tPvRmT1_T2_T3_mT4_P12ihipStream_tbEUlT_E1_NS1_11comp_targetILNS1_3genE10ELNS1_11target_archE1201ELNS1_3gpuE5ELNS1_3repE0EEENS1_30default_config_static_selectorELNS0_4arch9wavefront6targetE1EEEvSK_,comdat
.Lfunc_end71:
	.size	_ZN7rocprim17ROCPRIM_400000_NS6detail17trampoline_kernelINS0_14default_configENS1_22reduce_config_selectorIfEEZNS1_11reduce_implILb1ES3_N6thrust23THRUST_200600_302600_NS6detail15normal_iteratorINS8_10device_ptrIfEEEEPffNS8_4plusIfEEEE10hipError_tPvRmT1_T2_T3_mT4_P12ihipStream_tbEUlT_E1_NS1_11comp_targetILNS1_3genE10ELNS1_11target_archE1201ELNS1_3gpuE5ELNS1_3repE0EEENS1_30default_config_static_selectorELNS0_4arch9wavefront6targetE1EEEvSK_, .Lfunc_end71-_ZN7rocprim17ROCPRIM_400000_NS6detail17trampoline_kernelINS0_14default_configENS1_22reduce_config_selectorIfEEZNS1_11reduce_implILb1ES3_N6thrust23THRUST_200600_302600_NS6detail15normal_iteratorINS8_10device_ptrIfEEEEPffNS8_4plusIfEEEE10hipError_tPvRmT1_T2_T3_mT4_P12ihipStream_tbEUlT_E1_NS1_11comp_targetILNS1_3genE10ELNS1_11target_archE1201ELNS1_3gpuE5ELNS1_3repE0EEENS1_30default_config_static_selectorELNS0_4arch9wavefront6targetE1EEEvSK_
                                        ; -- End function
	.set _ZN7rocprim17ROCPRIM_400000_NS6detail17trampoline_kernelINS0_14default_configENS1_22reduce_config_selectorIfEEZNS1_11reduce_implILb1ES3_N6thrust23THRUST_200600_302600_NS6detail15normal_iteratorINS8_10device_ptrIfEEEEPffNS8_4plusIfEEEE10hipError_tPvRmT1_T2_T3_mT4_P12ihipStream_tbEUlT_E1_NS1_11comp_targetILNS1_3genE10ELNS1_11target_archE1201ELNS1_3gpuE5ELNS1_3repE0EEENS1_30default_config_static_selectorELNS0_4arch9wavefront6targetE1EEEvSK_.num_vgpr, 0
	.set _ZN7rocprim17ROCPRIM_400000_NS6detail17trampoline_kernelINS0_14default_configENS1_22reduce_config_selectorIfEEZNS1_11reduce_implILb1ES3_N6thrust23THRUST_200600_302600_NS6detail15normal_iteratorINS8_10device_ptrIfEEEEPffNS8_4plusIfEEEE10hipError_tPvRmT1_T2_T3_mT4_P12ihipStream_tbEUlT_E1_NS1_11comp_targetILNS1_3genE10ELNS1_11target_archE1201ELNS1_3gpuE5ELNS1_3repE0EEENS1_30default_config_static_selectorELNS0_4arch9wavefront6targetE1EEEvSK_.num_agpr, 0
	.set _ZN7rocprim17ROCPRIM_400000_NS6detail17trampoline_kernelINS0_14default_configENS1_22reduce_config_selectorIfEEZNS1_11reduce_implILb1ES3_N6thrust23THRUST_200600_302600_NS6detail15normal_iteratorINS8_10device_ptrIfEEEEPffNS8_4plusIfEEEE10hipError_tPvRmT1_T2_T3_mT4_P12ihipStream_tbEUlT_E1_NS1_11comp_targetILNS1_3genE10ELNS1_11target_archE1201ELNS1_3gpuE5ELNS1_3repE0EEENS1_30default_config_static_selectorELNS0_4arch9wavefront6targetE1EEEvSK_.numbered_sgpr, 0
	.set _ZN7rocprim17ROCPRIM_400000_NS6detail17trampoline_kernelINS0_14default_configENS1_22reduce_config_selectorIfEEZNS1_11reduce_implILb1ES3_N6thrust23THRUST_200600_302600_NS6detail15normal_iteratorINS8_10device_ptrIfEEEEPffNS8_4plusIfEEEE10hipError_tPvRmT1_T2_T3_mT4_P12ihipStream_tbEUlT_E1_NS1_11comp_targetILNS1_3genE10ELNS1_11target_archE1201ELNS1_3gpuE5ELNS1_3repE0EEENS1_30default_config_static_selectorELNS0_4arch9wavefront6targetE1EEEvSK_.num_named_barrier, 0
	.set _ZN7rocprim17ROCPRIM_400000_NS6detail17trampoline_kernelINS0_14default_configENS1_22reduce_config_selectorIfEEZNS1_11reduce_implILb1ES3_N6thrust23THRUST_200600_302600_NS6detail15normal_iteratorINS8_10device_ptrIfEEEEPffNS8_4plusIfEEEE10hipError_tPvRmT1_T2_T3_mT4_P12ihipStream_tbEUlT_E1_NS1_11comp_targetILNS1_3genE10ELNS1_11target_archE1201ELNS1_3gpuE5ELNS1_3repE0EEENS1_30default_config_static_selectorELNS0_4arch9wavefront6targetE1EEEvSK_.private_seg_size, 0
	.set _ZN7rocprim17ROCPRIM_400000_NS6detail17trampoline_kernelINS0_14default_configENS1_22reduce_config_selectorIfEEZNS1_11reduce_implILb1ES3_N6thrust23THRUST_200600_302600_NS6detail15normal_iteratorINS8_10device_ptrIfEEEEPffNS8_4plusIfEEEE10hipError_tPvRmT1_T2_T3_mT4_P12ihipStream_tbEUlT_E1_NS1_11comp_targetILNS1_3genE10ELNS1_11target_archE1201ELNS1_3gpuE5ELNS1_3repE0EEENS1_30default_config_static_selectorELNS0_4arch9wavefront6targetE1EEEvSK_.uses_vcc, 0
	.set _ZN7rocprim17ROCPRIM_400000_NS6detail17trampoline_kernelINS0_14default_configENS1_22reduce_config_selectorIfEEZNS1_11reduce_implILb1ES3_N6thrust23THRUST_200600_302600_NS6detail15normal_iteratorINS8_10device_ptrIfEEEEPffNS8_4plusIfEEEE10hipError_tPvRmT1_T2_T3_mT4_P12ihipStream_tbEUlT_E1_NS1_11comp_targetILNS1_3genE10ELNS1_11target_archE1201ELNS1_3gpuE5ELNS1_3repE0EEENS1_30default_config_static_selectorELNS0_4arch9wavefront6targetE1EEEvSK_.uses_flat_scratch, 0
	.set _ZN7rocprim17ROCPRIM_400000_NS6detail17trampoline_kernelINS0_14default_configENS1_22reduce_config_selectorIfEEZNS1_11reduce_implILb1ES3_N6thrust23THRUST_200600_302600_NS6detail15normal_iteratorINS8_10device_ptrIfEEEEPffNS8_4plusIfEEEE10hipError_tPvRmT1_T2_T3_mT4_P12ihipStream_tbEUlT_E1_NS1_11comp_targetILNS1_3genE10ELNS1_11target_archE1201ELNS1_3gpuE5ELNS1_3repE0EEENS1_30default_config_static_selectorELNS0_4arch9wavefront6targetE1EEEvSK_.has_dyn_sized_stack, 0
	.set _ZN7rocprim17ROCPRIM_400000_NS6detail17trampoline_kernelINS0_14default_configENS1_22reduce_config_selectorIfEEZNS1_11reduce_implILb1ES3_N6thrust23THRUST_200600_302600_NS6detail15normal_iteratorINS8_10device_ptrIfEEEEPffNS8_4plusIfEEEE10hipError_tPvRmT1_T2_T3_mT4_P12ihipStream_tbEUlT_E1_NS1_11comp_targetILNS1_3genE10ELNS1_11target_archE1201ELNS1_3gpuE5ELNS1_3repE0EEENS1_30default_config_static_selectorELNS0_4arch9wavefront6targetE1EEEvSK_.has_recursion, 0
	.set _ZN7rocprim17ROCPRIM_400000_NS6detail17trampoline_kernelINS0_14default_configENS1_22reduce_config_selectorIfEEZNS1_11reduce_implILb1ES3_N6thrust23THRUST_200600_302600_NS6detail15normal_iteratorINS8_10device_ptrIfEEEEPffNS8_4plusIfEEEE10hipError_tPvRmT1_T2_T3_mT4_P12ihipStream_tbEUlT_E1_NS1_11comp_targetILNS1_3genE10ELNS1_11target_archE1201ELNS1_3gpuE5ELNS1_3repE0EEENS1_30default_config_static_selectorELNS0_4arch9wavefront6targetE1EEEvSK_.has_indirect_call, 0
	.section	.AMDGPU.csdata,"",@progbits
; Kernel info:
; codeLenInByte = 0
; TotalNumSgprs: 6
; NumVgprs: 0
; NumAgprs: 0
; TotalNumVgprs: 0
; ScratchSize: 0
; MemoryBound: 0
; FloatMode: 240
; IeeeMode: 1
; LDSByteSize: 0 bytes/workgroup (compile time only)
; SGPRBlocks: 0
; VGPRBlocks: 0
; NumSGPRsForWavesPerEU: 6
; NumVGPRsForWavesPerEU: 1
; AccumOffset: 4
; Occupancy: 8
; WaveLimiterHint : 0
; COMPUTE_PGM_RSRC2:SCRATCH_EN: 0
; COMPUTE_PGM_RSRC2:USER_SGPR: 2
; COMPUTE_PGM_RSRC2:TRAP_HANDLER: 0
; COMPUTE_PGM_RSRC2:TGID_X_EN: 1
; COMPUTE_PGM_RSRC2:TGID_Y_EN: 0
; COMPUTE_PGM_RSRC2:TGID_Z_EN: 0
; COMPUTE_PGM_RSRC2:TIDIG_COMP_CNT: 0
; COMPUTE_PGM_RSRC3_GFX90A:ACCUM_OFFSET: 0
; COMPUTE_PGM_RSRC3_GFX90A:TG_SPLIT: 0
	.section	.text._ZN7rocprim17ROCPRIM_400000_NS6detail17trampoline_kernelINS0_14default_configENS1_22reduce_config_selectorIfEEZNS1_11reduce_implILb1ES3_N6thrust23THRUST_200600_302600_NS6detail15normal_iteratorINS8_10device_ptrIfEEEEPffNS8_4plusIfEEEE10hipError_tPvRmT1_T2_T3_mT4_P12ihipStream_tbEUlT_E1_NS1_11comp_targetILNS1_3genE10ELNS1_11target_archE1200ELNS1_3gpuE4ELNS1_3repE0EEENS1_30default_config_static_selectorELNS0_4arch9wavefront6targetE1EEEvSK_,"axG",@progbits,_ZN7rocprim17ROCPRIM_400000_NS6detail17trampoline_kernelINS0_14default_configENS1_22reduce_config_selectorIfEEZNS1_11reduce_implILb1ES3_N6thrust23THRUST_200600_302600_NS6detail15normal_iteratorINS8_10device_ptrIfEEEEPffNS8_4plusIfEEEE10hipError_tPvRmT1_T2_T3_mT4_P12ihipStream_tbEUlT_E1_NS1_11comp_targetILNS1_3genE10ELNS1_11target_archE1200ELNS1_3gpuE4ELNS1_3repE0EEENS1_30default_config_static_selectorELNS0_4arch9wavefront6targetE1EEEvSK_,comdat
	.protected	_ZN7rocprim17ROCPRIM_400000_NS6detail17trampoline_kernelINS0_14default_configENS1_22reduce_config_selectorIfEEZNS1_11reduce_implILb1ES3_N6thrust23THRUST_200600_302600_NS6detail15normal_iteratorINS8_10device_ptrIfEEEEPffNS8_4plusIfEEEE10hipError_tPvRmT1_T2_T3_mT4_P12ihipStream_tbEUlT_E1_NS1_11comp_targetILNS1_3genE10ELNS1_11target_archE1200ELNS1_3gpuE4ELNS1_3repE0EEENS1_30default_config_static_selectorELNS0_4arch9wavefront6targetE1EEEvSK_ ; -- Begin function _ZN7rocprim17ROCPRIM_400000_NS6detail17trampoline_kernelINS0_14default_configENS1_22reduce_config_selectorIfEEZNS1_11reduce_implILb1ES3_N6thrust23THRUST_200600_302600_NS6detail15normal_iteratorINS8_10device_ptrIfEEEEPffNS8_4plusIfEEEE10hipError_tPvRmT1_T2_T3_mT4_P12ihipStream_tbEUlT_E1_NS1_11comp_targetILNS1_3genE10ELNS1_11target_archE1200ELNS1_3gpuE4ELNS1_3repE0EEENS1_30default_config_static_selectorELNS0_4arch9wavefront6targetE1EEEvSK_
	.globl	_ZN7rocprim17ROCPRIM_400000_NS6detail17trampoline_kernelINS0_14default_configENS1_22reduce_config_selectorIfEEZNS1_11reduce_implILb1ES3_N6thrust23THRUST_200600_302600_NS6detail15normal_iteratorINS8_10device_ptrIfEEEEPffNS8_4plusIfEEEE10hipError_tPvRmT1_T2_T3_mT4_P12ihipStream_tbEUlT_E1_NS1_11comp_targetILNS1_3genE10ELNS1_11target_archE1200ELNS1_3gpuE4ELNS1_3repE0EEENS1_30default_config_static_selectorELNS0_4arch9wavefront6targetE1EEEvSK_
	.p2align	8
	.type	_ZN7rocprim17ROCPRIM_400000_NS6detail17trampoline_kernelINS0_14default_configENS1_22reduce_config_selectorIfEEZNS1_11reduce_implILb1ES3_N6thrust23THRUST_200600_302600_NS6detail15normal_iteratorINS8_10device_ptrIfEEEEPffNS8_4plusIfEEEE10hipError_tPvRmT1_T2_T3_mT4_P12ihipStream_tbEUlT_E1_NS1_11comp_targetILNS1_3genE10ELNS1_11target_archE1200ELNS1_3gpuE4ELNS1_3repE0EEENS1_30default_config_static_selectorELNS0_4arch9wavefront6targetE1EEEvSK_,@function
_ZN7rocprim17ROCPRIM_400000_NS6detail17trampoline_kernelINS0_14default_configENS1_22reduce_config_selectorIfEEZNS1_11reduce_implILb1ES3_N6thrust23THRUST_200600_302600_NS6detail15normal_iteratorINS8_10device_ptrIfEEEEPffNS8_4plusIfEEEE10hipError_tPvRmT1_T2_T3_mT4_P12ihipStream_tbEUlT_E1_NS1_11comp_targetILNS1_3genE10ELNS1_11target_archE1200ELNS1_3gpuE4ELNS1_3repE0EEENS1_30default_config_static_selectorELNS0_4arch9wavefront6targetE1EEEvSK_: ; @_ZN7rocprim17ROCPRIM_400000_NS6detail17trampoline_kernelINS0_14default_configENS1_22reduce_config_selectorIfEEZNS1_11reduce_implILb1ES3_N6thrust23THRUST_200600_302600_NS6detail15normal_iteratorINS8_10device_ptrIfEEEEPffNS8_4plusIfEEEE10hipError_tPvRmT1_T2_T3_mT4_P12ihipStream_tbEUlT_E1_NS1_11comp_targetILNS1_3genE10ELNS1_11target_archE1200ELNS1_3gpuE4ELNS1_3repE0EEENS1_30default_config_static_selectorELNS0_4arch9wavefront6targetE1EEEvSK_
; %bb.0:
	.section	.rodata,"a",@progbits
	.p2align	6, 0x0
	.amdhsa_kernel _ZN7rocprim17ROCPRIM_400000_NS6detail17trampoline_kernelINS0_14default_configENS1_22reduce_config_selectorIfEEZNS1_11reduce_implILb1ES3_N6thrust23THRUST_200600_302600_NS6detail15normal_iteratorINS8_10device_ptrIfEEEEPffNS8_4plusIfEEEE10hipError_tPvRmT1_T2_T3_mT4_P12ihipStream_tbEUlT_E1_NS1_11comp_targetILNS1_3genE10ELNS1_11target_archE1200ELNS1_3gpuE4ELNS1_3repE0EEENS1_30default_config_static_selectorELNS0_4arch9wavefront6targetE1EEEvSK_
		.amdhsa_group_segment_fixed_size 0
		.amdhsa_private_segment_fixed_size 0
		.amdhsa_kernarg_size 40
		.amdhsa_user_sgpr_count 2
		.amdhsa_user_sgpr_dispatch_ptr 0
		.amdhsa_user_sgpr_queue_ptr 0
		.amdhsa_user_sgpr_kernarg_segment_ptr 1
		.amdhsa_user_sgpr_dispatch_id 0
		.amdhsa_user_sgpr_kernarg_preload_length 0
		.amdhsa_user_sgpr_kernarg_preload_offset 0
		.amdhsa_user_sgpr_private_segment_size 0
		.amdhsa_uses_dynamic_stack 0
		.amdhsa_enable_private_segment 0
		.amdhsa_system_sgpr_workgroup_id_x 1
		.amdhsa_system_sgpr_workgroup_id_y 0
		.amdhsa_system_sgpr_workgroup_id_z 0
		.amdhsa_system_sgpr_workgroup_info 0
		.amdhsa_system_vgpr_workitem_id 0
		.amdhsa_next_free_vgpr 1
		.amdhsa_next_free_sgpr 0
		.amdhsa_accum_offset 4
		.amdhsa_reserve_vcc 0
		.amdhsa_float_round_mode_32 0
		.amdhsa_float_round_mode_16_64 0
		.amdhsa_float_denorm_mode_32 3
		.amdhsa_float_denorm_mode_16_64 3
		.amdhsa_dx10_clamp 1
		.amdhsa_ieee_mode 1
		.amdhsa_fp16_overflow 0
		.amdhsa_tg_split 0
		.amdhsa_exception_fp_ieee_invalid_op 0
		.amdhsa_exception_fp_denorm_src 0
		.amdhsa_exception_fp_ieee_div_zero 0
		.amdhsa_exception_fp_ieee_overflow 0
		.amdhsa_exception_fp_ieee_underflow 0
		.amdhsa_exception_fp_ieee_inexact 0
		.amdhsa_exception_int_div_zero 0
	.end_amdhsa_kernel
	.section	.text._ZN7rocprim17ROCPRIM_400000_NS6detail17trampoline_kernelINS0_14default_configENS1_22reduce_config_selectorIfEEZNS1_11reduce_implILb1ES3_N6thrust23THRUST_200600_302600_NS6detail15normal_iteratorINS8_10device_ptrIfEEEEPffNS8_4plusIfEEEE10hipError_tPvRmT1_T2_T3_mT4_P12ihipStream_tbEUlT_E1_NS1_11comp_targetILNS1_3genE10ELNS1_11target_archE1200ELNS1_3gpuE4ELNS1_3repE0EEENS1_30default_config_static_selectorELNS0_4arch9wavefront6targetE1EEEvSK_,"axG",@progbits,_ZN7rocprim17ROCPRIM_400000_NS6detail17trampoline_kernelINS0_14default_configENS1_22reduce_config_selectorIfEEZNS1_11reduce_implILb1ES3_N6thrust23THRUST_200600_302600_NS6detail15normal_iteratorINS8_10device_ptrIfEEEEPffNS8_4plusIfEEEE10hipError_tPvRmT1_T2_T3_mT4_P12ihipStream_tbEUlT_E1_NS1_11comp_targetILNS1_3genE10ELNS1_11target_archE1200ELNS1_3gpuE4ELNS1_3repE0EEENS1_30default_config_static_selectorELNS0_4arch9wavefront6targetE1EEEvSK_,comdat
.Lfunc_end72:
	.size	_ZN7rocprim17ROCPRIM_400000_NS6detail17trampoline_kernelINS0_14default_configENS1_22reduce_config_selectorIfEEZNS1_11reduce_implILb1ES3_N6thrust23THRUST_200600_302600_NS6detail15normal_iteratorINS8_10device_ptrIfEEEEPffNS8_4plusIfEEEE10hipError_tPvRmT1_T2_T3_mT4_P12ihipStream_tbEUlT_E1_NS1_11comp_targetILNS1_3genE10ELNS1_11target_archE1200ELNS1_3gpuE4ELNS1_3repE0EEENS1_30default_config_static_selectorELNS0_4arch9wavefront6targetE1EEEvSK_, .Lfunc_end72-_ZN7rocprim17ROCPRIM_400000_NS6detail17trampoline_kernelINS0_14default_configENS1_22reduce_config_selectorIfEEZNS1_11reduce_implILb1ES3_N6thrust23THRUST_200600_302600_NS6detail15normal_iteratorINS8_10device_ptrIfEEEEPffNS8_4plusIfEEEE10hipError_tPvRmT1_T2_T3_mT4_P12ihipStream_tbEUlT_E1_NS1_11comp_targetILNS1_3genE10ELNS1_11target_archE1200ELNS1_3gpuE4ELNS1_3repE0EEENS1_30default_config_static_selectorELNS0_4arch9wavefront6targetE1EEEvSK_
                                        ; -- End function
	.set _ZN7rocprim17ROCPRIM_400000_NS6detail17trampoline_kernelINS0_14default_configENS1_22reduce_config_selectorIfEEZNS1_11reduce_implILb1ES3_N6thrust23THRUST_200600_302600_NS6detail15normal_iteratorINS8_10device_ptrIfEEEEPffNS8_4plusIfEEEE10hipError_tPvRmT1_T2_T3_mT4_P12ihipStream_tbEUlT_E1_NS1_11comp_targetILNS1_3genE10ELNS1_11target_archE1200ELNS1_3gpuE4ELNS1_3repE0EEENS1_30default_config_static_selectorELNS0_4arch9wavefront6targetE1EEEvSK_.num_vgpr, 0
	.set _ZN7rocprim17ROCPRIM_400000_NS6detail17trampoline_kernelINS0_14default_configENS1_22reduce_config_selectorIfEEZNS1_11reduce_implILb1ES3_N6thrust23THRUST_200600_302600_NS6detail15normal_iteratorINS8_10device_ptrIfEEEEPffNS8_4plusIfEEEE10hipError_tPvRmT1_T2_T3_mT4_P12ihipStream_tbEUlT_E1_NS1_11comp_targetILNS1_3genE10ELNS1_11target_archE1200ELNS1_3gpuE4ELNS1_3repE0EEENS1_30default_config_static_selectorELNS0_4arch9wavefront6targetE1EEEvSK_.num_agpr, 0
	.set _ZN7rocprim17ROCPRIM_400000_NS6detail17trampoline_kernelINS0_14default_configENS1_22reduce_config_selectorIfEEZNS1_11reduce_implILb1ES3_N6thrust23THRUST_200600_302600_NS6detail15normal_iteratorINS8_10device_ptrIfEEEEPffNS8_4plusIfEEEE10hipError_tPvRmT1_T2_T3_mT4_P12ihipStream_tbEUlT_E1_NS1_11comp_targetILNS1_3genE10ELNS1_11target_archE1200ELNS1_3gpuE4ELNS1_3repE0EEENS1_30default_config_static_selectorELNS0_4arch9wavefront6targetE1EEEvSK_.numbered_sgpr, 0
	.set _ZN7rocprim17ROCPRIM_400000_NS6detail17trampoline_kernelINS0_14default_configENS1_22reduce_config_selectorIfEEZNS1_11reduce_implILb1ES3_N6thrust23THRUST_200600_302600_NS6detail15normal_iteratorINS8_10device_ptrIfEEEEPffNS8_4plusIfEEEE10hipError_tPvRmT1_T2_T3_mT4_P12ihipStream_tbEUlT_E1_NS1_11comp_targetILNS1_3genE10ELNS1_11target_archE1200ELNS1_3gpuE4ELNS1_3repE0EEENS1_30default_config_static_selectorELNS0_4arch9wavefront6targetE1EEEvSK_.num_named_barrier, 0
	.set _ZN7rocprim17ROCPRIM_400000_NS6detail17trampoline_kernelINS0_14default_configENS1_22reduce_config_selectorIfEEZNS1_11reduce_implILb1ES3_N6thrust23THRUST_200600_302600_NS6detail15normal_iteratorINS8_10device_ptrIfEEEEPffNS8_4plusIfEEEE10hipError_tPvRmT1_T2_T3_mT4_P12ihipStream_tbEUlT_E1_NS1_11comp_targetILNS1_3genE10ELNS1_11target_archE1200ELNS1_3gpuE4ELNS1_3repE0EEENS1_30default_config_static_selectorELNS0_4arch9wavefront6targetE1EEEvSK_.private_seg_size, 0
	.set _ZN7rocprim17ROCPRIM_400000_NS6detail17trampoline_kernelINS0_14default_configENS1_22reduce_config_selectorIfEEZNS1_11reduce_implILb1ES3_N6thrust23THRUST_200600_302600_NS6detail15normal_iteratorINS8_10device_ptrIfEEEEPffNS8_4plusIfEEEE10hipError_tPvRmT1_T2_T3_mT4_P12ihipStream_tbEUlT_E1_NS1_11comp_targetILNS1_3genE10ELNS1_11target_archE1200ELNS1_3gpuE4ELNS1_3repE0EEENS1_30default_config_static_selectorELNS0_4arch9wavefront6targetE1EEEvSK_.uses_vcc, 0
	.set _ZN7rocprim17ROCPRIM_400000_NS6detail17trampoline_kernelINS0_14default_configENS1_22reduce_config_selectorIfEEZNS1_11reduce_implILb1ES3_N6thrust23THRUST_200600_302600_NS6detail15normal_iteratorINS8_10device_ptrIfEEEEPffNS8_4plusIfEEEE10hipError_tPvRmT1_T2_T3_mT4_P12ihipStream_tbEUlT_E1_NS1_11comp_targetILNS1_3genE10ELNS1_11target_archE1200ELNS1_3gpuE4ELNS1_3repE0EEENS1_30default_config_static_selectorELNS0_4arch9wavefront6targetE1EEEvSK_.uses_flat_scratch, 0
	.set _ZN7rocprim17ROCPRIM_400000_NS6detail17trampoline_kernelINS0_14default_configENS1_22reduce_config_selectorIfEEZNS1_11reduce_implILb1ES3_N6thrust23THRUST_200600_302600_NS6detail15normal_iteratorINS8_10device_ptrIfEEEEPffNS8_4plusIfEEEE10hipError_tPvRmT1_T2_T3_mT4_P12ihipStream_tbEUlT_E1_NS1_11comp_targetILNS1_3genE10ELNS1_11target_archE1200ELNS1_3gpuE4ELNS1_3repE0EEENS1_30default_config_static_selectorELNS0_4arch9wavefront6targetE1EEEvSK_.has_dyn_sized_stack, 0
	.set _ZN7rocprim17ROCPRIM_400000_NS6detail17trampoline_kernelINS0_14default_configENS1_22reduce_config_selectorIfEEZNS1_11reduce_implILb1ES3_N6thrust23THRUST_200600_302600_NS6detail15normal_iteratorINS8_10device_ptrIfEEEEPffNS8_4plusIfEEEE10hipError_tPvRmT1_T2_T3_mT4_P12ihipStream_tbEUlT_E1_NS1_11comp_targetILNS1_3genE10ELNS1_11target_archE1200ELNS1_3gpuE4ELNS1_3repE0EEENS1_30default_config_static_selectorELNS0_4arch9wavefront6targetE1EEEvSK_.has_recursion, 0
	.set _ZN7rocprim17ROCPRIM_400000_NS6detail17trampoline_kernelINS0_14default_configENS1_22reduce_config_selectorIfEEZNS1_11reduce_implILb1ES3_N6thrust23THRUST_200600_302600_NS6detail15normal_iteratorINS8_10device_ptrIfEEEEPffNS8_4plusIfEEEE10hipError_tPvRmT1_T2_T3_mT4_P12ihipStream_tbEUlT_E1_NS1_11comp_targetILNS1_3genE10ELNS1_11target_archE1200ELNS1_3gpuE4ELNS1_3repE0EEENS1_30default_config_static_selectorELNS0_4arch9wavefront6targetE1EEEvSK_.has_indirect_call, 0
	.section	.AMDGPU.csdata,"",@progbits
; Kernel info:
; codeLenInByte = 0
; TotalNumSgprs: 6
; NumVgprs: 0
; NumAgprs: 0
; TotalNumVgprs: 0
; ScratchSize: 0
; MemoryBound: 0
; FloatMode: 240
; IeeeMode: 1
; LDSByteSize: 0 bytes/workgroup (compile time only)
; SGPRBlocks: 0
; VGPRBlocks: 0
; NumSGPRsForWavesPerEU: 6
; NumVGPRsForWavesPerEU: 1
; AccumOffset: 4
; Occupancy: 8
; WaveLimiterHint : 0
; COMPUTE_PGM_RSRC2:SCRATCH_EN: 0
; COMPUTE_PGM_RSRC2:USER_SGPR: 2
; COMPUTE_PGM_RSRC2:TRAP_HANDLER: 0
; COMPUTE_PGM_RSRC2:TGID_X_EN: 1
; COMPUTE_PGM_RSRC2:TGID_Y_EN: 0
; COMPUTE_PGM_RSRC2:TGID_Z_EN: 0
; COMPUTE_PGM_RSRC2:TIDIG_COMP_CNT: 0
; COMPUTE_PGM_RSRC3_GFX90A:ACCUM_OFFSET: 0
; COMPUTE_PGM_RSRC3_GFX90A:TG_SPLIT: 0
	.section	.text._ZN7rocprim17ROCPRIM_400000_NS6detail17trampoline_kernelINS0_14default_configENS1_22reduce_config_selectorIfEEZNS1_11reduce_implILb1ES3_N6thrust23THRUST_200600_302600_NS6detail15normal_iteratorINS8_10device_ptrIfEEEEPffNS8_4plusIfEEEE10hipError_tPvRmT1_T2_T3_mT4_P12ihipStream_tbEUlT_E1_NS1_11comp_targetILNS1_3genE9ELNS1_11target_archE1100ELNS1_3gpuE3ELNS1_3repE0EEENS1_30default_config_static_selectorELNS0_4arch9wavefront6targetE1EEEvSK_,"axG",@progbits,_ZN7rocprim17ROCPRIM_400000_NS6detail17trampoline_kernelINS0_14default_configENS1_22reduce_config_selectorIfEEZNS1_11reduce_implILb1ES3_N6thrust23THRUST_200600_302600_NS6detail15normal_iteratorINS8_10device_ptrIfEEEEPffNS8_4plusIfEEEE10hipError_tPvRmT1_T2_T3_mT4_P12ihipStream_tbEUlT_E1_NS1_11comp_targetILNS1_3genE9ELNS1_11target_archE1100ELNS1_3gpuE3ELNS1_3repE0EEENS1_30default_config_static_selectorELNS0_4arch9wavefront6targetE1EEEvSK_,comdat
	.protected	_ZN7rocprim17ROCPRIM_400000_NS6detail17trampoline_kernelINS0_14default_configENS1_22reduce_config_selectorIfEEZNS1_11reduce_implILb1ES3_N6thrust23THRUST_200600_302600_NS6detail15normal_iteratorINS8_10device_ptrIfEEEEPffNS8_4plusIfEEEE10hipError_tPvRmT1_T2_T3_mT4_P12ihipStream_tbEUlT_E1_NS1_11comp_targetILNS1_3genE9ELNS1_11target_archE1100ELNS1_3gpuE3ELNS1_3repE0EEENS1_30default_config_static_selectorELNS0_4arch9wavefront6targetE1EEEvSK_ ; -- Begin function _ZN7rocprim17ROCPRIM_400000_NS6detail17trampoline_kernelINS0_14default_configENS1_22reduce_config_selectorIfEEZNS1_11reduce_implILb1ES3_N6thrust23THRUST_200600_302600_NS6detail15normal_iteratorINS8_10device_ptrIfEEEEPffNS8_4plusIfEEEE10hipError_tPvRmT1_T2_T3_mT4_P12ihipStream_tbEUlT_E1_NS1_11comp_targetILNS1_3genE9ELNS1_11target_archE1100ELNS1_3gpuE3ELNS1_3repE0EEENS1_30default_config_static_selectorELNS0_4arch9wavefront6targetE1EEEvSK_
	.globl	_ZN7rocprim17ROCPRIM_400000_NS6detail17trampoline_kernelINS0_14default_configENS1_22reduce_config_selectorIfEEZNS1_11reduce_implILb1ES3_N6thrust23THRUST_200600_302600_NS6detail15normal_iteratorINS8_10device_ptrIfEEEEPffNS8_4plusIfEEEE10hipError_tPvRmT1_T2_T3_mT4_P12ihipStream_tbEUlT_E1_NS1_11comp_targetILNS1_3genE9ELNS1_11target_archE1100ELNS1_3gpuE3ELNS1_3repE0EEENS1_30default_config_static_selectorELNS0_4arch9wavefront6targetE1EEEvSK_
	.p2align	8
	.type	_ZN7rocprim17ROCPRIM_400000_NS6detail17trampoline_kernelINS0_14default_configENS1_22reduce_config_selectorIfEEZNS1_11reduce_implILb1ES3_N6thrust23THRUST_200600_302600_NS6detail15normal_iteratorINS8_10device_ptrIfEEEEPffNS8_4plusIfEEEE10hipError_tPvRmT1_T2_T3_mT4_P12ihipStream_tbEUlT_E1_NS1_11comp_targetILNS1_3genE9ELNS1_11target_archE1100ELNS1_3gpuE3ELNS1_3repE0EEENS1_30default_config_static_selectorELNS0_4arch9wavefront6targetE1EEEvSK_,@function
_ZN7rocprim17ROCPRIM_400000_NS6detail17trampoline_kernelINS0_14default_configENS1_22reduce_config_selectorIfEEZNS1_11reduce_implILb1ES3_N6thrust23THRUST_200600_302600_NS6detail15normal_iteratorINS8_10device_ptrIfEEEEPffNS8_4plusIfEEEE10hipError_tPvRmT1_T2_T3_mT4_P12ihipStream_tbEUlT_E1_NS1_11comp_targetILNS1_3genE9ELNS1_11target_archE1100ELNS1_3gpuE3ELNS1_3repE0EEENS1_30default_config_static_selectorELNS0_4arch9wavefront6targetE1EEEvSK_: ; @_ZN7rocprim17ROCPRIM_400000_NS6detail17trampoline_kernelINS0_14default_configENS1_22reduce_config_selectorIfEEZNS1_11reduce_implILb1ES3_N6thrust23THRUST_200600_302600_NS6detail15normal_iteratorINS8_10device_ptrIfEEEEPffNS8_4plusIfEEEE10hipError_tPvRmT1_T2_T3_mT4_P12ihipStream_tbEUlT_E1_NS1_11comp_targetILNS1_3genE9ELNS1_11target_archE1100ELNS1_3gpuE3ELNS1_3repE0EEENS1_30default_config_static_selectorELNS0_4arch9wavefront6targetE1EEEvSK_
; %bb.0:
	.section	.rodata,"a",@progbits
	.p2align	6, 0x0
	.amdhsa_kernel _ZN7rocprim17ROCPRIM_400000_NS6detail17trampoline_kernelINS0_14default_configENS1_22reduce_config_selectorIfEEZNS1_11reduce_implILb1ES3_N6thrust23THRUST_200600_302600_NS6detail15normal_iteratorINS8_10device_ptrIfEEEEPffNS8_4plusIfEEEE10hipError_tPvRmT1_T2_T3_mT4_P12ihipStream_tbEUlT_E1_NS1_11comp_targetILNS1_3genE9ELNS1_11target_archE1100ELNS1_3gpuE3ELNS1_3repE0EEENS1_30default_config_static_selectorELNS0_4arch9wavefront6targetE1EEEvSK_
		.amdhsa_group_segment_fixed_size 0
		.amdhsa_private_segment_fixed_size 0
		.amdhsa_kernarg_size 40
		.amdhsa_user_sgpr_count 2
		.amdhsa_user_sgpr_dispatch_ptr 0
		.amdhsa_user_sgpr_queue_ptr 0
		.amdhsa_user_sgpr_kernarg_segment_ptr 1
		.amdhsa_user_sgpr_dispatch_id 0
		.amdhsa_user_sgpr_kernarg_preload_length 0
		.amdhsa_user_sgpr_kernarg_preload_offset 0
		.amdhsa_user_sgpr_private_segment_size 0
		.amdhsa_uses_dynamic_stack 0
		.amdhsa_enable_private_segment 0
		.amdhsa_system_sgpr_workgroup_id_x 1
		.amdhsa_system_sgpr_workgroup_id_y 0
		.amdhsa_system_sgpr_workgroup_id_z 0
		.amdhsa_system_sgpr_workgroup_info 0
		.amdhsa_system_vgpr_workitem_id 0
		.amdhsa_next_free_vgpr 1
		.amdhsa_next_free_sgpr 0
		.amdhsa_accum_offset 4
		.amdhsa_reserve_vcc 0
		.amdhsa_float_round_mode_32 0
		.amdhsa_float_round_mode_16_64 0
		.amdhsa_float_denorm_mode_32 3
		.amdhsa_float_denorm_mode_16_64 3
		.amdhsa_dx10_clamp 1
		.amdhsa_ieee_mode 1
		.amdhsa_fp16_overflow 0
		.amdhsa_tg_split 0
		.amdhsa_exception_fp_ieee_invalid_op 0
		.amdhsa_exception_fp_denorm_src 0
		.amdhsa_exception_fp_ieee_div_zero 0
		.amdhsa_exception_fp_ieee_overflow 0
		.amdhsa_exception_fp_ieee_underflow 0
		.amdhsa_exception_fp_ieee_inexact 0
		.amdhsa_exception_int_div_zero 0
	.end_amdhsa_kernel
	.section	.text._ZN7rocprim17ROCPRIM_400000_NS6detail17trampoline_kernelINS0_14default_configENS1_22reduce_config_selectorIfEEZNS1_11reduce_implILb1ES3_N6thrust23THRUST_200600_302600_NS6detail15normal_iteratorINS8_10device_ptrIfEEEEPffNS8_4plusIfEEEE10hipError_tPvRmT1_T2_T3_mT4_P12ihipStream_tbEUlT_E1_NS1_11comp_targetILNS1_3genE9ELNS1_11target_archE1100ELNS1_3gpuE3ELNS1_3repE0EEENS1_30default_config_static_selectorELNS0_4arch9wavefront6targetE1EEEvSK_,"axG",@progbits,_ZN7rocprim17ROCPRIM_400000_NS6detail17trampoline_kernelINS0_14default_configENS1_22reduce_config_selectorIfEEZNS1_11reduce_implILb1ES3_N6thrust23THRUST_200600_302600_NS6detail15normal_iteratorINS8_10device_ptrIfEEEEPffNS8_4plusIfEEEE10hipError_tPvRmT1_T2_T3_mT4_P12ihipStream_tbEUlT_E1_NS1_11comp_targetILNS1_3genE9ELNS1_11target_archE1100ELNS1_3gpuE3ELNS1_3repE0EEENS1_30default_config_static_selectorELNS0_4arch9wavefront6targetE1EEEvSK_,comdat
.Lfunc_end73:
	.size	_ZN7rocprim17ROCPRIM_400000_NS6detail17trampoline_kernelINS0_14default_configENS1_22reduce_config_selectorIfEEZNS1_11reduce_implILb1ES3_N6thrust23THRUST_200600_302600_NS6detail15normal_iteratorINS8_10device_ptrIfEEEEPffNS8_4plusIfEEEE10hipError_tPvRmT1_T2_T3_mT4_P12ihipStream_tbEUlT_E1_NS1_11comp_targetILNS1_3genE9ELNS1_11target_archE1100ELNS1_3gpuE3ELNS1_3repE0EEENS1_30default_config_static_selectorELNS0_4arch9wavefront6targetE1EEEvSK_, .Lfunc_end73-_ZN7rocprim17ROCPRIM_400000_NS6detail17trampoline_kernelINS0_14default_configENS1_22reduce_config_selectorIfEEZNS1_11reduce_implILb1ES3_N6thrust23THRUST_200600_302600_NS6detail15normal_iteratorINS8_10device_ptrIfEEEEPffNS8_4plusIfEEEE10hipError_tPvRmT1_T2_T3_mT4_P12ihipStream_tbEUlT_E1_NS1_11comp_targetILNS1_3genE9ELNS1_11target_archE1100ELNS1_3gpuE3ELNS1_3repE0EEENS1_30default_config_static_selectorELNS0_4arch9wavefront6targetE1EEEvSK_
                                        ; -- End function
	.set _ZN7rocprim17ROCPRIM_400000_NS6detail17trampoline_kernelINS0_14default_configENS1_22reduce_config_selectorIfEEZNS1_11reduce_implILb1ES3_N6thrust23THRUST_200600_302600_NS6detail15normal_iteratorINS8_10device_ptrIfEEEEPffNS8_4plusIfEEEE10hipError_tPvRmT1_T2_T3_mT4_P12ihipStream_tbEUlT_E1_NS1_11comp_targetILNS1_3genE9ELNS1_11target_archE1100ELNS1_3gpuE3ELNS1_3repE0EEENS1_30default_config_static_selectorELNS0_4arch9wavefront6targetE1EEEvSK_.num_vgpr, 0
	.set _ZN7rocprim17ROCPRIM_400000_NS6detail17trampoline_kernelINS0_14default_configENS1_22reduce_config_selectorIfEEZNS1_11reduce_implILb1ES3_N6thrust23THRUST_200600_302600_NS6detail15normal_iteratorINS8_10device_ptrIfEEEEPffNS8_4plusIfEEEE10hipError_tPvRmT1_T2_T3_mT4_P12ihipStream_tbEUlT_E1_NS1_11comp_targetILNS1_3genE9ELNS1_11target_archE1100ELNS1_3gpuE3ELNS1_3repE0EEENS1_30default_config_static_selectorELNS0_4arch9wavefront6targetE1EEEvSK_.num_agpr, 0
	.set _ZN7rocprim17ROCPRIM_400000_NS6detail17trampoline_kernelINS0_14default_configENS1_22reduce_config_selectorIfEEZNS1_11reduce_implILb1ES3_N6thrust23THRUST_200600_302600_NS6detail15normal_iteratorINS8_10device_ptrIfEEEEPffNS8_4plusIfEEEE10hipError_tPvRmT1_T2_T3_mT4_P12ihipStream_tbEUlT_E1_NS1_11comp_targetILNS1_3genE9ELNS1_11target_archE1100ELNS1_3gpuE3ELNS1_3repE0EEENS1_30default_config_static_selectorELNS0_4arch9wavefront6targetE1EEEvSK_.numbered_sgpr, 0
	.set _ZN7rocprim17ROCPRIM_400000_NS6detail17trampoline_kernelINS0_14default_configENS1_22reduce_config_selectorIfEEZNS1_11reduce_implILb1ES3_N6thrust23THRUST_200600_302600_NS6detail15normal_iteratorINS8_10device_ptrIfEEEEPffNS8_4plusIfEEEE10hipError_tPvRmT1_T2_T3_mT4_P12ihipStream_tbEUlT_E1_NS1_11comp_targetILNS1_3genE9ELNS1_11target_archE1100ELNS1_3gpuE3ELNS1_3repE0EEENS1_30default_config_static_selectorELNS0_4arch9wavefront6targetE1EEEvSK_.num_named_barrier, 0
	.set _ZN7rocprim17ROCPRIM_400000_NS6detail17trampoline_kernelINS0_14default_configENS1_22reduce_config_selectorIfEEZNS1_11reduce_implILb1ES3_N6thrust23THRUST_200600_302600_NS6detail15normal_iteratorINS8_10device_ptrIfEEEEPffNS8_4plusIfEEEE10hipError_tPvRmT1_T2_T3_mT4_P12ihipStream_tbEUlT_E1_NS1_11comp_targetILNS1_3genE9ELNS1_11target_archE1100ELNS1_3gpuE3ELNS1_3repE0EEENS1_30default_config_static_selectorELNS0_4arch9wavefront6targetE1EEEvSK_.private_seg_size, 0
	.set _ZN7rocprim17ROCPRIM_400000_NS6detail17trampoline_kernelINS0_14default_configENS1_22reduce_config_selectorIfEEZNS1_11reduce_implILb1ES3_N6thrust23THRUST_200600_302600_NS6detail15normal_iteratorINS8_10device_ptrIfEEEEPffNS8_4plusIfEEEE10hipError_tPvRmT1_T2_T3_mT4_P12ihipStream_tbEUlT_E1_NS1_11comp_targetILNS1_3genE9ELNS1_11target_archE1100ELNS1_3gpuE3ELNS1_3repE0EEENS1_30default_config_static_selectorELNS0_4arch9wavefront6targetE1EEEvSK_.uses_vcc, 0
	.set _ZN7rocprim17ROCPRIM_400000_NS6detail17trampoline_kernelINS0_14default_configENS1_22reduce_config_selectorIfEEZNS1_11reduce_implILb1ES3_N6thrust23THRUST_200600_302600_NS6detail15normal_iteratorINS8_10device_ptrIfEEEEPffNS8_4plusIfEEEE10hipError_tPvRmT1_T2_T3_mT4_P12ihipStream_tbEUlT_E1_NS1_11comp_targetILNS1_3genE9ELNS1_11target_archE1100ELNS1_3gpuE3ELNS1_3repE0EEENS1_30default_config_static_selectorELNS0_4arch9wavefront6targetE1EEEvSK_.uses_flat_scratch, 0
	.set _ZN7rocprim17ROCPRIM_400000_NS6detail17trampoline_kernelINS0_14default_configENS1_22reduce_config_selectorIfEEZNS1_11reduce_implILb1ES3_N6thrust23THRUST_200600_302600_NS6detail15normal_iteratorINS8_10device_ptrIfEEEEPffNS8_4plusIfEEEE10hipError_tPvRmT1_T2_T3_mT4_P12ihipStream_tbEUlT_E1_NS1_11comp_targetILNS1_3genE9ELNS1_11target_archE1100ELNS1_3gpuE3ELNS1_3repE0EEENS1_30default_config_static_selectorELNS0_4arch9wavefront6targetE1EEEvSK_.has_dyn_sized_stack, 0
	.set _ZN7rocprim17ROCPRIM_400000_NS6detail17trampoline_kernelINS0_14default_configENS1_22reduce_config_selectorIfEEZNS1_11reduce_implILb1ES3_N6thrust23THRUST_200600_302600_NS6detail15normal_iteratorINS8_10device_ptrIfEEEEPffNS8_4plusIfEEEE10hipError_tPvRmT1_T2_T3_mT4_P12ihipStream_tbEUlT_E1_NS1_11comp_targetILNS1_3genE9ELNS1_11target_archE1100ELNS1_3gpuE3ELNS1_3repE0EEENS1_30default_config_static_selectorELNS0_4arch9wavefront6targetE1EEEvSK_.has_recursion, 0
	.set _ZN7rocprim17ROCPRIM_400000_NS6detail17trampoline_kernelINS0_14default_configENS1_22reduce_config_selectorIfEEZNS1_11reduce_implILb1ES3_N6thrust23THRUST_200600_302600_NS6detail15normal_iteratorINS8_10device_ptrIfEEEEPffNS8_4plusIfEEEE10hipError_tPvRmT1_T2_T3_mT4_P12ihipStream_tbEUlT_E1_NS1_11comp_targetILNS1_3genE9ELNS1_11target_archE1100ELNS1_3gpuE3ELNS1_3repE0EEENS1_30default_config_static_selectorELNS0_4arch9wavefront6targetE1EEEvSK_.has_indirect_call, 0
	.section	.AMDGPU.csdata,"",@progbits
; Kernel info:
; codeLenInByte = 0
; TotalNumSgprs: 6
; NumVgprs: 0
; NumAgprs: 0
; TotalNumVgprs: 0
; ScratchSize: 0
; MemoryBound: 0
; FloatMode: 240
; IeeeMode: 1
; LDSByteSize: 0 bytes/workgroup (compile time only)
; SGPRBlocks: 0
; VGPRBlocks: 0
; NumSGPRsForWavesPerEU: 6
; NumVGPRsForWavesPerEU: 1
; AccumOffset: 4
; Occupancy: 8
; WaveLimiterHint : 0
; COMPUTE_PGM_RSRC2:SCRATCH_EN: 0
; COMPUTE_PGM_RSRC2:USER_SGPR: 2
; COMPUTE_PGM_RSRC2:TRAP_HANDLER: 0
; COMPUTE_PGM_RSRC2:TGID_X_EN: 1
; COMPUTE_PGM_RSRC2:TGID_Y_EN: 0
; COMPUTE_PGM_RSRC2:TGID_Z_EN: 0
; COMPUTE_PGM_RSRC2:TIDIG_COMP_CNT: 0
; COMPUTE_PGM_RSRC3_GFX90A:ACCUM_OFFSET: 0
; COMPUTE_PGM_RSRC3_GFX90A:TG_SPLIT: 0
	.section	.text._ZN7rocprim17ROCPRIM_400000_NS6detail17trampoline_kernelINS0_14default_configENS1_22reduce_config_selectorIfEEZNS1_11reduce_implILb1ES3_N6thrust23THRUST_200600_302600_NS6detail15normal_iteratorINS8_10device_ptrIfEEEEPffNS8_4plusIfEEEE10hipError_tPvRmT1_T2_T3_mT4_P12ihipStream_tbEUlT_E1_NS1_11comp_targetILNS1_3genE8ELNS1_11target_archE1030ELNS1_3gpuE2ELNS1_3repE0EEENS1_30default_config_static_selectorELNS0_4arch9wavefront6targetE1EEEvSK_,"axG",@progbits,_ZN7rocprim17ROCPRIM_400000_NS6detail17trampoline_kernelINS0_14default_configENS1_22reduce_config_selectorIfEEZNS1_11reduce_implILb1ES3_N6thrust23THRUST_200600_302600_NS6detail15normal_iteratorINS8_10device_ptrIfEEEEPffNS8_4plusIfEEEE10hipError_tPvRmT1_T2_T3_mT4_P12ihipStream_tbEUlT_E1_NS1_11comp_targetILNS1_3genE8ELNS1_11target_archE1030ELNS1_3gpuE2ELNS1_3repE0EEENS1_30default_config_static_selectorELNS0_4arch9wavefront6targetE1EEEvSK_,comdat
	.protected	_ZN7rocprim17ROCPRIM_400000_NS6detail17trampoline_kernelINS0_14default_configENS1_22reduce_config_selectorIfEEZNS1_11reduce_implILb1ES3_N6thrust23THRUST_200600_302600_NS6detail15normal_iteratorINS8_10device_ptrIfEEEEPffNS8_4plusIfEEEE10hipError_tPvRmT1_T2_T3_mT4_P12ihipStream_tbEUlT_E1_NS1_11comp_targetILNS1_3genE8ELNS1_11target_archE1030ELNS1_3gpuE2ELNS1_3repE0EEENS1_30default_config_static_selectorELNS0_4arch9wavefront6targetE1EEEvSK_ ; -- Begin function _ZN7rocprim17ROCPRIM_400000_NS6detail17trampoline_kernelINS0_14default_configENS1_22reduce_config_selectorIfEEZNS1_11reduce_implILb1ES3_N6thrust23THRUST_200600_302600_NS6detail15normal_iteratorINS8_10device_ptrIfEEEEPffNS8_4plusIfEEEE10hipError_tPvRmT1_T2_T3_mT4_P12ihipStream_tbEUlT_E1_NS1_11comp_targetILNS1_3genE8ELNS1_11target_archE1030ELNS1_3gpuE2ELNS1_3repE0EEENS1_30default_config_static_selectorELNS0_4arch9wavefront6targetE1EEEvSK_
	.globl	_ZN7rocprim17ROCPRIM_400000_NS6detail17trampoline_kernelINS0_14default_configENS1_22reduce_config_selectorIfEEZNS1_11reduce_implILb1ES3_N6thrust23THRUST_200600_302600_NS6detail15normal_iteratorINS8_10device_ptrIfEEEEPffNS8_4plusIfEEEE10hipError_tPvRmT1_T2_T3_mT4_P12ihipStream_tbEUlT_E1_NS1_11comp_targetILNS1_3genE8ELNS1_11target_archE1030ELNS1_3gpuE2ELNS1_3repE0EEENS1_30default_config_static_selectorELNS0_4arch9wavefront6targetE1EEEvSK_
	.p2align	8
	.type	_ZN7rocprim17ROCPRIM_400000_NS6detail17trampoline_kernelINS0_14default_configENS1_22reduce_config_selectorIfEEZNS1_11reduce_implILb1ES3_N6thrust23THRUST_200600_302600_NS6detail15normal_iteratorINS8_10device_ptrIfEEEEPffNS8_4plusIfEEEE10hipError_tPvRmT1_T2_T3_mT4_P12ihipStream_tbEUlT_E1_NS1_11comp_targetILNS1_3genE8ELNS1_11target_archE1030ELNS1_3gpuE2ELNS1_3repE0EEENS1_30default_config_static_selectorELNS0_4arch9wavefront6targetE1EEEvSK_,@function
_ZN7rocprim17ROCPRIM_400000_NS6detail17trampoline_kernelINS0_14default_configENS1_22reduce_config_selectorIfEEZNS1_11reduce_implILb1ES3_N6thrust23THRUST_200600_302600_NS6detail15normal_iteratorINS8_10device_ptrIfEEEEPffNS8_4plusIfEEEE10hipError_tPvRmT1_T2_T3_mT4_P12ihipStream_tbEUlT_E1_NS1_11comp_targetILNS1_3genE8ELNS1_11target_archE1030ELNS1_3gpuE2ELNS1_3repE0EEENS1_30default_config_static_selectorELNS0_4arch9wavefront6targetE1EEEvSK_: ; @_ZN7rocprim17ROCPRIM_400000_NS6detail17trampoline_kernelINS0_14default_configENS1_22reduce_config_selectorIfEEZNS1_11reduce_implILb1ES3_N6thrust23THRUST_200600_302600_NS6detail15normal_iteratorINS8_10device_ptrIfEEEEPffNS8_4plusIfEEEE10hipError_tPvRmT1_T2_T3_mT4_P12ihipStream_tbEUlT_E1_NS1_11comp_targetILNS1_3genE8ELNS1_11target_archE1030ELNS1_3gpuE2ELNS1_3repE0EEENS1_30default_config_static_selectorELNS0_4arch9wavefront6targetE1EEEvSK_
; %bb.0:
	.section	.rodata,"a",@progbits
	.p2align	6, 0x0
	.amdhsa_kernel _ZN7rocprim17ROCPRIM_400000_NS6detail17trampoline_kernelINS0_14default_configENS1_22reduce_config_selectorIfEEZNS1_11reduce_implILb1ES3_N6thrust23THRUST_200600_302600_NS6detail15normal_iteratorINS8_10device_ptrIfEEEEPffNS8_4plusIfEEEE10hipError_tPvRmT1_T2_T3_mT4_P12ihipStream_tbEUlT_E1_NS1_11comp_targetILNS1_3genE8ELNS1_11target_archE1030ELNS1_3gpuE2ELNS1_3repE0EEENS1_30default_config_static_selectorELNS0_4arch9wavefront6targetE1EEEvSK_
		.amdhsa_group_segment_fixed_size 0
		.amdhsa_private_segment_fixed_size 0
		.amdhsa_kernarg_size 40
		.amdhsa_user_sgpr_count 2
		.amdhsa_user_sgpr_dispatch_ptr 0
		.amdhsa_user_sgpr_queue_ptr 0
		.amdhsa_user_sgpr_kernarg_segment_ptr 1
		.amdhsa_user_sgpr_dispatch_id 0
		.amdhsa_user_sgpr_kernarg_preload_length 0
		.amdhsa_user_sgpr_kernarg_preload_offset 0
		.amdhsa_user_sgpr_private_segment_size 0
		.amdhsa_uses_dynamic_stack 0
		.amdhsa_enable_private_segment 0
		.amdhsa_system_sgpr_workgroup_id_x 1
		.amdhsa_system_sgpr_workgroup_id_y 0
		.amdhsa_system_sgpr_workgroup_id_z 0
		.amdhsa_system_sgpr_workgroup_info 0
		.amdhsa_system_vgpr_workitem_id 0
		.amdhsa_next_free_vgpr 1
		.amdhsa_next_free_sgpr 0
		.amdhsa_accum_offset 4
		.amdhsa_reserve_vcc 0
		.amdhsa_float_round_mode_32 0
		.amdhsa_float_round_mode_16_64 0
		.amdhsa_float_denorm_mode_32 3
		.amdhsa_float_denorm_mode_16_64 3
		.amdhsa_dx10_clamp 1
		.amdhsa_ieee_mode 1
		.amdhsa_fp16_overflow 0
		.amdhsa_tg_split 0
		.amdhsa_exception_fp_ieee_invalid_op 0
		.amdhsa_exception_fp_denorm_src 0
		.amdhsa_exception_fp_ieee_div_zero 0
		.amdhsa_exception_fp_ieee_overflow 0
		.amdhsa_exception_fp_ieee_underflow 0
		.amdhsa_exception_fp_ieee_inexact 0
		.amdhsa_exception_int_div_zero 0
	.end_amdhsa_kernel
	.section	.text._ZN7rocprim17ROCPRIM_400000_NS6detail17trampoline_kernelINS0_14default_configENS1_22reduce_config_selectorIfEEZNS1_11reduce_implILb1ES3_N6thrust23THRUST_200600_302600_NS6detail15normal_iteratorINS8_10device_ptrIfEEEEPffNS8_4plusIfEEEE10hipError_tPvRmT1_T2_T3_mT4_P12ihipStream_tbEUlT_E1_NS1_11comp_targetILNS1_3genE8ELNS1_11target_archE1030ELNS1_3gpuE2ELNS1_3repE0EEENS1_30default_config_static_selectorELNS0_4arch9wavefront6targetE1EEEvSK_,"axG",@progbits,_ZN7rocprim17ROCPRIM_400000_NS6detail17trampoline_kernelINS0_14default_configENS1_22reduce_config_selectorIfEEZNS1_11reduce_implILb1ES3_N6thrust23THRUST_200600_302600_NS6detail15normal_iteratorINS8_10device_ptrIfEEEEPffNS8_4plusIfEEEE10hipError_tPvRmT1_T2_T3_mT4_P12ihipStream_tbEUlT_E1_NS1_11comp_targetILNS1_3genE8ELNS1_11target_archE1030ELNS1_3gpuE2ELNS1_3repE0EEENS1_30default_config_static_selectorELNS0_4arch9wavefront6targetE1EEEvSK_,comdat
.Lfunc_end74:
	.size	_ZN7rocprim17ROCPRIM_400000_NS6detail17trampoline_kernelINS0_14default_configENS1_22reduce_config_selectorIfEEZNS1_11reduce_implILb1ES3_N6thrust23THRUST_200600_302600_NS6detail15normal_iteratorINS8_10device_ptrIfEEEEPffNS8_4plusIfEEEE10hipError_tPvRmT1_T2_T3_mT4_P12ihipStream_tbEUlT_E1_NS1_11comp_targetILNS1_3genE8ELNS1_11target_archE1030ELNS1_3gpuE2ELNS1_3repE0EEENS1_30default_config_static_selectorELNS0_4arch9wavefront6targetE1EEEvSK_, .Lfunc_end74-_ZN7rocprim17ROCPRIM_400000_NS6detail17trampoline_kernelINS0_14default_configENS1_22reduce_config_selectorIfEEZNS1_11reduce_implILb1ES3_N6thrust23THRUST_200600_302600_NS6detail15normal_iteratorINS8_10device_ptrIfEEEEPffNS8_4plusIfEEEE10hipError_tPvRmT1_T2_T3_mT4_P12ihipStream_tbEUlT_E1_NS1_11comp_targetILNS1_3genE8ELNS1_11target_archE1030ELNS1_3gpuE2ELNS1_3repE0EEENS1_30default_config_static_selectorELNS0_4arch9wavefront6targetE1EEEvSK_
                                        ; -- End function
	.set _ZN7rocprim17ROCPRIM_400000_NS6detail17trampoline_kernelINS0_14default_configENS1_22reduce_config_selectorIfEEZNS1_11reduce_implILb1ES3_N6thrust23THRUST_200600_302600_NS6detail15normal_iteratorINS8_10device_ptrIfEEEEPffNS8_4plusIfEEEE10hipError_tPvRmT1_T2_T3_mT4_P12ihipStream_tbEUlT_E1_NS1_11comp_targetILNS1_3genE8ELNS1_11target_archE1030ELNS1_3gpuE2ELNS1_3repE0EEENS1_30default_config_static_selectorELNS0_4arch9wavefront6targetE1EEEvSK_.num_vgpr, 0
	.set _ZN7rocprim17ROCPRIM_400000_NS6detail17trampoline_kernelINS0_14default_configENS1_22reduce_config_selectorIfEEZNS1_11reduce_implILb1ES3_N6thrust23THRUST_200600_302600_NS6detail15normal_iteratorINS8_10device_ptrIfEEEEPffNS8_4plusIfEEEE10hipError_tPvRmT1_T2_T3_mT4_P12ihipStream_tbEUlT_E1_NS1_11comp_targetILNS1_3genE8ELNS1_11target_archE1030ELNS1_3gpuE2ELNS1_3repE0EEENS1_30default_config_static_selectorELNS0_4arch9wavefront6targetE1EEEvSK_.num_agpr, 0
	.set _ZN7rocprim17ROCPRIM_400000_NS6detail17trampoline_kernelINS0_14default_configENS1_22reduce_config_selectorIfEEZNS1_11reduce_implILb1ES3_N6thrust23THRUST_200600_302600_NS6detail15normal_iteratorINS8_10device_ptrIfEEEEPffNS8_4plusIfEEEE10hipError_tPvRmT1_T2_T3_mT4_P12ihipStream_tbEUlT_E1_NS1_11comp_targetILNS1_3genE8ELNS1_11target_archE1030ELNS1_3gpuE2ELNS1_3repE0EEENS1_30default_config_static_selectorELNS0_4arch9wavefront6targetE1EEEvSK_.numbered_sgpr, 0
	.set _ZN7rocprim17ROCPRIM_400000_NS6detail17trampoline_kernelINS0_14default_configENS1_22reduce_config_selectorIfEEZNS1_11reduce_implILb1ES3_N6thrust23THRUST_200600_302600_NS6detail15normal_iteratorINS8_10device_ptrIfEEEEPffNS8_4plusIfEEEE10hipError_tPvRmT1_T2_T3_mT4_P12ihipStream_tbEUlT_E1_NS1_11comp_targetILNS1_3genE8ELNS1_11target_archE1030ELNS1_3gpuE2ELNS1_3repE0EEENS1_30default_config_static_selectorELNS0_4arch9wavefront6targetE1EEEvSK_.num_named_barrier, 0
	.set _ZN7rocprim17ROCPRIM_400000_NS6detail17trampoline_kernelINS0_14default_configENS1_22reduce_config_selectorIfEEZNS1_11reduce_implILb1ES3_N6thrust23THRUST_200600_302600_NS6detail15normal_iteratorINS8_10device_ptrIfEEEEPffNS8_4plusIfEEEE10hipError_tPvRmT1_T2_T3_mT4_P12ihipStream_tbEUlT_E1_NS1_11comp_targetILNS1_3genE8ELNS1_11target_archE1030ELNS1_3gpuE2ELNS1_3repE0EEENS1_30default_config_static_selectorELNS0_4arch9wavefront6targetE1EEEvSK_.private_seg_size, 0
	.set _ZN7rocprim17ROCPRIM_400000_NS6detail17trampoline_kernelINS0_14default_configENS1_22reduce_config_selectorIfEEZNS1_11reduce_implILb1ES3_N6thrust23THRUST_200600_302600_NS6detail15normal_iteratorINS8_10device_ptrIfEEEEPffNS8_4plusIfEEEE10hipError_tPvRmT1_T2_T3_mT4_P12ihipStream_tbEUlT_E1_NS1_11comp_targetILNS1_3genE8ELNS1_11target_archE1030ELNS1_3gpuE2ELNS1_3repE0EEENS1_30default_config_static_selectorELNS0_4arch9wavefront6targetE1EEEvSK_.uses_vcc, 0
	.set _ZN7rocprim17ROCPRIM_400000_NS6detail17trampoline_kernelINS0_14default_configENS1_22reduce_config_selectorIfEEZNS1_11reduce_implILb1ES3_N6thrust23THRUST_200600_302600_NS6detail15normal_iteratorINS8_10device_ptrIfEEEEPffNS8_4plusIfEEEE10hipError_tPvRmT1_T2_T3_mT4_P12ihipStream_tbEUlT_E1_NS1_11comp_targetILNS1_3genE8ELNS1_11target_archE1030ELNS1_3gpuE2ELNS1_3repE0EEENS1_30default_config_static_selectorELNS0_4arch9wavefront6targetE1EEEvSK_.uses_flat_scratch, 0
	.set _ZN7rocprim17ROCPRIM_400000_NS6detail17trampoline_kernelINS0_14default_configENS1_22reduce_config_selectorIfEEZNS1_11reduce_implILb1ES3_N6thrust23THRUST_200600_302600_NS6detail15normal_iteratorINS8_10device_ptrIfEEEEPffNS8_4plusIfEEEE10hipError_tPvRmT1_T2_T3_mT4_P12ihipStream_tbEUlT_E1_NS1_11comp_targetILNS1_3genE8ELNS1_11target_archE1030ELNS1_3gpuE2ELNS1_3repE0EEENS1_30default_config_static_selectorELNS0_4arch9wavefront6targetE1EEEvSK_.has_dyn_sized_stack, 0
	.set _ZN7rocprim17ROCPRIM_400000_NS6detail17trampoline_kernelINS0_14default_configENS1_22reduce_config_selectorIfEEZNS1_11reduce_implILb1ES3_N6thrust23THRUST_200600_302600_NS6detail15normal_iteratorINS8_10device_ptrIfEEEEPffNS8_4plusIfEEEE10hipError_tPvRmT1_T2_T3_mT4_P12ihipStream_tbEUlT_E1_NS1_11comp_targetILNS1_3genE8ELNS1_11target_archE1030ELNS1_3gpuE2ELNS1_3repE0EEENS1_30default_config_static_selectorELNS0_4arch9wavefront6targetE1EEEvSK_.has_recursion, 0
	.set _ZN7rocprim17ROCPRIM_400000_NS6detail17trampoline_kernelINS0_14default_configENS1_22reduce_config_selectorIfEEZNS1_11reduce_implILb1ES3_N6thrust23THRUST_200600_302600_NS6detail15normal_iteratorINS8_10device_ptrIfEEEEPffNS8_4plusIfEEEE10hipError_tPvRmT1_T2_T3_mT4_P12ihipStream_tbEUlT_E1_NS1_11comp_targetILNS1_3genE8ELNS1_11target_archE1030ELNS1_3gpuE2ELNS1_3repE0EEENS1_30default_config_static_selectorELNS0_4arch9wavefront6targetE1EEEvSK_.has_indirect_call, 0
	.section	.AMDGPU.csdata,"",@progbits
; Kernel info:
; codeLenInByte = 0
; TotalNumSgprs: 6
; NumVgprs: 0
; NumAgprs: 0
; TotalNumVgprs: 0
; ScratchSize: 0
; MemoryBound: 0
; FloatMode: 240
; IeeeMode: 1
; LDSByteSize: 0 bytes/workgroup (compile time only)
; SGPRBlocks: 0
; VGPRBlocks: 0
; NumSGPRsForWavesPerEU: 6
; NumVGPRsForWavesPerEU: 1
; AccumOffset: 4
; Occupancy: 8
; WaveLimiterHint : 0
; COMPUTE_PGM_RSRC2:SCRATCH_EN: 0
; COMPUTE_PGM_RSRC2:USER_SGPR: 2
; COMPUTE_PGM_RSRC2:TRAP_HANDLER: 0
; COMPUTE_PGM_RSRC2:TGID_X_EN: 1
; COMPUTE_PGM_RSRC2:TGID_Y_EN: 0
; COMPUTE_PGM_RSRC2:TGID_Z_EN: 0
; COMPUTE_PGM_RSRC2:TIDIG_COMP_CNT: 0
; COMPUTE_PGM_RSRC3_GFX90A:ACCUM_OFFSET: 0
; COMPUTE_PGM_RSRC3_GFX90A:TG_SPLIT: 0
	.section	.text._ZN6thrust23THRUST_200600_302600_NS11hip_rocprim14__parallel_for6kernelILj256ENS1_20__uninitialized_fill7functorINS0_10device_ptrIyEEyEEmLj1EEEvT0_T1_SA_,"axG",@progbits,_ZN6thrust23THRUST_200600_302600_NS11hip_rocprim14__parallel_for6kernelILj256ENS1_20__uninitialized_fill7functorINS0_10device_ptrIyEEyEEmLj1EEEvT0_T1_SA_,comdat
	.protected	_ZN6thrust23THRUST_200600_302600_NS11hip_rocprim14__parallel_for6kernelILj256ENS1_20__uninitialized_fill7functorINS0_10device_ptrIyEEyEEmLj1EEEvT0_T1_SA_ ; -- Begin function _ZN6thrust23THRUST_200600_302600_NS11hip_rocprim14__parallel_for6kernelILj256ENS1_20__uninitialized_fill7functorINS0_10device_ptrIyEEyEEmLj1EEEvT0_T1_SA_
	.globl	_ZN6thrust23THRUST_200600_302600_NS11hip_rocprim14__parallel_for6kernelILj256ENS1_20__uninitialized_fill7functorINS0_10device_ptrIyEEyEEmLj1EEEvT0_T1_SA_
	.p2align	8
	.type	_ZN6thrust23THRUST_200600_302600_NS11hip_rocprim14__parallel_for6kernelILj256ENS1_20__uninitialized_fill7functorINS0_10device_ptrIyEEyEEmLj1EEEvT0_T1_SA_,@function
_ZN6thrust23THRUST_200600_302600_NS11hip_rocprim14__parallel_for6kernelILj256ENS1_20__uninitialized_fill7functorINS0_10device_ptrIyEEyEEmLj1EEEvT0_T1_SA_: ; @_ZN6thrust23THRUST_200600_302600_NS11hip_rocprim14__parallel_for6kernelILj256ENS1_20__uninitialized_fill7functorINS0_10device_ptrIyEEyEEmLj1EEEvT0_T1_SA_
; %bb.0:
	s_load_dwordx8 s[4:11], s[0:1], 0x0
	s_lshl_b32 s0, s2, 8
	v_mov_b64_e32 v[2:3], 0xff
	s_mov_b64 s[2:3], -1
	s_waitcnt lgkmcnt(0)
	s_add_u32 s0, s10, s0
	s_addc_u32 s1, s11, 0
	s_sub_u32 s8, s8, s0
	s_subb_u32 s9, s9, s1
	v_cmp_gt_u64_e32 vcc, s[8:9], v[2:3]
	s_cbranch_vccz .LBB75_3
; %bb.1:
	s_andn2_b64 vcc, exec, s[2:3]
	s_cbranch_vccz .LBB75_6
.LBB75_2:
	s_endpgm
.LBB75_3:
	v_cmp_gt_u32_e32 vcc, s8, v0
	s_and_saveexec_b64 s[2:3], vcc
	s_cbranch_execz .LBB75_5
; %bb.4:
	s_lshl_b64 s[8:9], s[0:1], 3
	s_add_u32 s8, s4, s8
	s_addc_u32 s9, s5, s9
	v_lshlrev_b32_e32 v2, 3, v0
	v_mov_b32_e32 v3, 0
	v_lshl_add_u64 v[2:3], s[8:9], 0, v[2:3]
	v_mov_b64_e32 v[4:5], s[6:7]
	flat_store_dwordx2 v[2:3], v[4:5]
.LBB75_5:
	s_or_b64 exec, exec, s[2:3]
	s_cbranch_execnz .LBB75_2
.LBB75_6:
	s_lshl_b64 s[0:1], s[0:1], 3
	s_add_u32 s0, s4, s0
	s_addc_u32 s1, s5, s1
	v_lshlrev_b32_e32 v0, 3, v0
	v_mov_b32_e32 v1, 0
	v_lshl_add_u64 v[0:1], s[0:1], 0, v[0:1]
	v_mov_b64_e32 v[2:3], s[6:7]
	flat_store_dwordx2 v[0:1], v[2:3]
	s_endpgm
	.section	.rodata,"a",@progbits
	.p2align	6, 0x0
	.amdhsa_kernel _ZN6thrust23THRUST_200600_302600_NS11hip_rocprim14__parallel_for6kernelILj256ENS1_20__uninitialized_fill7functorINS0_10device_ptrIyEEyEEmLj1EEEvT0_T1_SA_
		.amdhsa_group_segment_fixed_size 0
		.amdhsa_private_segment_fixed_size 0
		.amdhsa_kernarg_size 32
		.amdhsa_user_sgpr_count 2
		.amdhsa_user_sgpr_dispatch_ptr 0
		.amdhsa_user_sgpr_queue_ptr 0
		.amdhsa_user_sgpr_kernarg_segment_ptr 1
		.amdhsa_user_sgpr_dispatch_id 0
		.amdhsa_user_sgpr_kernarg_preload_length 0
		.amdhsa_user_sgpr_kernarg_preload_offset 0
		.amdhsa_user_sgpr_private_segment_size 0
		.amdhsa_uses_dynamic_stack 0
		.amdhsa_enable_private_segment 0
		.amdhsa_system_sgpr_workgroup_id_x 1
		.amdhsa_system_sgpr_workgroup_id_y 0
		.amdhsa_system_sgpr_workgroup_id_z 0
		.amdhsa_system_sgpr_workgroup_info 0
		.amdhsa_system_vgpr_workitem_id 0
		.amdhsa_next_free_vgpr 6
		.amdhsa_next_free_sgpr 12
		.amdhsa_accum_offset 8
		.amdhsa_reserve_vcc 1
		.amdhsa_float_round_mode_32 0
		.amdhsa_float_round_mode_16_64 0
		.amdhsa_float_denorm_mode_32 3
		.amdhsa_float_denorm_mode_16_64 3
		.amdhsa_dx10_clamp 1
		.amdhsa_ieee_mode 1
		.amdhsa_fp16_overflow 0
		.amdhsa_tg_split 0
		.amdhsa_exception_fp_ieee_invalid_op 0
		.amdhsa_exception_fp_denorm_src 0
		.amdhsa_exception_fp_ieee_div_zero 0
		.amdhsa_exception_fp_ieee_overflow 0
		.amdhsa_exception_fp_ieee_underflow 0
		.amdhsa_exception_fp_ieee_inexact 0
		.amdhsa_exception_int_div_zero 0
	.end_amdhsa_kernel
	.section	.text._ZN6thrust23THRUST_200600_302600_NS11hip_rocprim14__parallel_for6kernelILj256ENS1_20__uninitialized_fill7functorINS0_10device_ptrIyEEyEEmLj1EEEvT0_T1_SA_,"axG",@progbits,_ZN6thrust23THRUST_200600_302600_NS11hip_rocprim14__parallel_for6kernelILj256ENS1_20__uninitialized_fill7functorINS0_10device_ptrIyEEyEEmLj1EEEvT0_T1_SA_,comdat
.Lfunc_end75:
	.size	_ZN6thrust23THRUST_200600_302600_NS11hip_rocprim14__parallel_for6kernelILj256ENS1_20__uninitialized_fill7functorINS0_10device_ptrIyEEyEEmLj1EEEvT0_T1_SA_, .Lfunc_end75-_ZN6thrust23THRUST_200600_302600_NS11hip_rocprim14__parallel_for6kernelILj256ENS1_20__uninitialized_fill7functorINS0_10device_ptrIyEEyEEmLj1EEEvT0_T1_SA_
                                        ; -- End function
	.set _ZN6thrust23THRUST_200600_302600_NS11hip_rocprim14__parallel_for6kernelILj256ENS1_20__uninitialized_fill7functorINS0_10device_ptrIyEEyEEmLj1EEEvT0_T1_SA_.num_vgpr, 6
	.set _ZN6thrust23THRUST_200600_302600_NS11hip_rocprim14__parallel_for6kernelILj256ENS1_20__uninitialized_fill7functorINS0_10device_ptrIyEEyEEmLj1EEEvT0_T1_SA_.num_agpr, 0
	.set _ZN6thrust23THRUST_200600_302600_NS11hip_rocprim14__parallel_for6kernelILj256ENS1_20__uninitialized_fill7functorINS0_10device_ptrIyEEyEEmLj1EEEvT0_T1_SA_.numbered_sgpr, 12
	.set _ZN6thrust23THRUST_200600_302600_NS11hip_rocprim14__parallel_for6kernelILj256ENS1_20__uninitialized_fill7functorINS0_10device_ptrIyEEyEEmLj1EEEvT0_T1_SA_.num_named_barrier, 0
	.set _ZN6thrust23THRUST_200600_302600_NS11hip_rocprim14__parallel_for6kernelILj256ENS1_20__uninitialized_fill7functorINS0_10device_ptrIyEEyEEmLj1EEEvT0_T1_SA_.private_seg_size, 0
	.set _ZN6thrust23THRUST_200600_302600_NS11hip_rocprim14__parallel_for6kernelILj256ENS1_20__uninitialized_fill7functorINS0_10device_ptrIyEEyEEmLj1EEEvT0_T1_SA_.uses_vcc, 1
	.set _ZN6thrust23THRUST_200600_302600_NS11hip_rocprim14__parallel_for6kernelILj256ENS1_20__uninitialized_fill7functorINS0_10device_ptrIyEEyEEmLj1EEEvT0_T1_SA_.uses_flat_scratch, 0
	.set _ZN6thrust23THRUST_200600_302600_NS11hip_rocprim14__parallel_for6kernelILj256ENS1_20__uninitialized_fill7functorINS0_10device_ptrIyEEyEEmLj1EEEvT0_T1_SA_.has_dyn_sized_stack, 0
	.set _ZN6thrust23THRUST_200600_302600_NS11hip_rocprim14__parallel_for6kernelILj256ENS1_20__uninitialized_fill7functorINS0_10device_ptrIyEEyEEmLj1EEEvT0_T1_SA_.has_recursion, 0
	.set _ZN6thrust23THRUST_200600_302600_NS11hip_rocprim14__parallel_for6kernelILj256ENS1_20__uninitialized_fill7functorINS0_10device_ptrIyEEyEEmLj1EEEvT0_T1_SA_.has_indirect_call, 0
	.section	.AMDGPU.csdata,"",@progbits
; Kernel info:
; codeLenInByte = 168
; TotalNumSgprs: 18
; NumVgprs: 6
; NumAgprs: 0
; TotalNumVgprs: 6
; ScratchSize: 0
; MemoryBound: 0
; FloatMode: 240
; IeeeMode: 1
; LDSByteSize: 0 bytes/workgroup (compile time only)
; SGPRBlocks: 2
; VGPRBlocks: 0
; NumSGPRsForWavesPerEU: 18
; NumVGPRsForWavesPerEU: 6
; AccumOffset: 8
; Occupancy: 8
; WaveLimiterHint : 0
; COMPUTE_PGM_RSRC2:SCRATCH_EN: 0
; COMPUTE_PGM_RSRC2:USER_SGPR: 2
; COMPUTE_PGM_RSRC2:TRAP_HANDLER: 0
; COMPUTE_PGM_RSRC2:TGID_X_EN: 1
; COMPUTE_PGM_RSRC2:TGID_Y_EN: 0
; COMPUTE_PGM_RSRC2:TGID_Z_EN: 0
; COMPUTE_PGM_RSRC2:TIDIG_COMP_CNT: 0
; COMPUTE_PGM_RSRC3_GFX90A:ACCUM_OFFSET: 1
; COMPUTE_PGM_RSRC3_GFX90A:TG_SPLIT: 0
	.section	.text._ZN7rocprim17ROCPRIM_400000_NS6detail17trampoline_kernelINS0_14default_configENS1_22reduce_config_selectorIyEEZNS1_11reduce_implILb1ES3_PyS7_yN6thrust23THRUST_200600_302600_NS4plusIyEEEE10hipError_tPvRmT1_T2_T3_mT4_P12ihipStream_tbEUlT_E0_NS1_11comp_targetILNS1_3genE0ELNS1_11target_archE4294967295ELNS1_3gpuE0ELNS1_3repE0EEENS1_30default_config_static_selectorELNS0_4arch9wavefront6targetE1EEEvSF_,"axG",@progbits,_ZN7rocprim17ROCPRIM_400000_NS6detail17trampoline_kernelINS0_14default_configENS1_22reduce_config_selectorIyEEZNS1_11reduce_implILb1ES3_PyS7_yN6thrust23THRUST_200600_302600_NS4plusIyEEEE10hipError_tPvRmT1_T2_T3_mT4_P12ihipStream_tbEUlT_E0_NS1_11comp_targetILNS1_3genE0ELNS1_11target_archE4294967295ELNS1_3gpuE0ELNS1_3repE0EEENS1_30default_config_static_selectorELNS0_4arch9wavefront6targetE1EEEvSF_,comdat
	.protected	_ZN7rocprim17ROCPRIM_400000_NS6detail17trampoline_kernelINS0_14default_configENS1_22reduce_config_selectorIyEEZNS1_11reduce_implILb1ES3_PyS7_yN6thrust23THRUST_200600_302600_NS4plusIyEEEE10hipError_tPvRmT1_T2_T3_mT4_P12ihipStream_tbEUlT_E0_NS1_11comp_targetILNS1_3genE0ELNS1_11target_archE4294967295ELNS1_3gpuE0ELNS1_3repE0EEENS1_30default_config_static_selectorELNS0_4arch9wavefront6targetE1EEEvSF_ ; -- Begin function _ZN7rocprim17ROCPRIM_400000_NS6detail17trampoline_kernelINS0_14default_configENS1_22reduce_config_selectorIyEEZNS1_11reduce_implILb1ES3_PyS7_yN6thrust23THRUST_200600_302600_NS4plusIyEEEE10hipError_tPvRmT1_T2_T3_mT4_P12ihipStream_tbEUlT_E0_NS1_11comp_targetILNS1_3genE0ELNS1_11target_archE4294967295ELNS1_3gpuE0ELNS1_3repE0EEENS1_30default_config_static_selectorELNS0_4arch9wavefront6targetE1EEEvSF_
	.globl	_ZN7rocprim17ROCPRIM_400000_NS6detail17trampoline_kernelINS0_14default_configENS1_22reduce_config_selectorIyEEZNS1_11reduce_implILb1ES3_PyS7_yN6thrust23THRUST_200600_302600_NS4plusIyEEEE10hipError_tPvRmT1_T2_T3_mT4_P12ihipStream_tbEUlT_E0_NS1_11comp_targetILNS1_3genE0ELNS1_11target_archE4294967295ELNS1_3gpuE0ELNS1_3repE0EEENS1_30default_config_static_selectorELNS0_4arch9wavefront6targetE1EEEvSF_
	.p2align	8
	.type	_ZN7rocprim17ROCPRIM_400000_NS6detail17trampoline_kernelINS0_14default_configENS1_22reduce_config_selectorIyEEZNS1_11reduce_implILb1ES3_PyS7_yN6thrust23THRUST_200600_302600_NS4plusIyEEEE10hipError_tPvRmT1_T2_T3_mT4_P12ihipStream_tbEUlT_E0_NS1_11comp_targetILNS1_3genE0ELNS1_11target_archE4294967295ELNS1_3gpuE0ELNS1_3repE0EEENS1_30default_config_static_selectorELNS0_4arch9wavefront6targetE1EEEvSF_,@function
_ZN7rocprim17ROCPRIM_400000_NS6detail17trampoline_kernelINS0_14default_configENS1_22reduce_config_selectorIyEEZNS1_11reduce_implILb1ES3_PyS7_yN6thrust23THRUST_200600_302600_NS4plusIyEEEE10hipError_tPvRmT1_T2_T3_mT4_P12ihipStream_tbEUlT_E0_NS1_11comp_targetILNS1_3genE0ELNS1_11target_archE4294967295ELNS1_3gpuE0ELNS1_3repE0EEENS1_30default_config_static_selectorELNS0_4arch9wavefront6targetE1EEEvSF_: ; @_ZN7rocprim17ROCPRIM_400000_NS6detail17trampoline_kernelINS0_14default_configENS1_22reduce_config_selectorIyEEZNS1_11reduce_implILb1ES3_PyS7_yN6thrust23THRUST_200600_302600_NS4plusIyEEEE10hipError_tPvRmT1_T2_T3_mT4_P12ihipStream_tbEUlT_E0_NS1_11comp_targetILNS1_3genE0ELNS1_11target_archE4294967295ELNS1_3gpuE0ELNS1_3repE0EEENS1_30default_config_static_selectorELNS0_4arch9wavefront6targetE1EEEvSF_
; %bb.0:
	s_load_dwordx8 s[36:43], s[0:1], 0x0
	s_load_dwordx4 s[44:47], s[0:1], 0x20
	s_load_dwordx2 s[30:31], s[0:1], 0x30
	v_lshlrev_b32_e32 v34, 3, v0
	v_mbcnt_lo_u32_b32 v1, -1, 0
	s_waitcnt lgkmcnt(0)
	s_lshl_b64 s[0:1], s[38:39], 3
	s_add_u32 s8, s36, s0
	s_addc_u32 s9, s37, s1
	s_lshl_b32 s0, s2, 12
	s_mov_b32 s1, 0
	s_lshr_b64 s[4:5], s[40:41], 12
	s_lshl_b64 s[6:7], s[0:1], 3
	s_add_u32 s34, s8, s6
	s_mov_b32 s3, s1
	s_addc_u32 s35, s9, s7
	s_cmp_lg_u64 s[4:5], s[2:3]
	s_cbranch_scc0 .LBB76_6
; %bb.1:
	v_mov_b32_e32 v35, 0
	v_lshl_add_u64 v[2:3], s[34:35], 0, v[34:35]
	global_load_dwordx2 v[6:7], v34, s[34:35]
	global_load_dwordx2 v[8:9], v34, s[34:35] offset:2048
	v_add_co_u32_e32 v4, vcc, 0x1000, v2
	v_mov_b32_e32 v41, v35
	s_nop 0
	v_addc_co_u32_e32 v5, vcc, 0, v3, vcc
	v_add_co_u32_e32 v10, vcc, 0x2000, v2
	v_mov_b32_e32 v45, v35
	s_nop 0
	v_addc_co_u32_e32 v11, vcc, 0, v3, vcc
	global_load_dwordx2 v[12:13], v[4:5], off
	global_load_dwordx2 v[14:15], v[4:5], off offset:2048
	global_load_dwordx2 v[16:17], v[10:11], off
	global_load_dwordx2 v[18:19], v[10:11], off offset:2048
	v_add_co_u32_e32 v4, vcc, 0x3000, v2
	v_mov_b32_e32 v42, v35
	s_nop 0
	v_addc_co_u32_e32 v5, vcc, 0, v3, vcc
	v_add_co_u32_e32 v10, vcc, 0x4000, v2
	v_mov_b32_e32 v49, v35
	s_nop 0
	v_addc_co_u32_e32 v11, vcc, 0, v3, vcc
	global_load_dwordx2 v[20:21], v[4:5], off
	global_load_dwordx2 v[22:23], v[4:5], off offset:2048
	global_load_dwordx2 v[24:25], v[10:11], off
	global_load_dwordx2 v[26:27], v[10:11], off offset:2048
	;; [unrolled: 12-line block ×3, first 2 shown]
	v_add_co_u32_e32 v2, vcc, 0x7000, v2
	v_mov_b32_e32 v50, v35
	s_nop 0
	v_addc_co_u32_e32 v3, vcc, 0, v3, vcc
	global_load_dwordx2 v[10:11], v[2:3], off
	global_load_dwordx2 v[38:39], v[2:3], off offset:2048
	v_mov_b32_e32 v2, v35
	v_mov_b32_e32 v57, v35
	;; [unrolled: 1-line block ×3, first 2 shown]
	v_mbcnt_hi_u32_b32 v4, -1, v1
	v_mov_b32_e32 v59, v35
	v_lshlrev_b32_e32 v5, 2, v4
	v_or_b32_e32 v35, 0xfc, v5
	v_cmp_eq_u32_e32 vcc, 0, v4
	s_waitcnt vmcnt(14)
	v_lshl_add_u64 v[6:7], v[8:9], 0, v[6:7]
	s_waitcnt vmcnt(13)
	v_lshl_add_u64 v[6:7], v[6:7], 0, v[12:13]
	;; [unrolled: 2-line block ×15, first 2 shown]
	s_nop 1
	v_mov_b32_dpp v40, v6 quad_perm:[1,0,3,2] row_mask:0xf bank_mask:0xf bound_ctrl:1
	v_mov_b32_dpp v3, v7 quad_perm:[1,0,3,2] row_mask:0xf bank_mask:0xf bound_ctrl:1
	v_lshl_add_u64 v[6:7], v[6:7], 0, v[40:41]
	v_lshl_add_u64 v[2:3], v[2:3], 0, v[6:7]
	s_nop 0
	v_mov_b32_dpp v44, v6 quad_perm:[2,3,0,1] row_mask:0xf bank_mask:0xf bound_ctrl:1
	v_mov_b32_dpp v43, v3 quad_perm:[2,3,0,1] row_mask:0xf bank_mask:0xf bound_ctrl:1
	v_lshl_add_u64 v[2:3], v[2:3], 0, v[44:45]
	v_lshl_add_u64 v[6:7], v[2:3], 0, v[42:43]
	s_nop 0
	v_mov_b32_dpp v48, v2 row_ror:4 row_mask:0xf bank_mask:0xf bound_ctrl:1
	v_mov_b32_dpp v47, v7 row_ror:4 row_mask:0xf bank_mask:0xf bound_ctrl:1
	v_lshl_add_u64 v[2:3], v[6:7], 0, v[48:49]
	v_lshl_add_u64 v[6:7], v[2:3], 0, v[46:47]
	s_nop 0
	v_mov_b32_dpp v52, v2 row_ror:8 row_mask:0xf bank_mask:0xf bound_ctrl:1
	v_mov_b32_dpp v51, v7 row_ror:8 row_mask:0xf bank_mask:0xf bound_ctrl:1
	v_lshl_add_u64 v[2:3], v[6:7], 0, v[52:53]
	v_lshl_add_u64 v[6:7], v[2:3], 0, v[50:51]
	s_nop 0
	v_mov_b32_dpp v56, v2 row_bcast:15 row_mask:0xf bank_mask:0xf bound_ctrl:1
	v_mov_b32_dpp v55, v7 row_bcast:15 row_mask:0xf bank_mask:0xf bound_ctrl:1
	v_lshl_add_u64 v[2:3], v[6:7], 0, v[56:57]
	v_lshl_add_u64 v[6:7], v[2:3], 0, v[54:55]
	s_nop 0
	v_mov_b32_dpp v58, v2 row_bcast:31 row_mask:0xf bank_mask:0xf bound_ctrl:1
	v_lshl_add_u64 v[2:3], v[6:7], 0, v[58:59]
	ds_bpermute_b32 v2, v35, v2
	s_nop 0
	v_add_u32_dpp v3, v7, v3 row_bcast:31 row_mask:0xf bank_mask:0xf bound_ctrl:1
	ds_bpermute_b32 v3, v35, v3
	s_and_saveexec_b64 s[4:5], vcc
	s_cbranch_execz .LBB76_3
; %bb.2:
	v_lshrrev_b32_e32 v6, 3, v0
	v_and_b32_e32 v6, 24, v6
	s_waitcnt lgkmcnt(0)
	ds_write_b64 v6, v[2:3]
.LBB76_3:
	s_or_b64 exec, exec, s[4:5]
	v_cmp_gt_u32_e32 vcc, 64, v0
	s_waitcnt lgkmcnt(0)
	s_barrier
	s_and_saveexec_b64 s[4:5], vcc
	s_cbranch_execz .LBB76_5
; %bb.4:
	v_and_b32_e32 v6, 3, v4
	v_lshlrev_b32_e32 v2, 3, v6
	ds_read_b64 v[2:3], v2
	v_cmp_ne_u32_e32 vcc, 3, v6
	v_or_b32_e32 v8, 8, v5
	s_nop 0
	v_addc_co_u32_e32 v4, vcc, 0, v4, vcc
	v_lshlrev_b32_e32 v6, 2, v4
	s_waitcnt lgkmcnt(0)
	ds_bpermute_b32 v4, v6, v2
	ds_bpermute_b32 v7, v6, v3
	v_mov_b32_e32 v6, 0
	v_mov_b32_e32 v5, v6
	s_waitcnt lgkmcnt(1)
	v_lshl_add_u64 v[2:3], v[2:3], 0, v[4:5]
	s_waitcnt lgkmcnt(0)
	v_lshl_add_u64 v[4:5], v[6:7], 0, v[2:3]
	ds_bpermute_b32 v2, v8, v2
	ds_bpermute_b32 v7, v8, v5
	v_mov_b32_e32 v3, v6
	s_waitcnt lgkmcnt(1)
	v_lshl_add_u64 v[2:3], v[4:5], 0, v[2:3]
	s_waitcnt lgkmcnt(0)
	v_lshl_add_u64 v[2:3], v[2:3], 0, v[6:7]
.LBB76_5:
	s_or_b64 exec, exec, s[4:5]
	s_branch .LBB76_48
.LBB76_6:
                                        ; implicit-def: $vgpr2_vgpr3
	s_cbranch_execz .LBB76_48
; %bb.7:
	s_sub_i32 s33, s40, s0
	v_mov_b32_e32 v2, 0
	v_cmp_gt_u32_e32 vcc, s33, v0
	v_mov_b32_e32 v3, v2
	v_mov_b32_e32 v4, v2
	;; [unrolled: 1-line block ×31, first 2 shown]
	s_and_saveexec_b64 s[0:1], vcc
	s_cbranch_execz .LBB76_9
; %bb.8:
	global_load_dwordx2 v[36:37], v34, s[34:35]
	v_mov_b32_e32 v38, v2
	v_mov_b32_e32 v39, v2
	;; [unrolled: 1-line block ×30, first 2 shown]
	s_waitcnt vmcnt(0)
	v_mov_b64_e32 v[2:3], v[36:37]
	v_mov_b64_e32 v[4:5], v[38:39]
	;; [unrolled: 1-line block ×16, first 2 shown]
.LBB76_9:
	s_or_b64 exec, exec, s[0:1]
	v_or_b32_e32 v35, 0x100, v0
	v_cmp_gt_u32_e32 vcc, s33, v35
	s_and_saveexec_b64 s[0:1], vcc
	s_cbranch_execz .LBB76_11
; %bb.10:
	global_load_dwordx2 v[4:5], v34, s[34:35] offset:2048
.LBB76_11:
	s_or_b64 exec, exec, s[0:1]
	v_or_b32_e32 v34, 0x200, v0
	v_cmp_gt_u32_e64 s[0:1], s33, v34
	s_and_saveexec_b64 s[4:5], s[0:1]
	s_cbranch_execz .LBB76_13
; %bb.12:
	v_lshlrev_b32_e32 v6, 3, v34
	global_load_dwordx2 v[6:7], v6, s[34:35]
.LBB76_13:
	s_or_b64 exec, exec, s[4:5]
	v_or_b32_e32 v34, 0x300, v0
	v_cmp_gt_u32_e64 s[4:5], s33, v34
	s_and_saveexec_b64 s[6:7], s[4:5]
	s_cbranch_execz .LBB76_15
; %bb.14:
	v_lshlrev_b32_e32 v8, 3, v34
	global_load_dwordx2 v[8:9], v8, s[34:35]
.LBB76_15:
	s_or_b64 exec, exec, s[6:7]
	v_or_b32_e32 v34, 0x400, v0
	v_cmp_gt_u32_e64 s[6:7], s33, v34
	s_and_saveexec_b64 s[8:9], s[6:7]
	s_cbranch_execz .LBB76_17
; %bb.16:
	v_lshlrev_b32_e32 v10, 3, v34
	global_load_dwordx2 v[10:11], v10, s[34:35]
.LBB76_17:
	s_or_b64 exec, exec, s[8:9]
	v_or_b32_e32 v34, 0x500, v0
	v_cmp_gt_u32_e64 s[8:9], s33, v34
	s_and_saveexec_b64 s[10:11], s[8:9]
	s_cbranch_execz .LBB76_19
; %bb.18:
	v_lshlrev_b32_e32 v12, 3, v34
	global_load_dwordx2 v[12:13], v12, s[34:35]
.LBB76_19:
	s_or_b64 exec, exec, s[10:11]
	v_or_b32_e32 v34, 0x600, v0
	v_cmp_gt_u32_e64 s[10:11], s33, v34
	s_and_saveexec_b64 s[12:13], s[10:11]
	s_cbranch_execz .LBB76_21
; %bb.20:
	v_lshlrev_b32_e32 v14, 3, v34
	global_load_dwordx2 v[14:15], v14, s[34:35]
.LBB76_21:
	s_or_b64 exec, exec, s[12:13]
	v_or_b32_e32 v34, 0x700, v0
	v_cmp_gt_u32_e64 s[12:13], s33, v34
	s_and_saveexec_b64 s[14:15], s[12:13]
	s_cbranch_execz .LBB76_23
; %bb.22:
	v_lshlrev_b32_e32 v16, 3, v34
	global_load_dwordx2 v[16:17], v16, s[34:35]
.LBB76_23:
	s_or_b64 exec, exec, s[14:15]
	v_or_b32_e32 v34, 0x800, v0
	v_cmp_gt_u32_e64 s[14:15], s33, v34
	s_and_saveexec_b64 s[16:17], s[14:15]
	s_cbranch_execz .LBB76_25
; %bb.24:
	v_lshlrev_b32_e32 v18, 3, v34
	global_load_dwordx2 v[18:19], v18, s[34:35]
.LBB76_25:
	s_or_b64 exec, exec, s[16:17]
	v_or_b32_e32 v34, 0x900, v0
	v_cmp_gt_u32_e64 s[16:17], s33, v34
	s_and_saveexec_b64 s[18:19], s[16:17]
	s_cbranch_execz .LBB76_27
; %bb.26:
	v_lshlrev_b32_e32 v20, 3, v34
	global_load_dwordx2 v[20:21], v20, s[34:35]
.LBB76_27:
	s_or_b64 exec, exec, s[18:19]
	v_or_b32_e32 v34, 0xa00, v0
	v_cmp_gt_u32_e64 s[18:19], s33, v34
	s_and_saveexec_b64 s[20:21], s[18:19]
	s_cbranch_execz .LBB76_29
; %bb.28:
	v_lshlrev_b32_e32 v22, 3, v34
	global_load_dwordx2 v[22:23], v22, s[34:35]
.LBB76_29:
	s_or_b64 exec, exec, s[20:21]
	v_or_b32_e32 v34, 0xb00, v0
	v_cmp_gt_u32_e64 s[20:21], s33, v34
	s_and_saveexec_b64 s[22:23], s[20:21]
	s_cbranch_execz .LBB76_31
; %bb.30:
	v_lshlrev_b32_e32 v24, 3, v34
	global_load_dwordx2 v[24:25], v24, s[34:35]
.LBB76_31:
	s_or_b64 exec, exec, s[22:23]
	v_or_b32_e32 v34, 0xc00, v0
	v_cmp_gt_u32_e64 s[22:23], s33, v34
	s_and_saveexec_b64 s[24:25], s[22:23]
	s_cbranch_execz .LBB76_33
; %bb.32:
	v_lshlrev_b32_e32 v26, 3, v34
	global_load_dwordx2 v[26:27], v26, s[34:35]
.LBB76_33:
	s_or_b64 exec, exec, s[24:25]
	v_or_b32_e32 v34, 0xd00, v0
	v_cmp_gt_u32_e64 s[24:25], s33, v34
	s_and_saveexec_b64 s[26:27], s[24:25]
	s_cbranch_execz .LBB76_35
; %bb.34:
	v_lshlrev_b32_e32 v28, 3, v34
	global_load_dwordx2 v[28:29], v28, s[34:35]
.LBB76_35:
	s_or_b64 exec, exec, s[26:27]
	v_or_b32_e32 v34, 0xe00, v0
	v_cmp_gt_u32_e64 s[26:27], s33, v34
	s_and_saveexec_b64 s[28:29], s[26:27]
	s_cbranch_execz .LBB76_37
; %bb.36:
	v_lshlrev_b32_e32 v30, 3, v34
	global_load_dwordx2 v[30:31], v30, s[34:35]
.LBB76_37:
	s_or_b64 exec, exec, s[28:29]
	v_or_b32_e32 v34, 0xf00, v0
	v_cmp_gt_u32_e64 s[28:29], s33, v34
	s_and_saveexec_b64 s[36:37], s[28:29]
	s_cbranch_execz .LBB76_39
; %bb.38:
	v_lshlrev_b32_e32 v32, 3, v34
	global_load_dwordx2 v[32:33], v32, s[34:35]
.LBB76_39:
	s_or_b64 exec, exec, s[36:37]
	s_waitcnt vmcnt(0)
	v_cndmask_b32_e32 v5, 0, v5, vcc
	v_cndmask_b32_e32 v4, 0, v4, vcc
	v_lshl_add_u64 v[2:3], v[4:5], 0, v[2:3]
	v_cndmask_b32_e64 v5, 0, v7, s[0:1]
	v_cndmask_b32_e64 v4, 0, v6, s[0:1]
	v_lshl_add_u64 v[2:3], v[2:3], 0, v[4:5]
	v_cndmask_b32_e64 v5, 0, v9, s[4:5]
	v_cndmask_b32_e64 v4, 0, v8, s[4:5]
	;; [unrolled: 3-line block ×13, first 2 shown]
	v_mbcnt_hi_u32_b32 v1, -1, v1
	v_lshl_add_u64 v[2:3], v[2:3], 0, v[4:5]
	v_cndmask_b32_e64 v5, 0, v33, s[28:29]
	v_cndmask_b32_e64 v4, 0, v32, s[28:29]
	v_and_b32_e32 v9, 63, v1
	v_lshl_add_u64 v[2:3], v[2:3], 0, v[4:5]
	s_min_u32 s6, s33, 0x100
	v_and_b32_e32 v4, 0xc0, v0
	v_cmp_ne_u32_e32 vcc, 63, v9
	v_sub_u32_e64 v8, s6, v4 clamp
	v_mov_b32_e32 v6, 0
	v_addc_co_u32_e32 v4, vcc, 0, v1, vcc
	v_lshlrev_b32_e32 v5, 2, v4
	ds_bpermute_b32 v4, v5, v2
	ds_bpermute_b32 v7, v5, v3
	v_add_u32_e32 v10, 1, v9
	v_mov_b32_e32 v5, v6
	v_cmp_lt_u32_e64 s[0:1], v10, v8
	s_waitcnt lgkmcnt(1)
	v_lshl_add_u64 v[4:5], v[2:3], 0, v[4:5]
	v_cmp_gt_u32_e32 vcc, 62, v9
	s_waitcnt lgkmcnt(0)
	v_lshl_add_u64 v[6:7], v[4:5], 0, v[6:7]
	v_cndmask_b32_e64 v12, v2, v4, s[0:1]
	v_cndmask_b32_e64 v4, 0, 2, vcc
	v_cndmask_b32_e64 v5, v3, v7, s[0:1]
	v_add_lshl_u32 v4, v4, v1, 2
	ds_bpermute_b32 v10, v4, v12
	ds_bpermute_b32 v11, v4, v5
	v_cndmask_b32_e64 v4, v2, v6, s[0:1]
	v_add_u32_e32 v13, 2, v9
	v_cmp_lt_u32_e32 vcc, v13, v8
	v_cmp_gt_u32_e64 s[4:5], 60, v9
	s_waitcnt lgkmcnt(0)
	v_lshl_add_u64 v[6:7], v[10:11], 0, v[4:5]
	v_cndmask_b32_e32 v5, v5, v7, vcc
	v_cndmask_b32_e64 v7, 0, 4, s[4:5]
	v_cndmask_b32_e32 v12, v12, v6, vcc
	v_add_lshl_u32 v7, v7, v1, 2
	ds_bpermute_b32 v10, v7, v12
	ds_bpermute_b32 v11, v7, v5
	v_cndmask_b32_e32 v4, v4, v6, vcc
	v_add_u32_e32 v13, 4, v9
	v_cmp_lt_u32_e32 vcc, v13, v8
	v_cmp_gt_u32_e64 s[4:5], 56, v9
	s_waitcnt lgkmcnt(0)
	v_lshl_add_u64 v[6:7], v[10:11], 0, v[4:5]
	v_cndmask_b32_e32 v5, v5, v7, vcc
	v_cndmask_b32_e64 v7, 0, 8, s[4:5]
	v_cndmask_b32_e32 v12, v12, v6, vcc
	v_add_lshl_u32 v7, v7, v1, 2
	ds_bpermute_b32 v10, v7, v12
	ds_bpermute_b32 v11, v7, v5
	v_cndmask_b32_e32 v4, v4, v6, vcc
	;; [unrolled: 12-line block ×3, first 2 shown]
	v_add_u32_e32 v13, 16, v9
	v_cmp_lt_u32_e32 vcc, v13, v8
	s_waitcnt lgkmcnt(0)
	v_lshl_add_u64 v[6:7], v[10:11], 0, v[4:5]
	v_lshlrev_b32_e32 v10, 2, v1
	v_cndmask_b32_e32 v13, v5, v7, vcc
	v_cndmask_b32_e32 v11, v12, v6, vcc
	v_or_b32_e32 v12, 0x80, v10
	ds_bpermute_b32 v11, v12, v11
	ds_bpermute_b32 v12, v12, v13
	s_and_saveexec_b64 s[4:5], s[0:1]
	s_cbranch_execz .LBB76_41
; %bb.40:
	v_add_u32_e32 v9, 32, v9
	v_cndmask_b32_e32 v3, v5, v7, vcc
	v_cndmask_b32_e32 v2, v4, v6, vcc
	v_cmp_lt_u32_e32 vcc, v9, v8
	s_waitcnt lgkmcnt(0)
	s_nop 0
	v_cndmask_b32_e32 v5, 0, v12, vcc
	v_cndmask_b32_e32 v4, 0, v11, vcc
	v_lshl_add_u64 v[2:3], v[2:3], 0, v[4:5]
.LBB76_41:
	s_or_b64 exec, exec, s[4:5]
	v_cmp_eq_u32_e32 vcc, 0, v1
	s_and_saveexec_b64 s[0:1], vcc
; %bb.42:
	v_lshrrev_b32_e32 v4, 3, v0
	v_and_b32_e32 v4, 24, v4
	ds_write_b64 v4, v[2:3] offset:32
; %bb.43:
	s_or_b64 exec, exec, s[0:1]
	v_cmp_gt_u32_e32 vcc, 4, v0
	s_waitcnt lgkmcnt(0)
	s_barrier
	s_and_saveexec_b64 s[0:1], vcc
	s_cbranch_execz .LBB76_47
; %bb.44:
	v_lshlrev_b32_e32 v2, 3, v1
	ds_read_b64 v[2:3], v2 offset:32
	v_and_b32_e32 v6, 3, v1
	v_cmp_ne_u32_e32 vcc, 3, v6
	v_mov_b32_e32 v8, 0
	s_add_i32 s6, s6, 63
	v_addc_co_u32_e32 v1, vcc, 0, v1, vcc
	v_lshlrev_b32_e32 v1, 2, v1
	s_waitcnt lgkmcnt(0)
	ds_bpermute_b32 v4, v1, v2
	ds_bpermute_b32 v9, v1, v3
	v_mov_b32_e32 v5, v8
	s_lshr_b32 s6, s6, 6
	v_add_u32_e32 v1, 1, v6
	s_waitcnt lgkmcnt(1)
	v_lshl_add_u64 v[12:13], v[2:3], 0, v[4:5]
	s_waitcnt lgkmcnt(0)
	v_lshl_add_u64 v[4:5], v[8:9], 0, v[12:13]
	v_cmp_gt_u32_e32 vcc, s6, v1
	v_or_b32_e32 v8, 8, v10
	s_nop 0
	v_cndmask_b32_e32 v7, v3, v5, vcc
	v_cndmask_b32_e32 v1, v2, v12, vcc
	ds_bpermute_b32 v1, v8, v1
	ds_bpermute_b32 v7, v8, v7
	s_and_saveexec_b64 s[4:5], vcc
	s_cbranch_execz .LBB76_46
; %bb.45:
	v_add_u32_e32 v2, 2, v6
	v_cmp_gt_u32_e32 vcc, s6, v2
	s_waitcnt lgkmcnt(0)
	s_nop 0
	v_cndmask_b32_e32 v3, 0, v7, vcc
	v_cndmask_b32_e32 v2, 0, v1, vcc
	v_lshl_add_u64 v[2:3], v[2:3], 0, v[4:5]
.LBB76_46:
	s_or_b64 exec, exec, s[4:5]
.LBB76_47:
	s_or_b64 exec, exec, s[0:1]
.LBB76_48:
	v_cmp_eq_u32_e32 vcc, 0, v0
	s_and_saveexec_b64 s[0:1], vcc
	s_cbranch_execnz .LBB76_50
; %bb.49:
	s_endpgm
.LBB76_50:
	s_mul_i32 s0, s46, s45
	s_mul_hi_u32 s1, s46, s44
	s_add_i32 s0, s1, s0
	s_mul_i32 s1, s47, s44
	s_add_i32 s1, s0, s1
	s_mul_i32 s0, s46, s44
	s_lshl_b64 s[0:1], s[0:1], 3
	s_add_u32 s4, s42, s0
	s_addc_u32 s5, s43, s1
	s_cmp_eq_u64 s[40:41], 0
	v_mov_b32_e32 v0, s31
	s_cselect_b64 vcc, -1, 0
	s_lshl_b64 s[0:1], s[2:3], 3
	s_waitcnt lgkmcnt(1)
	v_cndmask_b32_e32 v1, v3, v0, vcc
	v_mov_b32_e32 v0, s30
	s_add_u32 s0, s4, s0
	v_cndmask_b32_e32 v0, v2, v0, vcc
	s_addc_u32 s1, s5, s1
	v_mov_b32_e32 v2, 0
	global_store_dwordx2 v2, v[0:1], s[0:1]
	s_endpgm
	.section	.rodata,"a",@progbits
	.p2align	6, 0x0
	.amdhsa_kernel _ZN7rocprim17ROCPRIM_400000_NS6detail17trampoline_kernelINS0_14default_configENS1_22reduce_config_selectorIyEEZNS1_11reduce_implILb1ES3_PyS7_yN6thrust23THRUST_200600_302600_NS4plusIyEEEE10hipError_tPvRmT1_T2_T3_mT4_P12ihipStream_tbEUlT_E0_NS1_11comp_targetILNS1_3genE0ELNS1_11target_archE4294967295ELNS1_3gpuE0ELNS1_3repE0EEENS1_30default_config_static_selectorELNS0_4arch9wavefront6targetE1EEEvSF_
		.amdhsa_group_segment_fixed_size 64
		.amdhsa_private_segment_fixed_size 0
		.amdhsa_kernarg_size 64
		.amdhsa_user_sgpr_count 2
		.amdhsa_user_sgpr_dispatch_ptr 0
		.amdhsa_user_sgpr_queue_ptr 0
		.amdhsa_user_sgpr_kernarg_segment_ptr 1
		.amdhsa_user_sgpr_dispatch_id 0
		.amdhsa_user_sgpr_kernarg_preload_length 0
		.amdhsa_user_sgpr_kernarg_preload_offset 0
		.amdhsa_user_sgpr_private_segment_size 0
		.amdhsa_uses_dynamic_stack 0
		.amdhsa_enable_private_segment 0
		.amdhsa_system_sgpr_workgroup_id_x 1
		.amdhsa_system_sgpr_workgroup_id_y 0
		.amdhsa_system_sgpr_workgroup_id_z 0
		.amdhsa_system_sgpr_workgroup_info 0
		.amdhsa_system_vgpr_workitem_id 0
		.amdhsa_next_free_vgpr 68
		.amdhsa_next_free_sgpr 48
		.amdhsa_accum_offset 68
		.amdhsa_reserve_vcc 1
		.amdhsa_float_round_mode_32 0
		.amdhsa_float_round_mode_16_64 0
		.amdhsa_float_denorm_mode_32 3
		.amdhsa_float_denorm_mode_16_64 3
		.amdhsa_dx10_clamp 1
		.amdhsa_ieee_mode 1
		.amdhsa_fp16_overflow 0
		.amdhsa_tg_split 0
		.amdhsa_exception_fp_ieee_invalid_op 0
		.amdhsa_exception_fp_denorm_src 0
		.amdhsa_exception_fp_ieee_div_zero 0
		.amdhsa_exception_fp_ieee_overflow 0
		.amdhsa_exception_fp_ieee_underflow 0
		.amdhsa_exception_fp_ieee_inexact 0
		.amdhsa_exception_int_div_zero 0
	.end_amdhsa_kernel
	.section	.text._ZN7rocprim17ROCPRIM_400000_NS6detail17trampoline_kernelINS0_14default_configENS1_22reduce_config_selectorIyEEZNS1_11reduce_implILb1ES3_PyS7_yN6thrust23THRUST_200600_302600_NS4plusIyEEEE10hipError_tPvRmT1_T2_T3_mT4_P12ihipStream_tbEUlT_E0_NS1_11comp_targetILNS1_3genE0ELNS1_11target_archE4294967295ELNS1_3gpuE0ELNS1_3repE0EEENS1_30default_config_static_selectorELNS0_4arch9wavefront6targetE1EEEvSF_,"axG",@progbits,_ZN7rocprim17ROCPRIM_400000_NS6detail17trampoline_kernelINS0_14default_configENS1_22reduce_config_selectorIyEEZNS1_11reduce_implILb1ES3_PyS7_yN6thrust23THRUST_200600_302600_NS4plusIyEEEE10hipError_tPvRmT1_T2_T3_mT4_P12ihipStream_tbEUlT_E0_NS1_11comp_targetILNS1_3genE0ELNS1_11target_archE4294967295ELNS1_3gpuE0ELNS1_3repE0EEENS1_30default_config_static_selectorELNS0_4arch9wavefront6targetE1EEEvSF_,comdat
.Lfunc_end76:
	.size	_ZN7rocprim17ROCPRIM_400000_NS6detail17trampoline_kernelINS0_14default_configENS1_22reduce_config_selectorIyEEZNS1_11reduce_implILb1ES3_PyS7_yN6thrust23THRUST_200600_302600_NS4plusIyEEEE10hipError_tPvRmT1_T2_T3_mT4_P12ihipStream_tbEUlT_E0_NS1_11comp_targetILNS1_3genE0ELNS1_11target_archE4294967295ELNS1_3gpuE0ELNS1_3repE0EEENS1_30default_config_static_selectorELNS0_4arch9wavefront6targetE1EEEvSF_, .Lfunc_end76-_ZN7rocprim17ROCPRIM_400000_NS6detail17trampoline_kernelINS0_14default_configENS1_22reduce_config_selectorIyEEZNS1_11reduce_implILb1ES3_PyS7_yN6thrust23THRUST_200600_302600_NS4plusIyEEEE10hipError_tPvRmT1_T2_T3_mT4_P12ihipStream_tbEUlT_E0_NS1_11comp_targetILNS1_3genE0ELNS1_11target_archE4294967295ELNS1_3gpuE0ELNS1_3repE0EEENS1_30default_config_static_selectorELNS0_4arch9wavefront6targetE1EEEvSF_
                                        ; -- End function
	.set _ZN7rocprim17ROCPRIM_400000_NS6detail17trampoline_kernelINS0_14default_configENS1_22reduce_config_selectorIyEEZNS1_11reduce_implILb1ES3_PyS7_yN6thrust23THRUST_200600_302600_NS4plusIyEEEE10hipError_tPvRmT1_T2_T3_mT4_P12ihipStream_tbEUlT_E0_NS1_11comp_targetILNS1_3genE0ELNS1_11target_archE4294967295ELNS1_3gpuE0ELNS1_3repE0EEENS1_30default_config_static_selectorELNS0_4arch9wavefront6targetE1EEEvSF_.num_vgpr, 68
	.set _ZN7rocprim17ROCPRIM_400000_NS6detail17trampoline_kernelINS0_14default_configENS1_22reduce_config_selectorIyEEZNS1_11reduce_implILb1ES3_PyS7_yN6thrust23THRUST_200600_302600_NS4plusIyEEEE10hipError_tPvRmT1_T2_T3_mT4_P12ihipStream_tbEUlT_E0_NS1_11comp_targetILNS1_3genE0ELNS1_11target_archE4294967295ELNS1_3gpuE0ELNS1_3repE0EEENS1_30default_config_static_selectorELNS0_4arch9wavefront6targetE1EEEvSF_.num_agpr, 0
	.set _ZN7rocprim17ROCPRIM_400000_NS6detail17trampoline_kernelINS0_14default_configENS1_22reduce_config_selectorIyEEZNS1_11reduce_implILb1ES3_PyS7_yN6thrust23THRUST_200600_302600_NS4plusIyEEEE10hipError_tPvRmT1_T2_T3_mT4_P12ihipStream_tbEUlT_E0_NS1_11comp_targetILNS1_3genE0ELNS1_11target_archE4294967295ELNS1_3gpuE0ELNS1_3repE0EEENS1_30default_config_static_selectorELNS0_4arch9wavefront6targetE1EEEvSF_.numbered_sgpr, 48
	.set _ZN7rocprim17ROCPRIM_400000_NS6detail17trampoline_kernelINS0_14default_configENS1_22reduce_config_selectorIyEEZNS1_11reduce_implILb1ES3_PyS7_yN6thrust23THRUST_200600_302600_NS4plusIyEEEE10hipError_tPvRmT1_T2_T3_mT4_P12ihipStream_tbEUlT_E0_NS1_11comp_targetILNS1_3genE0ELNS1_11target_archE4294967295ELNS1_3gpuE0ELNS1_3repE0EEENS1_30default_config_static_selectorELNS0_4arch9wavefront6targetE1EEEvSF_.num_named_barrier, 0
	.set _ZN7rocprim17ROCPRIM_400000_NS6detail17trampoline_kernelINS0_14default_configENS1_22reduce_config_selectorIyEEZNS1_11reduce_implILb1ES3_PyS7_yN6thrust23THRUST_200600_302600_NS4plusIyEEEE10hipError_tPvRmT1_T2_T3_mT4_P12ihipStream_tbEUlT_E0_NS1_11comp_targetILNS1_3genE0ELNS1_11target_archE4294967295ELNS1_3gpuE0ELNS1_3repE0EEENS1_30default_config_static_selectorELNS0_4arch9wavefront6targetE1EEEvSF_.private_seg_size, 0
	.set _ZN7rocprim17ROCPRIM_400000_NS6detail17trampoline_kernelINS0_14default_configENS1_22reduce_config_selectorIyEEZNS1_11reduce_implILb1ES3_PyS7_yN6thrust23THRUST_200600_302600_NS4plusIyEEEE10hipError_tPvRmT1_T2_T3_mT4_P12ihipStream_tbEUlT_E0_NS1_11comp_targetILNS1_3genE0ELNS1_11target_archE4294967295ELNS1_3gpuE0ELNS1_3repE0EEENS1_30default_config_static_selectorELNS0_4arch9wavefront6targetE1EEEvSF_.uses_vcc, 1
	.set _ZN7rocprim17ROCPRIM_400000_NS6detail17trampoline_kernelINS0_14default_configENS1_22reduce_config_selectorIyEEZNS1_11reduce_implILb1ES3_PyS7_yN6thrust23THRUST_200600_302600_NS4plusIyEEEE10hipError_tPvRmT1_T2_T3_mT4_P12ihipStream_tbEUlT_E0_NS1_11comp_targetILNS1_3genE0ELNS1_11target_archE4294967295ELNS1_3gpuE0ELNS1_3repE0EEENS1_30default_config_static_selectorELNS0_4arch9wavefront6targetE1EEEvSF_.uses_flat_scratch, 0
	.set _ZN7rocprim17ROCPRIM_400000_NS6detail17trampoline_kernelINS0_14default_configENS1_22reduce_config_selectorIyEEZNS1_11reduce_implILb1ES3_PyS7_yN6thrust23THRUST_200600_302600_NS4plusIyEEEE10hipError_tPvRmT1_T2_T3_mT4_P12ihipStream_tbEUlT_E0_NS1_11comp_targetILNS1_3genE0ELNS1_11target_archE4294967295ELNS1_3gpuE0ELNS1_3repE0EEENS1_30default_config_static_selectorELNS0_4arch9wavefront6targetE1EEEvSF_.has_dyn_sized_stack, 0
	.set _ZN7rocprim17ROCPRIM_400000_NS6detail17trampoline_kernelINS0_14default_configENS1_22reduce_config_selectorIyEEZNS1_11reduce_implILb1ES3_PyS7_yN6thrust23THRUST_200600_302600_NS4plusIyEEEE10hipError_tPvRmT1_T2_T3_mT4_P12ihipStream_tbEUlT_E0_NS1_11comp_targetILNS1_3genE0ELNS1_11target_archE4294967295ELNS1_3gpuE0ELNS1_3repE0EEENS1_30default_config_static_selectorELNS0_4arch9wavefront6targetE1EEEvSF_.has_recursion, 0
	.set _ZN7rocprim17ROCPRIM_400000_NS6detail17trampoline_kernelINS0_14default_configENS1_22reduce_config_selectorIyEEZNS1_11reduce_implILb1ES3_PyS7_yN6thrust23THRUST_200600_302600_NS4plusIyEEEE10hipError_tPvRmT1_T2_T3_mT4_P12ihipStream_tbEUlT_E0_NS1_11comp_targetILNS1_3genE0ELNS1_11target_archE4294967295ELNS1_3gpuE0ELNS1_3repE0EEENS1_30default_config_static_selectorELNS0_4arch9wavefront6targetE1EEEvSF_.has_indirect_call, 0
	.section	.AMDGPU.csdata,"",@progbits
; Kernel info:
; codeLenInByte = 3128
; TotalNumSgprs: 54
; NumVgprs: 68
; NumAgprs: 0
; TotalNumVgprs: 68
; ScratchSize: 0
; MemoryBound: 0
; FloatMode: 240
; IeeeMode: 1
; LDSByteSize: 64 bytes/workgroup (compile time only)
; SGPRBlocks: 6
; VGPRBlocks: 8
; NumSGPRsForWavesPerEU: 54
; NumVGPRsForWavesPerEU: 68
; AccumOffset: 68
; Occupancy: 7
; WaveLimiterHint : 1
; COMPUTE_PGM_RSRC2:SCRATCH_EN: 0
; COMPUTE_PGM_RSRC2:USER_SGPR: 2
; COMPUTE_PGM_RSRC2:TRAP_HANDLER: 0
; COMPUTE_PGM_RSRC2:TGID_X_EN: 1
; COMPUTE_PGM_RSRC2:TGID_Y_EN: 0
; COMPUTE_PGM_RSRC2:TGID_Z_EN: 0
; COMPUTE_PGM_RSRC2:TIDIG_COMP_CNT: 0
; COMPUTE_PGM_RSRC3_GFX90A:ACCUM_OFFSET: 16
; COMPUTE_PGM_RSRC3_GFX90A:TG_SPLIT: 0
	.section	.text._ZN7rocprim17ROCPRIM_400000_NS6detail17trampoline_kernelINS0_14default_configENS1_22reduce_config_selectorIyEEZNS1_11reduce_implILb1ES3_PyS7_yN6thrust23THRUST_200600_302600_NS4plusIyEEEE10hipError_tPvRmT1_T2_T3_mT4_P12ihipStream_tbEUlT_E0_NS1_11comp_targetILNS1_3genE5ELNS1_11target_archE942ELNS1_3gpuE9ELNS1_3repE0EEENS1_30default_config_static_selectorELNS0_4arch9wavefront6targetE1EEEvSF_,"axG",@progbits,_ZN7rocprim17ROCPRIM_400000_NS6detail17trampoline_kernelINS0_14default_configENS1_22reduce_config_selectorIyEEZNS1_11reduce_implILb1ES3_PyS7_yN6thrust23THRUST_200600_302600_NS4plusIyEEEE10hipError_tPvRmT1_T2_T3_mT4_P12ihipStream_tbEUlT_E0_NS1_11comp_targetILNS1_3genE5ELNS1_11target_archE942ELNS1_3gpuE9ELNS1_3repE0EEENS1_30default_config_static_selectorELNS0_4arch9wavefront6targetE1EEEvSF_,comdat
	.protected	_ZN7rocprim17ROCPRIM_400000_NS6detail17trampoline_kernelINS0_14default_configENS1_22reduce_config_selectorIyEEZNS1_11reduce_implILb1ES3_PyS7_yN6thrust23THRUST_200600_302600_NS4plusIyEEEE10hipError_tPvRmT1_T2_T3_mT4_P12ihipStream_tbEUlT_E0_NS1_11comp_targetILNS1_3genE5ELNS1_11target_archE942ELNS1_3gpuE9ELNS1_3repE0EEENS1_30default_config_static_selectorELNS0_4arch9wavefront6targetE1EEEvSF_ ; -- Begin function _ZN7rocprim17ROCPRIM_400000_NS6detail17trampoline_kernelINS0_14default_configENS1_22reduce_config_selectorIyEEZNS1_11reduce_implILb1ES3_PyS7_yN6thrust23THRUST_200600_302600_NS4plusIyEEEE10hipError_tPvRmT1_T2_T3_mT4_P12ihipStream_tbEUlT_E0_NS1_11comp_targetILNS1_3genE5ELNS1_11target_archE942ELNS1_3gpuE9ELNS1_3repE0EEENS1_30default_config_static_selectorELNS0_4arch9wavefront6targetE1EEEvSF_
	.globl	_ZN7rocprim17ROCPRIM_400000_NS6detail17trampoline_kernelINS0_14default_configENS1_22reduce_config_selectorIyEEZNS1_11reduce_implILb1ES3_PyS7_yN6thrust23THRUST_200600_302600_NS4plusIyEEEE10hipError_tPvRmT1_T2_T3_mT4_P12ihipStream_tbEUlT_E0_NS1_11comp_targetILNS1_3genE5ELNS1_11target_archE942ELNS1_3gpuE9ELNS1_3repE0EEENS1_30default_config_static_selectorELNS0_4arch9wavefront6targetE1EEEvSF_
	.p2align	8
	.type	_ZN7rocprim17ROCPRIM_400000_NS6detail17trampoline_kernelINS0_14default_configENS1_22reduce_config_selectorIyEEZNS1_11reduce_implILb1ES3_PyS7_yN6thrust23THRUST_200600_302600_NS4plusIyEEEE10hipError_tPvRmT1_T2_T3_mT4_P12ihipStream_tbEUlT_E0_NS1_11comp_targetILNS1_3genE5ELNS1_11target_archE942ELNS1_3gpuE9ELNS1_3repE0EEENS1_30default_config_static_selectorELNS0_4arch9wavefront6targetE1EEEvSF_,@function
_ZN7rocprim17ROCPRIM_400000_NS6detail17trampoline_kernelINS0_14default_configENS1_22reduce_config_selectorIyEEZNS1_11reduce_implILb1ES3_PyS7_yN6thrust23THRUST_200600_302600_NS4plusIyEEEE10hipError_tPvRmT1_T2_T3_mT4_P12ihipStream_tbEUlT_E0_NS1_11comp_targetILNS1_3genE5ELNS1_11target_archE942ELNS1_3gpuE9ELNS1_3repE0EEENS1_30default_config_static_selectorELNS0_4arch9wavefront6targetE1EEEvSF_: ; @_ZN7rocprim17ROCPRIM_400000_NS6detail17trampoline_kernelINS0_14default_configENS1_22reduce_config_selectorIyEEZNS1_11reduce_implILb1ES3_PyS7_yN6thrust23THRUST_200600_302600_NS4plusIyEEEE10hipError_tPvRmT1_T2_T3_mT4_P12ihipStream_tbEUlT_E0_NS1_11comp_targetILNS1_3genE5ELNS1_11target_archE942ELNS1_3gpuE9ELNS1_3repE0EEENS1_30default_config_static_selectorELNS0_4arch9wavefront6targetE1EEEvSF_
; %bb.0:
	.section	.rodata,"a",@progbits
	.p2align	6, 0x0
	.amdhsa_kernel _ZN7rocprim17ROCPRIM_400000_NS6detail17trampoline_kernelINS0_14default_configENS1_22reduce_config_selectorIyEEZNS1_11reduce_implILb1ES3_PyS7_yN6thrust23THRUST_200600_302600_NS4plusIyEEEE10hipError_tPvRmT1_T2_T3_mT4_P12ihipStream_tbEUlT_E0_NS1_11comp_targetILNS1_3genE5ELNS1_11target_archE942ELNS1_3gpuE9ELNS1_3repE0EEENS1_30default_config_static_selectorELNS0_4arch9wavefront6targetE1EEEvSF_
		.amdhsa_group_segment_fixed_size 0
		.amdhsa_private_segment_fixed_size 0
		.amdhsa_kernarg_size 64
		.amdhsa_user_sgpr_count 2
		.amdhsa_user_sgpr_dispatch_ptr 0
		.amdhsa_user_sgpr_queue_ptr 0
		.amdhsa_user_sgpr_kernarg_segment_ptr 1
		.amdhsa_user_sgpr_dispatch_id 0
		.amdhsa_user_sgpr_kernarg_preload_length 0
		.amdhsa_user_sgpr_kernarg_preload_offset 0
		.amdhsa_user_sgpr_private_segment_size 0
		.amdhsa_uses_dynamic_stack 0
		.amdhsa_enable_private_segment 0
		.amdhsa_system_sgpr_workgroup_id_x 1
		.amdhsa_system_sgpr_workgroup_id_y 0
		.amdhsa_system_sgpr_workgroup_id_z 0
		.amdhsa_system_sgpr_workgroup_info 0
		.amdhsa_system_vgpr_workitem_id 0
		.amdhsa_next_free_vgpr 1
		.amdhsa_next_free_sgpr 0
		.amdhsa_accum_offset 4
		.amdhsa_reserve_vcc 0
		.amdhsa_float_round_mode_32 0
		.amdhsa_float_round_mode_16_64 0
		.amdhsa_float_denorm_mode_32 3
		.amdhsa_float_denorm_mode_16_64 3
		.amdhsa_dx10_clamp 1
		.amdhsa_ieee_mode 1
		.amdhsa_fp16_overflow 0
		.amdhsa_tg_split 0
		.amdhsa_exception_fp_ieee_invalid_op 0
		.amdhsa_exception_fp_denorm_src 0
		.amdhsa_exception_fp_ieee_div_zero 0
		.amdhsa_exception_fp_ieee_overflow 0
		.amdhsa_exception_fp_ieee_underflow 0
		.amdhsa_exception_fp_ieee_inexact 0
		.amdhsa_exception_int_div_zero 0
	.end_amdhsa_kernel
	.section	.text._ZN7rocprim17ROCPRIM_400000_NS6detail17trampoline_kernelINS0_14default_configENS1_22reduce_config_selectorIyEEZNS1_11reduce_implILb1ES3_PyS7_yN6thrust23THRUST_200600_302600_NS4plusIyEEEE10hipError_tPvRmT1_T2_T3_mT4_P12ihipStream_tbEUlT_E0_NS1_11comp_targetILNS1_3genE5ELNS1_11target_archE942ELNS1_3gpuE9ELNS1_3repE0EEENS1_30default_config_static_selectorELNS0_4arch9wavefront6targetE1EEEvSF_,"axG",@progbits,_ZN7rocprim17ROCPRIM_400000_NS6detail17trampoline_kernelINS0_14default_configENS1_22reduce_config_selectorIyEEZNS1_11reduce_implILb1ES3_PyS7_yN6thrust23THRUST_200600_302600_NS4plusIyEEEE10hipError_tPvRmT1_T2_T3_mT4_P12ihipStream_tbEUlT_E0_NS1_11comp_targetILNS1_3genE5ELNS1_11target_archE942ELNS1_3gpuE9ELNS1_3repE0EEENS1_30default_config_static_selectorELNS0_4arch9wavefront6targetE1EEEvSF_,comdat
.Lfunc_end77:
	.size	_ZN7rocprim17ROCPRIM_400000_NS6detail17trampoline_kernelINS0_14default_configENS1_22reduce_config_selectorIyEEZNS1_11reduce_implILb1ES3_PyS7_yN6thrust23THRUST_200600_302600_NS4plusIyEEEE10hipError_tPvRmT1_T2_T3_mT4_P12ihipStream_tbEUlT_E0_NS1_11comp_targetILNS1_3genE5ELNS1_11target_archE942ELNS1_3gpuE9ELNS1_3repE0EEENS1_30default_config_static_selectorELNS0_4arch9wavefront6targetE1EEEvSF_, .Lfunc_end77-_ZN7rocprim17ROCPRIM_400000_NS6detail17trampoline_kernelINS0_14default_configENS1_22reduce_config_selectorIyEEZNS1_11reduce_implILb1ES3_PyS7_yN6thrust23THRUST_200600_302600_NS4plusIyEEEE10hipError_tPvRmT1_T2_T3_mT4_P12ihipStream_tbEUlT_E0_NS1_11comp_targetILNS1_3genE5ELNS1_11target_archE942ELNS1_3gpuE9ELNS1_3repE0EEENS1_30default_config_static_selectorELNS0_4arch9wavefront6targetE1EEEvSF_
                                        ; -- End function
	.set _ZN7rocprim17ROCPRIM_400000_NS6detail17trampoline_kernelINS0_14default_configENS1_22reduce_config_selectorIyEEZNS1_11reduce_implILb1ES3_PyS7_yN6thrust23THRUST_200600_302600_NS4plusIyEEEE10hipError_tPvRmT1_T2_T3_mT4_P12ihipStream_tbEUlT_E0_NS1_11comp_targetILNS1_3genE5ELNS1_11target_archE942ELNS1_3gpuE9ELNS1_3repE0EEENS1_30default_config_static_selectorELNS0_4arch9wavefront6targetE1EEEvSF_.num_vgpr, 0
	.set _ZN7rocprim17ROCPRIM_400000_NS6detail17trampoline_kernelINS0_14default_configENS1_22reduce_config_selectorIyEEZNS1_11reduce_implILb1ES3_PyS7_yN6thrust23THRUST_200600_302600_NS4plusIyEEEE10hipError_tPvRmT1_T2_T3_mT4_P12ihipStream_tbEUlT_E0_NS1_11comp_targetILNS1_3genE5ELNS1_11target_archE942ELNS1_3gpuE9ELNS1_3repE0EEENS1_30default_config_static_selectorELNS0_4arch9wavefront6targetE1EEEvSF_.num_agpr, 0
	.set _ZN7rocprim17ROCPRIM_400000_NS6detail17trampoline_kernelINS0_14default_configENS1_22reduce_config_selectorIyEEZNS1_11reduce_implILb1ES3_PyS7_yN6thrust23THRUST_200600_302600_NS4plusIyEEEE10hipError_tPvRmT1_T2_T3_mT4_P12ihipStream_tbEUlT_E0_NS1_11comp_targetILNS1_3genE5ELNS1_11target_archE942ELNS1_3gpuE9ELNS1_3repE0EEENS1_30default_config_static_selectorELNS0_4arch9wavefront6targetE1EEEvSF_.numbered_sgpr, 0
	.set _ZN7rocprim17ROCPRIM_400000_NS6detail17trampoline_kernelINS0_14default_configENS1_22reduce_config_selectorIyEEZNS1_11reduce_implILb1ES3_PyS7_yN6thrust23THRUST_200600_302600_NS4plusIyEEEE10hipError_tPvRmT1_T2_T3_mT4_P12ihipStream_tbEUlT_E0_NS1_11comp_targetILNS1_3genE5ELNS1_11target_archE942ELNS1_3gpuE9ELNS1_3repE0EEENS1_30default_config_static_selectorELNS0_4arch9wavefront6targetE1EEEvSF_.num_named_barrier, 0
	.set _ZN7rocprim17ROCPRIM_400000_NS6detail17trampoline_kernelINS0_14default_configENS1_22reduce_config_selectorIyEEZNS1_11reduce_implILb1ES3_PyS7_yN6thrust23THRUST_200600_302600_NS4plusIyEEEE10hipError_tPvRmT1_T2_T3_mT4_P12ihipStream_tbEUlT_E0_NS1_11comp_targetILNS1_3genE5ELNS1_11target_archE942ELNS1_3gpuE9ELNS1_3repE0EEENS1_30default_config_static_selectorELNS0_4arch9wavefront6targetE1EEEvSF_.private_seg_size, 0
	.set _ZN7rocprim17ROCPRIM_400000_NS6detail17trampoline_kernelINS0_14default_configENS1_22reduce_config_selectorIyEEZNS1_11reduce_implILb1ES3_PyS7_yN6thrust23THRUST_200600_302600_NS4plusIyEEEE10hipError_tPvRmT1_T2_T3_mT4_P12ihipStream_tbEUlT_E0_NS1_11comp_targetILNS1_3genE5ELNS1_11target_archE942ELNS1_3gpuE9ELNS1_3repE0EEENS1_30default_config_static_selectorELNS0_4arch9wavefront6targetE1EEEvSF_.uses_vcc, 0
	.set _ZN7rocprim17ROCPRIM_400000_NS6detail17trampoline_kernelINS0_14default_configENS1_22reduce_config_selectorIyEEZNS1_11reduce_implILb1ES3_PyS7_yN6thrust23THRUST_200600_302600_NS4plusIyEEEE10hipError_tPvRmT1_T2_T3_mT4_P12ihipStream_tbEUlT_E0_NS1_11comp_targetILNS1_3genE5ELNS1_11target_archE942ELNS1_3gpuE9ELNS1_3repE0EEENS1_30default_config_static_selectorELNS0_4arch9wavefront6targetE1EEEvSF_.uses_flat_scratch, 0
	.set _ZN7rocprim17ROCPRIM_400000_NS6detail17trampoline_kernelINS0_14default_configENS1_22reduce_config_selectorIyEEZNS1_11reduce_implILb1ES3_PyS7_yN6thrust23THRUST_200600_302600_NS4plusIyEEEE10hipError_tPvRmT1_T2_T3_mT4_P12ihipStream_tbEUlT_E0_NS1_11comp_targetILNS1_3genE5ELNS1_11target_archE942ELNS1_3gpuE9ELNS1_3repE0EEENS1_30default_config_static_selectorELNS0_4arch9wavefront6targetE1EEEvSF_.has_dyn_sized_stack, 0
	.set _ZN7rocprim17ROCPRIM_400000_NS6detail17trampoline_kernelINS0_14default_configENS1_22reduce_config_selectorIyEEZNS1_11reduce_implILb1ES3_PyS7_yN6thrust23THRUST_200600_302600_NS4plusIyEEEE10hipError_tPvRmT1_T2_T3_mT4_P12ihipStream_tbEUlT_E0_NS1_11comp_targetILNS1_3genE5ELNS1_11target_archE942ELNS1_3gpuE9ELNS1_3repE0EEENS1_30default_config_static_selectorELNS0_4arch9wavefront6targetE1EEEvSF_.has_recursion, 0
	.set _ZN7rocprim17ROCPRIM_400000_NS6detail17trampoline_kernelINS0_14default_configENS1_22reduce_config_selectorIyEEZNS1_11reduce_implILb1ES3_PyS7_yN6thrust23THRUST_200600_302600_NS4plusIyEEEE10hipError_tPvRmT1_T2_T3_mT4_P12ihipStream_tbEUlT_E0_NS1_11comp_targetILNS1_3genE5ELNS1_11target_archE942ELNS1_3gpuE9ELNS1_3repE0EEENS1_30default_config_static_selectorELNS0_4arch9wavefront6targetE1EEEvSF_.has_indirect_call, 0
	.section	.AMDGPU.csdata,"",@progbits
; Kernel info:
; codeLenInByte = 0
; TotalNumSgprs: 6
; NumVgprs: 0
; NumAgprs: 0
; TotalNumVgprs: 0
; ScratchSize: 0
; MemoryBound: 0
; FloatMode: 240
; IeeeMode: 1
; LDSByteSize: 0 bytes/workgroup (compile time only)
; SGPRBlocks: 0
; VGPRBlocks: 0
; NumSGPRsForWavesPerEU: 6
; NumVGPRsForWavesPerEU: 1
; AccumOffset: 4
; Occupancy: 8
; WaveLimiterHint : 0
; COMPUTE_PGM_RSRC2:SCRATCH_EN: 0
; COMPUTE_PGM_RSRC2:USER_SGPR: 2
; COMPUTE_PGM_RSRC2:TRAP_HANDLER: 0
; COMPUTE_PGM_RSRC2:TGID_X_EN: 1
; COMPUTE_PGM_RSRC2:TGID_Y_EN: 0
; COMPUTE_PGM_RSRC2:TGID_Z_EN: 0
; COMPUTE_PGM_RSRC2:TIDIG_COMP_CNT: 0
; COMPUTE_PGM_RSRC3_GFX90A:ACCUM_OFFSET: 0
; COMPUTE_PGM_RSRC3_GFX90A:TG_SPLIT: 0
	.section	.text._ZN7rocprim17ROCPRIM_400000_NS6detail17trampoline_kernelINS0_14default_configENS1_22reduce_config_selectorIyEEZNS1_11reduce_implILb1ES3_PyS7_yN6thrust23THRUST_200600_302600_NS4plusIyEEEE10hipError_tPvRmT1_T2_T3_mT4_P12ihipStream_tbEUlT_E0_NS1_11comp_targetILNS1_3genE4ELNS1_11target_archE910ELNS1_3gpuE8ELNS1_3repE0EEENS1_30default_config_static_selectorELNS0_4arch9wavefront6targetE1EEEvSF_,"axG",@progbits,_ZN7rocprim17ROCPRIM_400000_NS6detail17trampoline_kernelINS0_14default_configENS1_22reduce_config_selectorIyEEZNS1_11reduce_implILb1ES3_PyS7_yN6thrust23THRUST_200600_302600_NS4plusIyEEEE10hipError_tPvRmT1_T2_T3_mT4_P12ihipStream_tbEUlT_E0_NS1_11comp_targetILNS1_3genE4ELNS1_11target_archE910ELNS1_3gpuE8ELNS1_3repE0EEENS1_30default_config_static_selectorELNS0_4arch9wavefront6targetE1EEEvSF_,comdat
	.protected	_ZN7rocprim17ROCPRIM_400000_NS6detail17trampoline_kernelINS0_14default_configENS1_22reduce_config_selectorIyEEZNS1_11reduce_implILb1ES3_PyS7_yN6thrust23THRUST_200600_302600_NS4plusIyEEEE10hipError_tPvRmT1_T2_T3_mT4_P12ihipStream_tbEUlT_E0_NS1_11comp_targetILNS1_3genE4ELNS1_11target_archE910ELNS1_3gpuE8ELNS1_3repE0EEENS1_30default_config_static_selectorELNS0_4arch9wavefront6targetE1EEEvSF_ ; -- Begin function _ZN7rocprim17ROCPRIM_400000_NS6detail17trampoline_kernelINS0_14default_configENS1_22reduce_config_selectorIyEEZNS1_11reduce_implILb1ES3_PyS7_yN6thrust23THRUST_200600_302600_NS4plusIyEEEE10hipError_tPvRmT1_T2_T3_mT4_P12ihipStream_tbEUlT_E0_NS1_11comp_targetILNS1_3genE4ELNS1_11target_archE910ELNS1_3gpuE8ELNS1_3repE0EEENS1_30default_config_static_selectorELNS0_4arch9wavefront6targetE1EEEvSF_
	.globl	_ZN7rocprim17ROCPRIM_400000_NS6detail17trampoline_kernelINS0_14default_configENS1_22reduce_config_selectorIyEEZNS1_11reduce_implILb1ES3_PyS7_yN6thrust23THRUST_200600_302600_NS4plusIyEEEE10hipError_tPvRmT1_T2_T3_mT4_P12ihipStream_tbEUlT_E0_NS1_11comp_targetILNS1_3genE4ELNS1_11target_archE910ELNS1_3gpuE8ELNS1_3repE0EEENS1_30default_config_static_selectorELNS0_4arch9wavefront6targetE1EEEvSF_
	.p2align	8
	.type	_ZN7rocprim17ROCPRIM_400000_NS6detail17trampoline_kernelINS0_14default_configENS1_22reduce_config_selectorIyEEZNS1_11reduce_implILb1ES3_PyS7_yN6thrust23THRUST_200600_302600_NS4plusIyEEEE10hipError_tPvRmT1_T2_T3_mT4_P12ihipStream_tbEUlT_E0_NS1_11comp_targetILNS1_3genE4ELNS1_11target_archE910ELNS1_3gpuE8ELNS1_3repE0EEENS1_30default_config_static_selectorELNS0_4arch9wavefront6targetE1EEEvSF_,@function
_ZN7rocprim17ROCPRIM_400000_NS6detail17trampoline_kernelINS0_14default_configENS1_22reduce_config_selectorIyEEZNS1_11reduce_implILb1ES3_PyS7_yN6thrust23THRUST_200600_302600_NS4plusIyEEEE10hipError_tPvRmT1_T2_T3_mT4_P12ihipStream_tbEUlT_E0_NS1_11comp_targetILNS1_3genE4ELNS1_11target_archE910ELNS1_3gpuE8ELNS1_3repE0EEENS1_30default_config_static_selectorELNS0_4arch9wavefront6targetE1EEEvSF_: ; @_ZN7rocprim17ROCPRIM_400000_NS6detail17trampoline_kernelINS0_14default_configENS1_22reduce_config_selectorIyEEZNS1_11reduce_implILb1ES3_PyS7_yN6thrust23THRUST_200600_302600_NS4plusIyEEEE10hipError_tPvRmT1_T2_T3_mT4_P12ihipStream_tbEUlT_E0_NS1_11comp_targetILNS1_3genE4ELNS1_11target_archE910ELNS1_3gpuE8ELNS1_3repE0EEENS1_30default_config_static_selectorELNS0_4arch9wavefront6targetE1EEEvSF_
; %bb.0:
	.section	.rodata,"a",@progbits
	.p2align	6, 0x0
	.amdhsa_kernel _ZN7rocprim17ROCPRIM_400000_NS6detail17trampoline_kernelINS0_14default_configENS1_22reduce_config_selectorIyEEZNS1_11reduce_implILb1ES3_PyS7_yN6thrust23THRUST_200600_302600_NS4plusIyEEEE10hipError_tPvRmT1_T2_T3_mT4_P12ihipStream_tbEUlT_E0_NS1_11comp_targetILNS1_3genE4ELNS1_11target_archE910ELNS1_3gpuE8ELNS1_3repE0EEENS1_30default_config_static_selectorELNS0_4arch9wavefront6targetE1EEEvSF_
		.amdhsa_group_segment_fixed_size 0
		.amdhsa_private_segment_fixed_size 0
		.amdhsa_kernarg_size 64
		.amdhsa_user_sgpr_count 2
		.amdhsa_user_sgpr_dispatch_ptr 0
		.amdhsa_user_sgpr_queue_ptr 0
		.amdhsa_user_sgpr_kernarg_segment_ptr 1
		.amdhsa_user_sgpr_dispatch_id 0
		.amdhsa_user_sgpr_kernarg_preload_length 0
		.amdhsa_user_sgpr_kernarg_preload_offset 0
		.amdhsa_user_sgpr_private_segment_size 0
		.amdhsa_uses_dynamic_stack 0
		.amdhsa_enable_private_segment 0
		.amdhsa_system_sgpr_workgroup_id_x 1
		.amdhsa_system_sgpr_workgroup_id_y 0
		.amdhsa_system_sgpr_workgroup_id_z 0
		.amdhsa_system_sgpr_workgroup_info 0
		.amdhsa_system_vgpr_workitem_id 0
		.amdhsa_next_free_vgpr 1
		.amdhsa_next_free_sgpr 0
		.amdhsa_accum_offset 4
		.amdhsa_reserve_vcc 0
		.amdhsa_float_round_mode_32 0
		.amdhsa_float_round_mode_16_64 0
		.amdhsa_float_denorm_mode_32 3
		.amdhsa_float_denorm_mode_16_64 3
		.amdhsa_dx10_clamp 1
		.amdhsa_ieee_mode 1
		.amdhsa_fp16_overflow 0
		.amdhsa_tg_split 0
		.amdhsa_exception_fp_ieee_invalid_op 0
		.amdhsa_exception_fp_denorm_src 0
		.amdhsa_exception_fp_ieee_div_zero 0
		.amdhsa_exception_fp_ieee_overflow 0
		.amdhsa_exception_fp_ieee_underflow 0
		.amdhsa_exception_fp_ieee_inexact 0
		.amdhsa_exception_int_div_zero 0
	.end_amdhsa_kernel
	.section	.text._ZN7rocprim17ROCPRIM_400000_NS6detail17trampoline_kernelINS0_14default_configENS1_22reduce_config_selectorIyEEZNS1_11reduce_implILb1ES3_PyS7_yN6thrust23THRUST_200600_302600_NS4plusIyEEEE10hipError_tPvRmT1_T2_T3_mT4_P12ihipStream_tbEUlT_E0_NS1_11comp_targetILNS1_3genE4ELNS1_11target_archE910ELNS1_3gpuE8ELNS1_3repE0EEENS1_30default_config_static_selectorELNS0_4arch9wavefront6targetE1EEEvSF_,"axG",@progbits,_ZN7rocprim17ROCPRIM_400000_NS6detail17trampoline_kernelINS0_14default_configENS1_22reduce_config_selectorIyEEZNS1_11reduce_implILb1ES3_PyS7_yN6thrust23THRUST_200600_302600_NS4plusIyEEEE10hipError_tPvRmT1_T2_T3_mT4_P12ihipStream_tbEUlT_E0_NS1_11comp_targetILNS1_3genE4ELNS1_11target_archE910ELNS1_3gpuE8ELNS1_3repE0EEENS1_30default_config_static_selectorELNS0_4arch9wavefront6targetE1EEEvSF_,comdat
.Lfunc_end78:
	.size	_ZN7rocprim17ROCPRIM_400000_NS6detail17trampoline_kernelINS0_14default_configENS1_22reduce_config_selectorIyEEZNS1_11reduce_implILb1ES3_PyS7_yN6thrust23THRUST_200600_302600_NS4plusIyEEEE10hipError_tPvRmT1_T2_T3_mT4_P12ihipStream_tbEUlT_E0_NS1_11comp_targetILNS1_3genE4ELNS1_11target_archE910ELNS1_3gpuE8ELNS1_3repE0EEENS1_30default_config_static_selectorELNS0_4arch9wavefront6targetE1EEEvSF_, .Lfunc_end78-_ZN7rocprim17ROCPRIM_400000_NS6detail17trampoline_kernelINS0_14default_configENS1_22reduce_config_selectorIyEEZNS1_11reduce_implILb1ES3_PyS7_yN6thrust23THRUST_200600_302600_NS4plusIyEEEE10hipError_tPvRmT1_T2_T3_mT4_P12ihipStream_tbEUlT_E0_NS1_11comp_targetILNS1_3genE4ELNS1_11target_archE910ELNS1_3gpuE8ELNS1_3repE0EEENS1_30default_config_static_selectorELNS0_4arch9wavefront6targetE1EEEvSF_
                                        ; -- End function
	.set _ZN7rocprim17ROCPRIM_400000_NS6detail17trampoline_kernelINS0_14default_configENS1_22reduce_config_selectorIyEEZNS1_11reduce_implILb1ES3_PyS7_yN6thrust23THRUST_200600_302600_NS4plusIyEEEE10hipError_tPvRmT1_T2_T3_mT4_P12ihipStream_tbEUlT_E0_NS1_11comp_targetILNS1_3genE4ELNS1_11target_archE910ELNS1_3gpuE8ELNS1_3repE0EEENS1_30default_config_static_selectorELNS0_4arch9wavefront6targetE1EEEvSF_.num_vgpr, 0
	.set _ZN7rocprim17ROCPRIM_400000_NS6detail17trampoline_kernelINS0_14default_configENS1_22reduce_config_selectorIyEEZNS1_11reduce_implILb1ES3_PyS7_yN6thrust23THRUST_200600_302600_NS4plusIyEEEE10hipError_tPvRmT1_T2_T3_mT4_P12ihipStream_tbEUlT_E0_NS1_11comp_targetILNS1_3genE4ELNS1_11target_archE910ELNS1_3gpuE8ELNS1_3repE0EEENS1_30default_config_static_selectorELNS0_4arch9wavefront6targetE1EEEvSF_.num_agpr, 0
	.set _ZN7rocprim17ROCPRIM_400000_NS6detail17trampoline_kernelINS0_14default_configENS1_22reduce_config_selectorIyEEZNS1_11reduce_implILb1ES3_PyS7_yN6thrust23THRUST_200600_302600_NS4plusIyEEEE10hipError_tPvRmT1_T2_T3_mT4_P12ihipStream_tbEUlT_E0_NS1_11comp_targetILNS1_3genE4ELNS1_11target_archE910ELNS1_3gpuE8ELNS1_3repE0EEENS1_30default_config_static_selectorELNS0_4arch9wavefront6targetE1EEEvSF_.numbered_sgpr, 0
	.set _ZN7rocprim17ROCPRIM_400000_NS6detail17trampoline_kernelINS0_14default_configENS1_22reduce_config_selectorIyEEZNS1_11reduce_implILb1ES3_PyS7_yN6thrust23THRUST_200600_302600_NS4plusIyEEEE10hipError_tPvRmT1_T2_T3_mT4_P12ihipStream_tbEUlT_E0_NS1_11comp_targetILNS1_3genE4ELNS1_11target_archE910ELNS1_3gpuE8ELNS1_3repE0EEENS1_30default_config_static_selectorELNS0_4arch9wavefront6targetE1EEEvSF_.num_named_barrier, 0
	.set _ZN7rocprim17ROCPRIM_400000_NS6detail17trampoline_kernelINS0_14default_configENS1_22reduce_config_selectorIyEEZNS1_11reduce_implILb1ES3_PyS7_yN6thrust23THRUST_200600_302600_NS4plusIyEEEE10hipError_tPvRmT1_T2_T3_mT4_P12ihipStream_tbEUlT_E0_NS1_11comp_targetILNS1_3genE4ELNS1_11target_archE910ELNS1_3gpuE8ELNS1_3repE0EEENS1_30default_config_static_selectorELNS0_4arch9wavefront6targetE1EEEvSF_.private_seg_size, 0
	.set _ZN7rocprim17ROCPRIM_400000_NS6detail17trampoline_kernelINS0_14default_configENS1_22reduce_config_selectorIyEEZNS1_11reduce_implILb1ES3_PyS7_yN6thrust23THRUST_200600_302600_NS4plusIyEEEE10hipError_tPvRmT1_T2_T3_mT4_P12ihipStream_tbEUlT_E0_NS1_11comp_targetILNS1_3genE4ELNS1_11target_archE910ELNS1_3gpuE8ELNS1_3repE0EEENS1_30default_config_static_selectorELNS0_4arch9wavefront6targetE1EEEvSF_.uses_vcc, 0
	.set _ZN7rocprim17ROCPRIM_400000_NS6detail17trampoline_kernelINS0_14default_configENS1_22reduce_config_selectorIyEEZNS1_11reduce_implILb1ES3_PyS7_yN6thrust23THRUST_200600_302600_NS4plusIyEEEE10hipError_tPvRmT1_T2_T3_mT4_P12ihipStream_tbEUlT_E0_NS1_11comp_targetILNS1_3genE4ELNS1_11target_archE910ELNS1_3gpuE8ELNS1_3repE0EEENS1_30default_config_static_selectorELNS0_4arch9wavefront6targetE1EEEvSF_.uses_flat_scratch, 0
	.set _ZN7rocprim17ROCPRIM_400000_NS6detail17trampoline_kernelINS0_14default_configENS1_22reduce_config_selectorIyEEZNS1_11reduce_implILb1ES3_PyS7_yN6thrust23THRUST_200600_302600_NS4plusIyEEEE10hipError_tPvRmT1_T2_T3_mT4_P12ihipStream_tbEUlT_E0_NS1_11comp_targetILNS1_3genE4ELNS1_11target_archE910ELNS1_3gpuE8ELNS1_3repE0EEENS1_30default_config_static_selectorELNS0_4arch9wavefront6targetE1EEEvSF_.has_dyn_sized_stack, 0
	.set _ZN7rocprim17ROCPRIM_400000_NS6detail17trampoline_kernelINS0_14default_configENS1_22reduce_config_selectorIyEEZNS1_11reduce_implILb1ES3_PyS7_yN6thrust23THRUST_200600_302600_NS4plusIyEEEE10hipError_tPvRmT1_T2_T3_mT4_P12ihipStream_tbEUlT_E0_NS1_11comp_targetILNS1_3genE4ELNS1_11target_archE910ELNS1_3gpuE8ELNS1_3repE0EEENS1_30default_config_static_selectorELNS0_4arch9wavefront6targetE1EEEvSF_.has_recursion, 0
	.set _ZN7rocprim17ROCPRIM_400000_NS6detail17trampoline_kernelINS0_14default_configENS1_22reduce_config_selectorIyEEZNS1_11reduce_implILb1ES3_PyS7_yN6thrust23THRUST_200600_302600_NS4plusIyEEEE10hipError_tPvRmT1_T2_T3_mT4_P12ihipStream_tbEUlT_E0_NS1_11comp_targetILNS1_3genE4ELNS1_11target_archE910ELNS1_3gpuE8ELNS1_3repE0EEENS1_30default_config_static_selectorELNS0_4arch9wavefront6targetE1EEEvSF_.has_indirect_call, 0
	.section	.AMDGPU.csdata,"",@progbits
; Kernel info:
; codeLenInByte = 0
; TotalNumSgprs: 6
; NumVgprs: 0
; NumAgprs: 0
; TotalNumVgprs: 0
; ScratchSize: 0
; MemoryBound: 0
; FloatMode: 240
; IeeeMode: 1
; LDSByteSize: 0 bytes/workgroup (compile time only)
; SGPRBlocks: 0
; VGPRBlocks: 0
; NumSGPRsForWavesPerEU: 6
; NumVGPRsForWavesPerEU: 1
; AccumOffset: 4
; Occupancy: 8
; WaveLimiterHint : 0
; COMPUTE_PGM_RSRC2:SCRATCH_EN: 0
; COMPUTE_PGM_RSRC2:USER_SGPR: 2
; COMPUTE_PGM_RSRC2:TRAP_HANDLER: 0
; COMPUTE_PGM_RSRC2:TGID_X_EN: 1
; COMPUTE_PGM_RSRC2:TGID_Y_EN: 0
; COMPUTE_PGM_RSRC2:TGID_Z_EN: 0
; COMPUTE_PGM_RSRC2:TIDIG_COMP_CNT: 0
; COMPUTE_PGM_RSRC3_GFX90A:ACCUM_OFFSET: 0
; COMPUTE_PGM_RSRC3_GFX90A:TG_SPLIT: 0
	.section	.text._ZN7rocprim17ROCPRIM_400000_NS6detail17trampoline_kernelINS0_14default_configENS1_22reduce_config_selectorIyEEZNS1_11reduce_implILb1ES3_PyS7_yN6thrust23THRUST_200600_302600_NS4plusIyEEEE10hipError_tPvRmT1_T2_T3_mT4_P12ihipStream_tbEUlT_E0_NS1_11comp_targetILNS1_3genE3ELNS1_11target_archE908ELNS1_3gpuE7ELNS1_3repE0EEENS1_30default_config_static_selectorELNS0_4arch9wavefront6targetE1EEEvSF_,"axG",@progbits,_ZN7rocprim17ROCPRIM_400000_NS6detail17trampoline_kernelINS0_14default_configENS1_22reduce_config_selectorIyEEZNS1_11reduce_implILb1ES3_PyS7_yN6thrust23THRUST_200600_302600_NS4plusIyEEEE10hipError_tPvRmT1_T2_T3_mT4_P12ihipStream_tbEUlT_E0_NS1_11comp_targetILNS1_3genE3ELNS1_11target_archE908ELNS1_3gpuE7ELNS1_3repE0EEENS1_30default_config_static_selectorELNS0_4arch9wavefront6targetE1EEEvSF_,comdat
	.protected	_ZN7rocprim17ROCPRIM_400000_NS6detail17trampoline_kernelINS0_14default_configENS1_22reduce_config_selectorIyEEZNS1_11reduce_implILb1ES3_PyS7_yN6thrust23THRUST_200600_302600_NS4plusIyEEEE10hipError_tPvRmT1_T2_T3_mT4_P12ihipStream_tbEUlT_E0_NS1_11comp_targetILNS1_3genE3ELNS1_11target_archE908ELNS1_3gpuE7ELNS1_3repE0EEENS1_30default_config_static_selectorELNS0_4arch9wavefront6targetE1EEEvSF_ ; -- Begin function _ZN7rocprim17ROCPRIM_400000_NS6detail17trampoline_kernelINS0_14default_configENS1_22reduce_config_selectorIyEEZNS1_11reduce_implILb1ES3_PyS7_yN6thrust23THRUST_200600_302600_NS4plusIyEEEE10hipError_tPvRmT1_T2_T3_mT4_P12ihipStream_tbEUlT_E0_NS1_11comp_targetILNS1_3genE3ELNS1_11target_archE908ELNS1_3gpuE7ELNS1_3repE0EEENS1_30default_config_static_selectorELNS0_4arch9wavefront6targetE1EEEvSF_
	.globl	_ZN7rocprim17ROCPRIM_400000_NS6detail17trampoline_kernelINS0_14default_configENS1_22reduce_config_selectorIyEEZNS1_11reduce_implILb1ES3_PyS7_yN6thrust23THRUST_200600_302600_NS4plusIyEEEE10hipError_tPvRmT1_T2_T3_mT4_P12ihipStream_tbEUlT_E0_NS1_11comp_targetILNS1_3genE3ELNS1_11target_archE908ELNS1_3gpuE7ELNS1_3repE0EEENS1_30default_config_static_selectorELNS0_4arch9wavefront6targetE1EEEvSF_
	.p2align	8
	.type	_ZN7rocprim17ROCPRIM_400000_NS6detail17trampoline_kernelINS0_14default_configENS1_22reduce_config_selectorIyEEZNS1_11reduce_implILb1ES3_PyS7_yN6thrust23THRUST_200600_302600_NS4plusIyEEEE10hipError_tPvRmT1_T2_T3_mT4_P12ihipStream_tbEUlT_E0_NS1_11comp_targetILNS1_3genE3ELNS1_11target_archE908ELNS1_3gpuE7ELNS1_3repE0EEENS1_30default_config_static_selectorELNS0_4arch9wavefront6targetE1EEEvSF_,@function
_ZN7rocprim17ROCPRIM_400000_NS6detail17trampoline_kernelINS0_14default_configENS1_22reduce_config_selectorIyEEZNS1_11reduce_implILb1ES3_PyS7_yN6thrust23THRUST_200600_302600_NS4plusIyEEEE10hipError_tPvRmT1_T2_T3_mT4_P12ihipStream_tbEUlT_E0_NS1_11comp_targetILNS1_3genE3ELNS1_11target_archE908ELNS1_3gpuE7ELNS1_3repE0EEENS1_30default_config_static_selectorELNS0_4arch9wavefront6targetE1EEEvSF_: ; @_ZN7rocprim17ROCPRIM_400000_NS6detail17trampoline_kernelINS0_14default_configENS1_22reduce_config_selectorIyEEZNS1_11reduce_implILb1ES3_PyS7_yN6thrust23THRUST_200600_302600_NS4plusIyEEEE10hipError_tPvRmT1_T2_T3_mT4_P12ihipStream_tbEUlT_E0_NS1_11comp_targetILNS1_3genE3ELNS1_11target_archE908ELNS1_3gpuE7ELNS1_3repE0EEENS1_30default_config_static_selectorELNS0_4arch9wavefront6targetE1EEEvSF_
; %bb.0:
	.section	.rodata,"a",@progbits
	.p2align	6, 0x0
	.amdhsa_kernel _ZN7rocprim17ROCPRIM_400000_NS6detail17trampoline_kernelINS0_14default_configENS1_22reduce_config_selectorIyEEZNS1_11reduce_implILb1ES3_PyS7_yN6thrust23THRUST_200600_302600_NS4plusIyEEEE10hipError_tPvRmT1_T2_T3_mT4_P12ihipStream_tbEUlT_E0_NS1_11comp_targetILNS1_3genE3ELNS1_11target_archE908ELNS1_3gpuE7ELNS1_3repE0EEENS1_30default_config_static_selectorELNS0_4arch9wavefront6targetE1EEEvSF_
		.amdhsa_group_segment_fixed_size 0
		.amdhsa_private_segment_fixed_size 0
		.amdhsa_kernarg_size 64
		.amdhsa_user_sgpr_count 2
		.amdhsa_user_sgpr_dispatch_ptr 0
		.amdhsa_user_sgpr_queue_ptr 0
		.amdhsa_user_sgpr_kernarg_segment_ptr 1
		.amdhsa_user_sgpr_dispatch_id 0
		.amdhsa_user_sgpr_kernarg_preload_length 0
		.amdhsa_user_sgpr_kernarg_preload_offset 0
		.amdhsa_user_sgpr_private_segment_size 0
		.amdhsa_uses_dynamic_stack 0
		.amdhsa_enable_private_segment 0
		.amdhsa_system_sgpr_workgroup_id_x 1
		.amdhsa_system_sgpr_workgroup_id_y 0
		.amdhsa_system_sgpr_workgroup_id_z 0
		.amdhsa_system_sgpr_workgroup_info 0
		.amdhsa_system_vgpr_workitem_id 0
		.amdhsa_next_free_vgpr 1
		.amdhsa_next_free_sgpr 0
		.amdhsa_accum_offset 4
		.amdhsa_reserve_vcc 0
		.amdhsa_float_round_mode_32 0
		.amdhsa_float_round_mode_16_64 0
		.amdhsa_float_denorm_mode_32 3
		.amdhsa_float_denorm_mode_16_64 3
		.amdhsa_dx10_clamp 1
		.amdhsa_ieee_mode 1
		.amdhsa_fp16_overflow 0
		.amdhsa_tg_split 0
		.amdhsa_exception_fp_ieee_invalid_op 0
		.amdhsa_exception_fp_denorm_src 0
		.amdhsa_exception_fp_ieee_div_zero 0
		.amdhsa_exception_fp_ieee_overflow 0
		.amdhsa_exception_fp_ieee_underflow 0
		.amdhsa_exception_fp_ieee_inexact 0
		.amdhsa_exception_int_div_zero 0
	.end_amdhsa_kernel
	.section	.text._ZN7rocprim17ROCPRIM_400000_NS6detail17trampoline_kernelINS0_14default_configENS1_22reduce_config_selectorIyEEZNS1_11reduce_implILb1ES3_PyS7_yN6thrust23THRUST_200600_302600_NS4plusIyEEEE10hipError_tPvRmT1_T2_T3_mT4_P12ihipStream_tbEUlT_E0_NS1_11comp_targetILNS1_3genE3ELNS1_11target_archE908ELNS1_3gpuE7ELNS1_3repE0EEENS1_30default_config_static_selectorELNS0_4arch9wavefront6targetE1EEEvSF_,"axG",@progbits,_ZN7rocprim17ROCPRIM_400000_NS6detail17trampoline_kernelINS0_14default_configENS1_22reduce_config_selectorIyEEZNS1_11reduce_implILb1ES3_PyS7_yN6thrust23THRUST_200600_302600_NS4plusIyEEEE10hipError_tPvRmT1_T2_T3_mT4_P12ihipStream_tbEUlT_E0_NS1_11comp_targetILNS1_3genE3ELNS1_11target_archE908ELNS1_3gpuE7ELNS1_3repE0EEENS1_30default_config_static_selectorELNS0_4arch9wavefront6targetE1EEEvSF_,comdat
.Lfunc_end79:
	.size	_ZN7rocprim17ROCPRIM_400000_NS6detail17trampoline_kernelINS0_14default_configENS1_22reduce_config_selectorIyEEZNS1_11reduce_implILb1ES3_PyS7_yN6thrust23THRUST_200600_302600_NS4plusIyEEEE10hipError_tPvRmT1_T2_T3_mT4_P12ihipStream_tbEUlT_E0_NS1_11comp_targetILNS1_3genE3ELNS1_11target_archE908ELNS1_3gpuE7ELNS1_3repE0EEENS1_30default_config_static_selectorELNS0_4arch9wavefront6targetE1EEEvSF_, .Lfunc_end79-_ZN7rocprim17ROCPRIM_400000_NS6detail17trampoline_kernelINS0_14default_configENS1_22reduce_config_selectorIyEEZNS1_11reduce_implILb1ES3_PyS7_yN6thrust23THRUST_200600_302600_NS4plusIyEEEE10hipError_tPvRmT1_T2_T3_mT4_P12ihipStream_tbEUlT_E0_NS1_11comp_targetILNS1_3genE3ELNS1_11target_archE908ELNS1_3gpuE7ELNS1_3repE0EEENS1_30default_config_static_selectorELNS0_4arch9wavefront6targetE1EEEvSF_
                                        ; -- End function
	.set _ZN7rocprim17ROCPRIM_400000_NS6detail17trampoline_kernelINS0_14default_configENS1_22reduce_config_selectorIyEEZNS1_11reduce_implILb1ES3_PyS7_yN6thrust23THRUST_200600_302600_NS4plusIyEEEE10hipError_tPvRmT1_T2_T3_mT4_P12ihipStream_tbEUlT_E0_NS1_11comp_targetILNS1_3genE3ELNS1_11target_archE908ELNS1_3gpuE7ELNS1_3repE0EEENS1_30default_config_static_selectorELNS0_4arch9wavefront6targetE1EEEvSF_.num_vgpr, 0
	.set _ZN7rocprim17ROCPRIM_400000_NS6detail17trampoline_kernelINS0_14default_configENS1_22reduce_config_selectorIyEEZNS1_11reduce_implILb1ES3_PyS7_yN6thrust23THRUST_200600_302600_NS4plusIyEEEE10hipError_tPvRmT1_T2_T3_mT4_P12ihipStream_tbEUlT_E0_NS1_11comp_targetILNS1_3genE3ELNS1_11target_archE908ELNS1_3gpuE7ELNS1_3repE0EEENS1_30default_config_static_selectorELNS0_4arch9wavefront6targetE1EEEvSF_.num_agpr, 0
	.set _ZN7rocprim17ROCPRIM_400000_NS6detail17trampoline_kernelINS0_14default_configENS1_22reduce_config_selectorIyEEZNS1_11reduce_implILb1ES3_PyS7_yN6thrust23THRUST_200600_302600_NS4plusIyEEEE10hipError_tPvRmT1_T2_T3_mT4_P12ihipStream_tbEUlT_E0_NS1_11comp_targetILNS1_3genE3ELNS1_11target_archE908ELNS1_3gpuE7ELNS1_3repE0EEENS1_30default_config_static_selectorELNS0_4arch9wavefront6targetE1EEEvSF_.numbered_sgpr, 0
	.set _ZN7rocprim17ROCPRIM_400000_NS6detail17trampoline_kernelINS0_14default_configENS1_22reduce_config_selectorIyEEZNS1_11reduce_implILb1ES3_PyS7_yN6thrust23THRUST_200600_302600_NS4plusIyEEEE10hipError_tPvRmT1_T2_T3_mT4_P12ihipStream_tbEUlT_E0_NS1_11comp_targetILNS1_3genE3ELNS1_11target_archE908ELNS1_3gpuE7ELNS1_3repE0EEENS1_30default_config_static_selectorELNS0_4arch9wavefront6targetE1EEEvSF_.num_named_barrier, 0
	.set _ZN7rocprim17ROCPRIM_400000_NS6detail17trampoline_kernelINS0_14default_configENS1_22reduce_config_selectorIyEEZNS1_11reduce_implILb1ES3_PyS7_yN6thrust23THRUST_200600_302600_NS4plusIyEEEE10hipError_tPvRmT1_T2_T3_mT4_P12ihipStream_tbEUlT_E0_NS1_11comp_targetILNS1_3genE3ELNS1_11target_archE908ELNS1_3gpuE7ELNS1_3repE0EEENS1_30default_config_static_selectorELNS0_4arch9wavefront6targetE1EEEvSF_.private_seg_size, 0
	.set _ZN7rocprim17ROCPRIM_400000_NS6detail17trampoline_kernelINS0_14default_configENS1_22reduce_config_selectorIyEEZNS1_11reduce_implILb1ES3_PyS7_yN6thrust23THRUST_200600_302600_NS4plusIyEEEE10hipError_tPvRmT1_T2_T3_mT4_P12ihipStream_tbEUlT_E0_NS1_11comp_targetILNS1_3genE3ELNS1_11target_archE908ELNS1_3gpuE7ELNS1_3repE0EEENS1_30default_config_static_selectorELNS0_4arch9wavefront6targetE1EEEvSF_.uses_vcc, 0
	.set _ZN7rocprim17ROCPRIM_400000_NS6detail17trampoline_kernelINS0_14default_configENS1_22reduce_config_selectorIyEEZNS1_11reduce_implILb1ES3_PyS7_yN6thrust23THRUST_200600_302600_NS4plusIyEEEE10hipError_tPvRmT1_T2_T3_mT4_P12ihipStream_tbEUlT_E0_NS1_11comp_targetILNS1_3genE3ELNS1_11target_archE908ELNS1_3gpuE7ELNS1_3repE0EEENS1_30default_config_static_selectorELNS0_4arch9wavefront6targetE1EEEvSF_.uses_flat_scratch, 0
	.set _ZN7rocprim17ROCPRIM_400000_NS6detail17trampoline_kernelINS0_14default_configENS1_22reduce_config_selectorIyEEZNS1_11reduce_implILb1ES3_PyS7_yN6thrust23THRUST_200600_302600_NS4plusIyEEEE10hipError_tPvRmT1_T2_T3_mT4_P12ihipStream_tbEUlT_E0_NS1_11comp_targetILNS1_3genE3ELNS1_11target_archE908ELNS1_3gpuE7ELNS1_3repE0EEENS1_30default_config_static_selectorELNS0_4arch9wavefront6targetE1EEEvSF_.has_dyn_sized_stack, 0
	.set _ZN7rocprim17ROCPRIM_400000_NS6detail17trampoline_kernelINS0_14default_configENS1_22reduce_config_selectorIyEEZNS1_11reduce_implILb1ES3_PyS7_yN6thrust23THRUST_200600_302600_NS4plusIyEEEE10hipError_tPvRmT1_T2_T3_mT4_P12ihipStream_tbEUlT_E0_NS1_11comp_targetILNS1_3genE3ELNS1_11target_archE908ELNS1_3gpuE7ELNS1_3repE0EEENS1_30default_config_static_selectorELNS0_4arch9wavefront6targetE1EEEvSF_.has_recursion, 0
	.set _ZN7rocprim17ROCPRIM_400000_NS6detail17trampoline_kernelINS0_14default_configENS1_22reduce_config_selectorIyEEZNS1_11reduce_implILb1ES3_PyS7_yN6thrust23THRUST_200600_302600_NS4plusIyEEEE10hipError_tPvRmT1_T2_T3_mT4_P12ihipStream_tbEUlT_E0_NS1_11comp_targetILNS1_3genE3ELNS1_11target_archE908ELNS1_3gpuE7ELNS1_3repE0EEENS1_30default_config_static_selectorELNS0_4arch9wavefront6targetE1EEEvSF_.has_indirect_call, 0
	.section	.AMDGPU.csdata,"",@progbits
; Kernel info:
; codeLenInByte = 0
; TotalNumSgprs: 6
; NumVgprs: 0
; NumAgprs: 0
; TotalNumVgprs: 0
; ScratchSize: 0
; MemoryBound: 0
; FloatMode: 240
; IeeeMode: 1
; LDSByteSize: 0 bytes/workgroup (compile time only)
; SGPRBlocks: 0
; VGPRBlocks: 0
; NumSGPRsForWavesPerEU: 6
; NumVGPRsForWavesPerEU: 1
; AccumOffset: 4
; Occupancy: 8
; WaveLimiterHint : 0
; COMPUTE_PGM_RSRC2:SCRATCH_EN: 0
; COMPUTE_PGM_RSRC2:USER_SGPR: 2
; COMPUTE_PGM_RSRC2:TRAP_HANDLER: 0
; COMPUTE_PGM_RSRC2:TGID_X_EN: 1
; COMPUTE_PGM_RSRC2:TGID_Y_EN: 0
; COMPUTE_PGM_RSRC2:TGID_Z_EN: 0
; COMPUTE_PGM_RSRC2:TIDIG_COMP_CNT: 0
; COMPUTE_PGM_RSRC3_GFX90A:ACCUM_OFFSET: 0
; COMPUTE_PGM_RSRC3_GFX90A:TG_SPLIT: 0
	.section	.text._ZN7rocprim17ROCPRIM_400000_NS6detail17trampoline_kernelINS0_14default_configENS1_22reduce_config_selectorIyEEZNS1_11reduce_implILb1ES3_PyS7_yN6thrust23THRUST_200600_302600_NS4plusIyEEEE10hipError_tPvRmT1_T2_T3_mT4_P12ihipStream_tbEUlT_E0_NS1_11comp_targetILNS1_3genE2ELNS1_11target_archE906ELNS1_3gpuE6ELNS1_3repE0EEENS1_30default_config_static_selectorELNS0_4arch9wavefront6targetE1EEEvSF_,"axG",@progbits,_ZN7rocprim17ROCPRIM_400000_NS6detail17trampoline_kernelINS0_14default_configENS1_22reduce_config_selectorIyEEZNS1_11reduce_implILb1ES3_PyS7_yN6thrust23THRUST_200600_302600_NS4plusIyEEEE10hipError_tPvRmT1_T2_T3_mT4_P12ihipStream_tbEUlT_E0_NS1_11comp_targetILNS1_3genE2ELNS1_11target_archE906ELNS1_3gpuE6ELNS1_3repE0EEENS1_30default_config_static_selectorELNS0_4arch9wavefront6targetE1EEEvSF_,comdat
	.protected	_ZN7rocprim17ROCPRIM_400000_NS6detail17trampoline_kernelINS0_14default_configENS1_22reduce_config_selectorIyEEZNS1_11reduce_implILb1ES3_PyS7_yN6thrust23THRUST_200600_302600_NS4plusIyEEEE10hipError_tPvRmT1_T2_T3_mT4_P12ihipStream_tbEUlT_E0_NS1_11comp_targetILNS1_3genE2ELNS1_11target_archE906ELNS1_3gpuE6ELNS1_3repE0EEENS1_30default_config_static_selectorELNS0_4arch9wavefront6targetE1EEEvSF_ ; -- Begin function _ZN7rocprim17ROCPRIM_400000_NS6detail17trampoline_kernelINS0_14default_configENS1_22reduce_config_selectorIyEEZNS1_11reduce_implILb1ES3_PyS7_yN6thrust23THRUST_200600_302600_NS4plusIyEEEE10hipError_tPvRmT1_T2_T3_mT4_P12ihipStream_tbEUlT_E0_NS1_11comp_targetILNS1_3genE2ELNS1_11target_archE906ELNS1_3gpuE6ELNS1_3repE0EEENS1_30default_config_static_selectorELNS0_4arch9wavefront6targetE1EEEvSF_
	.globl	_ZN7rocprim17ROCPRIM_400000_NS6detail17trampoline_kernelINS0_14default_configENS1_22reduce_config_selectorIyEEZNS1_11reduce_implILb1ES3_PyS7_yN6thrust23THRUST_200600_302600_NS4plusIyEEEE10hipError_tPvRmT1_T2_T3_mT4_P12ihipStream_tbEUlT_E0_NS1_11comp_targetILNS1_3genE2ELNS1_11target_archE906ELNS1_3gpuE6ELNS1_3repE0EEENS1_30default_config_static_selectorELNS0_4arch9wavefront6targetE1EEEvSF_
	.p2align	8
	.type	_ZN7rocprim17ROCPRIM_400000_NS6detail17trampoline_kernelINS0_14default_configENS1_22reduce_config_selectorIyEEZNS1_11reduce_implILb1ES3_PyS7_yN6thrust23THRUST_200600_302600_NS4plusIyEEEE10hipError_tPvRmT1_T2_T3_mT4_P12ihipStream_tbEUlT_E0_NS1_11comp_targetILNS1_3genE2ELNS1_11target_archE906ELNS1_3gpuE6ELNS1_3repE0EEENS1_30default_config_static_selectorELNS0_4arch9wavefront6targetE1EEEvSF_,@function
_ZN7rocprim17ROCPRIM_400000_NS6detail17trampoline_kernelINS0_14default_configENS1_22reduce_config_selectorIyEEZNS1_11reduce_implILb1ES3_PyS7_yN6thrust23THRUST_200600_302600_NS4plusIyEEEE10hipError_tPvRmT1_T2_T3_mT4_P12ihipStream_tbEUlT_E0_NS1_11comp_targetILNS1_3genE2ELNS1_11target_archE906ELNS1_3gpuE6ELNS1_3repE0EEENS1_30default_config_static_selectorELNS0_4arch9wavefront6targetE1EEEvSF_: ; @_ZN7rocprim17ROCPRIM_400000_NS6detail17trampoline_kernelINS0_14default_configENS1_22reduce_config_selectorIyEEZNS1_11reduce_implILb1ES3_PyS7_yN6thrust23THRUST_200600_302600_NS4plusIyEEEE10hipError_tPvRmT1_T2_T3_mT4_P12ihipStream_tbEUlT_E0_NS1_11comp_targetILNS1_3genE2ELNS1_11target_archE906ELNS1_3gpuE6ELNS1_3repE0EEENS1_30default_config_static_selectorELNS0_4arch9wavefront6targetE1EEEvSF_
; %bb.0:
	.section	.rodata,"a",@progbits
	.p2align	6, 0x0
	.amdhsa_kernel _ZN7rocprim17ROCPRIM_400000_NS6detail17trampoline_kernelINS0_14default_configENS1_22reduce_config_selectorIyEEZNS1_11reduce_implILb1ES3_PyS7_yN6thrust23THRUST_200600_302600_NS4plusIyEEEE10hipError_tPvRmT1_T2_T3_mT4_P12ihipStream_tbEUlT_E0_NS1_11comp_targetILNS1_3genE2ELNS1_11target_archE906ELNS1_3gpuE6ELNS1_3repE0EEENS1_30default_config_static_selectorELNS0_4arch9wavefront6targetE1EEEvSF_
		.amdhsa_group_segment_fixed_size 0
		.amdhsa_private_segment_fixed_size 0
		.amdhsa_kernarg_size 64
		.amdhsa_user_sgpr_count 2
		.amdhsa_user_sgpr_dispatch_ptr 0
		.amdhsa_user_sgpr_queue_ptr 0
		.amdhsa_user_sgpr_kernarg_segment_ptr 1
		.amdhsa_user_sgpr_dispatch_id 0
		.amdhsa_user_sgpr_kernarg_preload_length 0
		.amdhsa_user_sgpr_kernarg_preload_offset 0
		.amdhsa_user_sgpr_private_segment_size 0
		.amdhsa_uses_dynamic_stack 0
		.amdhsa_enable_private_segment 0
		.amdhsa_system_sgpr_workgroup_id_x 1
		.amdhsa_system_sgpr_workgroup_id_y 0
		.amdhsa_system_sgpr_workgroup_id_z 0
		.amdhsa_system_sgpr_workgroup_info 0
		.amdhsa_system_vgpr_workitem_id 0
		.amdhsa_next_free_vgpr 1
		.amdhsa_next_free_sgpr 0
		.amdhsa_accum_offset 4
		.amdhsa_reserve_vcc 0
		.amdhsa_float_round_mode_32 0
		.amdhsa_float_round_mode_16_64 0
		.amdhsa_float_denorm_mode_32 3
		.amdhsa_float_denorm_mode_16_64 3
		.amdhsa_dx10_clamp 1
		.amdhsa_ieee_mode 1
		.amdhsa_fp16_overflow 0
		.amdhsa_tg_split 0
		.amdhsa_exception_fp_ieee_invalid_op 0
		.amdhsa_exception_fp_denorm_src 0
		.amdhsa_exception_fp_ieee_div_zero 0
		.amdhsa_exception_fp_ieee_overflow 0
		.amdhsa_exception_fp_ieee_underflow 0
		.amdhsa_exception_fp_ieee_inexact 0
		.amdhsa_exception_int_div_zero 0
	.end_amdhsa_kernel
	.section	.text._ZN7rocprim17ROCPRIM_400000_NS6detail17trampoline_kernelINS0_14default_configENS1_22reduce_config_selectorIyEEZNS1_11reduce_implILb1ES3_PyS7_yN6thrust23THRUST_200600_302600_NS4plusIyEEEE10hipError_tPvRmT1_T2_T3_mT4_P12ihipStream_tbEUlT_E0_NS1_11comp_targetILNS1_3genE2ELNS1_11target_archE906ELNS1_3gpuE6ELNS1_3repE0EEENS1_30default_config_static_selectorELNS0_4arch9wavefront6targetE1EEEvSF_,"axG",@progbits,_ZN7rocprim17ROCPRIM_400000_NS6detail17trampoline_kernelINS0_14default_configENS1_22reduce_config_selectorIyEEZNS1_11reduce_implILb1ES3_PyS7_yN6thrust23THRUST_200600_302600_NS4plusIyEEEE10hipError_tPvRmT1_T2_T3_mT4_P12ihipStream_tbEUlT_E0_NS1_11comp_targetILNS1_3genE2ELNS1_11target_archE906ELNS1_3gpuE6ELNS1_3repE0EEENS1_30default_config_static_selectorELNS0_4arch9wavefront6targetE1EEEvSF_,comdat
.Lfunc_end80:
	.size	_ZN7rocprim17ROCPRIM_400000_NS6detail17trampoline_kernelINS0_14default_configENS1_22reduce_config_selectorIyEEZNS1_11reduce_implILb1ES3_PyS7_yN6thrust23THRUST_200600_302600_NS4plusIyEEEE10hipError_tPvRmT1_T2_T3_mT4_P12ihipStream_tbEUlT_E0_NS1_11comp_targetILNS1_3genE2ELNS1_11target_archE906ELNS1_3gpuE6ELNS1_3repE0EEENS1_30default_config_static_selectorELNS0_4arch9wavefront6targetE1EEEvSF_, .Lfunc_end80-_ZN7rocprim17ROCPRIM_400000_NS6detail17trampoline_kernelINS0_14default_configENS1_22reduce_config_selectorIyEEZNS1_11reduce_implILb1ES3_PyS7_yN6thrust23THRUST_200600_302600_NS4plusIyEEEE10hipError_tPvRmT1_T2_T3_mT4_P12ihipStream_tbEUlT_E0_NS1_11comp_targetILNS1_3genE2ELNS1_11target_archE906ELNS1_3gpuE6ELNS1_3repE0EEENS1_30default_config_static_selectorELNS0_4arch9wavefront6targetE1EEEvSF_
                                        ; -- End function
	.set _ZN7rocprim17ROCPRIM_400000_NS6detail17trampoline_kernelINS0_14default_configENS1_22reduce_config_selectorIyEEZNS1_11reduce_implILb1ES3_PyS7_yN6thrust23THRUST_200600_302600_NS4plusIyEEEE10hipError_tPvRmT1_T2_T3_mT4_P12ihipStream_tbEUlT_E0_NS1_11comp_targetILNS1_3genE2ELNS1_11target_archE906ELNS1_3gpuE6ELNS1_3repE0EEENS1_30default_config_static_selectorELNS0_4arch9wavefront6targetE1EEEvSF_.num_vgpr, 0
	.set _ZN7rocprim17ROCPRIM_400000_NS6detail17trampoline_kernelINS0_14default_configENS1_22reduce_config_selectorIyEEZNS1_11reduce_implILb1ES3_PyS7_yN6thrust23THRUST_200600_302600_NS4plusIyEEEE10hipError_tPvRmT1_T2_T3_mT4_P12ihipStream_tbEUlT_E0_NS1_11comp_targetILNS1_3genE2ELNS1_11target_archE906ELNS1_3gpuE6ELNS1_3repE0EEENS1_30default_config_static_selectorELNS0_4arch9wavefront6targetE1EEEvSF_.num_agpr, 0
	.set _ZN7rocprim17ROCPRIM_400000_NS6detail17trampoline_kernelINS0_14default_configENS1_22reduce_config_selectorIyEEZNS1_11reduce_implILb1ES3_PyS7_yN6thrust23THRUST_200600_302600_NS4plusIyEEEE10hipError_tPvRmT1_T2_T3_mT4_P12ihipStream_tbEUlT_E0_NS1_11comp_targetILNS1_3genE2ELNS1_11target_archE906ELNS1_3gpuE6ELNS1_3repE0EEENS1_30default_config_static_selectorELNS0_4arch9wavefront6targetE1EEEvSF_.numbered_sgpr, 0
	.set _ZN7rocprim17ROCPRIM_400000_NS6detail17trampoline_kernelINS0_14default_configENS1_22reduce_config_selectorIyEEZNS1_11reduce_implILb1ES3_PyS7_yN6thrust23THRUST_200600_302600_NS4plusIyEEEE10hipError_tPvRmT1_T2_T3_mT4_P12ihipStream_tbEUlT_E0_NS1_11comp_targetILNS1_3genE2ELNS1_11target_archE906ELNS1_3gpuE6ELNS1_3repE0EEENS1_30default_config_static_selectorELNS0_4arch9wavefront6targetE1EEEvSF_.num_named_barrier, 0
	.set _ZN7rocprim17ROCPRIM_400000_NS6detail17trampoline_kernelINS0_14default_configENS1_22reduce_config_selectorIyEEZNS1_11reduce_implILb1ES3_PyS7_yN6thrust23THRUST_200600_302600_NS4plusIyEEEE10hipError_tPvRmT1_T2_T3_mT4_P12ihipStream_tbEUlT_E0_NS1_11comp_targetILNS1_3genE2ELNS1_11target_archE906ELNS1_3gpuE6ELNS1_3repE0EEENS1_30default_config_static_selectorELNS0_4arch9wavefront6targetE1EEEvSF_.private_seg_size, 0
	.set _ZN7rocprim17ROCPRIM_400000_NS6detail17trampoline_kernelINS0_14default_configENS1_22reduce_config_selectorIyEEZNS1_11reduce_implILb1ES3_PyS7_yN6thrust23THRUST_200600_302600_NS4plusIyEEEE10hipError_tPvRmT1_T2_T3_mT4_P12ihipStream_tbEUlT_E0_NS1_11comp_targetILNS1_3genE2ELNS1_11target_archE906ELNS1_3gpuE6ELNS1_3repE0EEENS1_30default_config_static_selectorELNS0_4arch9wavefront6targetE1EEEvSF_.uses_vcc, 0
	.set _ZN7rocprim17ROCPRIM_400000_NS6detail17trampoline_kernelINS0_14default_configENS1_22reduce_config_selectorIyEEZNS1_11reduce_implILb1ES3_PyS7_yN6thrust23THRUST_200600_302600_NS4plusIyEEEE10hipError_tPvRmT1_T2_T3_mT4_P12ihipStream_tbEUlT_E0_NS1_11comp_targetILNS1_3genE2ELNS1_11target_archE906ELNS1_3gpuE6ELNS1_3repE0EEENS1_30default_config_static_selectorELNS0_4arch9wavefront6targetE1EEEvSF_.uses_flat_scratch, 0
	.set _ZN7rocprim17ROCPRIM_400000_NS6detail17trampoline_kernelINS0_14default_configENS1_22reduce_config_selectorIyEEZNS1_11reduce_implILb1ES3_PyS7_yN6thrust23THRUST_200600_302600_NS4plusIyEEEE10hipError_tPvRmT1_T2_T3_mT4_P12ihipStream_tbEUlT_E0_NS1_11comp_targetILNS1_3genE2ELNS1_11target_archE906ELNS1_3gpuE6ELNS1_3repE0EEENS1_30default_config_static_selectorELNS0_4arch9wavefront6targetE1EEEvSF_.has_dyn_sized_stack, 0
	.set _ZN7rocprim17ROCPRIM_400000_NS6detail17trampoline_kernelINS0_14default_configENS1_22reduce_config_selectorIyEEZNS1_11reduce_implILb1ES3_PyS7_yN6thrust23THRUST_200600_302600_NS4plusIyEEEE10hipError_tPvRmT1_T2_T3_mT4_P12ihipStream_tbEUlT_E0_NS1_11comp_targetILNS1_3genE2ELNS1_11target_archE906ELNS1_3gpuE6ELNS1_3repE0EEENS1_30default_config_static_selectorELNS0_4arch9wavefront6targetE1EEEvSF_.has_recursion, 0
	.set _ZN7rocprim17ROCPRIM_400000_NS6detail17trampoline_kernelINS0_14default_configENS1_22reduce_config_selectorIyEEZNS1_11reduce_implILb1ES3_PyS7_yN6thrust23THRUST_200600_302600_NS4plusIyEEEE10hipError_tPvRmT1_T2_T3_mT4_P12ihipStream_tbEUlT_E0_NS1_11comp_targetILNS1_3genE2ELNS1_11target_archE906ELNS1_3gpuE6ELNS1_3repE0EEENS1_30default_config_static_selectorELNS0_4arch9wavefront6targetE1EEEvSF_.has_indirect_call, 0
	.section	.AMDGPU.csdata,"",@progbits
; Kernel info:
; codeLenInByte = 0
; TotalNumSgprs: 6
; NumVgprs: 0
; NumAgprs: 0
; TotalNumVgprs: 0
; ScratchSize: 0
; MemoryBound: 0
; FloatMode: 240
; IeeeMode: 1
; LDSByteSize: 0 bytes/workgroup (compile time only)
; SGPRBlocks: 0
; VGPRBlocks: 0
; NumSGPRsForWavesPerEU: 6
; NumVGPRsForWavesPerEU: 1
; AccumOffset: 4
; Occupancy: 8
; WaveLimiterHint : 0
; COMPUTE_PGM_RSRC2:SCRATCH_EN: 0
; COMPUTE_PGM_RSRC2:USER_SGPR: 2
; COMPUTE_PGM_RSRC2:TRAP_HANDLER: 0
; COMPUTE_PGM_RSRC2:TGID_X_EN: 1
; COMPUTE_PGM_RSRC2:TGID_Y_EN: 0
; COMPUTE_PGM_RSRC2:TGID_Z_EN: 0
; COMPUTE_PGM_RSRC2:TIDIG_COMP_CNT: 0
; COMPUTE_PGM_RSRC3_GFX90A:ACCUM_OFFSET: 0
; COMPUTE_PGM_RSRC3_GFX90A:TG_SPLIT: 0
	.section	.text._ZN7rocprim17ROCPRIM_400000_NS6detail17trampoline_kernelINS0_14default_configENS1_22reduce_config_selectorIyEEZNS1_11reduce_implILb1ES3_PyS7_yN6thrust23THRUST_200600_302600_NS4plusIyEEEE10hipError_tPvRmT1_T2_T3_mT4_P12ihipStream_tbEUlT_E0_NS1_11comp_targetILNS1_3genE10ELNS1_11target_archE1201ELNS1_3gpuE5ELNS1_3repE0EEENS1_30default_config_static_selectorELNS0_4arch9wavefront6targetE1EEEvSF_,"axG",@progbits,_ZN7rocprim17ROCPRIM_400000_NS6detail17trampoline_kernelINS0_14default_configENS1_22reduce_config_selectorIyEEZNS1_11reduce_implILb1ES3_PyS7_yN6thrust23THRUST_200600_302600_NS4plusIyEEEE10hipError_tPvRmT1_T2_T3_mT4_P12ihipStream_tbEUlT_E0_NS1_11comp_targetILNS1_3genE10ELNS1_11target_archE1201ELNS1_3gpuE5ELNS1_3repE0EEENS1_30default_config_static_selectorELNS0_4arch9wavefront6targetE1EEEvSF_,comdat
	.protected	_ZN7rocprim17ROCPRIM_400000_NS6detail17trampoline_kernelINS0_14default_configENS1_22reduce_config_selectorIyEEZNS1_11reduce_implILb1ES3_PyS7_yN6thrust23THRUST_200600_302600_NS4plusIyEEEE10hipError_tPvRmT1_T2_T3_mT4_P12ihipStream_tbEUlT_E0_NS1_11comp_targetILNS1_3genE10ELNS1_11target_archE1201ELNS1_3gpuE5ELNS1_3repE0EEENS1_30default_config_static_selectorELNS0_4arch9wavefront6targetE1EEEvSF_ ; -- Begin function _ZN7rocprim17ROCPRIM_400000_NS6detail17trampoline_kernelINS0_14default_configENS1_22reduce_config_selectorIyEEZNS1_11reduce_implILb1ES3_PyS7_yN6thrust23THRUST_200600_302600_NS4plusIyEEEE10hipError_tPvRmT1_T2_T3_mT4_P12ihipStream_tbEUlT_E0_NS1_11comp_targetILNS1_3genE10ELNS1_11target_archE1201ELNS1_3gpuE5ELNS1_3repE0EEENS1_30default_config_static_selectorELNS0_4arch9wavefront6targetE1EEEvSF_
	.globl	_ZN7rocprim17ROCPRIM_400000_NS6detail17trampoline_kernelINS0_14default_configENS1_22reduce_config_selectorIyEEZNS1_11reduce_implILb1ES3_PyS7_yN6thrust23THRUST_200600_302600_NS4plusIyEEEE10hipError_tPvRmT1_T2_T3_mT4_P12ihipStream_tbEUlT_E0_NS1_11comp_targetILNS1_3genE10ELNS1_11target_archE1201ELNS1_3gpuE5ELNS1_3repE0EEENS1_30default_config_static_selectorELNS0_4arch9wavefront6targetE1EEEvSF_
	.p2align	8
	.type	_ZN7rocprim17ROCPRIM_400000_NS6detail17trampoline_kernelINS0_14default_configENS1_22reduce_config_selectorIyEEZNS1_11reduce_implILb1ES3_PyS7_yN6thrust23THRUST_200600_302600_NS4plusIyEEEE10hipError_tPvRmT1_T2_T3_mT4_P12ihipStream_tbEUlT_E0_NS1_11comp_targetILNS1_3genE10ELNS1_11target_archE1201ELNS1_3gpuE5ELNS1_3repE0EEENS1_30default_config_static_selectorELNS0_4arch9wavefront6targetE1EEEvSF_,@function
_ZN7rocprim17ROCPRIM_400000_NS6detail17trampoline_kernelINS0_14default_configENS1_22reduce_config_selectorIyEEZNS1_11reduce_implILb1ES3_PyS7_yN6thrust23THRUST_200600_302600_NS4plusIyEEEE10hipError_tPvRmT1_T2_T3_mT4_P12ihipStream_tbEUlT_E0_NS1_11comp_targetILNS1_3genE10ELNS1_11target_archE1201ELNS1_3gpuE5ELNS1_3repE0EEENS1_30default_config_static_selectorELNS0_4arch9wavefront6targetE1EEEvSF_: ; @_ZN7rocprim17ROCPRIM_400000_NS6detail17trampoline_kernelINS0_14default_configENS1_22reduce_config_selectorIyEEZNS1_11reduce_implILb1ES3_PyS7_yN6thrust23THRUST_200600_302600_NS4plusIyEEEE10hipError_tPvRmT1_T2_T3_mT4_P12ihipStream_tbEUlT_E0_NS1_11comp_targetILNS1_3genE10ELNS1_11target_archE1201ELNS1_3gpuE5ELNS1_3repE0EEENS1_30default_config_static_selectorELNS0_4arch9wavefront6targetE1EEEvSF_
; %bb.0:
	.section	.rodata,"a",@progbits
	.p2align	6, 0x0
	.amdhsa_kernel _ZN7rocprim17ROCPRIM_400000_NS6detail17trampoline_kernelINS0_14default_configENS1_22reduce_config_selectorIyEEZNS1_11reduce_implILb1ES3_PyS7_yN6thrust23THRUST_200600_302600_NS4plusIyEEEE10hipError_tPvRmT1_T2_T3_mT4_P12ihipStream_tbEUlT_E0_NS1_11comp_targetILNS1_3genE10ELNS1_11target_archE1201ELNS1_3gpuE5ELNS1_3repE0EEENS1_30default_config_static_selectorELNS0_4arch9wavefront6targetE1EEEvSF_
		.amdhsa_group_segment_fixed_size 0
		.amdhsa_private_segment_fixed_size 0
		.amdhsa_kernarg_size 64
		.amdhsa_user_sgpr_count 2
		.amdhsa_user_sgpr_dispatch_ptr 0
		.amdhsa_user_sgpr_queue_ptr 0
		.amdhsa_user_sgpr_kernarg_segment_ptr 1
		.amdhsa_user_sgpr_dispatch_id 0
		.amdhsa_user_sgpr_kernarg_preload_length 0
		.amdhsa_user_sgpr_kernarg_preload_offset 0
		.amdhsa_user_sgpr_private_segment_size 0
		.amdhsa_uses_dynamic_stack 0
		.amdhsa_enable_private_segment 0
		.amdhsa_system_sgpr_workgroup_id_x 1
		.amdhsa_system_sgpr_workgroup_id_y 0
		.amdhsa_system_sgpr_workgroup_id_z 0
		.amdhsa_system_sgpr_workgroup_info 0
		.amdhsa_system_vgpr_workitem_id 0
		.amdhsa_next_free_vgpr 1
		.amdhsa_next_free_sgpr 0
		.amdhsa_accum_offset 4
		.amdhsa_reserve_vcc 0
		.amdhsa_float_round_mode_32 0
		.amdhsa_float_round_mode_16_64 0
		.amdhsa_float_denorm_mode_32 3
		.amdhsa_float_denorm_mode_16_64 3
		.amdhsa_dx10_clamp 1
		.amdhsa_ieee_mode 1
		.amdhsa_fp16_overflow 0
		.amdhsa_tg_split 0
		.amdhsa_exception_fp_ieee_invalid_op 0
		.amdhsa_exception_fp_denorm_src 0
		.amdhsa_exception_fp_ieee_div_zero 0
		.amdhsa_exception_fp_ieee_overflow 0
		.amdhsa_exception_fp_ieee_underflow 0
		.amdhsa_exception_fp_ieee_inexact 0
		.amdhsa_exception_int_div_zero 0
	.end_amdhsa_kernel
	.section	.text._ZN7rocprim17ROCPRIM_400000_NS6detail17trampoline_kernelINS0_14default_configENS1_22reduce_config_selectorIyEEZNS1_11reduce_implILb1ES3_PyS7_yN6thrust23THRUST_200600_302600_NS4plusIyEEEE10hipError_tPvRmT1_T2_T3_mT4_P12ihipStream_tbEUlT_E0_NS1_11comp_targetILNS1_3genE10ELNS1_11target_archE1201ELNS1_3gpuE5ELNS1_3repE0EEENS1_30default_config_static_selectorELNS0_4arch9wavefront6targetE1EEEvSF_,"axG",@progbits,_ZN7rocprim17ROCPRIM_400000_NS6detail17trampoline_kernelINS0_14default_configENS1_22reduce_config_selectorIyEEZNS1_11reduce_implILb1ES3_PyS7_yN6thrust23THRUST_200600_302600_NS4plusIyEEEE10hipError_tPvRmT1_T2_T3_mT4_P12ihipStream_tbEUlT_E0_NS1_11comp_targetILNS1_3genE10ELNS1_11target_archE1201ELNS1_3gpuE5ELNS1_3repE0EEENS1_30default_config_static_selectorELNS0_4arch9wavefront6targetE1EEEvSF_,comdat
.Lfunc_end81:
	.size	_ZN7rocprim17ROCPRIM_400000_NS6detail17trampoline_kernelINS0_14default_configENS1_22reduce_config_selectorIyEEZNS1_11reduce_implILb1ES3_PyS7_yN6thrust23THRUST_200600_302600_NS4plusIyEEEE10hipError_tPvRmT1_T2_T3_mT4_P12ihipStream_tbEUlT_E0_NS1_11comp_targetILNS1_3genE10ELNS1_11target_archE1201ELNS1_3gpuE5ELNS1_3repE0EEENS1_30default_config_static_selectorELNS0_4arch9wavefront6targetE1EEEvSF_, .Lfunc_end81-_ZN7rocprim17ROCPRIM_400000_NS6detail17trampoline_kernelINS0_14default_configENS1_22reduce_config_selectorIyEEZNS1_11reduce_implILb1ES3_PyS7_yN6thrust23THRUST_200600_302600_NS4plusIyEEEE10hipError_tPvRmT1_T2_T3_mT4_P12ihipStream_tbEUlT_E0_NS1_11comp_targetILNS1_3genE10ELNS1_11target_archE1201ELNS1_3gpuE5ELNS1_3repE0EEENS1_30default_config_static_selectorELNS0_4arch9wavefront6targetE1EEEvSF_
                                        ; -- End function
	.set _ZN7rocprim17ROCPRIM_400000_NS6detail17trampoline_kernelINS0_14default_configENS1_22reduce_config_selectorIyEEZNS1_11reduce_implILb1ES3_PyS7_yN6thrust23THRUST_200600_302600_NS4plusIyEEEE10hipError_tPvRmT1_T2_T3_mT4_P12ihipStream_tbEUlT_E0_NS1_11comp_targetILNS1_3genE10ELNS1_11target_archE1201ELNS1_3gpuE5ELNS1_3repE0EEENS1_30default_config_static_selectorELNS0_4arch9wavefront6targetE1EEEvSF_.num_vgpr, 0
	.set _ZN7rocprim17ROCPRIM_400000_NS6detail17trampoline_kernelINS0_14default_configENS1_22reduce_config_selectorIyEEZNS1_11reduce_implILb1ES3_PyS7_yN6thrust23THRUST_200600_302600_NS4plusIyEEEE10hipError_tPvRmT1_T2_T3_mT4_P12ihipStream_tbEUlT_E0_NS1_11comp_targetILNS1_3genE10ELNS1_11target_archE1201ELNS1_3gpuE5ELNS1_3repE0EEENS1_30default_config_static_selectorELNS0_4arch9wavefront6targetE1EEEvSF_.num_agpr, 0
	.set _ZN7rocprim17ROCPRIM_400000_NS6detail17trampoline_kernelINS0_14default_configENS1_22reduce_config_selectorIyEEZNS1_11reduce_implILb1ES3_PyS7_yN6thrust23THRUST_200600_302600_NS4plusIyEEEE10hipError_tPvRmT1_T2_T3_mT4_P12ihipStream_tbEUlT_E0_NS1_11comp_targetILNS1_3genE10ELNS1_11target_archE1201ELNS1_3gpuE5ELNS1_3repE0EEENS1_30default_config_static_selectorELNS0_4arch9wavefront6targetE1EEEvSF_.numbered_sgpr, 0
	.set _ZN7rocprim17ROCPRIM_400000_NS6detail17trampoline_kernelINS0_14default_configENS1_22reduce_config_selectorIyEEZNS1_11reduce_implILb1ES3_PyS7_yN6thrust23THRUST_200600_302600_NS4plusIyEEEE10hipError_tPvRmT1_T2_T3_mT4_P12ihipStream_tbEUlT_E0_NS1_11comp_targetILNS1_3genE10ELNS1_11target_archE1201ELNS1_3gpuE5ELNS1_3repE0EEENS1_30default_config_static_selectorELNS0_4arch9wavefront6targetE1EEEvSF_.num_named_barrier, 0
	.set _ZN7rocprim17ROCPRIM_400000_NS6detail17trampoline_kernelINS0_14default_configENS1_22reduce_config_selectorIyEEZNS1_11reduce_implILb1ES3_PyS7_yN6thrust23THRUST_200600_302600_NS4plusIyEEEE10hipError_tPvRmT1_T2_T3_mT4_P12ihipStream_tbEUlT_E0_NS1_11comp_targetILNS1_3genE10ELNS1_11target_archE1201ELNS1_3gpuE5ELNS1_3repE0EEENS1_30default_config_static_selectorELNS0_4arch9wavefront6targetE1EEEvSF_.private_seg_size, 0
	.set _ZN7rocprim17ROCPRIM_400000_NS6detail17trampoline_kernelINS0_14default_configENS1_22reduce_config_selectorIyEEZNS1_11reduce_implILb1ES3_PyS7_yN6thrust23THRUST_200600_302600_NS4plusIyEEEE10hipError_tPvRmT1_T2_T3_mT4_P12ihipStream_tbEUlT_E0_NS1_11comp_targetILNS1_3genE10ELNS1_11target_archE1201ELNS1_3gpuE5ELNS1_3repE0EEENS1_30default_config_static_selectorELNS0_4arch9wavefront6targetE1EEEvSF_.uses_vcc, 0
	.set _ZN7rocprim17ROCPRIM_400000_NS6detail17trampoline_kernelINS0_14default_configENS1_22reduce_config_selectorIyEEZNS1_11reduce_implILb1ES3_PyS7_yN6thrust23THRUST_200600_302600_NS4plusIyEEEE10hipError_tPvRmT1_T2_T3_mT4_P12ihipStream_tbEUlT_E0_NS1_11comp_targetILNS1_3genE10ELNS1_11target_archE1201ELNS1_3gpuE5ELNS1_3repE0EEENS1_30default_config_static_selectorELNS0_4arch9wavefront6targetE1EEEvSF_.uses_flat_scratch, 0
	.set _ZN7rocprim17ROCPRIM_400000_NS6detail17trampoline_kernelINS0_14default_configENS1_22reduce_config_selectorIyEEZNS1_11reduce_implILb1ES3_PyS7_yN6thrust23THRUST_200600_302600_NS4plusIyEEEE10hipError_tPvRmT1_T2_T3_mT4_P12ihipStream_tbEUlT_E0_NS1_11comp_targetILNS1_3genE10ELNS1_11target_archE1201ELNS1_3gpuE5ELNS1_3repE0EEENS1_30default_config_static_selectorELNS0_4arch9wavefront6targetE1EEEvSF_.has_dyn_sized_stack, 0
	.set _ZN7rocprim17ROCPRIM_400000_NS6detail17trampoline_kernelINS0_14default_configENS1_22reduce_config_selectorIyEEZNS1_11reduce_implILb1ES3_PyS7_yN6thrust23THRUST_200600_302600_NS4plusIyEEEE10hipError_tPvRmT1_T2_T3_mT4_P12ihipStream_tbEUlT_E0_NS1_11comp_targetILNS1_3genE10ELNS1_11target_archE1201ELNS1_3gpuE5ELNS1_3repE0EEENS1_30default_config_static_selectorELNS0_4arch9wavefront6targetE1EEEvSF_.has_recursion, 0
	.set _ZN7rocprim17ROCPRIM_400000_NS6detail17trampoline_kernelINS0_14default_configENS1_22reduce_config_selectorIyEEZNS1_11reduce_implILb1ES3_PyS7_yN6thrust23THRUST_200600_302600_NS4plusIyEEEE10hipError_tPvRmT1_T2_T3_mT4_P12ihipStream_tbEUlT_E0_NS1_11comp_targetILNS1_3genE10ELNS1_11target_archE1201ELNS1_3gpuE5ELNS1_3repE0EEENS1_30default_config_static_selectorELNS0_4arch9wavefront6targetE1EEEvSF_.has_indirect_call, 0
	.section	.AMDGPU.csdata,"",@progbits
; Kernel info:
; codeLenInByte = 0
; TotalNumSgprs: 6
; NumVgprs: 0
; NumAgprs: 0
; TotalNumVgprs: 0
; ScratchSize: 0
; MemoryBound: 0
; FloatMode: 240
; IeeeMode: 1
; LDSByteSize: 0 bytes/workgroup (compile time only)
; SGPRBlocks: 0
; VGPRBlocks: 0
; NumSGPRsForWavesPerEU: 6
; NumVGPRsForWavesPerEU: 1
; AccumOffset: 4
; Occupancy: 8
; WaveLimiterHint : 0
; COMPUTE_PGM_RSRC2:SCRATCH_EN: 0
; COMPUTE_PGM_RSRC2:USER_SGPR: 2
; COMPUTE_PGM_RSRC2:TRAP_HANDLER: 0
; COMPUTE_PGM_RSRC2:TGID_X_EN: 1
; COMPUTE_PGM_RSRC2:TGID_Y_EN: 0
; COMPUTE_PGM_RSRC2:TGID_Z_EN: 0
; COMPUTE_PGM_RSRC2:TIDIG_COMP_CNT: 0
; COMPUTE_PGM_RSRC3_GFX90A:ACCUM_OFFSET: 0
; COMPUTE_PGM_RSRC3_GFX90A:TG_SPLIT: 0
	.section	.text._ZN7rocprim17ROCPRIM_400000_NS6detail17trampoline_kernelINS0_14default_configENS1_22reduce_config_selectorIyEEZNS1_11reduce_implILb1ES3_PyS7_yN6thrust23THRUST_200600_302600_NS4plusIyEEEE10hipError_tPvRmT1_T2_T3_mT4_P12ihipStream_tbEUlT_E0_NS1_11comp_targetILNS1_3genE10ELNS1_11target_archE1200ELNS1_3gpuE4ELNS1_3repE0EEENS1_30default_config_static_selectorELNS0_4arch9wavefront6targetE1EEEvSF_,"axG",@progbits,_ZN7rocprim17ROCPRIM_400000_NS6detail17trampoline_kernelINS0_14default_configENS1_22reduce_config_selectorIyEEZNS1_11reduce_implILb1ES3_PyS7_yN6thrust23THRUST_200600_302600_NS4plusIyEEEE10hipError_tPvRmT1_T2_T3_mT4_P12ihipStream_tbEUlT_E0_NS1_11comp_targetILNS1_3genE10ELNS1_11target_archE1200ELNS1_3gpuE4ELNS1_3repE0EEENS1_30default_config_static_selectorELNS0_4arch9wavefront6targetE1EEEvSF_,comdat
	.protected	_ZN7rocprim17ROCPRIM_400000_NS6detail17trampoline_kernelINS0_14default_configENS1_22reduce_config_selectorIyEEZNS1_11reduce_implILb1ES3_PyS7_yN6thrust23THRUST_200600_302600_NS4plusIyEEEE10hipError_tPvRmT1_T2_T3_mT4_P12ihipStream_tbEUlT_E0_NS1_11comp_targetILNS1_3genE10ELNS1_11target_archE1200ELNS1_3gpuE4ELNS1_3repE0EEENS1_30default_config_static_selectorELNS0_4arch9wavefront6targetE1EEEvSF_ ; -- Begin function _ZN7rocprim17ROCPRIM_400000_NS6detail17trampoline_kernelINS0_14default_configENS1_22reduce_config_selectorIyEEZNS1_11reduce_implILb1ES3_PyS7_yN6thrust23THRUST_200600_302600_NS4plusIyEEEE10hipError_tPvRmT1_T2_T3_mT4_P12ihipStream_tbEUlT_E0_NS1_11comp_targetILNS1_3genE10ELNS1_11target_archE1200ELNS1_3gpuE4ELNS1_3repE0EEENS1_30default_config_static_selectorELNS0_4arch9wavefront6targetE1EEEvSF_
	.globl	_ZN7rocprim17ROCPRIM_400000_NS6detail17trampoline_kernelINS0_14default_configENS1_22reduce_config_selectorIyEEZNS1_11reduce_implILb1ES3_PyS7_yN6thrust23THRUST_200600_302600_NS4plusIyEEEE10hipError_tPvRmT1_T2_T3_mT4_P12ihipStream_tbEUlT_E0_NS1_11comp_targetILNS1_3genE10ELNS1_11target_archE1200ELNS1_3gpuE4ELNS1_3repE0EEENS1_30default_config_static_selectorELNS0_4arch9wavefront6targetE1EEEvSF_
	.p2align	8
	.type	_ZN7rocprim17ROCPRIM_400000_NS6detail17trampoline_kernelINS0_14default_configENS1_22reduce_config_selectorIyEEZNS1_11reduce_implILb1ES3_PyS7_yN6thrust23THRUST_200600_302600_NS4plusIyEEEE10hipError_tPvRmT1_T2_T3_mT4_P12ihipStream_tbEUlT_E0_NS1_11comp_targetILNS1_3genE10ELNS1_11target_archE1200ELNS1_3gpuE4ELNS1_3repE0EEENS1_30default_config_static_selectorELNS0_4arch9wavefront6targetE1EEEvSF_,@function
_ZN7rocprim17ROCPRIM_400000_NS6detail17trampoline_kernelINS0_14default_configENS1_22reduce_config_selectorIyEEZNS1_11reduce_implILb1ES3_PyS7_yN6thrust23THRUST_200600_302600_NS4plusIyEEEE10hipError_tPvRmT1_T2_T3_mT4_P12ihipStream_tbEUlT_E0_NS1_11comp_targetILNS1_3genE10ELNS1_11target_archE1200ELNS1_3gpuE4ELNS1_3repE0EEENS1_30default_config_static_selectorELNS0_4arch9wavefront6targetE1EEEvSF_: ; @_ZN7rocprim17ROCPRIM_400000_NS6detail17trampoline_kernelINS0_14default_configENS1_22reduce_config_selectorIyEEZNS1_11reduce_implILb1ES3_PyS7_yN6thrust23THRUST_200600_302600_NS4plusIyEEEE10hipError_tPvRmT1_T2_T3_mT4_P12ihipStream_tbEUlT_E0_NS1_11comp_targetILNS1_3genE10ELNS1_11target_archE1200ELNS1_3gpuE4ELNS1_3repE0EEENS1_30default_config_static_selectorELNS0_4arch9wavefront6targetE1EEEvSF_
; %bb.0:
	.section	.rodata,"a",@progbits
	.p2align	6, 0x0
	.amdhsa_kernel _ZN7rocprim17ROCPRIM_400000_NS6detail17trampoline_kernelINS0_14default_configENS1_22reduce_config_selectorIyEEZNS1_11reduce_implILb1ES3_PyS7_yN6thrust23THRUST_200600_302600_NS4plusIyEEEE10hipError_tPvRmT1_T2_T3_mT4_P12ihipStream_tbEUlT_E0_NS1_11comp_targetILNS1_3genE10ELNS1_11target_archE1200ELNS1_3gpuE4ELNS1_3repE0EEENS1_30default_config_static_selectorELNS0_4arch9wavefront6targetE1EEEvSF_
		.amdhsa_group_segment_fixed_size 0
		.amdhsa_private_segment_fixed_size 0
		.amdhsa_kernarg_size 64
		.amdhsa_user_sgpr_count 2
		.amdhsa_user_sgpr_dispatch_ptr 0
		.amdhsa_user_sgpr_queue_ptr 0
		.amdhsa_user_sgpr_kernarg_segment_ptr 1
		.amdhsa_user_sgpr_dispatch_id 0
		.amdhsa_user_sgpr_kernarg_preload_length 0
		.amdhsa_user_sgpr_kernarg_preload_offset 0
		.amdhsa_user_sgpr_private_segment_size 0
		.amdhsa_uses_dynamic_stack 0
		.amdhsa_enable_private_segment 0
		.amdhsa_system_sgpr_workgroup_id_x 1
		.amdhsa_system_sgpr_workgroup_id_y 0
		.amdhsa_system_sgpr_workgroup_id_z 0
		.amdhsa_system_sgpr_workgroup_info 0
		.amdhsa_system_vgpr_workitem_id 0
		.amdhsa_next_free_vgpr 1
		.amdhsa_next_free_sgpr 0
		.amdhsa_accum_offset 4
		.amdhsa_reserve_vcc 0
		.amdhsa_float_round_mode_32 0
		.amdhsa_float_round_mode_16_64 0
		.amdhsa_float_denorm_mode_32 3
		.amdhsa_float_denorm_mode_16_64 3
		.amdhsa_dx10_clamp 1
		.amdhsa_ieee_mode 1
		.amdhsa_fp16_overflow 0
		.amdhsa_tg_split 0
		.amdhsa_exception_fp_ieee_invalid_op 0
		.amdhsa_exception_fp_denorm_src 0
		.amdhsa_exception_fp_ieee_div_zero 0
		.amdhsa_exception_fp_ieee_overflow 0
		.amdhsa_exception_fp_ieee_underflow 0
		.amdhsa_exception_fp_ieee_inexact 0
		.amdhsa_exception_int_div_zero 0
	.end_amdhsa_kernel
	.section	.text._ZN7rocprim17ROCPRIM_400000_NS6detail17trampoline_kernelINS0_14default_configENS1_22reduce_config_selectorIyEEZNS1_11reduce_implILb1ES3_PyS7_yN6thrust23THRUST_200600_302600_NS4plusIyEEEE10hipError_tPvRmT1_T2_T3_mT4_P12ihipStream_tbEUlT_E0_NS1_11comp_targetILNS1_3genE10ELNS1_11target_archE1200ELNS1_3gpuE4ELNS1_3repE0EEENS1_30default_config_static_selectorELNS0_4arch9wavefront6targetE1EEEvSF_,"axG",@progbits,_ZN7rocprim17ROCPRIM_400000_NS6detail17trampoline_kernelINS0_14default_configENS1_22reduce_config_selectorIyEEZNS1_11reduce_implILb1ES3_PyS7_yN6thrust23THRUST_200600_302600_NS4plusIyEEEE10hipError_tPvRmT1_T2_T3_mT4_P12ihipStream_tbEUlT_E0_NS1_11comp_targetILNS1_3genE10ELNS1_11target_archE1200ELNS1_3gpuE4ELNS1_3repE0EEENS1_30default_config_static_selectorELNS0_4arch9wavefront6targetE1EEEvSF_,comdat
.Lfunc_end82:
	.size	_ZN7rocprim17ROCPRIM_400000_NS6detail17trampoline_kernelINS0_14default_configENS1_22reduce_config_selectorIyEEZNS1_11reduce_implILb1ES3_PyS7_yN6thrust23THRUST_200600_302600_NS4plusIyEEEE10hipError_tPvRmT1_T2_T3_mT4_P12ihipStream_tbEUlT_E0_NS1_11comp_targetILNS1_3genE10ELNS1_11target_archE1200ELNS1_3gpuE4ELNS1_3repE0EEENS1_30default_config_static_selectorELNS0_4arch9wavefront6targetE1EEEvSF_, .Lfunc_end82-_ZN7rocprim17ROCPRIM_400000_NS6detail17trampoline_kernelINS0_14default_configENS1_22reduce_config_selectorIyEEZNS1_11reduce_implILb1ES3_PyS7_yN6thrust23THRUST_200600_302600_NS4plusIyEEEE10hipError_tPvRmT1_T2_T3_mT4_P12ihipStream_tbEUlT_E0_NS1_11comp_targetILNS1_3genE10ELNS1_11target_archE1200ELNS1_3gpuE4ELNS1_3repE0EEENS1_30default_config_static_selectorELNS0_4arch9wavefront6targetE1EEEvSF_
                                        ; -- End function
	.set _ZN7rocprim17ROCPRIM_400000_NS6detail17trampoline_kernelINS0_14default_configENS1_22reduce_config_selectorIyEEZNS1_11reduce_implILb1ES3_PyS7_yN6thrust23THRUST_200600_302600_NS4plusIyEEEE10hipError_tPvRmT1_T2_T3_mT4_P12ihipStream_tbEUlT_E0_NS1_11comp_targetILNS1_3genE10ELNS1_11target_archE1200ELNS1_3gpuE4ELNS1_3repE0EEENS1_30default_config_static_selectorELNS0_4arch9wavefront6targetE1EEEvSF_.num_vgpr, 0
	.set _ZN7rocprim17ROCPRIM_400000_NS6detail17trampoline_kernelINS0_14default_configENS1_22reduce_config_selectorIyEEZNS1_11reduce_implILb1ES3_PyS7_yN6thrust23THRUST_200600_302600_NS4plusIyEEEE10hipError_tPvRmT1_T2_T3_mT4_P12ihipStream_tbEUlT_E0_NS1_11comp_targetILNS1_3genE10ELNS1_11target_archE1200ELNS1_3gpuE4ELNS1_3repE0EEENS1_30default_config_static_selectorELNS0_4arch9wavefront6targetE1EEEvSF_.num_agpr, 0
	.set _ZN7rocprim17ROCPRIM_400000_NS6detail17trampoline_kernelINS0_14default_configENS1_22reduce_config_selectorIyEEZNS1_11reduce_implILb1ES3_PyS7_yN6thrust23THRUST_200600_302600_NS4plusIyEEEE10hipError_tPvRmT1_T2_T3_mT4_P12ihipStream_tbEUlT_E0_NS1_11comp_targetILNS1_3genE10ELNS1_11target_archE1200ELNS1_3gpuE4ELNS1_3repE0EEENS1_30default_config_static_selectorELNS0_4arch9wavefront6targetE1EEEvSF_.numbered_sgpr, 0
	.set _ZN7rocprim17ROCPRIM_400000_NS6detail17trampoline_kernelINS0_14default_configENS1_22reduce_config_selectorIyEEZNS1_11reduce_implILb1ES3_PyS7_yN6thrust23THRUST_200600_302600_NS4plusIyEEEE10hipError_tPvRmT1_T2_T3_mT4_P12ihipStream_tbEUlT_E0_NS1_11comp_targetILNS1_3genE10ELNS1_11target_archE1200ELNS1_3gpuE4ELNS1_3repE0EEENS1_30default_config_static_selectorELNS0_4arch9wavefront6targetE1EEEvSF_.num_named_barrier, 0
	.set _ZN7rocprim17ROCPRIM_400000_NS6detail17trampoline_kernelINS0_14default_configENS1_22reduce_config_selectorIyEEZNS1_11reduce_implILb1ES3_PyS7_yN6thrust23THRUST_200600_302600_NS4plusIyEEEE10hipError_tPvRmT1_T2_T3_mT4_P12ihipStream_tbEUlT_E0_NS1_11comp_targetILNS1_3genE10ELNS1_11target_archE1200ELNS1_3gpuE4ELNS1_3repE0EEENS1_30default_config_static_selectorELNS0_4arch9wavefront6targetE1EEEvSF_.private_seg_size, 0
	.set _ZN7rocprim17ROCPRIM_400000_NS6detail17trampoline_kernelINS0_14default_configENS1_22reduce_config_selectorIyEEZNS1_11reduce_implILb1ES3_PyS7_yN6thrust23THRUST_200600_302600_NS4plusIyEEEE10hipError_tPvRmT1_T2_T3_mT4_P12ihipStream_tbEUlT_E0_NS1_11comp_targetILNS1_3genE10ELNS1_11target_archE1200ELNS1_3gpuE4ELNS1_3repE0EEENS1_30default_config_static_selectorELNS0_4arch9wavefront6targetE1EEEvSF_.uses_vcc, 0
	.set _ZN7rocprim17ROCPRIM_400000_NS6detail17trampoline_kernelINS0_14default_configENS1_22reduce_config_selectorIyEEZNS1_11reduce_implILb1ES3_PyS7_yN6thrust23THRUST_200600_302600_NS4plusIyEEEE10hipError_tPvRmT1_T2_T3_mT4_P12ihipStream_tbEUlT_E0_NS1_11comp_targetILNS1_3genE10ELNS1_11target_archE1200ELNS1_3gpuE4ELNS1_3repE0EEENS1_30default_config_static_selectorELNS0_4arch9wavefront6targetE1EEEvSF_.uses_flat_scratch, 0
	.set _ZN7rocprim17ROCPRIM_400000_NS6detail17trampoline_kernelINS0_14default_configENS1_22reduce_config_selectorIyEEZNS1_11reduce_implILb1ES3_PyS7_yN6thrust23THRUST_200600_302600_NS4plusIyEEEE10hipError_tPvRmT1_T2_T3_mT4_P12ihipStream_tbEUlT_E0_NS1_11comp_targetILNS1_3genE10ELNS1_11target_archE1200ELNS1_3gpuE4ELNS1_3repE0EEENS1_30default_config_static_selectorELNS0_4arch9wavefront6targetE1EEEvSF_.has_dyn_sized_stack, 0
	.set _ZN7rocprim17ROCPRIM_400000_NS6detail17trampoline_kernelINS0_14default_configENS1_22reduce_config_selectorIyEEZNS1_11reduce_implILb1ES3_PyS7_yN6thrust23THRUST_200600_302600_NS4plusIyEEEE10hipError_tPvRmT1_T2_T3_mT4_P12ihipStream_tbEUlT_E0_NS1_11comp_targetILNS1_3genE10ELNS1_11target_archE1200ELNS1_3gpuE4ELNS1_3repE0EEENS1_30default_config_static_selectorELNS0_4arch9wavefront6targetE1EEEvSF_.has_recursion, 0
	.set _ZN7rocprim17ROCPRIM_400000_NS6detail17trampoline_kernelINS0_14default_configENS1_22reduce_config_selectorIyEEZNS1_11reduce_implILb1ES3_PyS7_yN6thrust23THRUST_200600_302600_NS4plusIyEEEE10hipError_tPvRmT1_T2_T3_mT4_P12ihipStream_tbEUlT_E0_NS1_11comp_targetILNS1_3genE10ELNS1_11target_archE1200ELNS1_3gpuE4ELNS1_3repE0EEENS1_30default_config_static_selectorELNS0_4arch9wavefront6targetE1EEEvSF_.has_indirect_call, 0
	.section	.AMDGPU.csdata,"",@progbits
; Kernel info:
; codeLenInByte = 0
; TotalNumSgprs: 6
; NumVgprs: 0
; NumAgprs: 0
; TotalNumVgprs: 0
; ScratchSize: 0
; MemoryBound: 0
; FloatMode: 240
; IeeeMode: 1
; LDSByteSize: 0 bytes/workgroup (compile time only)
; SGPRBlocks: 0
; VGPRBlocks: 0
; NumSGPRsForWavesPerEU: 6
; NumVGPRsForWavesPerEU: 1
; AccumOffset: 4
; Occupancy: 8
; WaveLimiterHint : 0
; COMPUTE_PGM_RSRC2:SCRATCH_EN: 0
; COMPUTE_PGM_RSRC2:USER_SGPR: 2
; COMPUTE_PGM_RSRC2:TRAP_HANDLER: 0
; COMPUTE_PGM_RSRC2:TGID_X_EN: 1
; COMPUTE_PGM_RSRC2:TGID_Y_EN: 0
; COMPUTE_PGM_RSRC2:TGID_Z_EN: 0
; COMPUTE_PGM_RSRC2:TIDIG_COMP_CNT: 0
; COMPUTE_PGM_RSRC3_GFX90A:ACCUM_OFFSET: 0
; COMPUTE_PGM_RSRC3_GFX90A:TG_SPLIT: 0
	.section	.text._ZN7rocprim17ROCPRIM_400000_NS6detail17trampoline_kernelINS0_14default_configENS1_22reduce_config_selectorIyEEZNS1_11reduce_implILb1ES3_PyS7_yN6thrust23THRUST_200600_302600_NS4plusIyEEEE10hipError_tPvRmT1_T2_T3_mT4_P12ihipStream_tbEUlT_E0_NS1_11comp_targetILNS1_3genE9ELNS1_11target_archE1100ELNS1_3gpuE3ELNS1_3repE0EEENS1_30default_config_static_selectorELNS0_4arch9wavefront6targetE1EEEvSF_,"axG",@progbits,_ZN7rocprim17ROCPRIM_400000_NS6detail17trampoline_kernelINS0_14default_configENS1_22reduce_config_selectorIyEEZNS1_11reduce_implILb1ES3_PyS7_yN6thrust23THRUST_200600_302600_NS4plusIyEEEE10hipError_tPvRmT1_T2_T3_mT4_P12ihipStream_tbEUlT_E0_NS1_11comp_targetILNS1_3genE9ELNS1_11target_archE1100ELNS1_3gpuE3ELNS1_3repE0EEENS1_30default_config_static_selectorELNS0_4arch9wavefront6targetE1EEEvSF_,comdat
	.protected	_ZN7rocprim17ROCPRIM_400000_NS6detail17trampoline_kernelINS0_14default_configENS1_22reduce_config_selectorIyEEZNS1_11reduce_implILb1ES3_PyS7_yN6thrust23THRUST_200600_302600_NS4plusIyEEEE10hipError_tPvRmT1_T2_T3_mT4_P12ihipStream_tbEUlT_E0_NS1_11comp_targetILNS1_3genE9ELNS1_11target_archE1100ELNS1_3gpuE3ELNS1_3repE0EEENS1_30default_config_static_selectorELNS0_4arch9wavefront6targetE1EEEvSF_ ; -- Begin function _ZN7rocprim17ROCPRIM_400000_NS6detail17trampoline_kernelINS0_14default_configENS1_22reduce_config_selectorIyEEZNS1_11reduce_implILb1ES3_PyS7_yN6thrust23THRUST_200600_302600_NS4plusIyEEEE10hipError_tPvRmT1_T2_T3_mT4_P12ihipStream_tbEUlT_E0_NS1_11comp_targetILNS1_3genE9ELNS1_11target_archE1100ELNS1_3gpuE3ELNS1_3repE0EEENS1_30default_config_static_selectorELNS0_4arch9wavefront6targetE1EEEvSF_
	.globl	_ZN7rocprim17ROCPRIM_400000_NS6detail17trampoline_kernelINS0_14default_configENS1_22reduce_config_selectorIyEEZNS1_11reduce_implILb1ES3_PyS7_yN6thrust23THRUST_200600_302600_NS4plusIyEEEE10hipError_tPvRmT1_T2_T3_mT4_P12ihipStream_tbEUlT_E0_NS1_11comp_targetILNS1_3genE9ELNS1_11target_archE1100ELNS1_3gpuE3ELNS1_3repE0EEENS1_30default_config_static_selectorELNS0_4arch9wavefront6targetE1EEEvSF_
	.p2align	8
	.type	_ZN7rocprim17ROCPRIM_400000_NS6detail17trampoline_kernelINS0_14default_configENS1_22reduce_config_selectorIyEEZNS1_11reduce_implILb1ES3_PyS7_yN6thrust23THRUST_200600_302600_NS4plusIyEEEE10hipError_tPvRmT1_T2_T3_mT4_P12ihipStream_tbEUlT_E0_NS1_11comp_targetILNS1_3genE9ELNS1_11target_archE1100ELNS1_3gpuE3ELNS1_3repE0EEENS1_30default_config_static_selectorELNS0_4arch9wavefront6targetE1EEEvSF_,@function
_ZN7rocprim17ROCPRIM_400000_NS6detail17trampoline_kernelINS0_14default_configENS1_22reduce_config_selectorIyEEZNS1_11reduce_implILb1ES3_PyS7_yN6thrust23THRUST_200600_302600_NS4plusIyEEEE10hipError_tPvRmT1_T2_T3_mT4_P12ihipStream_tbEUlT_E0_NS1_11comp_targetILNS1_3genE9ELNS1_11target_archE1100ELNS1_3gpuE3ELNS1_3repE0EEENS1_30default_config_static_selectorELNS0_4arch9wavefront6targetE1EEEvSF_: ; @_ZN7rocprim17ROCPRIM_400000_NS6detail17trampoline_kernelINS0_14default_configENS1_22reduce_config_selectorIyEEZNS1_11reduce_implILb1ES3_PyS7_yN6thrust23THRUST_200600_302600_NS4plusIyEEEE10hipError_tPvRmT1_T2_T3_mT4_P12ihipStream_tbEUlT_E0_NS1_11comp_targetILNS1_3genE9ELNS1_11target_archE1100ELNS1_3gpuE3ELNS1_3repE0EEENS1_30default_config_static_selectorELNS0_4arch9wavefront6targetE1EEEvSF_
; %bb.0:
	.section	.rodata,"a",@progbits
	.p2align	6, 0x0
	.amdhsa_kernel _ZN7rocprim17ROCPRIM_400000_NS6detail17trampoline_kernelINS0_14default_configENS1_22reduce_config_selectorIyEEZNS1_11reduce_implILb1ES3_PyS7_yN6thrust23THRUST_200600_302600_NS4plusIyEEEE10hipError_tPvRmT1_T2_T3_mT4_P12ihipStream_tbEUlT_E0_NS1_11comp_targetILNS1_3genE9ELNS1_11target_archE1100ELNS1_3gpuE3ELNS1_3repE0EEENS1_30default_config_static_selectorELNS0_4arch9wavefront6targetE1EEEvSF_
		.amdhsa_group_segment_fixed_size 0
		.amdhsa_private_segment_fixed_size 0
		.amdhsa_kernarg_size 64
		.amdhsa_user_sgpr_count 2
		.amdhsa_user_sgpr_dispatch_ptr 0
		.amdhsa_user_sgpr_queue_ptr 0
		.amdhsa_user_sgpr_kernarg_segment_ptr 1
		.amdhsa_user_sgpr_dispatch_id 0
		.amdhsa_user_sgpr_kernarg_preload_length 0
		.amdhsa_user_sgpr_kernarg_preload_offset 0
		.amdhsa_user_sgpr_private_segment_size 0
		.amdhsa_uses_dynamic_stack 0
		.amdhsa_enable_private_segment 0
		.amdhsa_system_sgpr_workgroup_id_x 1
		.amdhsa_system_sgpr_workgroup_id_y 0
		.amdhsa_system_sgpr_workgroup_id_z 0
		.amdhsa_system_sgpr_workgroup_info 0
		.amdhsa_system_vgpr_workitem_id 0
		.amdhsa_next_free_vgpr 1
		.amdhsa_next_free_sgpr 0
		.amdhsa_accum_offset 4
		.amdhsa_reserve_vcc 0
		.amdhsa_float_round_mode_32 0
		.amdhsa_float_round_mode_16_64 0
		.amdhsa_float_denorm_mode_32 3
		.amdhsa_float_denorm_mode_16_64 3
		.amdhsa_dx10_clamp 1
		.amdhsa_ieee_mode 1
		.amdhsa_fp16_overflow 0
		.amdhsa_tg_split 0
		.amdhsa_exception_fp_ieee_invalid_op 0
		.amdhsa_exception_fp_denorm_src 0
		.amdhsa_exception_fp_ieee_div_zero 0
		.amdhsa_exception_fp_ieee_overflow 0
		.amdhsa_exception_fp_ieee_underflow 0
		.amdhsa_exception_fp_ieee_inexact 0
		.amdhsa_exception_int_div_zero 0
	.end_amdhsa_kernel
	.section	.text._ZN7rocprim17ROCPRIM_400000_NS6detail17trampoline_kernelINS0_14default_configENS1_22reduce_config_selectorIyEEZNS1_11reduce_implILb1ES3_PyS7_yN6thrust23THRUST_200600_302600_NS4plusIyEEEE10hipError_tPvRmT1_T2_T3_mT4_P12ihipStream_tbEUlT_E0_NS1_11comp_targetILNS1_3genE9ELNS1_11target_archE1100ELNS1_3gpuE3ELNS1_3repE0EEENS1_30default_config_static_selectorELNS0_4arch9wavefront6targetE1EEEvSF_,"axG",@progbits,_ZN7rocprim17ROCPRIM_400000_NS6detail17trampoline_kernelINS0_14default_configENS1_22reduce_config_selectorIyEEZNS1_11reduce_implILb1ES3_PyS7_yN6thrust23THRUST_200600_302600_NS4plusIyEEEE10hipError_tPvRmT1_T2_T3_mT4_P12ihipStream_tbEUlT_E0_NS1_11comp_targetILNS1_3genE9ELNS1_11target_archE1100ELNS1_3gpuE3ELNS1_3repE0EEENS1_30default_config_static_selectorELNS0_4arch9wavefront6targetE1EEEvSF_,comdat
.Lfunc_end83:
	.size	_ZN7rocprim17ROCPRIM_400000_NS6detail17trampoline_kernelINS0_14default_configENS1_22reduce_config_selectorIyEEZNS1_11reduce_implILb1ES3_PyS7_yN6thrust23THRUST_200600_302600_NS4plusIyEEEE10hipError_tPvRmT1_T2_T3_mT4_P12ihipStream_tbEUlT_E0_NS1_11comp_targetILNS1_3genE9ELNS1_11target_archE1100ELNS1_3gpuE3ELNS1_3repE0EEENS1_30default_config_static_selectorELNS0_4arch9wavefront6targetE1EEEvSF_, .Lfunc_end83-_ZN7rocprim17ROCPRIM_400000_NS6detail17trampoline_kernelINS0_14default_configENS1_22reduce_config_selectorIyEEZNS1_11reduce_implILb1ES3_PyS7_yN6thrust23THRUST_200600_302600_NS4plusIyEEEE10hipError_tPvRmT1_T2_T3_mT4_P12ihipStream_tbEUlT_E0_NS1_11comp_targetILNS1_3genE9ELNS1_11target_archE1100ELNS1_3gpuE3ELNS1_3repE0EEENS1_30default_config_static_selectorELNS0_4arch9wavefront6targetE1EEEvSF_
                                        ; -- End function
	.set _ZN7rocprim17ROCPRIM_400000_NS6detail17trampoline_kernelINS0_14default_configENS1_22reduce_config_selectorIyEEZNS1_11reduce_implILb1ES3_PyS7_yN6thrust23THRUST_200600_302600_NS4plusIyEEEE10hipError_tPvRmT1_T2_T3_mT4_P12ihipStream_tbEUlT_E0_NS1_11comp_targetILNS1_3genE9ELNS1_11target_archE1100ELNS1_3gpuE3ELNS1_3repE0EEENS1_30default_config_static_selectorELNS0_4arch9wavefront6targetE1EEEvSF_.num_vgpr, 0
	.set _ZN7rocprim17ROCPRIM_400000_NS6detail17trampoline_kernelINS0_14default_configENS1_22reduce_config_selectorIyEEZNS1_11reduce_implILb1ES3_PyS7_yN6thrust23THRUST_200600_302600_NS4plusIyEEEE10hipError_tPvRmT1_T2_T3_mT4_P12ihipStream_tbEUlT_E0_NS1_11comp_targetILNS1_3genE9ELNS1_11target_archE1100ELNS1_3gpuE3ELNS1_3repE0EEENS1_30default_config_static_selectorELNS0_4arch9wavefront6targetE1EEEvSF_.num_agpr, 0
	.set _ZN7rocprim17ROCPRIM_400000_NS6detail17trampoline_kernelINS0_14default_configENS1_22reduce_config_selectorIyEEZNS1_11reduce_implILb1ES3_PyS7_yN6thrust23THRUST_200600_302600_NS4plusIyEEEE10hipError_tPvRmT1_T2_T3_mT4_P12ihipStream_tbEUlT_E0_NS1_11comp_targetILNS1_3genE9ELNS1_11target_archE1100ELNS1_3gpuE3ELNS1_3repE0EEENS1_30default_config_static_selectorELNS0_4arch9wavefront6targetE1EEEvSF_.numbered_sgpr, 0
	.set _ZN7rocprim17ROCPRIM_400000_NS6detail17trampoline_kernelINS0_14default_configENS1_22reduce_config_selectorIyEEZNS1_11reduce_implILb1ES3_PyS7_yN6thrust23THRUST_200600_302600_NS4plusIyEEEE10hipError_tPvRmT1_T2_T3_mT4_P12ihipStream_tbEUlT_E0_NS1_11comp_targetILNS1_3genE9ELNS1_11target_archE1100ELNS1_3gpuE3ELNS1_3repE0EEENS1_30default_config_static_selectorELNS0_4arch9wavefront6targetE1EEEvSF_.num_named_barrier, 0
	.set _ZN7rocprim17ROCPRIM_400000_NS6detail17trampoline_kernelINS0_14default_configENS1_22reduce_config_selectorIyEEZNS1_11reduce_implILb1ES3_PyS7_yN6thrust23THRUST_200600_302600_NS4plusIyEEEE10hipError_tPvRmT1_T2_T3_mT4_P12ihipStream_tbEUlT_E0_NS1_11comp_targetILNS1_3genE9ELNS1_11target_archE1100ELNS1_3gpuE3ELNS1_3repE0EEENS1_30default_config_static_selectorELNS0_4arch9wavefront6targetE1EEEvSF_.private_seg_size, 0
	.set _ZN7rocprim17ROCPRIM_400000_NS6detail17trampoline_kernelINS0_14default_configENS1_22reduce_config_selectorIyEEZNS1_11reduce_implILb1ES3_PyS7_yN6thrust23THRUST_200600_302600_NS4plusIyEEEE10hipError_tPvRmT1_T2_T3_mT4_P12ihipStream_tbEUlT_E0_NS1_11comp_targetILNS1_3genE9ELNS1_11target_archE1100ELNS1_3gpuE3ELNS1_3repE0EEENS1_30default_config_static_selectorELNS0_4arch9wavefront6targetE1EEEvSF_.uses_vcc, 0
	.set _ZN7rocprim17ROCPRIM_400000_NS6detail17trampoline_kernelINS0_14default_configENS1_22reduce_config_selectorIyEEZNS1_11reduce_implILb1ES3_PyS7_yN6thrust23THRUST_200600_302600_NS4plusIyEEEE10hipError_tPvRmT1_T2_T3_mT4_P12ihipStream_tbEUlT_E0_NS1_11comp_targetILNS1_3genE9ELNS1_11target_archE1100ELNS1_3gpuE3ELNS1_3repE0EEENS1_30default_config_static_selectorELNS0_4arch9wavefront6targetE1EEEvSF_.uses_flat_scratch, 0
	.set _ZN7rocprim17ROCPRIM_400000_NS6detail17trampoline_kernelINS0_14default_configENS1_22reduce_config_selectorIyEEZNS1_11reduce_implILb1ES3_PyS7_yN6thrust23THRUST_200600_302600_NS4plusIyEEEE10hipError_tPvRmT1_T2_T3_mT4_P12ihipStream_tbEUlT_E0_NS1_11comp_targetILNS1_3genE9ELNS1_11target_archE1100ELNS1_3gpuE3ELNS1_3repE0EEENS1_30default_config_static_selectorELNS0_4arch9wavefront6targetE1EEEvSF_.has_dyn_sized_stack, 0
	.set _ZN7rocprim17ROCPRIM_400000_NS6detail17trampoline_kernelINS0_14default_configENS1_22reduce_config_selectorIyEEZNS1_11reduce_implILb1ES3_PyS7_yN6thrust23THRUST_200600_302600_NS4plusIyEEEE10hipError_tPvRmT1_T2_T3_mT4_P12ihipStream_tbEUlT_E0_NS1_11comp_targetILNS1_3genE9ELNS1_11target_archE1100ELNS1_3gpuE3ELNS1_3repE0EEENS1_30default_config_static_selectorELNS0_4arch9wavefront6targetE1EEEvSF_.has_recursion, 0
	.set _ZN7rocprim17ROCPRIM_400000_NS6detail17trampoline_kernelINS0_14default_configENS1_22reduce_config_selectorIyEEZNS1_11reduce_implILb1ES3_PyS7_yN6thrust23THRUST_200600_302600_NS4plusIyEEEE10hipError_tPvRmT1_T2_T3_mT4_P12ihipStream_tbEUlT_E0_NS1_11comp_targetILNS1_3genE9ELNS1_11target_archE1100ELNS1_3gpuE3ELNS1_3repE0EEENS1_30default_config_static_selectorELNS0_4arch9wavefront6targetE1EEEvSF_.has_indirect_call, 0
	.section	.AMDGPU.csdata,"",@progbits
; Kernel info:
; codeLenInByte = 0
; TotalNumSgprs: 6
; NumVgprs: 0
; NumAgprs: 0
; TotalNumVgprs: 0
; ScratchSize: 0
; MemoryBound: 0
; FloatMode: 240
; IeeeMode: 1
; LDSByteSize: 0 bytes/workgroup (compile time only)
; SGPRBlocks: 0
; VGPRBlocks: 0
; NumSGPRsForWavesPerEU: 6
; NumVGPRsForWavesPerEU: 1
; AccumOffset: 4
; Occupancy: 8
; WaveLimiterHint : 0
; COMPUTE_PGM_RSRC2:SCRATCH_EN: 0
; COMPUTE_PGM_RSRC2:USER_SGPR: 2
; COMPUTE_PGM_RSRC2:TRAP_HANDLER: 0
; COMPUTE_PGM_RSRC2:TGID_X_EN: 1
; COMPUTE_PGM_RSRC2:TGID_Y_EN: 0
; COMPUTE_PGM_RSRC2:TGID_Z_EN: 0
; COMPUTE_PGM_RSRC2:TIDIG_COMP_CNT: 0
; COMPUTE_PGM_RSRC3_GFX90A:ACCUM_OFFSET: 0
; COMPUTE_PGM_RSRC3_GFX90A:TG_SPLIT: 0
	.section	.text._ZN7rocprim17ROCPRIM_400000_NS6detail17trampoline_kernelINS0_14default_configENS1_22reduce_config_selectorIyEEZNS1_11reduce_implILb1ES3_PyS7_yN6thrust23THRUST_200600_302600_NS4plusIyEEEE10hipError_tPvRmT1_T2_T3_mT4_P12ihipStream_tbEUlT_E0_NS1_11comp_targetILNS1_3genE8ELNS1_11target_archE1030ELNS1_3gpuE2ELNS1_3repE0EEENS1_30default_config_static_selectorELNS0_4arch9wavefront6targetE1EEEvSF_,"axG",@progbits,_ZN7rocprim17ROCPRIM_400000_NS6detail17trampoline_kernelINS0_14default_configENS1_22reduce_config_selectorIyEEZNS1_11reduce_implILb1ES3_PyS7_yN6thrust23THRUST_200600_302600_NS4plusIyEEEE10hipError_tPvRmT1_T2_T3_mT4_P12ihipStream_tbEUlT_E0_NS1_11comp_targetILNS1_3genE8ELNS1_11target_archE1030ELNS1_3gpuE2ELNS1_3repE0EEENS1_30default_config_static_selectorELNS0_4arch9wavefront6targetE1EEEvSF_,comdat
	.protected	_ZN7rocprim17ROCPRIM_400000_NS6detail17trampoline_kernelINS0_14default_configENS1_22reduce_config_selectorIyEEZNS1_11reduce_implILb1ES3_PyS7_yN6thrust23THRUST_200600_302600_NS4plusIyEEEE10hipError_tPvRmT1_T2_T3_mT4_P12ihipStream_tbEUlT_E0_NS1_11comp_targetILNS1_3genE8ELNS1_11target_archE1030ELNS1_3gpuE2ELNS1_3repE0EEENS1_30default_config_static_selectorELNS0_4arch9wavefront6targetE1EEEvSF_ ; -- Begin function _ZN7rocprim17ROCPRIM_400000_NS6detail17trampoline_kernelINS0_14default_configENS1_22reduce_config_selectorIyEEZNS1_11reduce_implILb1ES3_PyS7_yN6thrust23THRUST_200600_302600_NS4plusIyEEEE10hipError_tPvRmT1_T2_T3_mT4_P12ihipStream_tbEUlT_E0_NS1_11comp_targetILNS1_3genE8ELNS1_11target_archE1030ELNS1_3gpuE2ELNS1_3repE0EEENS1_30default_config_static_selectorELNS0_4arch9wavefront6targetE1EEEvSF_
	.globl	_ZN7rocprim17ROCPRIM_400000_NS6detail17trampoline_kernelINS0_14default_configENS1_22reduce_config_selectorIyEEZNS1_11reduce_implILb1ES3_PyS7_yN6thrust23THRUST_200600_302600_NS4plusIyEEEE10hipError_tPvRmT1_T2_T3_mT4_P12ihipStream_tbEUlT_E0_NS1_11comp_targetILNS1_3genE8ELNS1_11target_archE1030ELNS1_3gpuE2ELNS1_3repE0EEENS1_30default_config_static_selectorELNS0_4arch9wavefront6targetE1EEEvSF_
	.p2align	8
	.type	_ZN7rocprim17ROCPRIM_400000_NS6detail17trampoline_kernelINS0_14default_configENS1_22reduce_config_selectorIyEEZNS1_11reduce_implILb1ES3_PyS7_yN6thrust23THRUST_200600_302600_NS4plusIyEEEE10hipError_tPvRmT1_T2_T3_mT4_P12ihipStream_tbEUlT_E0_NS1_11comp_targetILNS1_3genE8ELNS1_11target_archE1030ELNS1_3gpuE2ELNS1_3repE0EEENS1_30default_config_static_selectorELNS0_4arch9wavefront6targetE1EEEvSF_,@function
_ZN7rocprim17ROCPRIM_400000_NS6detail17trampoline_kernelINS0_14default_configENS1_22reduce_config_selectorIyEEZNS1_11reduce_implILb1ES3_PyS7_yN6thrust23THRUST_200600_302600_NS4plusIyEEEE10hipError_tPvRmT1_T2_T3_mT4_P12ihipStream_tbEUlT_E0_NS1_11comp_targetILNS1_3genE8ELNS1_11target_archE1030ELNS1_3gpuE2ELNS1_3repE0EEENS1_30default_config_static_selectorELNS0_4arch9wavefront6targetE1EEEvSF_: ; @_ZN7rocprim17ROCPRIM_400000_NS6detail17trampoline_kernelINS0_14default_configENS1_22reduce_config_selectorIyEEZNS1_11reduce_implILb1ES3_PyS7_yN6thrust23THRUST_200600_302600_NS4plusIyEEEE10hipError_tPvRmT1_T2_T3_mT4_P12ihipStream_tbEUlT_E0_NS1_11comp_targetILNS1_3genE8ELNS1_11target_archE1030ELNS1_3gpuE2ELNS1_3repE0EEENS1_30default_config_static_selectorELNS0_4arch9wavefront6targetE1EEEvSF_
; %bb.0:
	.section	.rodata,"a",@progbits
	.p2align	6, 0x0
	.amdhsa_kernel _ZN7rocprim17ROCPRIM_400000_NS6detail17trampoline_kernelINS0_14default_configENS1_22reduce_config_selectorIyEEZNS1_11reduce_implILb1ES3_PyS7_yN6thrust23THRUST_200600_302600_NS4plusIyEEEE10hipError_tPvRmT1_T2_T3_mT4_P12ihipStream_tbEUlT_E0_NS1_11comp_targetILNS1_3genE8ELNS1_11target_archE1030ELNS1_3gpuE2ELNS1_3repE0EEENS1_30default_config_static_selectorELNS0_4arch9wavefront6targetE1EEEvSF_
		.amdhsa_group_segment_fixed_size 0
		.amdhsa_private_segment_fixed_size 0
		.amdhsa_kernarg_size 64
		.amdhsa_user_sgpr_count 2
		.amdhsa_user_sgpr_dispatch_ptr 0
		.amdhsa_user_sgpr_queue_ptr 0
		.amdhsa_user_sgpr_kernarg_segment_ptr 1
		.amdhsa_user_sgpr_dispatch_id 0
		.amdhsa_user_sgpr_kernarg_preload_length 0
		.amdhsa_user_sgpr_kernarg_preload_offset 0
		.amdhsa_user_sgpr_private_segment_size 0
		.amdhsa_uses_dynamic_stack 0
		.amdhsa_enable_private_segment 0
		.amdhsa_system_sgpr_workgroup_id_x 1
		.amdhsa_system_sgpr_workgroup_id_y 0
		.amdhsa_system_sgpr_workgroup_id_z 0
		.amdhsa_system_sgpr_workgroup_info 0
		.amdhsa_system_vgpr_workitem_id 0
		.amdhsa_next_free_vgpr 1
		.amdhsa_next_free_sgpr 0
		.amdhsa_accum_offset 4
		.amdhsa_reserve_vcc 0
		.amdhsa_float_round_mode_32 0
		.amdhsa_float_round_mode_16_64 0
		.amdhsa_float_denorm_mode_32 3
		.amdhsa_float_denorm_mode_16_64 3
		.amdhsa_dx10_clamp 1
		.amdhsa_ieee_mode 1
		.amdhsa_fp16_overflow 0
		.amdhsa_tg_split 0
		.amdhsa_exception_fp_ieee_invalid_op 0
		.amdhsa_exception_fp_denorm_src 0
		.amdhsa_exception_fp_ieee_div_zero 0
		.amdhsa_exception_fp_ieee_overflow 0
		.amdhsa_exception_fp_ieee_underflow 0
		.amdhsa_exception_fp_ieee_inexact 0
		.amdhsa_exception_int_div_zero 0
	.end_amdhsa_kernel
	.section	.text._ZN7rocprim17ROCPRIM_400000_NS6detail17trampoline_kernelINS0_14default_configENS1_22reduce_config_selectorIyEEZNS1_11reduce_implILb1ES3_PyS7_yN6thrust23THRUST_200600_302600_NS4plusIyEEEE10hipError_tPvRmT1_T2_T3_mT4_P12ihipStream_tbEUlT_E0_NS1_11comp_targetILNS1_3genE8ELNS1_11target_archE1030ELNS1_3gpuE2ELNS1_3repE0EEENS1_30default_config_static_selectorELNS0_4arch9wavefront6targetE1EEEvSF_,"axG",@progbits,_ZN7rocprim17ROCPRIM_400000_NS6detail17trampoline_kernelINS0_14default_configENS1_22reduce_config_selectorIyEEZNS1_11reduce_implILb1ES3_PyS7_yN6thrust23THRUST_200600_302600_NS4plusIyEEEE10hipError_tPvRmT1_T2_T3_mT4_P12ihipStream_tbEUlT_E0_NS1_11comp_targetILNS1_3genE8ELNS1_11target_archE1030ELNS1_3gpuE2ELNS1_3repE0EEENS1_30default_config_static_selectorELNS0_4arch9wavefront6targetE1EEEvSF_,comdat
.Lfunc_end84:
	.size	_ZN7rocprim17ROCPRIM_400000_NS6detail17trampoline_kernelINS0_14default_configENS1_22reduce_config_selectorIyEEZNS1_11reduce_implILb1ES3_PyS7_yN6thrust23THRUST_200600_302600_NS4plusIyEEEE10hipError_tPvRmT1_T2_T3_mT4_P12ihipStream_tbEUlT_E0_NS1_11comp_targetILNS1_3genE8ELNS1_11target_archE1030ELNS1_3gpuE2ELNS1_3repE0EEENS1_30default_config_static_selectorELNS0_4arch9wavefront6targetE1EEEvSF_, .Lfunc_end84-_ZN7rocprim17ROCPRIM_400000_NS6detail17trampoline_kernelINS0_14default_configENS1_22reduce_config_selectorIyEEZNS1_11reduce_implILb1ES3_PyS7_yN6thrust23THRUST_200600_302600_NS4plusIyEEEE10hipError_tPvRmT1_T2_T3_mT4_P12ihipStream_tbEUlT_E0_NS1_11comp_targetILNS1_3genE8ELNS1_11target_archE1030ELNS1_3gpuE2ELNS1_3repE0EEENS1_30default_config_static_selectorELNS0_4arch9wavefront6targetE1EEEvSF_
                                        ; -- End function
	.set _ZN7rocprim17ROCPRIM_400000_NS6detail17trampoline_kernelINS0_14default_configENS1_22reduce_config_selectorIyEEZNS1_11reduce_implILb1ES3_PyS7_yN6thrust23THRUST_200600_302600_NS4plusIyEEEE10hipError_tPvRmT1_T2_T3_mT4_P12ihipStream_tbEUlT_E0_NS1_11comp_targetILNS1_3genE8ELNS1_11target_archE1030ELNS1_3gpuE2ELNS1_3repE0EEENS1_30default_config_static_selectorELNS0_4arch9wavefront6targetE1EEEvSF_.num_vgpr, 0
	.set _ZN7rocprim17ROCPRIM_400000_NS6detail17trampoline_kernelINS0_14default_configENS1_22reduce_config_selectorIyEEZNS1_11reduce_implILb1ES3_PyS7_yN6thrust23THRUST_200600_302600_NS4plusIyEEEE10hipError_tPvRmT1_T2_T3_mT4_P12ihipStream_tbEUlT_E0_NS1_11comp_targetILNS1_3genE8ELNS1_11target_archE1030ELNS1_3gpuE2ELNS1_3repE0EEENS1_30default_config_static_selectorELNS0_4arch9wavefront6targetE1EEEvSF_.num_agpr, 0
	.set _ZN7rocprim17ROCPRIM_400000_NS6detail17trampoline_kernelINS0_14default_configENS1_22reduce_config_selectorIyEEZNS1_11reduce_implILb1ES3_PyS7_yN6thrust23THRUST_200600_302600_NS4plusIyEEEE10hipError_tPvRmT1_T2_T3_mT4_P12ihipStream_tbEUlT_E0_NS1_11comp_targetILNS1_3genE8ELNS1_11target_archE1030ELNS1_3gpuE2ELNS1_3repE0EEENS1_30default_config_static_selectorELNS0_4arch9wavefront6targetE1EEEvSF_.numbered_sgpr, 0
	.set _ZN7rocprim17ROCPRIM_400000_NS6detail17trampoline_kernelINS0_14default_configENS1_22reduce_config_selectorIyEEZNS1_11reduce_implILb1ES3_PyS7_yN6thrust23THRUST_200600_302600_NS4plusIyEEEE10hipError_tPvRmT1_T2_T3_mT4_P12ihipStream_tbEUlT_E0_NS1_11comp_targetILNS1_3genE8ELNS1_11target_archE1030ELNS1_3gpuE2ELNS1_3repE0EEENS1_30default_config_static_selectorELNS0_4arch9wavefront6targetE1EEEvSF_.num_named_barrier, 0
	.set _ZN7rocprim17ROCPRIM_400000_NS6detail17trampoline_kernelINS0_14default_configENS1_22reduce_config_selectorIyEEZNS1_11reduce_implILb1ES3_PyS7_yN6thrust23THRUST_200600_302600_NS4plusIyEEEE10hipError_tPvRmT1_T2_T3_mT4_P12ihipStream_tbEUlT_E0_NS1_11comp_targetILNS1_3genE8ELNS1_11target_archE1030ELNS1_3gpuE2ELNS1_3repE0EEENS1_30default_config_static_selectorELNS0_4arch9wavefront6targetE1EEEvSF_.private_seg_size, 0
	.set _ZN7rocprim17ROCPRIM_400000_NS6detail17trampoline_kernelINS0_14default_configENS1_22reduce_config_selectorIyEEZNS1_11reduce_implILb1ES3_PyS7_yN6thrust23THRUST_200600_302600_NS4plusIyEEEE10hipError_tPvRmT1_T2_T3_mT4_P12ihipStream_tbEUlT_E0_NS1_11comp_targetILNS1_3genE8ELNS1_11target_archE1030ELNS1_3gpuE2ELNS1_3repE0EEENS1_30default_config_static_selectorELNS0_4arch9wavefront6targetE1EEEvSF_.uses_vcc, 0
	.set _ZN7rocprim17ROCPRIM_400000_NS6detail17trampoline_kernelINS0_14default_configENS1_22reduce_config_selectorIyEEZNS1_11reduce_implILb1ES3_PyS7_yN6thrust23THRUST_200600_302600_NS4plusIyEEEE10hipError_tPvRmT1_T2_T3_mT4_P12ihipStream_tbEUlT_E0_NS1_11comp_targetILNS1_3genE8ELNS1_11target_archE1030ELNS1_3gpuE2ELNS1_3repE0EEENS1_30default_config_static_selectorELNS0_4arch9wavefront6targetE1EEEvSF_.uses_flat_scratch, 0
	.set _ZN7rocprim17ROCPRIM_400000_NS6detail17trampoline_kernelINS0_14default_configENS1_22reduce_config_selectorIyEEZNS1_11reduce_implILb1ES3_PyS7_yN6thrust23THRUST_200600_302600_NS4plusIyEEEE10hipError_tPvRmT1_T2_T3_mT4_P12ihipStream_tbEUlT_E0_NS1_11comp_targetILNS1_3genE8ELNS1_11target_archE1030ELNS1_3gpuE2ELNS1_3repE0EEENS1_30default_config_static_selectorELNS0_4arch9wavefront6targetE1EEEvSF_.has_dyn_sized_stack, 0
	.set _ZN7rocprim17ROCPRIM_400000_NS6detail17trampoline_kernelINS0_14default_configENS1_22reduce_config_selectorIyEEZNS1_11reduce_implILb1ES3_PyS7_yN6thrust23THRUST_200600_302600_NS4plusIyEEEE10hipError_tPvRmT1_T2_T3_mT4_P12ihipStream_tbEUlT_E0_NS1_11comp_targetILNS1_3genE8ELNS1_11target_archE1030ELNS1_3gpuE2ELNS1_3repE0EEENS1_30default_config_static_selectorELNS0_4arch9wavefront6targetE1EEEvSF_.has_recursion, 0
	.set _ZN7rocprim17ROCPRIM_400000_NS6detail17trampoline_kernelINS0_14default_configENS1_22reduce_config_selectorIyEEZNS1_11reduce_implILb1ES3_PyS7_yN6thrust23THRUST_200600_302600_NS4plusIyEEEE10hipError_tPvRmT1_T2_T3_mT4_P12ihipStream_tbEUlT_E0_NS1_11comp_targetILNS1_3genE8ELNS1_11target_archE1030ELNS1_3gpuE2ELNS1_3repE0EEENS1_30default_config_static_selectorELNS0_4arch9wavefront6targetE1EEEvSF_.has_indirect_call, 0
	.section	.AMDGPU.csdata,"",@progbits
; Kernel info:
; codeLenInByte = 0
; TotalNumSgprs: 6
; NumVgprs: 0
; NumAgprs: 0
; TotalNumVgprs: 0
; ScratchSize: 0
; MemoryBound: 0
; FloatMode: 240
; IeeeMode: 1
; LDSByteSize: 0 bytes/workgroup (compile time only)
; SGPRBlocks: 0
; VGPRBlocks: 0
; NumSGPRsForWavesPerEU: 6
; NumVGPRsForWavesPerEU: 1
; AccumOffset: 4
; Occupancy: 8
; WaveLimiterHint : 0
; COMPUTE_PGM_RSRC2:SCRATCH_EN: 0
; COMPUTE_PGM_RSRC2:USER_SGPR: 2
; COMPUTE_PGM_RSRC2:TRAP_HANDLER: 0
; COMPUTE_PGM_RSRC2:TGID_X_EN: 1
; COMPUTE_PGM_RSRC2:TGID_Y_EN: 0
; COMPUTE_PGM_RSRC2:TGID_Z_EN: 0
; COMPUTE_PGM_RSRC2:TIDIG_COMP_CNT: 0
; COMPUTE_PGM_RSRC3_GFX90A:ACCUM_OFFSET: 0
; COMPUTE_PGM_RSRC3_GFX90A:TG_SPLIT: 0
	.section	.text._ZN7rocprim17ROCPRIM_400000_NS6detail17trampoline_kernelINS0_14default_configENS1_22reduce_config_selectorIyEEZNS1_11reduce_implILb1ES3_PyS7_yN6thrust23THRUST_200600_302600_NS4plusIyEEEE10hipError_tPvRmT1_T2_T3_mT4_P12ihipStream_tbEUlT_E1_NS1_11comp_targetILNS1_3genE0ELNS1_11target_archE4294967295ELNS1_3gpuE0ELNS1_3repE0EEENS1_30default_config_static_selectorELNS0_4arch9wavefront6targetE1EEEvSF_,"axG",@progbits,_ZN7rocprim17ROCPRIM_400000_NS6detail17trampoline_kernelINS0_14default_configENS1_22reduce_config_selectorIyEEZNS1_11reduce_implILb1ES3_PyS7_yN6thrust23THRUST_200600_302600_NS4plusIyEEEE10hipError_tPvRmT1_T2_T3_mT4_P12ihipStream_tbEUlT_E1_NS1_11comp_targetILNS1_3genE0ELNS1_11target_archE4294967295ELNS1_3gpuE0ELNS1_3repE0EEENS1_30default_config_static_selectorELNS0_4arch9wavefront6targetE1EEEvSF_,comdat
	.protected	_ZN7rocprim17ROCPRIM_400000_NS6detail17trampoline_kernelINS0_14default_configENS1_22reduce_config_selectorIyEEZNS1_11reduce_implILb1ES3_PyS7_yN6thrust23THRUST_200600_302600_NS4plusIyEEEE10hipError_tPvRmT1_T2_T3_mT4_P12ihipStream_tbEUlT_E1_NS1_11comp_targetILNS1_3genE0ELNS1_11target_archE4294967295ELNS1_3gpuE0ELNS1_3repE0EEENS1_30default_config_static_selectorELNS0_4arch9wavefront6targetE1EEEvSF_ ; -- Begin function _ZN7rocprim17ROCPRIM_400000_NS6detail17trampoline_kernelINS0_14default_configENS1_22reduce_config_selectorIyEEZNS1_11reduce_implILb1ES3_PyS7_yN6thrust23THRUST_200600_302600_NS4plusIyEEEE10hipError_tPvRmT1_T2_T3_mT4_P12ihipStream_tbEUlT_E1_NS1_11comp_targetILNS1_3genE0ELNS1_11target_archE4294967295ELNS1_3gpuE0ELNS1_3repE0EEENS1_30default_config_static_selectorELNS0_4arch9wavefront6targetE1EEEvSF_
	.globl	_ZN7rocprim17ROCPRIM_400000_NS6detail17trampoline_kernelINS0_14default_configENS1_22reduce_config_selectorIyEEZNS1_11reduce_implILb1ES3_PyS7_yN6thrust23THRUST_200600_302600_NS4plusIyEEEE10hipError_tPvRmT1_T2_T3_mT4_P12ihipStream_tbEUlT_E1_NS1_11comp_targetILNS1_3genE0ELNS1_11target_archE4294967295ELNS1_3gpuE0ELNS1_3repE0EEENS1_30default_config_static_selectorELNS0_4arch9wavefront6targetE1EEEvSF_
	.p2align	8
	.type	_ZN7rocprim17ROCPRIM_400000_NS6detail17trampoline_kernelINS0_14default_configENS1_22reduce_config_selectorIyEEZNS1_11reduce_implILb1ES3_PyS7_yN6thrust23THRUST_200600_302600_NS4plusIyEEEE10hipError_tPvRmT1_T2_T3_mT4_P12ihipStream_tbEUlT_E1_NS1_11comp_targetILNS1_3genE0ELNS1_11target_archE4294967295ELNS1_3gpuE0ELNS1_3repE0EEENS1_30default_config_static_selectorELNS0_4arch9wavefront6targetE1EEEvSF_,@function
_ZN7rocprim17ROCPRIM_400000_NS6detail17trampoline_kernelINS0_14default_configENS1_22reduce_config_selectorIyEEZNS1_11reduce_implILb1ES3_PyS7_yN6thrust23THRUST_200600_302600_NS4plusIyEEEE10hipError_tPvRmT1_T2_T3_mT4_P12ihipStream_tbEUlT_E1_NS1_11comp_targetILNS1_3genE0ELNS1_11target_archE4294967295ELNS1_3gpuE0ELNS1_3repE0EEENS1_30default_config_static_selectorELNS0_4arch9wavefront6targetE1EEEvSF_: ; @_ZN7rocprim17ROCPRIM_400000_NS6detail17trampoline_kernelINS0_14default_configENS1_22reduce_config_selectorIyEEZNS1_11reduce_implILb1ES3_PyS7_yN6thrust23THRUST_200600_302600_NS4plusIyEEEE10hipError_tPvRmT1_T2_T3_mT4_P12ihipStream_tbEUlT_E1_NS1_11comp_targetILNS1_3genE0ELNS1_11target_archE4294967295ELNS1_3gpuE0ELNS1_3repE0EEENS1_30default_config_static_selectorELNS0_4arch9wavefront6targetE1EEEvSF_
; %bb.0:
	s_load_dword s33, s[0:1], 0x4
	s_load_dwordx8 s[36:43], s[0:1], 0x8
	s_waitcnt lgkmcnt(0)
	s_cmp_lt_i32 s33, 4
	s_cbranch_scc1 .LBB85_10
; %bb.1:
	s_cmp_gt_i32 s33, 7
	s_cbranch_scc0 .LBB85_11
; %bb.2:
	s_cmp_gt_i32 s33, 15
	s_cbranch_scc0 .LBB85_12
; %bb.3:
	s_mov_b64 s[30:31], 0
	s_cmp_eq_u32 s33, 16
	s_mov_b64 s[0:1], 0
                                        ; implicit-def: $vgpr2_vgpr3
                                        ; implicit-def: $vgpr4_vgpr5
	s_cbranch_scc0 .LBB85_13
; %bb.4:
	s_mov_b32 s3, 0
	s_lshl_b32 s0, s2, 12
	s_mov_b32 s1, s3
	s_lshr_b64 s[4:5], s[38:39], 12
	s_lshl_b64 s[6:7], s[0:1], 3
	s_add_u32 s34, s36, s6
	s_addc_u32 s35, s37, s7
	s_cmp_lg_u64 s[4:5], s[2:3]
	s_cbranch_scc0 .LBB85_21
; %bb.5:
	v_lshlrev_b32_e32 v2, 3, v0
	v_mov_b32_e32 v3, 0
	v_lshl_add_u64 v[4:5], s[34:35], 0, v[2:3]
	global_load_dwordx2 v[6:7], v2, s[34:35]
	global_load_dwordx2 v[8:9], v2, s[34:35] offset:2048
	v_add_co_u32_e32 v10, vcc, 0x1000, v4
	v_mov_b32_e32 v38, v3
	s_nop 0
	v_addc_co_u32_e32 v11, vcc, 0, v5, vcc
	v_add_co_u32_e32 v12, vcc, 0x2000, v4
	v_mov_b32_e32 v40, v3
	s_nop 0
	v_addc_co_u32_e32 v13, vcc, 0, v5, vcc
	global_load_dwordx2 v[14:15], v[10:11], off
	global_load_dwordx2 v[16:17], v[10:11], off offset:2048
	global_load_dwordx2 v[18:19], v[12:13], off
	global_load_dwordx2 v[20:21], v[12:13], off offset:2048
	v_add_co_u32_e32 v10, vcc, 0x3000, v4
	v_mov_b32_e32 v42, v3
	s_nop 0
	v_addc_co_u32_e32 v11, vcc, 0, v5, vcc
	v_add_co_u32_e32 v12, vcc, 0x4000, v4
	v_mov_b32_e32 v44, v3
	s_nop 0
	v_addc_co_u32_e32 v13, vcc, 0, v5, vcc
	global_load_dwordx2 v[22:23], v[10:11], off
	global_load_dwordx2 v[24:25], v[10:11], off offset:2048
	global_load_dwordx2 v[26:27], v[12:13], off
	global_load_dwordx2 v[28:29], v[12:13], off offset:2048
	v_add_co_u32_e32 v10, vcc, 0x5000, v4
	v_mbcnt_lo_u32_b32 v1, -1, 0
	s_nop 0
	v_addc_co_u32_e32 v11, vcc, 0, v5, vcc
	v_add_co_u32_e32 v12, vcc, 0x6000, v4
	v_mov_b32_e32 v46, v3
	s_nop 0
	v_addc_co_u32_e32 v13, vcc, 0, v5, vcc
	global_load_dwordx2 v[30:31], v[10:11], off
	global_load_dwordx2 v[32:33], v[10:11], off offset:2048
	global_load_dwordx2 v[34:35], v[12:13], off
	global_load_dwordx2 v[36:37], v[12:13], off offset:2048
	v_add_co_u32_e32 v4, vcc, 0x7000, v4
	v_mbcnt_hi_u32_b32 v1, -1, v1
	s_nop 0
	v_addc_co_u32_e32 v5, vcc, 0, v5, vcc
	global_load_dwordx2 v[10:11], v[4:5], off
	global_load_dwordx2 v[12:13], v[4:5], off offset:2048
	v_lshlrev_b32_e32 v4, 2, v1
	v_or_b32_e32 v5, 0xfc, v4
	v_cmp_eq_u32_e32 vcc, 0, v1
	s_waitcnt vmcnt(14)
	v_lshl_add_u64 v[6:7], v[8:9], 0, v[6:7]
	s_waitcnt vmcnt(13)
	v_lshl_add_u64 v[6:7], v[6:7], 0, v[14:15]
	;; [unrolled: 2-line block ×15, first 2 shown]
	s_nop 1
	v_mov_b32_dpp v2, v6 quad_perm:[1,0,3,2] row_mask:0xf bank_mask:0xf bound_ctrl:1
	v_mov_b32_dpp v39, v7 quad_perm:[1,0,3,2] row_mask:0xf bank_mask:0xf bound_ctrl:1
	v_lshl_add_u64 v[6:7], v[6:7], 0, v[2:3]
	v_lshl_add_u64 v[8:9], v[38:39], 0, v[6:7]
	s_nop 0
	v_mov_b32_dpp v2, v6 quad_perm:[2,3,0,1] row_mask:0xf bank_mask:0xf bound_ctrl:1
	v_mov_b32_dpp v41, v9 quad_perm:[2,3,0,1] row_mask:0xf bank_mask:0xf bound_ctrl:1
	v_lshl_add_u64 v[6:7], v[8:9], 0, v[2:3]
	v_lshl_add_u64 v[8:9], v[6:7], 0, v[40:41]
	s_nop 0
	v_mov_b32_dpp v2, v6 row_ror:4 row_mask:0xf bank_mask:0xf bound_ctrl:1
	v_mov_b32_dpp v43, v9 row_ror:4 row_mask:0xf bank_mask:0xf bound_ctrl:1
	v_lshl_add_u64 v[6:7], v[8:9], 0, v[2:3]
	v_lshl_add_u64 v[8:9], v[6:7], 0, v[42:43]
	s_nop 0
	v_mov_b32_dpp v2, v6 row_ror:8 row_mask:0xf bank_mask:0xf bound_ctrl:1
	v_mov_b32_dpp v45, v9 row_ror:8 row_mask:0xf bank_mask:0xf bound_ctrl:1
	v_lshl_add_u64 v[6:7], v[8:9], 0, v[2:3]
	v_lshl_add_u64 v[8:9], v[6:7], 0, v[44:45]
	s_nop 0
	v_mov_b32_dpp v2, v6 row_bcast:15 row_mask:0xf bank_mask:0xf bound_ctrl:1
	v_mov_b32_dpp v47, v9 row_bcast:15 row_mask:0xf bank_mask:0xf bound_ctrl:1
	v_lshl_add_u64 v[6:7], v[8:9], 0, v[2:3]
	v_lshl_add_u64 v[8:9], v[6:7], 0, v[46:47]
	s_nop 0
	v_mov_b32_dpp v2, v6 row_bcast:31 row_mask:0xf bank_mask:0xf bound_ctrl:1
	v_lshl_add_u64 v[2:3], v[8:9], 0, v[2:3]
	ds_bpermute_b32 v2, v5, v2
	s_nop 0
	v_add_u32_dpp v3, v9, v3 row_bcast:31 row_mask:0xf bank_mask:0xf bound_ctrl:1
	ds_bpermute_b32 v3, v5, v3
	s_and_saveexec_b64 s[4:5], vcc
	s_cbranch_execz .LBB85_7
; %bb.6:
	v_lshrrev_b32_e32 v5, 3, v0
	v_and_b32_e32 v5, 24, v5
	s_waitcnt lgkmcnt(0)
	ds_write_b64 v5, v[2:3]
.LBB85_7:
	s_or_b64 exec, exec, s[4:5]
	v_cmp_gt_u32_e32 vcc, 64, v0
	s_waitcnt lgkmcnt(0)
	s_barrier
	s_and_saveexec_b64 s[4:5], vcc
	s_cbranch_execz .LBB85_9
; %bb.8:
	v_and_b32_e32 v5, 3, v1
	v_lshlrev_b32_e32 v2, 3, v5
	ds_read_b64 v[2:3], v2
	v_cmp_ne_u32_e32 vcc, 3, v5
	v_mov_b32_e32 v8, 0
	v_mov_b32_e32 v7, v8
	v_addc_co_u32_e32 v1, vcc, 0, v1, vcc
	v_lshlrev_b32_e32 v1, 2, v1
	s_waitcnt lgkmcnt(0)
	ds_bpermute_b32 v6, v1, v2
	ds_bpermute_b32 v9, v1, v3
	v_or_b32_e32 v1, 8, v4
	s_waitcnt lgkmcnt(1)
	v_lshl_add_u64 v[2:3], v[2:3], 0, v[6:7]
	s_waitcnt lgkmcnt(0)
	v_lshl_add_u64 v[4:5], v[8:9], 0, v[2:3]
	ds_bpermute_b32 v2, v1, v2
	ds_bpermute_b32 v9, v1, v5
	v_mov_b32_e32 v3, v8
	s_waitcnt lgkmcnt(1)
	v_lshl_add_u64 v[2:3], v[4:5], 0, v[2:3]
	s_waitcnt lgkmcnt(0)
	v_lshl_add_u64 v[2:3], v[2:3], 0, v[8:9]
.LBB85_9:
	s_or_b64 exec, exec, s[4:5]
	s_mov_b64 s[4:5], 0
	s_branch .LBB85_22
.LBB85_10:
	s_mov_b64 s[0:1], 0
                                        ; implicit-def: $vgpr2_vgpr3
                                        ; implicit-def: $vgpr4_vgpr5
	s_cbranch_execnz .LBB85_121
	s_branch .LBB85_166
.LBB85_11:
	s_mov_b64 s[0:1], 0
                                        ; implicit-def: $vgpr2_vgpr3
                                        ; implicit-def: $vgpr4_vgpr5
	s_cbranch_execnz .LBB85_94
	s_branch .LBB85_120
.LBB85_12:
	s_mov_b64 s[30:31], -1
	s_mov_b64 s[0:1], 0
                                        ; implicit-def: $vgpr2_vgpr3
                                        ; implicit-def: $vgpr4_vgpr5
.LBB85_13:
	s_and_b64 vcc, exec, s[30:31]
	s_cbranch_vccz .LBB85_93
.LBB85_14:
	s_cmp_eq_u32 s33, 8
                                        ; implicit-def: $vgpr2_vgpr3
                                        ; implicit-def: $vgpr4_vgpr5
	s_cbranch_scc0 .LBB85_93
; %bb.15:
	s_mov_b32 s3, 0
	s_lshl_b32 s0, s2, 11
	s_mov_b32 s1, s3
	s_lshr_b64 s[4:5], s[38:39], 11
	s_lshl_b64 s[6:7], s[0:1], 3
	s_add_u32 s14, s36, s6
	s_addc_u32 s15, s37, s7
	s_cmp_lg_u64 s[4:5], s[2:3]
	s_cbranch_scc0 .LBB85_65
; %bb.16:
	v_lshlrev_b32_e32 v2, 3, v0
	v_mov_b32_e32 v3, 0
	v_lshl_add_u64 v[4:5], s[14:15], 0, v[2:3]
	s_waitcnt lgkmcnt(0)
	global_load_dwordx2 v[6:7], v2, s[14:15]
	global_load_dwordx2 v[8:9], v2, s[14:15] offset:2048
	v_add_co_u32_e32 v10, vcc, 0x1000, v4
	v_mov_b32_e32 v22, v3
	s_nop 0
	v_addc_co_u32_e32 v11, vcc, 0, v5, vcc
	v_add_co_u32_e32 v12, vcc, 0x2000, v4
	v_mov_b32_e32 v24, v3
	s_nop 0
	v_addc_co_u32_e32 v13, vcc, 0, v5, vcc
	global_load_dwordx2 v[14:15], v[10:11], off
	global_load_dwordx2 v[16:17], v[10:11], off offset:2048
	global_load_dwordx2 v[18:19], v[12:13], off
	global_load_dwordx2 v[20:21], v[12:13], off offset:2048
	v_add_co_u32_e32 v4, vcc, 0x3000, v4
	v_mov_b32_e32 v26, v3
	s_nop 0
	v_addc_co_u32_e32 v5, vcc, 0, v5, vcc
	global_load_dwordx2 v[10:11], v[4:5], off
	global_load_dwordx2 v[12:13], v[4:5], off offset:2048
	v_mov_b32_e32 v28, v3
	v_mbcnt_lo_u32_b32 v1, -1, 0
	v_mov_b32_e32 v30, v3
	v_mbcnt_hi_u32_b32 v1, -1, v1
	v_lshlrev_b32_e32 v4, 2, v1
	v_or_b32_e32 v5, 0xfc, v4
	v_cmp_eq_u32_e32 vcc, 0, v1
	s_waitcnt vmcnt(6)
	v_lshl_add_u64 v[6:7], v[8:9], 0, v[6:7]
	s_waitcnt vmcnt(5)
	v_lshl_add_u64 v[6:7], v[6:7], 0, v[14:15]
	;; [unrolled: 2-line block ×7, first 2 shown]
	s_nop 1
	v_mov_b32_dpp v2, v6 quad_perm:[1,0,3,2] row_mask:0xf bank_mask:0xf bound_ctrl:1
	v_mov_b32_dpp v23, v7 quad_perm:[1,0,3,2] row_mask:0xf bank_mask:0xf bound_ctrl:1
	v_lshl_add_u64 v[6:7], v[6:7], 0, v[2:3]
	v_lshl_add_u64 v[8:9], v[22:23], 0, v[6:7]
	s_nop 0
	v_mov_b32_dpp v2, v6 quad_perm:[2,3,0,1] row_mask:0xf bank_mask:0xf bound_ctrl:1
	v_mov_b32_dpp v25, v9 quad_perm:[2,3,0,1] row_mask:0xf bank_mask:0xf bound_ctrl:1
	v_lshl_add_u64 v[6:7], v[8:9], 0, v[2:3]
	v_lshl_add_u64 v[8:9], v[6:7], 0, v[24:25]
	s_nop 0
	v_mov_b32_dpp v2, v6 row_ror:4 row_mask:0xf bank_mask:0xf bound_ctrl:1
	v_mov_b32_dpp v27, v9 row_ror:4 row_mask:0xf bank_mask:0xf bound_ctrl:1
	v_lshl_add_u64 v[6:7], v[8:9], 0, v[2:3]
	v_lshl_add_u64 v[8:9], v[6:7], 0, v[26:27]
	s_nop 0
	v_mov_b32_dpp v2, v6 row_ror:8 row_mask:0xf bank_mask:0xf bound_ctrl:1
	v_mov_b32_dpp v29, v9 row_ror:8 row_mask:0xf bank_mask:0xf bound_ctrl:1
	v_lshl_add_u64 v[6:7], v[8:9], 0, v[2:3]
	v_lshl_add_u64 v[8:9], v[6:7], 0, v[28:29]
	s_nop 0
	v_mov_b32_dpp v2, v6 row_bcast:15 row_mask:0xf bank_mask:0xf bound_ctrl:1
	v_mov_b32_dpp v31, v9 row_bcast:15 row_mask:0xf bank_mask:0xf bound_ctrl:1
	v_lshl_add_u64 v[6:7], v[8:9], 0, v[2:3]
	v_lshl_add_u64 v[8:9], v[6:7], 0, v[30:31]
	s_nop 0
	v_mov_b32_dpp v2, v6 row_bcast:31 row_mask:0xf bank_mask:0xf bound_ctrl:1
	v_lshl_add_u64 v[2:3], v[8:9], 0, v[2:3]
	ds_bpermute_b32 v2, v5, v2
	s_nop 0
	v_add_u32_dpp v3, v9, v3 row_bcast:31 row_mask:0xf bank_mask:0xf bound_ctrl:1
	ds_bpermute_b32 v3, v5, v3
	s_and_saveexec_b64 s[4:5], vcc
	s_cbranch_execz .LBB85_18
; %bb.17:
	v_lshrrev_b32_e32 v5, 3, v0
	v_and_b32_e32 v5, 24, v5
	s_waitcnt lgkmcnt(0)
	ds_write_b64 v5, v[2:3] offset:128
.LBB85_18:
	s_or_b64 exec, exec, s[4:5]
	v_cmp_gt_u32_e32 vcc, 64, v0
	s_waitcnt lgkmcnt(0)
	s_barrier
	s_and_saveexec_b64 s[4:5], vcc
	s_cbranch_execz .LBB85_20
; %bb.19:
	v_and_b32_e32 v5, 3, v1
	v_lshlrev_b32_e32 v2, 3, v5
	ds_read_b64 v[2:3], v2 offset:128
	v_cmp_ne_u32_e32 vcc, 3, v5
	v_mov_b32_e32 v8, 0
	v_mov_b32_e32 v7, v8
	v_addc_co_u32_e32 v1, vcc, 0, v1, vcc
	v_lshlrev_b32_e32 v1, 2, v1
	s_waitcnt lgkmcnt(0)
	ds_bpermute_b32 v6, v1, v2
	ds_bpermute_b32 v9, v1, v3
	v_or_b32_e32 v1, 8, v4
	s_waitcnt lgkmcnt(1)
	v_lshl_add_u64 v[2:3], v[2:3], 0, v[6:7]
	s_waitcnt lgkmcnt(0)
	v_lshl_add_u64 v[4:5], v[8:9], 0, v[2:3]
	ds_bpermute_b32 v2, v1, v2
	ds_bpermute_b32 v9, v1, v5
	v_mov_b32_e32 v3, v8
	s_waitcnt lgkmcnt(1)
	v_lshl_add_u64 v[2:3], v[4:5], 0, v[2:3]
	s_waitcnt lgkmcnt(0)
	v_lshl_add_u64 v[2:3], v[2:3], 0, v[8:9]
.LBB85_20:
	s_or_b64 exec, exec, s[4:5]
	s_mov_b64 s[4:5], 0
	s_branch .LBB85_66
.LBB85_21:
	s_mov_b64 s[4:5], -1
                                        ; implicit-def: $vgpr2_vgpr3
.LBB85_22:
	s_and_b64 vcc, exec, s[4:5]
	s_cbranch_vccz .LBB85_64
; %bb.23:
	s_sub_i32 s46, s38, s0
	v_mov_b32_e32 v2, 0
	v_cmp_gt_u32_e32 vcc, s46, v0
	v_mov_b32_e32 v3, v2
	v_mov_b32_e32 v4, v2
	;; [unrolled: 1-line block ×31, first 2 shown]
	s_and_saveexec_b64 s[0:1], vcc
	s_cbranch_execz .LBB85_25
; %bb.24:
	v_lshlrev_b32_e32 v1, 3, v0
	global_load_dwordx2 v[4:5], v1, s[34:35]
	v_mov_b32_e32 v6, v2
	v_mov_b32_e32 v7, v2
	;; [unrolled: 1-line block ×30, first 2 shown]
	s_waitcnt vmcnt(0)
	v_mov_b64_e32 v[2:3], v[4:5]
	v_mov_b64_e32 v[4:5], v[6:7]
	;; [unrolled: 1-line block ×16, first 2 shown]
.LBB85_25:
	s_or_b64 exec, exec, s[0:1]
	v_or_b32_e32 v1, 0x100, v0
	v_cmp_gt_u32_e32 vcc, s46, v1
	s_and_saveexec_b64 s[0:1], vcc
	s_cbranch_execz .LBB85_27
; %bb.26:
	v_lshlrev_b32_e32 v1, 3, v0
	global_load_dwordx2 v[4:5], v1, s[34:35] offset:2048
.LBB85_27:
	s_or_b64 exec, exec, s[0:1]
	v_or_b32_e32 v1, 0x200, v0
	v_cmp_gt_u32_e64 s[0:1], s46, v1
	s_and_saveexec_b64 s[4:5], s[0:1]
	s_cbranch_execz .LBB85_29
; %bb.28:
	v_lshlrev_b32_e32 v1, 3, v1
	global_load_dwordx2 v[6:7], v1, s[34:35]
.LBB85_29:
	s_or_b64 exec, exec, s[4:5]
	v_or_b32_e32 v1, 0x300, v0
	v_cmp_gt_u32_e64 s[4:5], s46, v1
	s_and_saveexec_b64 s[6:7], s[4:5]
	s_cbranch_execz .LBB85_31
; %bb.30:
	v_lshlrev_b32_e32 v1, 3, v1
	global_load_dwordx2 v[8:9], v1, s[34:35]
.LBB85_31:
	;; [unrolled: 9-line block ×14, first 2 shown]
	s_or_b64 exec, exec, s[44:45]
	s_waitcnt vmcnt(0)
	v_cndmask_b32_e32 v5, 0, v5, vcc
	v_cndmask_b32_e32 v4, 0, v4, vcc
	v_lshl_add_u64 v[2:3], v[4:5], 0, v[2:3]
	v_cndmask_b32_e64 v5, 0, v7, s[0:1]
	v_cndmask_b32_e64 v4, 0, v6, s[0:1]
	v_lshl_add_u64 v[2:3], v[2:3], 0, v[4:5]
	v_cndmask_b32_e64 v5, 0, v9, s[4:5]
	v_cndmask_b32_e64 v4, 0, v8, s[4:5]
	;; [unrolled: 3-line block ×12, first 2 shown]
	v_mbcnt_lo_u32_b32 v1, -1, 0
	v_lshl_add_u64 v[2:3], v[2:3], 0, v[4:5]
	v_cndmask_b32_e64 v5, 0, v31, s[26:27]
	v_cndmask_b32_e64 v4, 0, v30, s[26:27]
	v_mbcnt_hi_u32_b32 v1, -1, v1
	v_lshl_add_u64 v[2:3], v[2:3], 0, v[4:5]
	v_cndmask_b32_e64 v5, 0, v33, s[28:29]
	v_cndmask_b32_e64 v4, 0, v32, s[28:29]
	v_and_b32_e32 v9, 63, v1
	v_lshl_add_u64 v[2:3], v[2:3], 0, v[4:5]
	s_min_u32 s6, s46, 0x100
	v_and_b32_e32 v4, 0xc0, v0
	v_cmp_ne_u32_e32 vcc, 63, v9
	v_sub_u32_e64 v8, s6, v4 clamp
	v_mov_b32_e32 v6, 0
	v_addc_co_u32_e32 v4, vcc, 0, v1, vcc
	v_lshlrev_b32_e32 v5, 2, v4
	ds_bpermute_b32 v4, v5, v2
	ds_bpermute_b32 v7, v5, v3
	v_add_u32_e32 v10, 1, v9
	v_mov_b32_e32 v5, v6
	v_cmp_lt_u32_e64 s[0:1], v10, v8
	s_waitcnt lgkmcnt(1)
	v_lshl_add_u64 v[4:5], v[2:3], 0, v[4:5]
	v_cmp_gt_u32_e32 vcc, 62, v9
	s_waitcnt lgkmcnt(0)
	v_lshl_add_u64 v[6:7], v[4:5], 0, v[6:7]
	v_cndmask_b32_e64 v12, v2, v4, s[0:1]
	v_cndmask_b32_e64 v4, 0, 2, vcc
	v_cndmask_b32_e64 v5, v3, v7, s[0:1]
	v_add_lshl_u32 v4, v4, v1, 2
	ds_bpermute_b32 v10, v4, v12
	ds_bpermute_b32 v11, v4, v5
	v_cndmask_b32_e64 v4, v2, v6, s[0:1]
	v_add_u32_e32 v13, 2, v9
	v_cmp_lt_u32_e32 vcc, v13, v8
	v_cmp_gt_u32_e64 s[4:5], 60, v9
	s_waitcnt lgkmcnt(0)
	v_lshl_add_u64 v[6:7], v[10:11], 0, v[4:5]
	v_cndmask_b32_e32 v5, v5, v7, vcc
	v_cndmask_b32_e64 v7, 0, 4, s[4:5]
	v_cndmask_b32_e32 v12, v12, v6, vcc
	v_add_lshl_u32 v7, v7, v1, 2
	ds_bpermute_b32 v10, v7, v12
	ds_bpermute_b32 v11, v7, v5
	v_cndmask_b32_e32 v4, v4, v6, vcc
	v_add_u32_e32 v13, 4, v9
	v_cmp_lt_u32_e32 vcc, v13, v8
	v_cmp_gt_u32_e64 s[4:5], 56, v9
	s_waitcnt lgkmcnt(0)
	v_lshl_add_u64 v[6:7], v[10:11], 0, v[4:5]
	v_cndmask_b32_e32 v5, v5, v7, vcc
	v_cndmask_b32_e64 v7, 0, 8, s[4:5]
	v_cndmask_b32_e32 v12, v12, v6, vcc
	v_add_lshl_u32 v7, v7, v1, 2
	ds_bpermute_b32 v10, v7, v12
	ds_bpermute_b32 v11, v7, v5
	v_cndmask_b32_e32 v4, v4, v6, vcc
	;; [unrolled: 12-line block ×3, first 2 shown]
	v_add_u32_e32 v13, 16, v9
	v_cmp_lt_u32_e32 vcc, v13, v8
	s_waitcnt lgkmcnt(0)
	v_lshl_add_u64 v[6:7], v[10:11], 0, v[4:5]
	v_lshlrev_b32_e32 v10, 2, v1
	v_cndmask_b32_e32 v13, v5, v7, vcc
	v_cndmask_b32_e32 v11, v12, v6, vcc
	v_or_b32_e32 v12, 0x80, v10
	ds_bpermute_b32 v11, v12, v11
	ds_bpermute_b32 v12, v12, v13
	s_and_saveexec_b64 s[4:5], s[0:1]
	s_cbranch_execz .LBB85_57
; %bb.56:
	v_add_u32_e32 v9, 32, v9
	v_cndmask_b32_e32 v3, v5, v7, vcc
	v_cndmask_b32_e32 v2, v4, v6, vcc
	v_cmp_lt_u32_e32 vcc, v9, v8
	s_waitcnt lgkmcnt(0)
	s_nop 0
	v_cndmask_b32_e32 v5, 0, v12, vcc
	v_cndmask_b32_e32 v4, 0, v11, vcc
	v_lshl_add_u64 v[2:3], v[2:3], 0, v[4:5]
.LBB85_57:
	s_or_b64 exec, exec, s[4:5]
	v_cmp_eq_u32_e32 vcc, 0, v1
	s_and_saveexec_b64 s[0:1], vcc
; %bb.58:
	v_lshrrev_b32_e32 v4, 3, v0
	v_and_b32_e32 v4, 24, v4
	ds_write_b64 v4, v[2:3] offset:160
; %bb.59:
	s_or_b64 exec, exec, s[0:1]
	v_cmp_gt_u32_e32 vcc, 4, v0
	s_waitcnt lgkmcnt(0)
	s_barrier
	s_and_saveexec_b64 s[0:1], vcc
	s_cbranch_execz .LBB85_63
; %bb.60:
	v_lshlrev_b32_e32 v2, 3, v1
	ds_read_b64 v[2:3], v2 offset:160
	v_and_b32_e32 v6, 3, v1
	v_cmp_ne_u32_e32 vcc, 3, v6
	v_mov_b32_e32 v8, 0
	s_add_i32 s6, s6, 63
	v_addc_co_u32_e32 v1, vcc, 0, v1, vcc
	v_lshlrev_b32_e32 v1, 2, v1
	s_waitcnt lgkmcnt(0)
	ds_bpermute_b32 v4, v1, v2
	ds_bpermute_b32 v9, v1, v3
	v_mov_b32_e32 v5, v8
	s_lshr_b32 s6, s6, 6
	v_add_u32_e32 v1, 1, v6
	s_waitcnt lgkmcnt(1)
	v_lshl_add_u64 v[12:13], v[2:3], 0, v[4:5]
	s_waitcnt lgkmcnt(0)
	v_lshl_add_u64 v[4:5], v[8:9], 0, v[12:13]
	v_cmp_gt_u32_e32 vcc, s6, v1
	v_or_b32_e32 v8, 8, v10
	s_nop 0
	v_cndmask_b32_e32 v7, v3, v5, vcc
	v_cndmask_b32_e32 v1, v2, v12, vcc
	ds_bpermute_b32 v1, v8, v1
	ds_bpermute_b32 v7, v8, v7
	s_and_saveexec_b64 s[4:5], vcc
	s_cbranch_execz .LBB85_62
; %bb.61:
	v_add_u32_e32 v2, 2, v6
	v_cmp_gt_u32_e32 vcc, s6, v2
	s_waitcnt lgkmcnt(0)
	s_nop 0
	v_cndmask_b32_e32 v3, 0, v7, vcc
	v_cndmask_b32_e32 v2, 0, v1, vcc
	v_lshl_add_u64 v[2:3], v[2:3], 0, v[4:5]
.LBB85_62:
	s_or_b64 exec, exec, s[4:5]
.LBB85_63:
	s_or_b64 exec, exec, s[0:1]
.LBB85_64:
	v_cmp_eq_u32_e64 s[0:1], 0, v0
	v_mov_b64_e32 v[4:5], s[2:3]
	s_and_b64 vcc, exec, s[30:31]
	s_cbranch_vccnz .LBB85_14
	s_branch .LBB85_93
.LBB85_65:
	s_mov_b64 s[4:5], -1
                                        ; implicit-def: $vgpr2_vgpr3
.LBB85_66:
	s_and_b64 vcc, exec, s[4:5]
	s_cbranch_vccz .LBB85_92
; %bb.67:
	s_sub_i32 s18, s38, s0
	v_mov_b32_e32 v2, 0
	v_cmp_gt_u32_e32 vcc, s18, v0
	v_mov_b32_e32 v3, v2
	v_mov_b32_e32 v4, v2
	;; [unrolled: 1-line block ×4, first 2 shown]
	s_waitcnt lgkmcnt(0)
	v_mov_b32_e32 v7, v2
	v_mov_b32_e32 v8, v2
	;; [unrolled: 1-line block ×11, first 2 shown]
	s_and_saveexec_b64 s[0:1], vcc
	s_cbranch_execz .LBB85_69
; %bb.68:
	v_lshlrev_b32_e32 v1, 3, v0
	global_load_dwordx2 v[4:5], v1, s[14:15]
	v_mov_b32_e32 v6, v2
	v_mov_b32_e32 v7, v2
	;; [unrolled: 1-line block ×14, first 2 shown]
	s_waitcnt vmcnt(0)
	v_mov_b64_e32 v[2:3], v[4:5]
	v_mov_b64_e32 v[4:5], v[6:7]
	;; [unrolled: 1-line block ×8, first 2 shown]
.LBB85_69:
	s_or_b64 exec, exec, s[0:1]
	v_or_b32_e32 v1, 0x100, v0
	v_cmp_gt_u32_e32 vcc, s18, v1
	s_and_saveexec_b64 s[0:1], vcc
	s_cbranch_execz .LBB85_71
; %bb.70:
	v_lshlrev_b32_e32 v1, 3, v0
	global_load_dwordx2 v[4:5], v1, s[14:15] offset:2048
.LBB85_71:
	s_or_b64 exec, exec, s[0:1]
	v_or_b32_e32 v1, 0x200, v0
	v_cmp_gt_u32_e64 s[0:1], s18, v1
	s_and_saveexec_b64 s[4:5], s[0:1]
	s_cbranch_execz .LBB85_73
; %bb.72:
	v_lshlrev_b32_e32 v1, 3, v1
	global_load_dwordx2 v[6:7], v1, s[14:15]
.LBB85_73:
	s_or_b64 exec, exec, s[4:5]
	v_or_b32_e32 v1, 0x300, v0
	v_cmp_gt_u32_e64 s[4:5], s18, v1
	s_and_saveexec_b64 s[6:7], s[4:5]
	s_cbranch_execz .LBB85_75
; %bb.74:
	v_lshlrev_b32_e32 v1, 3, v1
	global_load_dwordx2 v[8:9], v1, s[14:15]
.LBB85_75:
	;; [unrolled: 9-line block ×6, first 2 shown]
	s_or_b64 exec, exec, s[16:17]
	s_waitcnt vmcnt(0)
	v_cndmask_b32_e32 v5, 0, v5, vcc
	v_cndmask_b32_e32 v4, 0, v4, vcc
	v_lshl_add_u64 v[2:3], v[4:5], 0, v[2:3]
	v_cndmask_b32_e64 v5, 0, v7, s[0:1]
	v_cndmask_b32_e64 v4, 0, v6, s[0:1]
	v_lshl_add_u64 v[2:3], v[2:3], 0, v[4:5]
	v_cndmask_b32_e64 v5, 0, v9, s[4:5]
	v_cndmask_b32_e64 v4, 0, v8, s[4:5]
	;; [unrolled: 3-line block ×4, first 2 shown]
	v_mbcnt_lo_u32_b32 v1, -1, 0
	v_lshl_add_u64 v[2:3], v[2:3], 0, v[4:5]
	v_cndmask_b32_e64 v5, 0, v15, s[10:11]
	v_cndmask_b32_e64 v4, 0, v14, s[10:11]
	v_mbcnt_hi_u32_b32 v1, -1, v1
	v_lshl_add_u64 v[2:3], v[2:3], 0, v[4:5]
	v_cndmask_b32_e64 v5, 0, v17, s[12:13]
	v_cndmask_b32_e64 v4, 0, v16, s[12:13]
	v_and_b32_e32 v9, 63, v1
	v_lshl_add_u64 v[2:3], v[2:3], 0, v[4:5]
	s_min_u32 s6, s18, 0x100
	v_and_b32_e32 v4, 0xc0, v0
	v_cmp_ne_u32_e32 vcc, 63, v9
	v_sub_u32_e64 v8, s6, v4 clamp
	v_mov_b32_e32 v6, 0
	v_addc_co_u32_e32 v4, vcc, 0, v1, vcc
	v_lshlrev_b32_e32 v5, 2, v4
	ds_bpermute_b32 v4, v5, v2
	ds_bpermute_b32 v7, v5, v3
	v_add_u32_e32 v10, 1, v9
	v_mov_b32_e32 v5, v6
	v_cmp_lt_u32_e64 s[0:1], v10, v8
	s_waitcnt lgkmcnt(1)
	v_lshl_add_u64 v[4:5], v[2:3], 0, v[4:5]
	v_cmp_gt_u32_e32 vcc, 62, v9
	s_waitcnt lgkmcnt(0)
	v_lshl_add_u64 v[6:7], v[4:5], 0, v[6:7]
	v_cndmask_b32_e64 v12, v2, v4, s[0:1]
	v_cndmask_b32_e64 v4, 0, 2, vcc
	v_cndmask_b32_e64 v5, v3, v7, s[0:1]
	v_add_lshl_u32 v4, v4, v1, 2
	ds_bpermute_b32 v10, v4, v12
	ds_bpermute_b32 v11, v4, v5
	v_cndmask_b32_e64 v4, v2, v6, s[0:1]
	v_add_u32_e32 v13, 2, v9
	v_cmp_lt_u32_e32 vcc, v13, v8
	v_cmp_gt_u32_e64 s[4:5], 60, v9
	s_waitcnt lgkmcnt(0)
	v_lshl_add_u64 v[6:7], v[10:11], 0, v[4:5]
	v_cndmask_b32_e32 v5, v5, v7, vcc
	v_cndmask_b32_e64 v7, 0, 4, s[4:5]
	v_cndmask_b32_e32 v12, v12, v6, vcc
	v_add_lshl_u32 v7, v7, v1, 2
	ds_bpermute_b32 v10, v7, v12
	ds_bpermute_b32 v11, v7, v5
	v_cndmask_b32_e32 v4, v4, v6, vcc
	v_add_u32_e32 v13, 4, v9
	v_cmp_lt_u32_e32 vcc, v13, v8
	v_cmp_gt_u32_e64 s[4:5], 56, v9
	s_waitcnt lgkmcnt(0)
	v_lshl_add_u64 v[6:7], v[10:11], 0, v[4:5]
	v_cndmask_b32_e32 v5, v5, v7, vcc
	v_cndmask_b32_e64 v7, 0, 8, s[4:5]
	v_cndmask_b32_e32 v12, v12, v6, vcc
	v_add_lshl_u32 v7, v7, v1, 2
	ds_bpermute_b32 v10, v7, v12
	ds_bpermute_b32 v11, v7, v5
	v_cndmask_b32_e32 v4, v4, v6, vcc
	v_add_u32_e32 v13, 8, v9
	v_cmp_lt_u32_e32 vcc, v13, v8
	v_cmp_gt_u32_e64 s[4:5], 48, v9
	s_waitcnt lgkmcnt(0)
	v_lshl_add_u64 v[6:7], v[10:11], 0, v[4:5]
	v_cndmask_b32_e32 v5, v5, v7, vcc
	v_cndmask_b32_e64 v7, 0, 16, s[4:5]
	v_cndmask_b32_e32 v12, v12, v6, vcc
	v_add_lshl_u32 v7, v7, v1, 2
	ds_bpermute_b32 v10, v7, v12
	ds_bpermute_b32 v11, v7, v5
	v_cndmask_b32_e32 v4, v4, v6, vcc
	v_add_u32_e32 v13, 16, v9
	v_cmp_lt_u32_e32 vcc, v13, v8
	s_waitcnt lgkmcnt(0)
	v_lshl_add_u64 v[6:7], v[10:11], 0, v[4:5]
	v_lshlrev_b32_e32 v10, 2, v1
	v_cndmask_b32_e32 v13, v5, v7, vcc
	v_cndmask_b32_e32 v11, v12, v6, vcc
	v_or_b32_e32 v12, 0x80, v10
	ds_bpermute_b32 v11, v12, v11
	ds_bpermute_b32 v12, v12, v13
	s_and_saveexec_b64 s[4:5], s[0:1]
	s_cbranch_execz .LBB85_85
; %bb.84:
	v_add_u32_e32 v9, 32, v9
	v_cndmask_b32_e32 v3, v5, v7, vcc
	v_cndmask_b32_e32 v2, v4, v6, vcc
	v_cmp_lt_u32_e32 vcc, v9, v8
	s_waitcnt lgkmcnt(0)
	s_nop 0
	v_cndmask_b32_e32 v5, 0, v12, vcc
	v_cndmask_b32_e32 v4, 0, v11, vcc
	v_lshl_add_u64 v[2:3], v[2:3], 0, v[4:5]
.LBB85_85:
	s_or_b64 exec, exec, s[4:5]
	v_cmp_eq_u32_e32 vcc, 0, v1
	s_and_saveexec_b64 s[0:1], vcc
; %bb.86:
	v_lshrrev_b32_e32 v4, 3, v0
	v_and_b32_e32 v4, 24, v4
	ds_write_b64 v4, v[2:3] offset:160
; %bb.87:
	s_or_b64 exec, exec, s[0:1]
	v_cmp_gt_u32_e32 vcc, 4, v0
	s_waitcnt lgkmcnt(0)
	s_barrier
	s_and_saveexec_b64 s[0:1], vcc
	s_cbranch_execz .LBB85_91
; %bb.88:
	v_lshlrev_b32_e32 v2, 3, v1
	ds_read_b64 v[2:3], v2 offset:160
	v_and_b32_e32 v6, 3, v1
	v_cmp_ne_u32_e32 vcc, 3, v6
	v_mov_b32_e32 v8, 0
	s_add_i32 s6, s6, 63
	v_addc_co_u32_e32 v1, vcc, 0, v1, vcc
	v_lshlrev_b32_e32 v1, 2, v1
	s_waitcnt lgkmcnt(0)
	ds_bpermute_b32 v4, v1, v2
	ds_bpermute_b32 v9, v1, v3
	v_mov_b32_e32 v5, v8
	s_lshr_b32 s6, s6, 6
	v_add_u32_e32 v1, 1, v6
	s_waitcnt lgkmcnt(1)
	v_lshl_add_u64 v[12:13], v[2:3], 0, v[4:5]
	s_waitcnt lgkmcnt(0)
	v_lshl_add_u64 v[4:5], v[8:9], 0, v[12:13]
	v_cmp_gt_u32_e32 vcc, s6, v1
	v_or_b32_e32 v8, 8, v10
	s_nop 0
	v_cndmask_b32_e32 v7, v3, v5, vcc
	v_cndmask_b32_e32 v1, v2, v12, vcc
	ds_bpermute_b32 v1, v8, v1
	ds_bpermute_b32 v7, v8, v7
	s_and_saveexec_b64 s[4:5], vcc
	s_cbranch_execz .LBB85_90
; %bb.89:
	v_add_u32_e32 v2, 2, v6
	v_cmp_gt_u32_e32 vcc, s6, v2
	s_waitcnt lgkmcnt(0)
	s_nop 0
	v_cndmask_b32_e32 v3, 0, v7, vcc
	v_cndmask_b32_e32 v2, 0, v1, vcc
	v_lshl_add_u64 v[2:3], v[2:3], 0, v[4:5]
.LBB85_90:
	s_or_b64 exec, exec, s[4:5]
.LBB85_91:
	s_or_b64 exec, exec, s[0:1]
.LBB85_92:
	v_cmp_eq_u32_e64 s[0:1], 0, v0
	v_mov_b64_e32 v[4:5], s[2:3]
.LBB85_93:
	s_branch .LBB85_120
.LBB85_94:
	s_cmp_eq_u32 s33, 4
                                        ; implicit-def: $vgpr2_vgpr3
                                        ; implicit-def: $vgpr4_vgpr5
	s_cbranch_scc0 .LBB85_120
; %bb.95:
	s_mov_b32 s3, 0
	s_lshl_b32 s0, s2, 10
	s_mov_b32 s1, s3
	s_lshr_b64 s[4:5], s[38:39], 10
	s_lshl_b64 s[6:7], s[0:1], 3
	s_add_u32 s6, s36, s6
	s_addc_u32 s7, s37, s7
	s_cmp_lg_u64 s[4:5], s[2:3]
	s_cbranch_scc0 .LBB85_101
; %bb.96:
	v_lshlrev_b32_e32 v2, 3, v0
	v_mov_b32_e32 v3, 0
	v_lshl_add_u64 v[4:5], s[6:7], 0, v[2:3]
	v_add_co_u32_e32 v4, vcc, 0x1000, v4
	v_mov_b32_e32 v14, v3
	s_nop 0
	v_addc_co_u32_e32 v5, vcc, 0, v5, vcc
	s_waitcnt lgkmcnt(0)
	global_load_dwordx2 v[6:7], v2, s[6:7]
	global_load_dwordx2 v[8:9], v2, s[6:7] offset:2048
	global_load_dwordx2 v[10:11], v[4:5], off
	global_load_dwordx2 v[12:13], v[4:5], off offset:2048
	v_mov_b32_e32 v16, v3
	v_mov_b32_e32 v18, v3
	;; [unrolled: 1-line block ×3, first 2 shown]
	v_mbcnt_lo_u32_b32 v1, -1, 0
	v_mov_b32_e32 v22, v3
	v_mbcnt_hi_u32_b32 v1, -1, v1
	v_lshlrev_b32_e32 v4, 2, v1
	v_or_b32_e32 v5, 0xfc, v4
	v_cmp_eq_u32_e32 vcc, 0, v1
	s_waitcnt vmcnt(2)
	v_lshl_add_u64 v[6:7], v[8:9], 0, v[6:7]
	s_waitcnt vmcnt(1)
	v_lshl_add_u64 v[6:7], v[6:7], 0, v[10:11]
	;; [unrolled: 2-line block ×3, first 2 shown]
	s_nop 1
	v_mov_b32_dpp v2, v6 quad_perm:[1,0,3,2] row_mask:0xf bank_mask:0xf bound_ctrl:1
	v_mov_b32_dpp v15, v7 quad_perm:[1,0,3,2] row_mask:0xf bank_mask:0xf bound_ctrl:1
	v_lshl_add_u64 v[6:7], v[6:7], 0, v[2:3]
	v_lshl_add_u64 v[8:9], v[14:15], 0, v[6:7]
	s_nop 0
	v_mov_b32_dpp v2, v6 quad_perm:[2,3,0,1] row_mask:0xf bank_mask:0xf bound_ctrl:1
	v_mov_b32_dpp v17, v9 quad_perm:[2,3,0,1] row_mask:0xf bank_mask:0xf bound_ctrl:1
	v_lshl_add_u64 v[6:7], v[8:9], 0, v[2:3]
	v_lshl_add_u64 v[8:9], v[6:7], 0, v[16:17]
	s_nop 0
	v_mov_b32_dpp v2, v6 row_ror:4 row_mask:0xf bank_mask:0xf bound_ctrl:1
	v_mov_b32_dpp v19, v9 row_ror:4 row_mask:0xf bank_mask:0xf bound_ctrl:1
	v_lshl_add_u64 v[6:7], v[8:9], 0, v[2:3]
	v_lshl_add_u64 v[8:9], v[6:7], 0, v[18:19]
	s_nop 0
	v_mov_b32_dpp v2, v6 row_ror:8 row_mask:0xf bank_mask:0xf bound_ctrl:1
	v_mov_b32_dpp v21, v9 row_ror:8 row_mask:0xf bank_mask:0xf bound_ctrl:1
	v_lshl_add_u64 v[6:7], v[8:9], 0, v[2:3]
	v_lshl_add_u64 v[8:9], v[6:7], 0, v[20:21]
	s_nop 0
	v_mov_b32_dpp v2, v6 row_bcast:15 row_mask:0xf bank_mask:0xf bound_ctrl:1
	v_mov_b32_dpp v23, v9 row_bcast:15 row_mask:0xf bank_mask:0xf bound_ctrl:1
	v_lshl_add_u64 v[6:7], v[8:9], 0, v[2:3]
	v_lshl_add_u64 v[8:9], v[6:7], 0, v[22:23]
	s_nop 0
	v_mov_b32_dpp v2, v6 row_bcast:31 row_mask:0xf bank_mask:0xf bound_ctrl:1
	v_lshl_add_u64 v[2:3], v[8:9], 0, v[2:3]
	ds_bpermute_b32 v2, v5, v2
	s_nop 0
	v_add_u32_dpp v3, v9, v3 row_bcast:31 row_mask:0xf bank_mask:0xf bound_ctrl:1
	ds_bpermute_b32 v3, v5, v3
	s_and_saveexec_b64 s[4:5], vcc
	s_cbranch_execz .LBB85_98
; %bb.97:
	v_lshrrev_b32_e32 v5, 3, v0
	v_and_b32_e32 v5, 24, v5
	s_waitcnt lgkmcnt(0)
	ds_write_b64 v5, v[2:3] offset:96
.LBB85_98:
	s_or_b64 exec, exec, s[4:5]
	v_cmp_gt_u32_e32 vcc, 64, v0
	s_waitcnt lgkmcnt(0)
	s_barrier
	s_and_saveexec_b64 s[4:5], vcc
	s_cbranch_execz .LBB85_100
; %bb.99:
	v_and_b32_e32 v5, 3, v1
	v_lshlrev_b32_e32 v2, 3, v5
	ds_read_b64 v[2:3], v2 offset:96
	v_cmp_ne_u32_e32 vcc, 3, v5
	v_mov_b32_e32 v8, 0
	v_mov_b32_e32 v7, v8
	v_addc_co_u32_e32 v1, vcc, 0, v1, vcc
	v_lshlrev_b32_e32 v1, 2, v1
	s_waitcnt lgkmcnt(0)
	ds_bpermute_b32 v6, v1, v2
	ds_bpermute_b32 v9, v1, v3
	v_or_b32_e32 v1, 8, v4
	s_waitcnt lgkmcnt(1)
	v_lshl_add_u64 v[2:3], v[2:3], 0, v[6:7]
	s_waitcnt lgkmcnt(0)
	v_lshl_add_u64 v[4:5], v[8:9], 0, v[2:3]
	ds_bpermute_b32 v2, v1, v2
	ds_bpermute_b32 v9, v1, v5
	v_mov_b32_e32 v3, v8
	s_waitcnt lgkmcnt(1)
	v_lshl_add_u64 v[2:3], v[4:5], 0, v[2:3]
	s_waitcnt lgkmcnt(0)
	v_lshl_add_u64 v[2:3], v[2:3], 0, v[8:9]
.LBB85_100:
	s_or_b64 exec, exec, s[4:5]
	s_branch .LBB85_119
.LBB85_101:
                                        ; implicit-def: $vgpr2_vgpr3
	s_cbranch_execz .LBB85_119
; %bb.102:
	s_sub_i32 s10, s38, s0
	v_mov_b32_e32 v2, 0
	v_cmp_gt_u32_e32 vcc, s10, v0
	v_mov_b32_e32 v3, v2
	v_mov_b32_e32 v4, v2
	;; [unrolled: 1-line block ×4, first 2 shown]
	s_waitcnt lgkmcnt(0)
	v_mov_b32_e32 v7, v2
	v_mov_b32_e32 v8, v2
	;; [unrolled: 1-line block ×3, first 2 shown]
	s_and_saveexec_b64 s[0:1], vcc
	s_cbranch_execz .LBB85_104
; %bb.103:
	v_lshlrev_b32_e32 v1, 3, v0
	global_load_dwordx2 v[4:5], v1, s[6:7]
	v_mov_b32_e32 v6, v2
	v_mov_b32_e32 v7, v2
	;; [unrolled: 1-line block ×6, first 2 shown]
	s_waitcnt vmcnt(0)
	v_mov_b64_e32 v[2:3], v[4:5]
	v_mov_b64_e32 v[4:5], v[6:7]
	;; [unrolled: 1-line block ×4, first 2 shown]
.LBB85_104:
	s_or_b64 exec, exec, s[0:1]
	v_or_b32_e32 v1, 0x100, v0
	v_cmp_gt_u32_e32 vcc, s10, v1
	s_and_saveexec_b64 s[0:1], vcc
	s_cbranch_execz .LBB85_106
; %bb.105:
	v_lshlrev_b32_e32 v1, 3, v0
	global_load_dwordx2 v[4:5], v1, s[6:7] offset:2048
.LBB85_106:
	s_or_b64 exec, exec, s[0:1]
	v_or_b32_e32 v1, 0x200, v0
	v_cmp_gt_u32_e64 s[0:1], s10, v1
	s_and_saveexec_b64 s[4:5], s[0:1]
	s_cbranch_execz .LBB85_108
; %bb.107:
	v_lshlrev_b32_e32 v1, 3, v1
	global_load_dwordx2 v[6:7], v1, s[6:7]
.LBB85_108:
	s_or_b64 exec, exec, s[4:5]
	v_or_b32_e32 v1, 0x300, v0
	v_cmp_gt_u32_e64 s[4:5], s10, v1
	s_and_saveexec_b64 s[8:9], s[4:5]
	s_cbranch_execz .LBB85_110
; %bb.109:
	v_lshlrev_b32_e32 v1, 3, v1
	global_load_dwordx2 v[8:9], v1, s[6:7]
.LBB85_110:
	s_or_b64 exec, exec, s[8:9]
	s_waitcnt vmcnt(0)
	v_cndmask_b32_e32 v5, 0, v5, vcc
	v_cndmask_b32_e32 v4, 0, v4, vcc
	v_mbcnt_lo_u32_b32 v1, -1, 0
	v_lshl_add_u64 v[2:3], v[4:5], 0, v[2:3]
	v_cndmask_b32_e64 v5, 0, v7, s[0:1]
	v_cndmask_b32_e64 v4, 0, v6, s[0:1]
	v_mbcnt_hi_u32_b32 v1, -1, v1
	v_lshl_add_u64 v[2:3], v[2:3], 0, v[4:5]
	v_cndmask_b32_e64 v5, 0, v9, s[4:5]
	v_cndmask_b32_e64 v4, 0, v8, s[4:5]
	v_and_b32_e32 v9, 63, v1
	v_lshl_add_u64 v[2:3], v[2:3], 0, v[4:5]
	s_min_u32 s6, s10, 0x100
	v_and_b32_e32 v4, 0xc0, v0
	v_cmp_ne_u32_e32 vcc, 63, v9
	v_sub_u32_e64 v8, s6, v4 clamp
	v_mov_b32_e32 v6, 0
	v_addc_co_u32_e32 v4, vcc, 0, v1, vcc
	v_lshlrev_b32_e32 v5, 2, v4
	ds_bpermute_b32 v4, v5, v2
	ds_bpermute_b32 v7, v5, v3
	v_add_u32_e32 v10, 1, v9
	v_mov_b32_e32 v5, v6
	v_cmp_lt_u32_e64 s[0:1], v10, v8
	s_waitcnt lgkmcnt(1)
	v_lshl_add_u64 v[4:5], v[2:3], 0, v[4:5]
	v_cmp_gt_u32_e32 vcc, 62, v9
	s_waitcnt lgkmcnt(0)
	v_lshl_add_u64 v[6:7], v[6:7], 0, v[4:5]
	v_cndmask_b32_e64 v12, v2, v4, s[0:1]
	v_cndmask_b32_e64 v4, 0, 2, vcc
	v_cndmask_b32_e64 v5, v3, v7, s[0:1]
	v_add_lshl_u32 v4, v4, v1, 2
	ds_bpermute_b32 v10, v4, v12
	ds_bpermute_b32 v11, v4, v5
	v_cndmask_b32_e64 v4, v2, v6, s[0:1]
	v_add_u32_e32 v13, 2, v9
	v_cmp_lt_u32_e32 vcc, v13, v8
	v_cmp_gt_u32_e64 s[4:5], 60, v9
	s_waitcnt lgkmcnt(0)
	v_lshl_add_u64 v[6:7], v[10:11], 0, v[4:5]
	v_cndmask_b32_e32 v5, v5, v7, vcc
	v_cndmask_b32_e64 v7, 0, 4, s[4:5]
	v_cndmask_b32_e32 v12, v12, v6, vcc
	v_add_lshl_u32 v7, v7, v1, 2
	ds_bpermute_b32 v10, v7, v12
	ds_bpermute_b32 v11, v7, v5
	v_cndmask_b32_e32 v4, v4, v6, vcc
	v_add_u32_e32 v13, 4, v9
	v_cmp_lt_u32_e32 vcc, v13, v8
	v_cmp_gt_u32_e64 s[4:5], 56, v9
	s_waitcnt lgkmcnt(0)
	v_lshl_add_u64 v[6:7], v[10:11], 0, v[4:5]
	v_cndmask_b32_e32 v5, v5, v7, vcc
	v_cndmask_b32_e64 v7, 0, 8, s[4:5]
	v_cndmask_b32_e32 v12, v12, v6, vcc
	v_add_lshl_u32 v7, v7, v1, 2
	ds_bpermute_b32 v10, v7, v12
	ds_bpermute_b32 v11, v7, v5
	v_cndmask_b32_e32 v4, v4, v6, vcc
	;; [unrolled: 12-line block ×3, first 2 shown]
	v_add_u32_e32 v13, 16, v9
	v_cmp_lt_u32_e32 vcc, v13, v8
	s_waitcnt lgkmcnt(0)
	v_lshl_add_u64 v[6:7], v[10:11], 0, v[4:5]
	v_lshlrev_b32_e32 v10, 2, v1
	v_cndmask_b32_e32 v13, v5, v7, vcc
	v_cndmask_b32_e32 v11, v12, v6, vcc
	v_or_b32_e32 v12, 0x80, v10
	ds_bpermute_b32 v11, v12, v11
	ds_bpermute_b32 v12, v12, v13
	s_and_saveexec_b64 s[4:5], s[0:1]
	s_cbranch_execz .LBB85_112
; %bb.111:
	v_add_u32_e32 v9, 32, v9
	v_cndmask_b32_e32 v3, v5, v7, vcc
	v_cndmask_b32_e32 v2, v4, v6, vcc
	v_cmp_lt_u32_e32 vcc, v9, v8
	s_waitcnt lgkmcnt(0)
	s_nop 0
	v_cndmask_b32_e32 v5, 0, v12, vcc
	v_cndmask_b32_e32 v4, 0, v11, vcc
	v_lshl_add_u64 v[2:3], v[4:5], 0, v[2:3]
.LBB85_112:
	s_or_b64 exec, exec, s[4:5]
	v_cmp_eq_u32_e32 vcc, 0, v1
	s_and_saveexec_b64 s[0:1], vcc
; %bb.113:
	v_lshrrev_b32_e32 v4, 3, v0
	v_and_b32_e32 v4, 24, v4
	ds_write_b64 v4, v[2:3] offset:160
; %bb.114:
	s_or_b64 exec, exec, s[0:1]
	v_cmp_gt_u32_e32 vcc, 4, v0
	s_waitcnt lgkmcnt(0)
	s_barrier
	s_and_saveexec_b64 s[0:1], vcc
	s_cbranch_execz .LBB85_118
; %bb.115:
	v_lshlrev_b32_e32 v2, 3, v1
	ds_read_b64 v[2:3], v2 offset:160
	v_and_b32_e32 v6, 3, v1
	v_cmp_ne_u32_e32 vcc, 3, v6
	v_mov_b32_e32 v8, 0
	s_add_i32 s6, s6, 63
	v_addc_co_u32_e32 v1, vcc, 0, v1, vcc
	v_lshlrev_b32_e32 v1, 2, v1
	s_waitcnt lgkmcnt(0)
	ds_bpermute_b32 v4, v1, v2
	ds_bpermute_b32 v9, v1, v3
	v_mov_b32_e32 v5, v8
	s_lshr_b32 s6, s6, 6
	v_add_u32_e32 v1, 1, v6
	s_waitcnt lgkmcnt(1)
	v_lshl_add_u64 v[12:13], v[2:3], 0, v[4:5]
	s_waitcnt lgkmcnt(0)
	v_lshl_add_u64 v[4:5], v[8:9], 0, v[12:13]
	v_cmp_gt_u32_e32 vcc, s6, v1
	v_or_b32_e32 v8, 8, v10
	s_nop 0
	v_cndmask_b32_e32 v7, v3, v5, vcc
	v_cndmask_b32_e32 v1, v2, v12, vcc
	ds_bpermute_b32 v1, v8, v1
	ds_bpermute_b32 v7, v8, v7
	s_and_saveexec_b64 s[4:5], vcc
	s_cbranch_execz .LBB85_117
; %bb.116:
	v_add_u32_e32 v2, 2, v6
	v_cmp_gt_u32_e32 vcc, s6, v2
	s_waitcnt lgkmcnt(0)
	s_nop 0
	v_cndmask_b32_e32 v3, 0, v7, vcc
	v_cndmask_b32_e32 v2, 0, v1, vcc
	v_lshl_add_u64 v[2:3], v[2:3], 0, v[4:5]
.LBB85_117:
	s_or_b64 exec, exec, s[4:5]
.LBB85_118:
	s_or_b64 exec, exec, s[0:1]
.LBB85_119:
	v_cmp_eq_u32_e64 s[0:1], 0, v0
	v_mov_b64_e32 v[4:5], s[2:3]
.LBB85_120:
	s_branch .LBB85_166
.LBB85_121:
	s_cmp_gt_i32 s33, 1
	s_cbranch_scc0 .LBB85_129
; %bb.122:
	s_cmp_eq_u32 s33, 2
                                        ; implicit-def: $vgpr2_vgpr3
                                        ; implicit-def: $vgpr4_vgpr5
	s_cbranch_scc0 .LBB85_130
; %bb.123:
	s_mov_b32 s3, 0
	s_lshl_b32 s4, s2, 9
	s_mov_b32 s5, s3
	s_lshr_b64 s[6:7], s[38:39], 9
	s_lshl_b64 s[0:1], s[4:5], 3
	s_add_u32 s0, s36, s0
	s_addc_u32 s1, s37, s1
	s_cmp_lg_u64 s[6:7], s[2:3]
	s_cbranch_scc0 .LBB85_131
; %bb.124:
	s_waitcnt lgkmcnt(1)
	v_lshlrev_b32_e32 v1, 3, v0
	global_load_dwordx2 v[2:3], v1, s[0:1]
	s_waitcnt lgkmcnt(0)
	global_load_dwordx2 v[6:7], v1, s[0:1] offset:2048
	v_mov_b32_e32 v8, 0
	v_mov_b32_e32 v11, v8
	;; [unrolled: 1-line block ×6, first 2 shown]
	v_mbcnt_lo_u32_b32 v1, -1, 0
	v_mbcnt_hi_u32_b32 v1, -1, v1
	v_mov_b32_e32 v21, v8
	v_lshlrev_b32_e32 v4, 2, v1
	v_or_b32_e32 v5, 0xfc, v4
	v_cmp_eq_u32_e32 vcc, 0, v1
	s_waitcnt vmcnt(0)
	v_lshl_add_u64 v[2:3], v[6:7], 0, v[2:3]
	s_nop 1
	v_mov_b32_dpp v10, v2 quad_perm:[1,0,3,2] row_mask:0xf bank_mask:0xf bound_ctrl:1
	v_mov_b32_dpp v9, v3 quad_perm:[1,0,3,2] row_mask:0xf bank_mask:0xf bound_ctrl:1
	v_lshl_add_u64 v[2:3], v[2:3], 0, v[10:11]
	v_lshl_add_u64 v[6:7], v[8:9], 0, v[2:3]
	s_nop 0
	v_mov_b32_dpp v12, v2 quad_perm:[2,3,0,1] row_mask:0xf bank_mask:0xf bound_ctrl:1
	v_mov_b32_dpp v9, v7 quad_perm:[2,3,0,1] row_mask:0xf bank_mask:0xf bound_ctrl:1
	v_lshl_add_u64 v[2:3], v[6:7], 0, v[12:13]
	v_lshl_add_u64 v[6:7], v[2:3], 0, v[8:9]
	s_nop 0
	v_mov_b32_dpp v14, v2 row_ror:4 row_mask:0xf bank_mask:0xf bound_ctrl:1
	v_mov_b32_dpp v9, v7 row_ror:4 row_mask:0xf bank_mask:0xf bound_ctrl:1
	v_lshl_add_u64 v[2:3], v[6:7], 0, v[14:15]
	v_lshl_add_u64 v[6:7], v[2:3], 0, v[8:9]
	s_nop 0
	v_mov_b32_dpp v16, v2 row_ror:8 row_mask:0xf bank_mask:0xf bound_ctrl:1
	v_mov_b32_dpp v9, v7 row_ror:8 row_mask:0xf bank_mask:0xf bound_ctrl:1
	v_lshl_add_u64 v[2:3], v[6:7], 0, v[16:17]
	v_lshl_add_u64 v[6:7], v[2:3], 0, v[8:9]
	s_nop 0
	v_mov_b32_dpp v18, v2 row_bcast:15 row_mask:0xf bank_mask:0xf bound_ctrl:1
	v_mov_b32_dpp v9, v7 row_bcast:15 row_mask:0xf bank_mask:0xf bound_ctrl:1
	v_lshl_add_u64 v[2:3], v[6:7], 0, v[18:19]
	v_lshl_add_u64 v[6:7], v[2:3], 0, v[8:9]
	s_nop 0
	v_mov_b32_dpp v20, v2 row_bcast:31 row_mask:0xf bank_mask:0xf bound_ctrl:1
	v_lshl_add_u64 v[2:3], v[6:7], 0, v[20:21]
	ds_bpermute_b32 v2, v5, v2
	s_nop 0
	v_add_u32_dpp v3, v7, v3 row_bcast:31 row_mask:0xf bank_mask:0xf bound_ctrl:1
	ds_bpermute_b32 v3, v5, v3
	s_and_saveexec_b64 s[6:7], vcc
	s_cbranch_execz .LBB85_126
; %bb.125:
	v_lshrrev_b32_e32 v5, 3, v0
	v_and_b32_e32 v5, 24, v5
	s_waitcnt lgkmcnt(0)
	ds_write_b64 v5, v[2:3] offset:64
.LBB85_126:
	s_or_b64 exec, exec, s[6:7]
	v_cmp_gt_u32_e32 vcc, 64, v0
	s_waitcnt lgkmcnt(0)
	s_barrier
	s_and_saveexec_b64 s[6:7], vcc
	s_cbranch_execz .LBB85_128
; %bb.127:
	v_and_b32_e32 v5, 3, v1
	v_lshlrev_b32_e32 v2, 3, v5
	ds_read_b64 v[2:3], v2 offset:64
	v_cmp_ne_u32_e32 vcc, 3, v5
	v_mov_b32_e32 v8, 0
	v_mov_b32_e32 v7, v8
	v_addc_co_u32_e32 v1, vcc, 0, v1, vcc
	v_lshlrev_b32_e32 v1, 2, v1
	s_waitcnt lgkmcnt(0)
	ds_bpermute_b32 v6, v1, v2
	ds_bpermute_b32 v9, v1, v3
	v_or_b32_e32 v1, 8, v4
	s_waitcnt lgkmcnt(1)
	v_lshl_add_u64 v[2:3], v[2:3], 0, v[6:7]
	s_waitcnt lgkmcnt(0)
	v_lshl_add_u64 v[4:5], v[8:9], 0, v[2:3]
	ds_bpermute_b32 v2, v1, v2
	ds_bpermute_b32 v9, v1, v5
	v_mov_b32_e32 v3, v8
	s_waitcnt lgkmcnt(1)
	v_lshl_add_u64 v[2:3], v[4:5], 0, v[2:3]
	s_waitcnt lgkmcnt(0)
	v_lshl_add_u64 v[2:3], v[2:3], 0, v[8:9]
.LBB85_128:
	s_or_b64 exec, exec, s[6:7]
	s_branch .LBB85_145
.LBB85_129:
                                        ; implicit-def: $vgpr2_vgpr3
                                        ; implicit-def: $vgpr4_vgpr5
	s_cbranch_execnz .LBB85_146
	s_branch .LBB85_166
.LBB85_130:
	s_branch .LBB85_166
.LBB85_131:
                                        ; implicit-def: $vgpr2_vgpr3
	s_cbranch_execz .LBB85_145
; %bb.132:
	s_sub_i32 s6, s38, s4
	v_mov_b32_e32 v2, 0
	v_cmp_gt_u32_e32 vcc, s6, v0
	v_mov_b32_e32 v3, v2
	v_mov_b32_e32 v4, v2
	;; [unrolled: 1-line block ×3, first 2 shown]
	s_and_saveexec_b64 s[4:5], vcc
	s_cbranch_execz .LBB85_134
; %bb.133:
	s_waitcnt lgkmcnt(1)
	v_lshlrev_b32_e32 v1, 3, v0
	global_load_dwordx2 v[4:5], v1, s[0:1]
	v_mov_b32_e32 v6, v2
	s_waitcnt lgkmcnt(0)
	v_mov_b32_e32 v7, v2
	s_waitcnt vmcnt(0)
	v_mov_b64_e32 v[2:3], v[4:5]
	v_mov_b64_e32 v[4:5], v[6:7]
.LBB85_134:
	s_or_b64 exec, exec, s[4:5]
	s_waitcnt lgkmcnt(1)
	v_or_b32_e32 v1, 0x100, v0
	v_cmp_gt_u32_e32 vcc, s6, v1
	s_and_saveexec_b64 s[4:5], vcc
	s_cbranch_execz .LBB85_136
; %bb.135:
	v_lshlrev_b32_e32 v1, 3, v0
	global_load_dwordx2 v[4:5], v1, s[0:1] offset:2048
.LBB85_136:
	s_or_b64 exec, exec, s[4:5]
	v_mbcnt_lo_u32_b32 v1, -1, 0
	v_mbcnt_hi_u32_b32 v1, -1, v1
	s_waitcnt vmcnt(0)
	v_cndmask_b32_e32 v5, 0, v5, vcc
	v_cndmask_b32_e32 v4, 0, v4, vcc
	v_and_b32_e32 v9, 63, v1
	v_lshl_add_u64 v[2:3], v[4:5], 0, v[2:3]
	s_min_u32 s6, s6, 0x100
	v_and_b32_e32 v4, 0xc0, v0
	v_cmp_ne_u32_e32 vcc, 63, v9
	v_sub_u32_e64 v8, s6, v4 clamp
	v_mov_b32_e32 v6, 0
	v_addc_co_u32_e32 v4, vcc, 0, v1, vcc
	v_lshlrev_b32_e32 v5, 2, v4
	ds_bpermute_b32 v4, v5, v2
	s_waitcnt lgkmcnt(1)
	ds_bpermute_b32 v7, v5, v3
	v_add_u32_e32 v10, 1, v9
	v_mov_b32_e32 v5, v6
	v_cmp_lt_u32_e64 s[0:1], v10, v8
	s_waitcnt lgkmcnt(1)
	v_lshl_add_u64 v[4:5], v[2:3], 0, v[4:5]
	v_cmp_gt_u32_e32 vcc, 62, v9
	s_waitcnt lgkmcnt(0)
	v_lshl_add_u64 v[6:7], v[6:7], 0, v[4:5]
	v_cndmask_b32_e64 v12, v2, v4, s[0:1]
	v_cndmask_b32_e64 v4, 0, 2, vcc
	v_cndmask_b32_e64 v5, v3, v7, s[0:1]
	v_add_lshl_u32 v4, v4, v1, 2
	ds_bpermute_b32 v10, v4, v12
	ds_bpermute_b32 v11, v4, v5
	v_cndmask_b32_e64 v4, v2, v6, s[0:1]
	v_add_u32_e32 v13, 2, v9
	v_cmp_lt_u32_e32 vcc, v13, v8
	v_cmp_gt_u32_e64 s[4:5], 60, v9
	s_waitcnt lgkmcnt(0)
	v_lshl_add_u64 v[6:7], v[10:11], 0, v[4:5]
	v_cndmask_b32_e32 v5, v5, v7, vcc
	v_cndmask_b32_e64 v7, 0, 4, s[4:5]
	v_cndmask_b32_e32 v12, v12, v6, vcc
	v_add_lshl_u32 v7, v7, v1, 2
	ds_bpermute_b32 v10, v7, v12
	ds_bpermute_b32 v11, v7, v5
	v_cndmask_b32_e32 v4, v4, v6, vcc
	v_add_u32_e32 v13, 4, v9
	v_cmp_lt_u32_e32 vcc, v13, v8
	v_cmp_gt_u32_e64 s[4:5], 56, v9
	s_waitcnt lgkmcnt(0)
	v_lshl_add_u64 v[6:7], v[10:11], 0, v[4:5]
	v_cndmask_b32_e32 v5, v5, v7, vcc
	v_cndmask_b32_e64 v7, 0, 8, s[4:5]
	v_cndmask_b32_e32 v12, v12, v6, vcc
	v_add_lshl_u32 v7, v7, v1, 2
	ds_bpermute_b32 v10, v7, v12
	ds_bpermute_b32 v11, v7, v5
	v_cndmask_b32_e32 v4, v4, v6, vcc
	;; [unrolled: 12-line block ×3, first 2 shown]
	v_add_u32_e32 v13, 16, v9
	v_cmp_lt_u32_e32 vcc, v13, v8
	s_waitcnt lgkmcnt(0)
	v_lshl_add_u64 v[6:7], v[10:11], 0, v[4:5]
	v_lshlrev_b32_e32 v10, 2, v1
	v_cndmask_b32_e32 v13, v5, v7, vcc
	v_cndmask_b32_e32 v11, v12, v6, vcc
	v_or_b32_e32 v12, 0x80, v10
	ds_bpermute_b32 v11, v12, v11
	ds_bpermute_b32 v12, v12, v13
	s_and_saveexec_b64 s[4:5], s[0:1]
	s_cbranch_execz .LBB85_138
; %bb.137:
	v_add_u32_e32 v9, 32, v9
	v_cndmask_b32_e32 v3, v5, v7, vcc
	v_cndmask_b32_e32 v2, v4, v6, vcc
	v_cmp_lt_u32_e32 vcc, v9, v8
	s_waitcnt lgkmcnt(0)
	s_nop 0
	v_cndmask_b32_e32 v5, 0, v12, vcc
	v_cndmask_b32_e32 v4, 0, v11, vcc
	v_lshl_add_u64 v[2:3], v[4:5], 0, v[2:3]
.LBB85_138:
	s_or_b64 exec, exec, s[4:5]
	v_cmp_eq_u32_e32 vcc, 0, v1
	s_and_saveexec_b64 s[0:1], vcc
; %bb.139:
	v_lshrrev_b32_e32 v4, 3, v0
	v_and_b32_e32 v4, 24, v4
	ds_write_b64 v4, v[2:3] offset:160
; %bb.140:
	s_or_b64 exec, exec, s[0:1]
	v_cmp_gt_u32_e32 vcc, 4, v0
	s_waitcnt lgkmcnt(0)
	s_barrier
	s_and_saveexec_b64 s[0:1], vcc
	s_cbranch_execz .LBB85_144
; %bb.141:
	v_lshlrev_b32_e32 v2, 3, v1
	ds_read_b64 v[2:3], v2 offset:160
	v_and_b32_e32 v6, 3, v1
	v_cmp_ne_u32_e32 vcc, 3, v6
	v_mov_b32_e32 v8, 0
	s_add_i32 s6, s6, 63
	v_addc_co_u32_e32 v1, vcc, 0, v1, vcc
	v_lshlrev_b32_e32 v1, 2, v1
	s_waitcnt lgkmcnt(0)
	ds_bpermute_b32 v4, v1, v2
	ds_bpermute_b32 v9, v1, v3
	v_mov_b32_e32 v5, v8
	s_lshr_b32 s6, s6, 6
	v_add_u32_e32 v1, 1, v6
	s_waitcnt lgkmcnt(1)
	v_lshl_add_u64 v[12:13], v[2:3], 0, v[4:5]
	s_waitcnt lgkmcnt(0)
	v_lshl_add_u64 v[4:5], v[8:9], 0, v[12:13]
	v_cmp_gt_u32_e32 vcc, s6, v1
	v_or_b32_e32 v8, 8, v10
	s_nop 0
	v_cndmask_b32_e32 v7, v3, v5, vcc
	v_cndmask_b32_e32 v1, v2, v12, vcc
	ds_bpermute_b32 v1, v8, v1
	ds_bpermute_b32 v7, v8, v7
	s_and_saveexec_b64 s[4:5], vcc
	s_cbranch_execz .LBB85_143
; %bb.142:
	v_add_u32_e32 v2, 2, v6
	v_cmp_gt_u32_e32 vcc, s6, v2
	s_waitcnt lgkmcnt(0)
	s_nop 0
	v_cndmask_b32_e32 v3, 0, v7, vcc
	v_cndmask_b32_e32 v2, 0, v1, vcc
	v_lshl_add_u64 v[2:3], v[2:3], 0, v[4:5]
.LBB85_143:
	s_or_b64 exec, exec, s[4:5]
.LBB85_144:
	s_or_b64 exec, exec, s[0:1]
.LBB85_145:
	v_cmp_eq_u32_e64 s[0:1], 0, v0
	v_mov_b64_e32 v[4:5], s[2:3]
	s_branch .LBB85_166
.LBB85_146:
	s_cmp_eq_u32 s33, 1
                                        ; implicit-def: $vgpr2_vgpr3
                                        ; implicit-def: $vgpr4_vgpr5
	s_cbranch_scc0 .LBB85_166
; %bb.147:
	s_mov_b32 s1, 0
	s_lshl_b32 s0, s2, 8
	s_mov_b32 s3, s1
	s_lshr_b64 s[4:5], s[38:39], 8
	s_cmp_lg_u64 s[4:5], s[2:3]
	s_waitcnt lgkmcnt(1)
	v_mbcnt_lo_u32_b32 v1, -1, 0
	s_cbranch_scc0 .LBB85_153
; %bb.148:
	s_lshl_b64 s[4:5], s[0:1], 3
	s_add_u32 s4, s36, s4
	s_addc_u32 s5, s37, s5
	v_lshlrev_b32_e32 v2, 3, v0
	global_load_dwordx2 v[2:3], v2, s[4:5]
	v_mov_b32_e32 v6, 0
	v_mov_b32_e32 v9, v6
	v_mov_b32_e32 v11, v6
	v_mov_b32_e32 v13, v6
	v_mov_b32_e32 v15, v6
	v_mov_b32_e32 v17, v6
	v_mbcnt_hi_u32_b32 v4, -1, v1
	v_mov_b32_e32 v19, v6
	v_lshlrev_b32_e32 v5, 2, v4
	v_or_b32_e32 v20, 0xfc, v5
	v_cmp_eq_u32_e32 vcc, 0, v4
	s_waitcnt vmcnt(0)
	v_mov_b32_dpp v8, v2 quad_perm:[1,0,3,2] row_mask:0xf bank_mask:0xf bound_ctrl:1
	s_waitcnt lgkmcnt(0)
	v_mov_b32_dpp v7, v3 quad_perm:[1,0,3,2] row_mask:0xf bank_mask:0xf bound_ctrl:1
	v_lshl_add_u64 v[2:3], v[2:3], 0, v[8:9]
	v_lshl_add_u64 v[8:9], v[6:7], 0, v[2:3]
	s_nop 0
	v_mov_b32_dpp v10, v2 quad_perm:[2,3,0,1] row_mask:0xf bank_mask:0xf bound_ctrl:1
	v_mov_b32_dpp v7, v9 quad_perm:[2,3,0,1] row_mask:0xf bank_mask:0xf bound_ctrl:1
	v_lshl_add_u64 v[2:3], v[8:9], 0, v[10:11]
	v_lshl_add_u64 v[8:9], v[2:3], 0, v[6:7]
	s_nop 0
	v_mov_b32_dpp v12, v2 row_ror:4 row_mask:0xf bank_mask:0xf bound_ctrl:1
	v_mov_b32_dpp v7, v9 row_ror:4 row_mask:0xf bank_mask:0xf bound_ctrl:1
	v_lshl_add_u64 v[2:3], v[8:9], 0, v[12:13]
	v_lshl_add_u64 v[8:9], v[2:3], 0, v[6:7]
	s_nop 0
	v_mov_b32_dpp v14, v2 row_ror:8 row_mask:0xf bank_mask:0xf bound_ctrl:1
	v_mov_b32_dpp v7, v9 row_ror:8 row_mask:0xf bank_mask:0xf bound_ctrl:1
	v_lshl_add_u64 v[2:3], v[8:9], 0, v[14:15]
	v_lshl_add_u64 v[8:9], v[2:3], 0, v[6:7]
	s_nop 0
	v_mov_b32_dpp v16, v2 row_bcast:15 row_mask:0xf bank_mask:0xf bound_ctrl:1
	v_mov_b32_dpp v7, v9 row_bcast:15 row_mask:0xf bank_mask:0xf bound_ctrl:1
	v_lshl_add_u64 v[2:3], v[8:9], 0, v[16:17]
	v_lshl_add_u64 v[6:7], v[2:3], 0, v[6:7]
	s_nop 0
	v_mov_b32_dpp v18, v2 row_bcast:31 row_mask:0xf bank_mask:0xf bound_ctrl:1
	v_lshl_add_u64 v[2:3], v[6:7], 0, v[18:19]
	ds_bpermute_b32 v2, v20, v2
	s_nop 0
	v_add_u32_dpp v3, v7, v3 row_bcast:31 row_mask:0xf bank_mask:0xf bound_ctrl:1
	ds_bpermute_b32 v3, v20, v3
	s_and_saveexec_b64 s[4:5], vcc
	s_cbranch_execz .LBB85_150
; %bb.149:
	v_lshrrev_b32_e32 v6, 3, v0
	v_and_b32_e32 v6, 24, v6
	s_waitcnt lgkmcnt(0)
	ds_write_b64 v6, v[2:3] offset:32
.LBB85_150:
	s_or_b64 exec, exec, s[4:5]
	v_cmp_gt_u32_e32 vcc, 64, v0
	s_waitcnt lgkmcnt(0)
	s_barrier
	s_and_saveexec_b64 s[4:5], vcc
	s_cbranch_execz .LBB85_152
; %bb.151:
	v_and_b32_e32 v6, 3, v4
	v_lshlrev_b32_e32 v2, 3, v6
	ds_read_b64 v[2:3], v2 offset:32
	v_cmp_ne_u32_e32 vcc, 3, v6
	v_or_b32_e32 v8, 8, v5
	s_nop 0
	v_addc_co_u32_e32 v4, vcc, 0, v4, vcc
	v_lshlrev_b32_e32 v6, 2, v4
	s_waitcnt lgkmcnt(0)
	ds_bpermute_b32 v4, v6, v2
	ds_bpermute_b32 v7, v6, v3
	v_mov_b32_e32 v6, 0
	v_mov_b32_e32 v5, v6
	s_waitcnt lgkmcnt(1)
	v_lshl_add_u64 v[2:3], v[2:3], 0, v[4:5]
	s_waitcnt lgkmcnt(0)
	v_lshl_add_u64 v[4:5], v[6:7], 0, v[2:3]
	ds_bpermute_b32 v2, v8, v2
	ds_bpermute_b32 v7, v8, v5
	v_mov_b32_e32 v3, v6
	s_waitcnt lgkmcnt(1)
	v_lshl_add_u64 v[2:3], v[4:5], 0, v[2:3]
	s_waitcnt lgkmcnt(0)
	v_lshl_add_u64 v[2:3], v[2:3], 0, v[6:7]
.LBB85_152:
	s_or_b64 exec, exec, s[4:5]
	s_branch .LBB85_165
.LBB85_153:
                                        ; implicit-def: $vgpr2_vgpr3
	s_cbranch_execz .LBB85_165
; %bb.154:
	s_sub_i32 s6, s38, s0
	v_cmp_gt_u32_e32 vcc, s6, v0
                                        ; implicit-def: $vgpr2_vgpr3
	s_and_saveexec_b64 s[4:5], vcc
	s_cbranch_execz .LBB85_156
; %bb.155:
	s_lshl_b64 s[0:1], s[0:1], 3
	s_add_u32 s0, s36, s0
	s_addc_u32 s1, s37, s1
	v_lshlrev_b32_e32 v2, 3, v0
	global_load_dwordx2 v[2:3], v2, s[0:1]
.LBB85_156:
	s_or_b64 exec, exec, s[4:5]
	v_mbcnt_hi_u32_b32 v1, -1, v1
	v_and_b32_e32 v9, 63, v1
	s_min_u32 s6, s6, 0x100
	v_and_b32_e32 v4, 0xc0, v0
	v_cmp_ne_u32_e32 vcc, 63, v9
	v_sub_u32_e64 v8, s6, v4 clamp
	v_mov_b32_e32 v6, 0
	v_addc_co_u32_e32 v4, vcc, 0, v1, vcc
	v_lshlrev_b32_e32 v5, 2, v4
	s_waitcnt vmcnt(0)
	ds_bpermute_b32 v4, v5, v2
	s_waitcnt lgkmcnt(1)
	ds_bpermute_b32 v7, v5, v3
	v_add_u32_e32 v10, 1, v9
	v_mov_b32_e32 v5, v6
	v_cmp_lt_u32_e64 s[0:1], v10, v8
	s_waitcnt lgkmcnt(1)
	v_lshl_add_u64 v[4:5], v[2:3], 0, v[4:5]
	v_cmp_gt_u32_e32 vcc, 62, v9
	s_waitcnt lgkmcnt(0)
	v_lshl_add_u64 v[6:7], v[6:7], 0, v[4:5]
	v_cndmask_b32_e64 v12, v2, v4, s[0:1]
	v_cndmask_b32_e64 v4, 0, 2, vcc
	v_cndmask_b32_e64 v5, v3, v7, s[0:1]
	v_add_lshl_u32 v4, v4, v1, 2
	ds_bpermute_b32 v10, v4, v12
	ds_bpermute_b32 v11, v4, v5
	v_cndmask_b32_e64 v4, v2, v6, s[0:1]
	v_add_u32_e32 v13, 2, v9
	v_cmp_lt_u32_e32 vcc, v13, v8
	v_cmp_gt_u32_e64 s[4:5], 60, v9
	s_waitcnt lgkmcnt(0)
	v_lshl_add_u64 v[6:7], v[10:11], 0, v[4:5]
	v_cndmask_b32_e32 v5, v5, v7, vcc
	v_cndmask_b32_e64 v7, 0, 4, s[4:5]
	v_cndmask_b32_e32 v12, v12, v6, vcc
	v_add_lshl_u32 v7, v7, v1, 2
	ds_bpermute_b32 v10, v7, v12
	ds_bpermute_b32 v11, v7, v5
	v_cndmask_b32_e32 v4, v4, v6, vcc
	v_add_u32_e32 v13, 4, v9
	v_cmp_lt_u32_e32 vcc, v13, v8
	v_cmp_gt_u32_e64 s[4:5], 56, v9
	s_waitcnt lgkmcnt(0)
	v_lshl_add_u64 v[6:7], v[10:11], 0, v[4:5]
	v_cndmask_b32_e32 v5, v5, v7, vcc
	v_cndmask_b32_e64 v7, 0, 8, s[4:5]
	v_cndmask_b32_e32 v12, v12, v6, vcc
	v_add_lshl_u32 v7, v7, v1, 2
	ds_bpermute_b32 v10, v7, v12
	ds_bpermute_b32 v11, v7, v5
	v_cndmask_b32_e32 v4, v4, v6, vcc
	;; [unrolled: 12-line block ×3, first 2 shown]
	v_add_u32_e32 v13, 16, v9
	v_cmp_lt_u32_e32 vcc, v13, v8
	s_waitcnt lgkmcnt(0)
	v_lshl_add_u64 v[6:7], v[10:11], 0, v[4:5]
	v_lshlrev_b32_e32 v10, 2, v1
	v_cndmask_b32_e32 v13, v5, v7, vcc
	v_cndmask_b32_e32 v11, v12, v6, vcc
	v_or_b32_e32 v12, 0x80, v10
	ds_bpermute_b32 v11, v12, v11
	ds_bpermute_b32 v12, v12, v13
	s_and_saveexec_b64 s[4:5], s[0:1]
	s_cbranch_execz .LBB85_158
; %bb.157:
	v_add_u32_e32 v9, 32, v9
	v_cndmask_b32_e32 v3, v5, v7, vcc
	v_cndmask_b32_e32 v2, v4, v6, vcc
	v_cmp_lt_u32_e32 vcc, v9, v8
	s_waitcnt lgkmcnt(0)
	s_nop 0
	v_cndmask_b32_e32 v5, 0, v12, vcc
	v_cndmask_b32_e32 v4, 0, v11, vcc
	v_lshl_add_u64 v[2:3], v[4:5], 0, v[2:3]
.LBB85_158:
	s_or_b64 exec, exec, s[4:5]
	v_cmp_eq_u32_e32 vcc, 0, v1
	s_and_saveexec_b64 s[0:1], vcc
; %bb.159:
	v_lshrrev_b32_e32 v4, 3, v0
	v_and_b32_e32 v4, 24, v4
	ds_write_b64 v4, v[2:3] offset:160
; %bb.160:
	s_or_b64 exec, exec, s[0:1]
	v_cmp_gt_u32_e32 vcc, 4, v0
	s_waitcnt lgkmcnt(0)
	s_barrier
	s_and_saveexec_b64 s[0:1], vcc
	s_cbranch_execz .LBB85_164
; %bb.161:
	v_lshlrev_b32_e32 v2, 3, v1
	ds_read_b64 v[2:3], v2 offset:160
	v_and_b32_e32 v6, 3, v1
	v_cmp_ne_u32_e32 vcc, 3, v6
	v_mov_b32_e32 v8, 0
	s_add_i32 s6, s6, 63
	v_addc_co_u32_e32 v1, vcc, 0, v1, vcc
	v_lshlrev_b32_e32 v1, 2, v1
	s_waitcnt lgkmcnt(0)
	ds_bpermute_b32 v4, v1, v2
	ds_bpermute_b32 v9, v1, v3
	v_mov_b32_e32 v5, v8
	s_lshr_b32 s6, s6, 6
	v_add_u32_e32 v1, 1, v6
	s_waitcnt lgkmcnt(1)
	v_lshl_add_u64 v[12:13], v[2:3], 0, v[4:5]
	s_waitcnt lgkmcnt(0)
	v_lshl_add_u64 v[4:5], v[8:9], 0, v[12:13]
	v_cmp_gt_u32_e32 vcc, s6, v1
	v_or_b32_e32 v8, 8, v10
	s_nop 0
	v_cndmask_b32_e32 v7, v3, v5, vcc
	v_cndmask_b32_e32 v1, v2, v12, vcc
	ds_bpermute_b32 v1, v8, v1
	ds_bpermute_b32 v7, v8, v7
	s_and_saveexec_b64 s[4:5], vcc
	s_cbranch_execz .LBB85_163
; %bb.162:
	v_add_u32_e32 v2, 2, v6
	v_cmp_gt_u32_e32 vcc, s6, v2
	s_waitcnt lgkmcnt(0)
	s_nop 0
	v_cndmask_b32_e32 v3, 0, v7, vcc
	v_cndmask_b32_e32 v2, 0, v1, vcc
	v_lshl_add_u64 v[2:3], v[2:3], 0, v[4:5]
.LBB85_163:
	s_or_b64 exec, exec, s[4:5]
.LBB85_164:
	s_or_b64 exec, exec, s[0:1]
.LBB85_165:
	v_cmp_eq_u32_e64 s[0:1], 0, v0
	v_mov_b64_e32 v[4:5], s[2:3]
.LBB85_166:
	s_and_saveexec_b64 s[2:3], s[0:1]
	s_cbranch_execz .LBB85_168
; %bb.167:
	s_cmp_lg_u64 s[38:39], 0
	s_cselect_b64 vcc, -1, 0
	s_waitcnt lgkmcnt(1)
	v_lshlrev_b64 v[0:1], 3, v[4:5]
	v_cndmask_b32_e32 v3, 0, v3, vcc
	v_cndmask_b32_e32 v2, 0, v2, vcc
	v_lshl_add_u64 v[0:1], s[40:41], 0, v[0:1]
	v_lshl_add_u64 v[2:3], v[2:3], 0, s[42:43]
	global_store_dwordx2 v[0:1], v[2:3], off
.LBB85_168:
	s_endpgm
	.section	.rodata,"a",@progbits
	.p2align	6, 0x0
	.amdhsa_kernel _ZN7rocprim17ROCPRIM_400000_NS6detail17trampoline_kernelINS0_14default_configENS1_22reduce_config_selectorIyEEZNS1_11reduce_implILb1ES3_PyS7_yN6thrust23THRUST_200600_302600_NS4plusIyEEEE10hipError_tPvRmT1_T2_T3_mT4_P12ihipStream_tbEUlT_E1_NS1_11comp_targetILNS1_3genE0ELNS1_11target_archE4294967295ELNS1_3gpuE0ELNS1_3repE0EEENS1_30default_config_static_selectorELNS0_4arch9wavefront6targetE1EEEvSF_
		.amdhsa_group_segment_fixed_size 192
		.amdhsa_private_segment_fixed_size 0
		.amdhsa_kernarg_size 48
		.amdhsa_user_sgpr_count 2
		.amdhsa_user_sgpr_dispatch_ptr 0
		.amdhsa_user_sgpr_queue_ptr 0
		.amdhsa_user_sgpr_kernarg_segment_ptr 1
		.amdhsa_user_sgpr_dispatch_id 0
		.amdhsa_user_sgpr_kernarg_preload_length 0
		.amdhsa_user_sgpr_kernarg_preload_offset 0
		.amdhsa_user_sgpr_private_segment_size 0
		.amdhsa_uses_dynamic_stack 0
		.amdhsa_enable_private_segment 0
		.amdhsa_system_sgpr_workgroup_id_x 1
		.amdhsa_system_sgpr_workgroup_id_y 0
		.amdhsa_system_sgpr_workgroup_id_z 0
		.amdhsa_system_sgpr_workgroup_info 0
		.amdhsa_system_vgpr_workitem_id 0
		.amdhsa_next_free_vgpr 48
		.amdhsa_next_free_sgpr 47
		.amdhsa_accum_offset 48
		.amdhsa_reserve_vcc 1
		.amdhsa_float_round_mode_32 0
		.amdhsa_float_round_mode_16_64 0
		.amdhsa_float_denorm_mode_32 3
		.amdhsa_float_denorm_mode_16_64 3
		.amdhsa_dx10_clamp 1
		.amdhsa_ieee_mode 1
		.amdhsa_fp16_overflow 0
		.amdhsa_tg_split 0
		.amdhsa_exception_fp_ieee_invalid_op 0
		.amdhsa_exception_fp_denorm_src 0
		.amdhsa_exception_fp_ieee_div_zero 0
		.amdhsa_exception_fp_ieee_overflow 0
		.amdhsa_exception_fp_ieee_underflow 0
		.amdhsa_exception_fp_ieee_inexact 0
		.amdhsa_exception_int_div_zero 0
	.end_amdhsa_kernel
	.section	.text._ZN7rocprim17ROCPRIM_400000_NS6detail17trampoline_kernelINS0_14default_configENS1_22reduce_config_selectorIyEEZNS1_11reduce_implILb1ES3_PyS7_yN6thrust23THRUST_200600_302600_NS4plusIyEEEE10hipError_tPvRmT1_T2_T3_mT4_P12ihipStream_tbEUlT_E1_NS1_11comp_targetILNS1_3genE0ELNS1_11target_archE4294967295ELNS1_3gpuE0ELNS1_3repE0EEENS1_30default_config_static_selectorELNS0_4arch9wavefront6targetE1EEEvSF_,"axG",@progbits,_ZN7rocprim17ROCPRIM_400000_NS6detail17trampoline_kernelINS0_14default_configENS1_22reduce_config_selectorIyEEZNS1_11reduce_implILb1ES3_PyS7_yN6thrust23THRUST_200600_302600_NS4plusIyEEEE10hipError_tPvRmT1_T2_T3_mT4_P12ihipStream_tbEUlT_E1_NS1_11comp_targetILNS1_3genE0ELNS1_11target_archE4294967295ELNS1_3gpuE0ELNS1_3repE0EEENS1_30default_config_static_selectorELNS0_4arch9wavefront6targetE1EEEvSF_,comdat
.Lfunc_end85:
	.size	_ZN7rocprim17ROCPRIM_400000_NS6detail17trampoline_kernelINS0_14default_configENS1_22reduce_config_selectorIyEEZNS1_11reduce_implILb1ES3_PyS7_yN6thrust23THRUST_200600_302600_NS4plusIyEEEE10hipError_tPvRmT1_T2_T3_mT4_P12ihipStream_tbEUlT_E1_NS1_11comp_targetILNS1_3genE0ELNS1_11target_archE4294967295ELNS1_3gpuE0ELNS1_3repE0EEENS1_30default_config_static_selectorELNS0_4arch9wavefront6targetE1EEEvSF_, .Lfunc_end85-_ZN7rocprim17ROCPRIM_400000_NS6detail17trampoline_kernelINS0_14default_configENS1_22reduce_config_selectorIyEEZNS1_11reduce_implILb1ES3_PyS7_yN6thrust23THRUST_200600_302600_NS4plusIyEEEE10hipError_tPvRmT1_T2_T3_mT4_P12ihipStream_tbEUlT_E1_NS1_11comp_targetILNS1_3genE0ELNS1_11target_archE4294967295ELNS1_3gpuE0ELNS1_3repE0EEENS1_30default_config_static_selectorELNS0_4arch9wavefront6targetE1EEEvSF_
                                        ; -- End function
	.set _ZN7rocprim17ROCPRIM_400000_NS6detail17trampoline_kernelINS0_14default_configENS1_22reduce_config_selectorIyEEZNS1_11reduce_implILb1ES3_PyS7_yN6thrust23THRUST_200600_302600_NS4plusIyEEEE10hipError_tPvRmT1_T2_T3_mT4_P12ihipStream_tbEUlT_E1_NS1_11comp_targetILNS1_3genE0ELNS1_11target_archE4294967295ELNS1_3gpuE0ELNS1_3repE0EEENS1_30default_config_static_selectorELNS0_4arch9wavefront6targetE1EEEvSF_.num_vgpr, 48
	.set _ZN7rocprim17ROCPRIM_400000_NS6detail17trampoline_kernelINS0_14default_configENS1_22reduce_config_selectorIyEEZNS1_11reduce_implILb1ES3_PyS7_yN6thrust23THRUST_200600_302600_NS4plusIyEEEE10hipError_tPvRmT1_T2_T3_mT4_P12ihipStream_tbEUlT_E1_NS1_11comp_targetILNS1_3genE0ELNS1_11target_archE4294967295ELNS1_3gpuE0ELNS1_3repE0EEENS1_30default_config_static_selectorELNS0_4arch9wavefront6targetE1EEEvSF_.num_agpr, 0
	.set _ZN7rocprim17ROCPRIM_400000_NS6detail17trampoline_kernelINS0_14default_configENS1_22reduce_config_selectorIyEEZNS1_11reduce_implILb1ES3_PyS7_yN6thrust23THRUST_200600_302600_NS4plusIyEEEE10hipError_tPvRmT1_T2_T3_mT4_P12ihipStream_tbEUlT_E1_NS1_11comp_targetILNS1_3genE0ELNS1_11target_archE4294967295ELNS1_3gpuE0ELNS1_3repE0EEENS1_30default_config_static_selectorELNS0_4arch9wavefront6targetE1EEEvSF_.numbered_sgpr, 47
	.set _ZN7rocprim17ROCPRIM_400000_NS6detail17trampoline_kernelINS0_14default_configENS1_22reduce_config_selectorIyEEZNS1_11reduce_implILb1ES3_PyS7_yN6thrust23THRUST_200600_302600_NS4plusIyEEEE10hipError_tPvRmT1_T2_T3_mT4_P12ihipStream_tbEUlT_E1_NS1_11comp_targetILNS1_3genE0ELNS1_11target_archE4294967295ELNS1_3gpuE0ELNS1_3repE0EEENS1_30default_config_static_selectorELNS0_4arch9wavefront6targetE1EEEvSF_.num_named_barrier, 0
	.set _ZN7rocprim17ROCPRIM_400000_NS6detail17trampoline_kernelINS0_14default_configENS1_22reduce_config_selectorIyEEZNS1_11reduce_implILb1ES3_PyS7_yN6thrust23THRUST_200600_302600_NS4plusIyEEEE10hipError_tPvRmT1_T2_T3_mT4_P12ihipStream_tbEUlT_E1_NS1_11comp_targetILNS1_3genE0ELNS1_11target_archE4294967295ELNS1_3gpuE0ELNS1_3repE0EEENS1_30default_config_static_selectorELNS0_4arch9wavefront6targetE1EEEvSF_.private_seg_size, 0
	.set _ZN7rocprim17ROCPRIM_400000_NS6detail17trampoline_kernelINS0_14default_configENS1_22reduce_config_selectorIyEEZNS1_11reduce_implILb1ES3_PyS7_yN6thrust23THRUST_200600_302600_NS4plusIyEEEE10hipError_tPvRmT1_T2_T3_mT4_P12ihipStream_tbEUlT_E1_NS1_11comp_targetILNS1_3genE0ELNS1_11target_archE4294967295ELNS1_3gpuE0ELNS1_3repE0EEENS1_30default_config_static_selectorELNS0_4arch9wavefront6targetE1EEEvSF_.uses_vcc, 1
	.set _ZN7rocprim17ROCPRIM_400000_NS6detail17trampoline_kernelINS0_14default_configENS1_22reduce_config_selectorIyEEZNS1_11reduce_implILb1ES3_PyS7_yN6thrust23THRUST_200600_302600_NS4plusIyEEEE10hipError_tPvRmT1_T2_T3_mT4_P12ihipStream_tbEUlT_E1_NS1_11comp_targetILNS1_3genE0ELNS1_11target_archE4294967295ELNS1_3gpuE0ELNS1_3repE0EEENS1_30default_config_static_selectorELNS0_4arch9wavefront6targetE1EEEvSF_.uses_flat_scratch, 0
	.set _ZN7rocprim17ROCPRIM_400000_NS6detail17trampoline_kernelINS0_14default_configENS1_22reduce_config_selectorIyEEZNS1_11reduce_implILb1ES3_PyS7_yN6thrust23THRUST_200600_302600_NS4plusIyEEEE10hipError_tPvRmT1_T2_T3_mT4_P12ihipStream_tbEUlT_E1_NS1_11comp_targetILNS1_3genE0ELNS1_11target_archE4294967295ELNS1_3gpuE0ELNS1_3repE0EEENS1_30default_config_static_selectorELNS0_4arch9wavefront6targetE1EEEvSF_.has_dyn_sized_stack, 0
	.set _ZN7rocprim17ROCPRIM_400000_NS6detail17trampoline_kernelINS0_14default_configENS1_22reduce_config_selectorIyEEZNS1_11reduce_implILb1ES3_PyS7_yN6thrust23THRUST_200600_302600_NS4plusIyEEEE10hipError_tPvRmT1_T2_T3_mT4_P12ihipStream_tbEUlT_E1_NS1_11comp_targetILNS1_3genE0ELNS1_11target_archE4294967295ELNS1_3gpuE0ELNS1_3repE0EEENS1_30default_config_static_selectorELNS0_4arch9wavefront6targetE1EEEvSF_.has_recursion, 0
	.set _ZN7rocprim17ROCPRIM_400000_NS6detail17trampoline_kernelINS0_14default_configENS1_22reduce_config_selectorIyEEZNS1_11reduce_implILb1ES3_PyS7_yN6thrust23THRUST_200600_302600_NS4plusIyEEEE10hipError_tPvRmT1_T2_T3_mT4_P12ihipStream_tbEUlT_E1_NS1_11comp_targetILNS1_3genE0ELNS1_11target_archE4294967295ELNS1_3gpuE0ELNS1_3repE0EEENS1_30default_config_static_selectorELNS0_4arch9wavefront6targetE1EEEvSF_.has_indirect_call, 0
	.section	.AMDGPU.csdata,"",@progbits
; Kernel info:
; codeLenInByte = 9732
; TotalNumSgprs: 53
; NumVgprs: 48
; NumAgprs: 0
; TotalNumVgprs: 48
; ScratchSize: 0
; MemoryBound: 0
; FloatMode: 240
; IeeeMode: 1
; LDSByteSize: 192 bytes/workgroup (compile time only)
; SGPRBlocks: 6
; VGPRBlocks: 5
; NumSGPRsForWavesPerEU: 53
; NumVGPRsForWavesPerEU: 48
; AccumOffset: 48
; Occupancy: 8
; WaveLimiterHint : 1
; COMPUTE_PGM_RSRC2:SCRATCH_EN: 0
; COMPUTE_PGM_RSRC2:USER_SGPR: 2
; COMPUTE_PGM_RSRC2:TRAP_HANDLER: 0
; COMPUTE_PGM_RSRC2:TGID_X_EN: 1
; COMPUTE_PGM_RSRC2:TGID_Y_EN: 0
; COMPUTE_PGM_RSRC2:TGID_Z_EN: 0
; COMPUTE_PGM_RSRC2:TIDIG_COMP_CNT: 0
; COMPUTE_PGM_RSRC3_GFX90A:ACCUM_OFFSET: 11
; COMPUTE_PGM_RSRC3_GFX90A:TG_SPLIT: 0
	.section	.text._ZN7rocprim17ROCPRIM_400000_NS6detail17trampoline_kernelINS0_14default_configENS1_22reduce_config_selectorIyEEZNS1_11reduce_implILb1ES3_PyS7_yN6thrust23THRUST_200600_302600_NS4plusIyEEEE10hipError_tPvRmT1_T2_T3_mT4_P12ihipStream_tbEUlT_E1_NS1_11comp_targetILNS1_3genE5ELNS1_11target_archE942ELNS1_3gpuE9ELNS1_3repE0EEENS1_30default_config_static_selectorELNS0_4arch9wavefront6targetE1EEEvSF_,"axG",@progbits,_ZN7rocprim17ROCPRIM_400000_NS6detail17trampoline_kernelINS0_14default_configENS1_22reduce_config_selectorIyEEZNS1_11reduce_implILb1ES3_PyS7_yN6thrust23THRUST_200600_302600_NS4plusIyEEEE10hipError_tPvRmT1_T2_T3_mT4_P12ihipStream_tbEUlT_E1_NS1_11comp_targetILNS1_3genE5ELNS1_11target_archE942ELNS1_3gpuE9ELNS1_3repE0EEENS1_30default_config_static_selectorELNS0_4arch9wavefront6targetE1EEEvSF_,comdat
	.protected	_ZN7rocprim17ROCPRIM_400000_NS6detail17trampoline_kernelINS0_14default_configENS1_22reduce_config_selectorIyEEZNS1_11reduce_implILb1ES3_PyS7_yN6thrust23THRUST_200600_302600_NS4plusIyEEEE10hipError_tPvRmT1_T2_T3_mT4_P12ihipStream_tbEUlT_E1_NS1_11comp_targetILNS1_3genE5ELNS1_11target_archE942ELNS1_3gpuE9ELNS1_3repE0EEENS1_30default_config_static_selectorELNS0_4arch9wavefront6targetE1EEEvSF_ ; -- Begin function _ZN7rocprim17ROCPRIM_400000_NS6detail17trampoline_kernelINS0_14default_configENS1_22reduce_config_selectorIyEEZNS1_11reduce_implILb1ES3_PyS7_yN6thrust23THRUST_200600_302600_NS4plusIyEEEE10hipError_tPvRmT1_T2_T3_mT4_P12ihipStream_tbEUlT_E1_NS1_11comp_targetILNS1_3genE5ELNS1_11target_archE942ELNS1_3gpuE9ELNS1_3repE0EEENS1_30default_config_static_selectorELNS0_4arch9wavefront6targetE1EEEvSF_
	.globl	_ZN7rocprim17ROCPRIM_400000_NS6detail17trampoline_kernelINS0_14default_configENS1_22reduce_config_selectorIyEEZNS1_11reduce_implILb1ES3_PyS7_yN6thrust23THRUST_200600_302600_NS4plusIyEEEE10hipError_tPvRmT1_T2_T3_mT4_P12ihipStream_tbEUlT_E1_NS1_11comp_targetILNS1_3genE5ELNS1_11target_archE942ELNS1_3gpuE9ELNS1_3repE0EEENS1_30default_config_static_selectorELNS0_4arch9wavefront6targetE1EEEvSF_
	.p2align	8
	.type	_ZN7rocprim17ROCPRIM_400000_NS6detail17trampoline_kernelINS0_14default_configENS1_22reduce_config_selectorIyEEZNS1_11reduce_implILb1ES3_PyS7_yN6thrust23THRUST_200600_302600_NS4plusIyEEEE10hipError_tPvRmT1_T2_T3_mT4_P12ihipStream_tbEUlT_E1_NS1_11comp_targetILNS1_3genE5ELNS1_11target_archE942ELNS1_3gpuE9ELNS1_3repE0EEENS1_30default_config_static_selectorELNS0_4arch9wavefront6targetE1EEEvSF_,@function
_ZN7rocprim17ROCPRIM_400000_NS6detail17trampoline_kernelINS0_14default_configENS1_22reduce_config_selectorIyEEZNS1_11reduce_implILb1ES3_PyS7_yN6thrust23THRUST_200600_302600_NS4plusIyEEEE10hipError_tPvRmT1_T2_T3_mT4_P12ihipStream_tbEUlT_E1_NS1_11comp_targetILNS1_3genE5ELNS1_11target_archE942ELNS1_3gpuE9ELNS1_3repE0EEENS1_30default_config_static_selectorELNS0_4arch9wavefront6targetE1EEEvSF_: ; @_ZN7rocprim17ROCPRIM_400000_NS6detail17trampoline_kernelINS0_14default_configENS1_22reduce_config_selectorIyEEZNS1_11reduce_implILb1ES3_PyS7_yN6thrust23THRUST_200600_302600_NS4plusIyEEEE10hipError_tPvRmT1_T2_T3_mT4_P12ihipStream_tbEUlT_E1_NS1_11comp_targetILNS1_3genE5ELNS1_11target_archE942ELNS1_3gpuE9ELNS1_3repE0EEENS1_30default_config_static_selectorELNS0_4arch9wavefront6targetE1EEEvSF_
; %bb.0:
	.section	.rodata,"a",@progbits
	.p2align	6, 0x0
	.amdhsa_kernel _ZN7rocprim17ROCPRIM_400000_NS6detail17trampoline_kernelINS0_14default_configENS1_22reduce_config_selectorIyEEZNS1_11reduce_implILb1ES3_PyS7_yN6thrust23THRUST_200600_302600_NS4plusIyEEEE10hipError_tPvRmT1_T2_T3_mT4_P12ihipStream_tbEUlT_E1_NS1_11comp_targetILNS1_3genE5ELNS1_11target_archE942ELNS1_3gpuE9ELNS1_3repE0EEENS1_30default_config_static_selectorELNS0_4arch9wavefront6targetE1EEEvSF_
		.amdhsa_group_segment_fixed_size 0
		.amdhsa_private_segment_fixed_size 0
		.amdhsa_kernarg_size 48
		.amdhsa_user_sgpr_count 2
		.amdhsa_user_sgpr_dispatch_ptr 0
		.amdhsa_user_sgpr_queue_ptr 0
		.amdhsa_user_sgpr_kernarg_segment_ptr 1
		.amdhsa_user_sgpr_dispatch_id 0
		.amdhsa_user_sgpr_kernarg_preload_length 0
		.amdhsa_user_sgpr_kernarg_preload_offset 0
		.amdhsa_user_sgpr_private_segment_size 0
		.amdhsa_uses_dynamic_stack 0
		.amdhsa_enable_private_segment 0
		.amdhsa_system_sgpr_workgroup_id_x 1
		.amdhsa_system_sgpr_workgroup_id_y 0
		.amdhsa_system_sgpr_workgroup_id_z 0
		.amdhsa_system_sgpr_workgroup_info 0
		.amdhsa_system_vgpr_workitem_id 0
		.amdhsa_next_free_vgpr 1
		.amdhsa_next_free_sgpr 0
		.amdhsa_accum_offset 4
		.amdhsa_reserve_vcc 0
		.amdhsa_float_round_mode_32 0
		.amdhsa_float_round_mode_16_64 0
		.amdhsa_float_denorm_mode_32 3
		.amdhsa_float_denorm_mode_16_64 3
		.amdhsa_dx10_clamp 1
		.amdhsa_ieee_mode 1
		.amdhsa_fp16_overflow 0
		.amdhsa_tg_split 0
		.amdhsa_exception_fp_ieee_invalid_op 0
		.amdhsa_exception_fp_denorm_src 0
		.amdhsa_exception_fp_ieee_div_zero 0
		.amdhsa_exception_fp_ieee_overflow 0
		.amdhsa_exception_fp_ieee_underflow 0
		.amdhsa_exception_fp_ieee_inexact 0
		.amdhsa_exception_int_div_zero 0
	.end_amdhsa_kernel
	.section	.text._ZN7rocprim17ROCPRIM_400000_NS6detail17trampoline_kernelINS0_14default_configENS1_22reduce_config_selectorIyEEZNS1_11reduce_implILb1ES3_PyS7_yN6thrust23THRUST_200600_302600_NS4plusIyEEEE10hipError_tPvRmT1_T2_T3_mT4_P12ihipStream_tbEUlT_E1_NS1_11comp_targetILNS1_3genE5ELNS1_11target_archE942ELNS1_3gpuE9ELNS1_3repE0EEENS1_30default_config_static_selectorELNS0_4arch9wavefront6targetE1EEEvSF_,"axG",@progbits,_ZN7rocprim17ROCPRIM_400000_NS6detail17trampoline_kernelINS0_14default_configENS1_22reduce_config_selectorIyEEZNS1_11reduce_implILb1ES3_PyS7_yN6thrust23THRUST_200600_302600_NS4plusIyEEEE10hipError_tPvRmT1_T2_T3_mT4_P12ihipStream_tbEUlT_E1_NS1_11comp_targetILNS1_3genE5ELNS1_11target_archE942ELNS1_3gpuE9ELNS1_3repE0EEENS1_30default_config_static_selectorELNS0_4arch9wavefront6targetE1EEEvSF_,comdat
.Lfunc_end86:
	.size	_ZN7rocprim17ROCPRIM_400000_NS6detail17trampoline_kernelINS0_14default_configENS1_22reduce_config_selectorIyEEZNS1_11reduce_implILb1ES3_PyS7_yN6thrust23THRUST_200600_302600_NS4plusIyEEEE10hipError_tPvRmT1_T2_T3_mT4_P12ihipStream_tbEUlT_E1_NS1_11comp_targetILNS1_3genE5ELNS1_11target_archE942ELNS1_3gpuE9ELNS1_3repE0EEENS1_30default_config_static_selectorELNS0_4arch9wavefront6targetE1EEEvSF_, .Lfunc_end86-_ZN7rocprim17ROCPRIM_400000_NS6detail17trampoline_kernelINS0_14default_configENS1_22reduce_config_selectorIyEEZNS1_11reduce_implILb1ES3_PyS7_yN6thrust23THRUST_200600_302600_NS4plusIyEEEE10hipError_tPvRmT1_T2_T3_mT4_P12ihipStream_tbEUlT_E1_NS1_11comp_targetILNS1_3genE5ELNS1_11target_archE942ELNS1_3gpuE9ELNS1_3repE0EEENS1_30default_config_static_selectorELNS0_4arch9wavefront6targetE1EEEvSF_
                                        ; -- End function
	.set _ZN7rocprim17ROCPRIM_400000_NS6detail17trampoline_kernelINS0_14default_configENS1_22reduce_config_selectorIyEEZNS1_11reduce_implILb1ES3_PyS7_yN6thrust23THRUST_200600_302600_NS4plusIyEEEE10hipError_tPvRmT1_T2_T3_mT4_P12ihipStream_tbEUlT_E1_NS1_11comp_targetILNS1_3genE5ELNS1_11target_archE942ELNS1_3gpuE9ELNS1_3repE0EEENS1_30default_config_static_selectorELNS0_4arch9wavefront6targetE1EEEvSF_.num_vgpr, 0
	.set _ZN7rocprim17ROCPRIM_400000_NS6detail17trampoline_kernelINS0_14default_configENS1_22reduce_config_selectorIyEEZNS1_11reduce_implILb1ES3_PyS7_yN6thrust23THRUST_200600_302600_NS4plusIyEEEE10hipError_tPvRmT1_T2_T3_mT4_P12ihipStream_tbEUlT_E1_NS1_11comp_targetILNS1_3genE5ELNS1_11target_archE942ELNS1_3gpuE9ELNS1_3repE0EEENS1_30default_config_static_selectorELNS0_4arch9wavefront6targetE1EEEvSF_.num_agpr, 0
	.set _ZN7rocprim17ROCPRIM_400000_NS6detail17trampoline_kernelINS0_14default_configENS1_22reduce_config_selectorIyEEZNS1_11reduce_implILb1ES3_PyS7_yN6thrust23THRUST_200600_302600_NS4plusIyEEEE10hipError_tPvRmT1_T2_T3_mT4_P12ihipStream_tbEUlT_E1_NS1_11comp_targetILNS1_3genE5ELNS1_11target_archE942ELNS1_3gpuE9ELNS1_3repE0EEENS1_30default_config_static_selectorELNS0_4arch9wavefront6targetE1EEEvSF_.numbered_sgpr, 0
	.set _ZN7rocprim17ROCPRIM_400000_NS6detail17trampoline_kernelINS0_14default_configENS1_22reduce_config_selectorIyEEZNS1_11reduce_implILb1ES3_PyS7_yN6thrust23THRUST_200600_302600_NS4plusIyEEEE10hipError_tPvRmT1_T2_T3_mT4_P12ihipStream_tbEUlT_E1_NS1_11comp_targetILNS1_3genE5ELNS1_11target_archE942ELNS1_3gpuE9ELNS1_3repE0EEENS1_30default_config_static_selectorELNS0_4arch9wavefront6targetE1EEEvSF_.num_named_barrier, 0
	.set _ZN7rocprim17ROCPRIM_400000_NS6detail17trampoline_kernelINS0_14default_configENS1_22reduce_config_selectorIyEEZNS1_11reduce_implILb1ES3_PyS7_yN6thrust23THRUST_200600_302600_NS4plusIyEEEE10hipError_tPvRmT1_T2_T3_mT4_P12ihipStream_tbEUlT_E1_NS1_11comp_targetILNS1_3genE5ELNS1_11target_archE942ELNS1_3gpuE9ELNS1_3repE0EEENS1_30default_config_static_selectorELNS0_4arch9wavefront6targetE1EEEvSF_.private_seg_size, 0
	.set _ZN7rocprim17ROCPRIM_400000_NS6detail17trampoline_kernelINS0_14default_configENS1_22reduce_config_selectorIyEEZNS1_11reduce_implILb1ES3_PyS7_yN6thrust23THRUST_200600_302600_NS4plusIyEEEE10hipError_tPvRmT1_T2_T3_mT4_P12ihipStream_tbEUlT_E1_NS1_11comp_targetILNS1_3genE5ELNS1_11target_archE942ELNS1_3gpuE9ELNS1_3repE0EEENS1_30default_config_static_selectorELNS0_4arch9wavefront6targetE1EEEvSF_.uses_vcc, 0
	.set _ZN7rocprim17ROCPRIM_400000_NS6detail17trampoline_kernelINS0_14default_configENS1_22reduce_config_selectorIyEEZNS1_11reduce_implILb1ES3_PyS7_yN6thrust23THRUST_200600_302600_NS4plusIyEEEE10hipError_tPvRmT1_T2_T3_mT4_P12ihipStream_tbEUlT_E1_NS1_11comp_targetILNS1_3genE5ELNS1_11target_archE942ELNS1_3gpuE9ELNS1_3repE0EEENS1_30default_config_static_selectorELNS0_4arch9wavefront6targetE1EEEvSF_.uses_flat_scratch, 0
	.set _ZN7rocprim17ROCPRIM_400000_NS6detail17trampoline_kernelINS0_14default_configENS1_22reduce_config_selectorIyEEZNS1_11reduce_implILb1ES3_PyS7_yN6thrust23THRUST_200600_302600_NS4plusIyEEEE10hipError_tPvRmT1_T2_T3_mT4_P12ihipStream_tbEUlT_E1_NS1_11comp_targetILNS1_3genE5ELNS1_11target_archE942ELNS1_3gpuE9ELNS1_3repE0EEENS1_30default_config_static_selectorELNS0_4arch9wavefront6targetE1EEEvSF_.has_dyn_sized_stack, 0
	.set _ZN7rocprim17ROCPRIM_400000_NS6detail17trampoline_kernelINS0_14default_configENS1_22reduce_config_selectorIyEEZNS1_11reduce_implILb1ES3_PyS7_yN6thrust23THRUST_200600_302600_NS4plusIyEEEE10hipError_tPvRmT1_T2_T3_mT4_P12ihipStream_tbEUlT_E1_NS1_11comp_targetILNS1_3genE5ELNS1_11target_archE942ELNS1_3gpuE9ELNS1_3repE0EEENS1_30default_config_static_selectorELNS0_4arch9wavefront6targetE1EEEvSF_.has_recursion, 0
	.set _ZN7rocprim17ROCPRIM_400000_NS6detail17trampoline_kernelINS0_14default_configENS1_22reduce_config_selectorIyEEZNS1_11reduce_implILb1ES3_PyS7_yN6thrust23THRUST_200600_302600_NS4plusIyEEEE10hipError_tPvRmT1_T2_T3_mT4_P12ihipStream_tbEUlT_E1_NS1_11comp_targetILNS1_3genE5ELNS1_11target_archE942ELNS1_3gpuE9ELNS1_3repE0EEENS1_30default_config_static_selectorELNS0_4arch9wavefront6targetE1EEEvSF_.has_indirect_call, 0
	.section	.AMDGPU.csdata,"",@progbits
; Kernel info:
; codeLenInByte = 0
; TotalNumSgprs: 6
; NumVgprs: 0
; NumAgprs: 0
; TotalNumVgprs: 0
; ScratchSize: 0
; MemoryBound: 0
; FloatMode: 240
; IeeeMode: 1
; LDSByteSize: 0 bytes/workgroup (compile time only)
; SGPRBlocks: 0
; VGPRBlocks: 0
; NumSGPRsForWavesPerEU: 6
; NumVGPRsForWavesPerEU: 1
; AccumOffset: 4
; Occupancy: 8
; WaveLimiterHint : 0
; COMPUTE_PGM_RSRC2:SCRATCH_EN: 0
; COMPUTE_PGM_RSRC2:USER_SGPR: 2
; COMPUTE_PGM_RSRC2:TRAP_HANDLER: 0
; COMPUTE_PGM_RSRC2:TGID_X_EN: 1
; COMPUTE_PGM_RSRC2:TGID_Y_EN: 0
; COMPUTE_PGM_RSRC2:TGID_Z_EN: 0
; COMPUTE_PGM_RSRC2:TIDIG_COMP_CNT: 0
; COMPUTE_PGM_RSRC3_GFX90A:ACCUM_OFFSET: 0
; COMPUTE_PGM_RSRC3_GFX90A:TG_SPLIT: 0
	.section	.text._ZN7rocprim17ROCPRIM_400000_NS6detail17trampoline_kernelINS0_14default_configENS1_22reduce_config_selectorIyEEZNS1_11reduce_implILb1ES3_PyS7_yN6thrust23THRUST_200600_302600_NS4plusIyEEEE10hipError_tPvRmT1_T2_T3_mT4_P12ihipStream_tbEUlT_E1_NS1_11comp_targetILNS1_3genE4ELNS1_11target_archE910ELNS1_3gpuE8ELNS1_3repE0EEENS1_30default_config_static_selectorELNS0_4arch9wavefront6targetE1EEEvSF_,"axG",@progbits,_ZN7rocprim17ROCPRIM_400000_NS6detail17trampoline_kernelINS0_14default_configENS1_22reduce_config_selectorIyEEZNS1_11reduce_implILb1ES3_PyS7_yN6thrust23THRUST_200600_302600_NS4plusIyEEEE10hipError_tPvRmT1_T2_T3_mT4_P12ihipStream_tbEUlT_E1_NS1_11comp_targetILNS1_3genE4ELNS1_11target_archE910ELNS1_3gpuE8ELNS1_3repE0EEENS1_30default_config_static_selectorELNS0_4arch9wavefront6targetE1EEEvSF_,comdat
	.protected	_ZN7rocprim17ROCPRIM_400000_NS6detail17trampoline_kernelINS0_14default_configENS1_22reduce_config_selectorIyEEZNS1_11reduce_implILb1ES3_PyS7_yN6thrust23THRUST_200600_302600_NS4plusIyEEEE10hipError_tPvRmT1_T2_T3_mT4_P12ihipStream_tbEUlT_E1_NS1_11comp_targetILNS1_3genE4ELNS1_11target_archE910ELNS1_3gpuE8ELNS1_3repE0EEENS1_30default_config_static_selectorELNS0_4arch9wavefront6targetE1EEEvSF_ ; -- Begin function _ZN7rocprim17ROCPRIM_400000_NS6detail17trampoline_kernelINS0_14default_configENS1_22reduce_config_selectorIyEEZNS1_11reduce_implILb1ES3_PyS7_yN6thrust23THRUST_200600_302600_NS4plusIyEEEE10hipError_tPvRmT1_T2_T3_mT4_P12ihipStream_tbEUlT_E1_NS1_11comp_targetILNS1_3genE4ELNS1_11target_archE910ELNS1_3gpuE8ELNS1_3repE0EEENS1_30default_config_static_selectorELNS0_4arch9wavefront6targetE1EEEvSF_
	.globl	_ZN7rocprim17ROCPRIM_400000_NS6detail17trampoline_kernelINS0_14default_configENS1_22reduce_config_selectorIyEEZNS1_11reduce_implILb1ES3_PyS7_yN6thrust23THRUST_200600_302600_NS4plusIyEEEE10hipError_tPvRmT1_T2_T3_mT4_P12ihipStream_tbEUlT_E1_NS1_11comp_targetILNS1_3genE4ELNS1_11target_archE910ELNS1_3gpuE8ELNS1_3repE0EEENS1_30default_config_static_selectorELNS0_4arch9wavefront6targetE1EEEvSF_
	.p2align	8
	.type	_ZN7rocprim17ROCPRIM_400000_NS6detail17trampoline_kernelINS0_14default_configENS1_22reduce_config_selectorIyEEZNS1_11reduce_implILb1ES3_PyS7_yN6thrust23THRUST_200600_302600_NS4plusIyEEEE10hipError_tPvRmT1_T2_T3_mT4_P12ihipStream_tbEUlT_E1_NS1_11comp_targetILNS1_3genE4ELNS1_11target_archE910ELNS1_3gpuE8ELNS1_3repE0EEENS1_30default_config_static_selectorELNS0_4arch9wavefront6targetE1EEEvSF_,@function
_ZN7rocprim17ROCPRIM_400000_NS6detail17trampoline_kernelINS0_14default_configENS1_22reduce_config_selectorIyEEZNS1_11reduce_implILb1ES3_PyS7_yN6thrust23THRUST_200600_302600_NS4plusIyEEEE10hipError_tPvRmT1_T2_T3_mT4_P12ihipStream_tbEUlT_E1_NS1_11comp_targetILNS1_3genE4ELNS1_11target_archE910ELNS1_3gpuE8ELNS1_3repE0EEENS1_30default_config_static_selectorELNS0_4arch9wavefront6targetE1EEEvSF_: ; @_ZN7rocprim17ROCPRIM_400000_NS6detail17trampoline_kernelINS0_14default_configENS1_22reduce_config_selectorIyEEZNS1_11reduce_implILb1ES3_PyS7_yN6thrust23THRUST_200600_302600_NS4plusIyEEEE10hipError_tPvRmT1_T2_T3_mT4_P12ihipStream_tbEUlT_E1_NS1_11comp_targetILNS1_3genE4ELNS1_11target_archE910ELNS1_3gpuE8ELNS1_3repE0EEENS1_30default_config_static_selectorELNS0_4arch9wavefront6targetE1EEEvSF_
; %bb.0:
	.section	.rodata,"a",@progbits
	.p2align	6, 0x0
	.amdhsa_kernel _ZN7rocprim17ROCPRIM_400000_NS6detail17trampoline_kernelINS0_14default_configENS1_22reduce_config_selectorIyEEZNS1_11reduce_implILb1ES3_PyS7_yN6thrust23THRUST_200600_302600_NS4plusIyEEEE10hipError_tPvRmT1_T2_T3_mT4_P12ihipStream_tbEUlT_E1_NS1_11comp_targetILNS1_3genE4ELNS1_11target_archE910ELNS1_3gpuE8ELNS1_3repE0EEENS1_30default_config_static_selectorELNS0_4arch9wavefront6targetE1EEEvSF_
		.amdhsa_group_segment_fixed_size 0
		.amdhsa_private_segment_fixed_size 0
		.amdhsa_kernarg_size 48
		.amdhsa_user_sgpr_count 2
		.amdhsa_user_sgpr_dispatch_ptr 0
		.amdhsa_user_sgpr_queue_ptr 0
		.amdhsa_user_sgpr_kernarg_segment_ptr 1
		.amdhsa_user_sgpr_dispatch_id 0
		.amdhsa_user_sgpr_kernarg_preload_length 0
		.amdhsa_user_sgpr_kernarg_preload_offset 0
		.amdhsa_user_sgpr_private_segment_size 0
		.amdhsa_uses_dynamic_stack 0
		.amdhsa_enable_private_segment 0
		.amdhsa_system_sgpr_workgroup_id_x 1
		.amdhsa_system_sgpr_workgroup_id_y 0
		.amdhsa_system_sgpr_workgroup_id_z 0
		.amdhsa_system_sgpr_workgroup_info 0
		.amdhsa_system_vgpr_workitem_id 0
		.amdhsa_next_free_vgpr 1
		.amdhsa_next_free_sgpr 0
		.amdhsa_accum_offset 4
		.amdhsa_reserve_vcc 0
		.amdhsa_float_round_mode_32 0
		.amdhsa_float_round_mode_16_64 0
		.amdhsa_float_denorm_mode_32 3
		.amdhsa_float_denorm_mode_16_64 3
		.amdhsa_dx10_clamp 1
		.amdhsa_ieee_mode 1
		.amdhsa_fp16_overflow 0
		.amdhsa_tg_split 0
		.amdhsa_exception_fp_ieee_invalid_op 0
		.amdhsa_exception_fp_denorm_src 0
		.amdhsa_exception_fp_ieee_div_zero 0
		.amdhsa_exception_fp_ieee_overflow 0
		.amdhsa_exception_fp_ieee_underflow 0
		.amdhsa_exception_fp_ieee_inexact 0
		.amdhsa_exception_int_div_zero 0
	.end_amdhsa_kernel
	.section	.text._ZN7rocprim17ROCPRIM_400000_NS6detail17trampoline_kernelINS0_14default_configENS1_22reduce_config_selectorIyEEZNS1_11reduce_implILb1ES3_PyS7_yN6thrust23THRUST_200600_302600_NS4plusIyEEEE10hipError_tPvRmT1_T2_T3_mT4_P12ihipStream_tbEUlT_E1_NS1_11comp_targetILNS1_3genE4ELNS1_11target_archE910ELNS1_3gpuE8ELNS1_3repE0EEENS1_30default_config_static_selectorELNS0_4arch9wavefront6targetE1EEEvSF_,"axG",@progbits,_ZN7rocprim17ROCPRIM_400000_NS6detail17trampoline_kernelINS0_14default_configENS1_22reduce_config_selectorIyEEZNS1_11reduce_implILb1ES3_PyS7_yN6thrust23THRUST_200600_302600_NS4plusIyEEEE10hipError_tPvRmT1_T2_T3_mT4_P12ihipStream_tbEUlT_E1_NS1_11comp_targetILNS1_3genE4ELNS1_11target_archE910ELNS1_3gpuE8ELNS1_3repE0EEENS1_30default_config_static_selectorELNS0_4arch9wavefront6targetE1EEEvSF_,comdat
.Lfunc_end87:
	.size	_ZN7rocprim17ROCPRIM_400000_NS6detail17trampoline_kernelINS0_14default_configENS1_22reduce_config_selectorIyEEZNS1_11reduce_implILb1ES3_PyS7_yN6thrust23THRUST_200600_302600_NS4plusIyEEEE10hipError_tPvRmT1_T2_T3_mT4_P12ihipStream_tbEUlT_E1_NS1_11comp_targetILNS1_3genE4ELNS1_11target_archE910ELNS1_3gpuE8ELNS1_3repE0EEENS1_30default_config_static_selectorELNS0_4arch9wavefront6targetE1EEEvSF_, .Lfunc_end87-_ZN7rocprim17ROCPRIM_400000_NS6detail17trampoline_kernelINS0_14default_configENS1_22reduce_config_selectorIyEEZNS1_11reduce_implILb1ES3_PyS7_yN6thrust23THRUST_200600_302600_NS4plusIyEEEE10hipError_tPvRmT1_T2_T3_mT4_P12ihipStream_tbEUlT_E1_NS1_11comp_targetILNS1_3genE4ELNS1_11target_archE910ELNS1_3gpuE8ELNS1_3repE0EEENS1_30default_config_static_selectorELNS0_4arch9wavefront6targetE1EEEvSF_
                                        ; -- End function
	.set _ZN7rocprim17ROCPRIM_400000_NS6detail17trampoline_kernelINS0_14default_configENS1_22reduce_config_selectorIyEEZNS1_11reduce_implILb1ES3_PyS7_yN6thrust23THRUST_200600_302600_NS4plusIyEEEE10hipError_tPvRmT1_T2_T3_mT4_P12ihipStream_tbEUlT_E1_NS1_11comp_targetILNS1_3genE4ELNS1_11target_archE910ELNS1_3gpuE8ELNS1_3repE0EEENS1_30default_config_static_selectorELNS0_4arch9wavefront6targetE1EEEvSF_.num_vgpr, 0
	.set _ZN7rocprim17ROCPRIM_400000_NS6detail17trampoline_kernelINS0_14default_configENS1_22reduce_config_selectorIyEEZNS1_11reduce_implILb1ES3_PyS7_yN6thrust23THRUST_200600_302600_NS4plusIyEEEE10hipError_tPvRmT1_T2_T3_mT4_P12ihipStream_tbEUlT_E1_NS1_11comp_targetILNS1_3genE4ELNS1_11target_archE910ELNS1_3gpuE8ELNS1_3repE0EEENS1_30default_config_static_selectorELNS0_4arch9wavefront6targetE1EEEvSF_.num_agpr, 0
	.set _ZN7rocprim17ROCPRIM_400000_NS6detail17trampoline_kernelINS0_14default_configENS1_22reduce_config_selectorIyEEZNS1_11reduce_implILb1ES3_PyS7_yN6thrust23THRUST_200600_302600_NS4plusIyEEEE10hipError_tPvRmT1_T2_T3_mT4_P12ihipStream_tbEUlT_E1_NS1_11comp_targetILNS1_3genE4ELNS1_11target_archE910ELNS1_3gpuE8ELNS1_3repE0EEENS1_30default_config_static_selectorELNS0_4arch9wavefront6targetE1EEEvSF_.numbered_sgpr, 0
	.set _ZN7rocprim17ROCPRIM_400000_NS6detail17trampoline_kernelINS0_14default_configENS1_22reduce_config_selectorIyEEZNS1_11reduce_implILb1ES3_PyS7_yN6thrust23THRUST_200600_302600_NS4plusIyEEEE10hipError_tPvRmT1_T2_T3_mT4_P12ihipStream_tbEUlT_E1_NS1_11comp_targetILNS1_3genE4ELNS1_11target_archE910ELNS1_3gpuE8ELNS1_3repE0EEENS1_30default_config_static_selectorELNS0_4arch9wavefront6targetE1EEEvSF_.num_named_barrier, 0
	.set _ZN7rocprim17ROCPRIM_400000_NS6detail17trampoline_kernelINS0_14default_configENS1_22reduce_config_selectorIyEEZNS1_11reduce_implILb1ES3_PyS7_yN6thrust23THRUST_200600_302600_NS4plusIyEEEE10hipError_tPvRmT1_T2_T3_mT4_P12ihipStream_tbEUlT_E1_NS1_11comp_targetILNS1_3genE4ELNS1_11target_archE910ELNS1_3gpuE8ELNS1_3repE0EEENS1_30default_config_static_selectorELNS0_4arch9wavefront6targetE1EEEvSF_.private_seg_size, 0
	.set _ZN7rocprim17ROCPRIM_400000_NS6detail17trampoline_kernelINS0_14default_configENS1_22reduce_config_selectorIyEEZNS1_11reduce_implILb1ES3_PyS7_yN6thrust23THRUST_200600_302600_NS4plusIyEEEE10hipError_tPvRmT1_T2_T3_mT4_P12ihipStream_tbEUlT_E1_NS1_11comp_targetILNS1_3genE4ELNS1_11target_archE910ELNS1_3gpuE8ELNS1_3repE0EEENS1_30default_config_static_selectorELNS0_4arch9wavefront6targetE1EEEvSF_.uses_vcc, 0
	.set _ZN7rocprim17ROCPRIM_400000_NS6detail17trampoline_kernelINS0_14default_configENS1_22reduce_config_selectorIyEEZNS1_11reduce_implILb1ES3_PyS7_yN6thrust23THRUST_200600_302600_NS4plusIyEEEE10hipError_tPvRmT1_T2_T3_mT4_P12ihipStream_tbEUlT_E1_NS1_11comp_targetILNS1_3genE4ELNS1_11target_archE910ELNS1_3gpuE8ELNS1_3repE0EEENS1_30default_config_static_selectorELNS0_4arch9wavefront6targetE1EEEvSF_.uses_flat_scratch, 0
	.set _ZN7rocprim17ROCPRIM_400000_NS6detail17trampoline_kernelINS0_14default_configENS1_22reduce_config_selectorIyEEZNS1_11reduce_implILb1ES3_PyS7_yN6thrust23THRUST_200600_302600_NS4plusIyEEEE10hipError_tPvRmT1_T2_T3_mT4_P12ihipStream_tbEUlT_E1_NS1_11comp_targetILNS1_3genE4ELNS1_11target_archE910ELNS1_3gpuE8ELNS1_3repE0EEENS1_30default_config_static_selectorELNS0_4arch9wavefront6targetE1EEEvSF_.has_dyn_sized_stack, 0
	.set _ZN7rocprim17ROCPRIM_400000_NS6detail17trampoline_kernelINS0_14default_configENS1_22reduce_config_selectorIyEEZNS1_11reduce_implILb1ES3_PyS7_yN6thrust23THRUST_200600_302600_NS4plusIyEEEE10hipError_tPvRmT1_T2_T3_mT4_P12ihipStream_tbEUlT_E1_NS1_11comp_targetILNS1_3genE4ELNS1_11target_archE910ELNS1_3gpuE8ELNS1_3repE0EEENS1_30default_config_static_selectorELNS0_4arch9wavefront6targetE1EEEvSF_.has_recursion, 0
	.set _ZN7rocprim17ROCPRIM_400000_NS6detail17trampoline_kernelINS0_14default_configENS1_22reduce_config_selectorIyEEZNS1_11reduce_implILb1ES3_PyS7_yN6thrust23THRUST_200600_302600_NS4plusIyEEEE10hipError_tPvRmT1_T2_T3_mT4_P12ihipStream_tbEUlT_E1_NS1_11comp_targetILNS1_3genE4ELNS1_11target_archE910ELNS1_3gpuE8ELNS1_3repE0EEENS1_30default_config_static_selectorELNS0_4arch9wavefront6targetE1EEEvSF_.has_indirect_call, 0
	.section	.AMDGPU.csdata,"",@progbits
; Kernel info:
; codeLenInByte = 0
; TotalNumSgprs: 6
; NumVgprs: 0
; NumAgprs: 0
; TotalNumVgprs: 0
; ScratchSize: 0
; MemoryBound: 0
; FloatMode: 240
; IeeeMode: 1
; LDSByteSize: 0 bytes/workgroup (compile time only)
; SGPRBlocks: 0
; VGPRBlocks: 0
; NumSGPRsForWavesPerEU: 6
; NumVGPRsForWavesPerEU: 1
; AccumOffset: 4
; Occupancy: 8
; WaveLimiterHint : 0
; COMPUTE_PGM_RSRC2:SCRATCH_EN: 0
; COMPUTE_PGM_RSRC2:USER_SGPR: 2
; COMPUTE_PGM_RSRC2:TRAP_HANDLER: 0
; COMPUTE_PGM_RSRC2:TGID_X_EN: 1
; COMPUTE_PGM_RSRC2:TGID_Y_EN: 0
; COMPUTE_PGM_RSRC2:TGID_Z_EN: 0
; COMPUTE_PGM_RSRC2:TIDIG_COMP_CNT: 0
; COMPUTE_PGM_RSRC3_GFX90A:ACCUM_OFFSET: 0
; COMPUTE_PGM_RSRC3_GFX90A:TG_SPLIT: 0
	.section	.text._ZN7rocprim17ROCPRIM_400000_NS6detail17trampoline_kernelINS0_14default_configENS1_22reduce_config_selectorIyEEZNS1_11reduce_implILb1ES3_PyS7_yN6thrust23THRUST_200600_302600_NS4plusIyEEEE10hipError_tPvRmT1_T2_T3_mT4_P12ihipStream_tbEUlT_E1_NS1_11comp_targetILNS1_3genE3ELNS1_11target_archE908ELNS1_3gpuE7ELNS1_3repE0EEENS1_30default_config_static_selectorELNS0_4arch9wavefront6targetE1EEEvSF_,"axG",@progbits,_ZN7rocprim17ROCPRIM_400000_NS6detail17trampoline_kernelINS0_14default_configENS1_22reduce_config_selectorIyEEZNS1_11reduce_implILb1ES3_PyS7_yN6thrust23THRUST_200600_302600_NS4plusIyEEEE10hipError_tPvRmT1_T2_T3_mT4_P12ihipStream_tbEUlT_E1_NS1_11comp_targetILNS1_3genE3ELNS1_11target_archE908ELNS1_3gpuE7ELNS1_3repE0EEENS1_30default_config_static_selectorELNS0_4arch9wavefront6targetE1EEEvSF_,comdat
	.protected	_ZN7rocprim17ROCPRIM_400000_NS6detail17trampoline_kernelINS0_14default_configENS1_22reduce_config_selectorIyEEZNS1_11reduce_implILb1ES3_PyS7_yN6thrust23THRUST_200600_302600_NS4plusIyEEEE10hipError_tPvRmT1_T2_T3_mT4_P12ihipStream_tbEUlT_E1_NS1_11comp_targetILNS1_3genE3ELNS1_11target_archE908ELNS1_3gpuE7ELNS1_3repE0EEENS1_30default_config_static_selectorELNS0_4arch9wavefront6targetE1EEEvSF_ ; -- Begin function _ZN7rocprim17ROCPRIM_400000_NS6detail17trampoline_kernelINS0_14default_configENS1_22reduce_config_selectorIyEEZNS1_11reduce_implILb1ES3_PyS7_yN6thrust23THRUST_200600_302600_NS4plusIyEEEE10hipError_tPvRmT1_T2_T3_mT4_P12ihipStream_tbEUlT_E1_NS1_11comp_targetILNS1_3genE3ELNS1_11target_archE908ELNS1_3gpuE7ELNS1_3repE0EEENS1_30default_config_static_selectorELNS0_4arch9wavefront6targetE1EEEvSF_
	.globl	_ZN7rocprim17ROCPRIM_400000_NS6detail17trampoline_kernelINS0_14default_configENS1_22reduce_config_selectorIyEEZNS1_11reduce_implILb1ES3_PyS7_yN6thrust23THRUST_200600_302600_NS4plusIyEEEE10hipError_tPvRmT1_T2_T3_mT4_P12ihipStream_tbEUlT_E1_NS1_11comp_targetILNS1_3genE3ELNS1_11target_archE908ELNS1_3gpuE7ELNS1_3repE0EEENS1_30default_config_static_selectorELNS0_4arch9wavefront6targetE1EEEvSF_
	.p2align	8
	.type	_ZN7rocprim17ROCPRIM_400000_NS6detail17trampoline_kernelINS0_14default_configENS1_22reduce_config_selectorIyEEZNS1_11reduce_implILb1ES3_PyS7_yN6thrust23THRUST_200600_302600_NS4plusIyEEEE10hipError_tPvRmT1_T2_T3_mT4_P12ihipStream_tbEUlT_E1_NS1_11comp_targetILNS1_3genE3ELNS1_11target_archE908ELNS1_3gpuE7ELNS1_3repE0EEENS1_30default_config_static_selectorELNS0_4arch9wavefront6targetE1EEEvSF_,@function
_ZN7rocprim17ROCPRIM_400000_NS6detail17trampoline_kernelINS0_14default_configENS1_22reduce_config_selectorIyEEZNS1_11reduce_implILb1ES3_PyS7_yN6thrust23THRUST_200600_302600_NS4plusIyEEEE10hipError_tPvRmT1_T2_T3_mT4_P12ihipStream_tbEUlT_E1_NS1_11comp_targetILNS1_3genE3ELNS1_11target_archE908ELNS1_3gpuE7ELNS1_3repE0EEENS1_30default_config_static_selectorELNS0_4arch9wavefront6targetE1EEEvSF_: ; @_ZN7rocprim17ROCPRIM_400000_NS6detail17trampoline_kernelINS0_14default_configENS1_22reduce_config_selectorIyEEZNS1_11reduce_implILb1ES3_PyS7_yN6thrust23THRUST_200600_302600_NS4plusIyEEEE10hipError_tPvRmT1_T2_T3_mT4_P12ihipStream_tbEUlT_E1_NS1_11comp_targetILNS1_3genE3ELNS1_11target_archE908ELNS1_3gpuE7ELNS1_3repE0EEENS1_30default_config_static_selectorELNS0_4arch9wavefront6targetE1EEEvSF_
; %bb.0:
	.section	.rodata,"a",@progbits
	.p2align	6, 0x0
	.amdhsa_kernel _ZN7rocprim17ROCPRIM_400000_NS6detail17trampoline_kernelINS0_14default_configENS1_22reduce_config_selectorIyEEZNS1_11reduce_implILb1ES3_PyS7_yN6thrust23THRUST_200600_302600_NS4plusIyEEEE10hipError_tPvRmT1_T2_T3_mT4_P12ihipStream_tbEUlT_E1_NS1_11comp_targetILNS1_3genE3ELNS1_11target_archE908ELNS1_3gpuE7ELNS1_3repE0EEENS1_30default_config_static_selectorELNS0_4arch9wavefront6targetE1EEEvSF_
		.amdhsa_group_segment_fixed_size 0
		.amdhsa_private_segment_fixed_size 0
		.amdhsa_kernarg_size 48
		.amdhsa_user_sgpr_count 2
		.amdhsa_user_sgpr_dispatch_ptr 0
		.amdhsa_user_sgpr_queue_ptr 0
		.amdhsa_user_sgpr_kernarg_segment_ptr 1
		.amdhsa_user_sgpr_dispatch_id 0
		.amdhsa_user_sgpr_kernarg_preload_length 0
		.amdhsa_user_sgpr_kernarg_preload_offset 0
		.amdhsa_user_sgpr_private_segment_size 0
		.amdhsa_uses_dynamic_stack 0
		.amdhsa_enable_private_segment 0
		.amdhsa_system_sgpr_workgroup_id_x 1
		.amdhsa_system_sgpr_workgroup_id_y 0
		.amdhsa_system_sgpr_workgroup_id_z 0
		.amdhsa_system_sgpr_workgroup_info 0
		.amdhsa_system_vgpr_workitem_id 0
		.amdhsa_next_free_vgpr 1
		.amdhsa_next_free_sgpr 0
		.amdhsa_accum_offset 4
		.amdhsa_reserve_vcc 0
		.amdhsa_float_round_mode_32 0
		.amdhsa_float_round_mode_16_64 0
		.amdhsa_float_denorm_mode_32 3
		.amdhsa_float_denorm_mode_16_64 3
		.amdhsa_dx10_clamp 1
		.amdhsa_ieee_mode 1
		.amdhsa_fp16_overflow 0
		.amdhsa_tg_split 0
		.amdhsa_exception_fp_ieee_invalid_op 0
		.amdhsa_exception_fp_denorm_src 0
		.amdhsa_exception_fp_ieee_div_zero 0
		.amdhsa_exception_fp_ieee_overflow 0
		.amdhsa_exception_fp_ieee_underflow 0
		.amdhsa_exception_fp_ieee_inexact 0
		.amdhsa_exception_int_div_zero 0
	.end_amdhsa_kernel
	.section	.text._ZN7rocprim17ROCPRIM_400000_NS6detail17trampoline_kernelINS0_14default_configENS1_22reduce_config_selectorIyEEZNS1_11reduce_implILb1ES3_PyS7_yN6thrust23THRUST_200600_302600_NS4plusIyEEEE10hipError_tPvRmT1_T2_T3_mT4_P12ihipStream_tbEUlT_E1_NS1_11comp_targetILNS1_3genE3ELNS1_11target_archE908ELNS1_3gpuE7ELNS1_3repE0EEENS1_30default_config_static_selectorELNS0_4arch9wavefront6targetE1EEEvSF_,"axG",@progbits,_ZN7rocprim17ROCPRIM_400000_NS6detail17trampoline_kernelINS0_14default_configENS1_22reduce_config_selectorIyEEZNS1_11reduce_implILb1ES3_PyS7_yN6thrust23THRUST_200600_302600_NS4plusIyEEEE10hipError_tPvRmT1_T2_T3_mT4_P12ihipStream_tbEUlT_E1_NS1_11comp_targetILNS1_3genE3ELNS1_11target_archE908ELNS1_3gpuE7ELNS1_3repE0EEENS1_30default_config_static_selectorELNS0_4arch9wavefront6targetE1EEEvSF_,comdat
.Lfunc_end88:
	.size	_ZN7rocprim17ROCPRIM_400000_NS6detail17trampoline_kernelINS0_14default_configENS1_22reduce_config_selectorIyEEZNS1_11reduce_implILb1ES3_PyS7_yN6thrust23THRUST_200600_302600_NS4plusIyEEEE10hipError_tPvRmT1_T2_T3_mT4_P12ihipStream_tbEUlT_E1_NS1_11comp_targetILNS1_3genE3ELNS1_11target_archE908ELNS1_3gpuE7ELNS1_3repE0EEENS1_30default_config_static_selectorELNS0_4arch9wavefront6targetE1EEEvSF_, .Lfunc_end88-_ZN7rocprim17ROCPRIM_400000_NS6detail17trampoline_kernelINS0_14default_configENS1_22reduce_config_selectorIyEEZNS1_11reduce_implILb1ES3_PyS7_yN6thrust23THRUST_200600_302600_NS4plusIyEEEE10hipError_tPvRmT1_T2_T3_mT4_P12ihipStream_tbEUlT_E1_NS1_11comp_targetILNS1_3genE3ELNS1_11target_archE908ELNS1_3gpuE7ELNS1_3repE0EEENS1_30default_config_static_selectorELNS0_4arch9wavefront6targetE1EEEvSF_
                                        ; -- End function
	.set _ZN7rocprim17ROCPRIM_400000_NS6detail17trampoline_kernelINS0_14default_configENS1_22reduce_config_selectorIyEEZNS1_11reduce_implILb1ES3_PyS7_yN6thrust23THRUST_200600_302600_NS4plusIyEEEE10hipError_tPvRmT1_T2_T3_mT4_P12ihipStream_tbEUlT_E1_NS1_11comp_targetILNS1_3genE3ELNS1_11target_archE908ELNS1_3gpuE7ELNS1_3repE0EEENS1_30default_config_static_selectorELNS0_4arch9wavefront6targetE1EEEvSF_.num_vgpr, 0
	.set _ZN7rocprim17ROCPRIM_400000_NS6detail17trampoline_kernelINS0_14default_configENS1_22reduce_config_selectorIyEEZNS1_11reduce_implILb1ES3_PyS7_yN6thrust23THRUST_200600_302600_NS4plusIyEEEE10hipError_tPvRmT1_T2_T3_mT4_P12ihipStream_tbEUlT_E1_NS1_11comp_targetILNS1_3genE3ELNS1_11target_archE908ELNS1_3gpuE7ELNS1_3repE0EEENS1_30default_config_static_selectorELNS0_4arch9wavefront6targetE1EEEvSF_.num_agpr, 0
	.set _ZN7rocprim17ROCPRIM_400000_NS6detail17trampoline_kernelINS0_14default_configENS1_22reduce_config_selectorIyEEZNS1_11reduce_implILb1ES3_PyS7_yN6thrust23THRUST_200600_302600_NS4plusIyEEEE10hipError_tPvRmT1_T2_T3_mT4_P12ihipStream_tbEUlT_E1_NS1_11comp_targetILNS1_3genE3ELNS1_11target_archE908ELNS1_3gpuE7ELNS1_3repE0EEENS1_30default_config_static_selectorELNS0_4arch9wavefront6targetE1EEEvSF_.numbered_sgpr, 0
	.set _ZN7rocprim17ROCPRIM_400000_NS6detail17trampoline_kernelINS0_14default_configENS1_22reduce_config_selectorIyEEZNS1_11reduce_implILb1ES3_PyS7_yN6thrust23THRUST_200600_302600_NS4plusIyEEEE10hipError_tPvRmT1_T2_T3_mT4_P12ihipStream_tbEUlT_E1_NS1_11comp_targetILNS1_3genE3ELNS1_11target_archE908ELNS1_3gpuE7ELNS1_3repE0EEENS1_30default_config_static_selectorELNS0_4arch9wavefront6targetE1EEEvSF_.num_named_barrier, 0
	.set _ZN7rocprim17ROCPRIM_400000_NS6detail17trampoline_kernelINS0_14default_configENS1_22reduce_config_selectorIyEEZNS1_11reduce_implILb1ES3_PyS7_yN6thrust23THRUST_200600_302600_NS4plusIyEEEE10hipError_tPvRmT1_T2_T3_mT4_P12ihipStream_tbEUlT_E1_NS1_11comp_targetILNS1_3genE3ELNS1_11target_archE908ELNS1_3gpuE7ELNS1_3repE0EEENS1_30default_config_static_selectorELNS0_4arch9wavefront6targetE1EEEvSF_.private_seg_size, 0
	.set _ZN7rocprim17ROCPRIM_400000_NS6detail17trampoline_kernelINS0_14default_configENS1_22reduce_config_selectorIyEEZNS1_11reduce_implILb1ES3_PyS7_yN6thrust23THRUST_200600_302600_NS4plusIyEEEE10hipError_tPvRmT1_T2_T3_mT4_P12ihipStream_tbEUlT_E1_NS1_11comp_targetILNS1_3genE3ELNS1_11target_archE908ELNS1_3gpuE7ELNS1_3repE0EEENS1_30default_config_static_selectorELNS0_4arch9wavefront6targetE1EEEvSF_.uses_vcc, 0
	.set _ZN7rocprim17ROCPRIM_400000_NS6detail17trampoline_kernelINS0_14default_configENS1_22reduce_config_selectorIyEEZNS1_11reduce_implILb1ES3_PyS7_yN6thrust23THRUST_200600_302600_NS4plusIyEEEE10hipError_tPvRmT1_T2_T3_mT4_P12ihipStream_tbEUlT_E1_NS1_11comp_targetILNS1_3genE3ELNS1_11target_archE908ELNS1_3gpuE7ELNS1_3repE0EEENS1_30default_config_static_selectorELNS0_4arch9wavefront6targetE1EEEvSF_.uses_flat_scratch, 0
	.set _ZN7rocprim17ROCPRIM_400000_NS6detail17trampoline_kernelINS0_14default_configENS1_22reduce_config_selectorIyEEZNS1_11reduce_implILb1ES3_PyS7_yN6thrust23THRUST_200600_302600_NS4plusIyEEEE10hipError_tPvRmT1_T2_T3_mT4_P12ihipStream_tbEUlT_E1_NS1_11comp_targetILNS1_3genE3ELNS1_11target_archE908ELNS1_3gpuE7ELNS1_3repE0EEENS1_30default_config_static_selectorELNS0_4arch9wavefront6targetE1EEEvSF_.has_dyn_sized_stack, 0
	.set _ZN7rocprim17ROCPRIM_400000_NS6detail17trampoline_kernelINS0_14default_configENS1_22reduce_config_selectorIyEEZNS1_11reduce_implILb1ES3_PyS7_yN6thrust23THRUST_200600_302600_NS4plusIyEEEE10hipError_tPvRmT1_T2_T3_mT4_P12ihipStream_tbEUlT_E1_NS1_11comp_targetILNS1_3genE3ELNS1_11target_archE908ELNS1_3gpuE7ELNS1_3repE0EEENS1_30default_config_static_selectorELNS0_4arch9wavefront6targetE1EEEvSF_.has_recursion, 0
	.set _ZN7rocprim17ROCPRIM_400000_NS6detail17trampoline_kernelINS0_14default_configENS1_22reduce_config_selectorIyEEZNS1_11reduce_implILb1ES3_PyS7_yN6thrust23THRUST_200600_302600_NS4plusIyEEEE10hipError_tPvRmT1_T2_T3_mT4_P12ihipStream_tbEUlT_E1_NS1_11comp_targetILNS1_3genE3ELNS1_11target_archE908ELNS1_3gpuE7ELNS1_3repE0EEENS1_30default_config_static_selectorELNS0_4arch9wavefront6targetE1EEEvSF_.has_indirect_call, 0
	.section	.AMDGPU.csdata,"",@progbits
; Kernel info:
; codeLenInByte = 0
; TotalNumSgprs: 6
; NumVgprs: 0
; NumAgprs: 0
; TotalNumVgprs: 0
; ScratchSize: 0
; MemoryBound: 0
; FloatMode: 240
; IeeeMode: 1
; LDSByteSize: 0 bytes/workgroup (compile time only)
; SGPRBlocks: 0
; VGPRBlocks: 0
; NumSGPRsForWavesPerEU: 6
; NumVGPRsForWavesPerEU: 1
; AccumOffset: 4
; Occupancy: 8
; WaveLimiterHint : 0
; COMPUTE_PGM_RSRC2:SCRATCH_EN: 0
; COMPUTE_PGM_RSRC2:USER_SGPR: 2
; COMPUTE_PGM_RSRC2:TRAP_HANDLER: 0
; COMPUTE_PGM_RSRC2:TGID_X_EN: 1
; COMPUTE_PGM_RSRC2:TGID_Y_EN: 0
; COMPUTE_PGM_RSRC2:TGID_Z_EN: 0
; COMPUTE_PGM_RSRC2:TIDIG_COMP_CNT: 0
; COMPUTE_PGM_RSRC3_GFX90A:ACCUM_OFFSET: 0
; COMPUTE_PGM_RSRC3_GFX90A:TG_SPLIT: 0
	.section	.text._ZN7rocprim17ROCPRIM_400000_NS6detail17trampoline_kernelINS0_14default_configENS1_22reduce_config_selectorIyEEZNS1_11reduce_implILb1ES3_PyS7_yN6thrust23THRUST_200600_302600_NS4plusIyEEEE10hipError_tPvRmT1_T2_T3_mT4_P12ihipStream_tbEUlT_E1_NS1_11comp_targetILNS1_3genE2ELNS1_11target_archE906ELNS1_3gpuE6ELNS1_3repE0EEENS1_30default_config_static_selectorELNS0_4arch9wavefront6targetE1EEEvSF_,"axG",@progbits,_ZN7rocprim17ROCPRIM_400000_NS6detail17trampoline_kernelINS0_14default_configENS1_22reduce_config_selectorIyEEZNS1_11reduce_implILb1ES3_PyS7_yN6thrust23THRUST_200600_302600_NS4plusIyEEEE10hipError_tPvRmT1_T2_T3_mT4_P12ihipStream_tbEUlT_E1_NS1_11comp_targetILNS1_3genE2ELNS1_11target_archE906ELNS1_3gpuE6ELNS1_3repE0EEENS1_30default_config_static_selectorELNS0_4arch9wavefront6targetE1EEEvSF_,comdat
	.protected	_ZN7rocprim17ROCPRIM_400000_NS6detail17trampoline_kernelINS0_14default_configENS1_22reduce_config_selectorIyEEZNS1_11reduce_implILb1ES3_PyS7_yN6thrust23THRUST_200600_302600_NS4plusIyEEEE10hipError_tPvRmT1_T2_T3_mT4_P12ihipStream_tbEUlT_E1_NS1_11comp_targetILNS1_3genE2ELNS1_11target_archE906ELNS1_3gpuE6ELNS1_3repE0EEENS1_30default_config_static_selectorELNS0_4arch9wavefront6targetE1EEEvSF_ ; -- Begin function _ZN7rocprim17ROCPRIM_400000_NS6detail17trampoline_kernelINS0_14default_configENS1_22reduce_config_selectorIyEEZNS1_11reduce_implILb1ES3_PyS7_yN6thrust23THRUST_200600_302600_NS4plusIyEEEE10hipError_tPvRmT1_T2_T3_mT4_P12ihipStream_tbEUlT_E1_NS1_11comp_targetILNS1_3genE2ELNS1_11target_archE906ELNS1_3gpuE6ELNS1_3repE0EEENS1_30default_config_static_selectorELNS0_4arch9wavefront6targetE1EEEvSF_
	.globl	_ZN7rocprim17ROCPRIM_400000_NS6detail17trampoline_kernelINS0_14default_configENS1_22reduce_config_selectorIyEEZNS1_11reduce_implILb1ES3_PyS7_yN6thrust23THRUST_200600_302600_NS4plusIyEEEE10hipError_tPvRmT1_T2_T3_mT4_P12ihipStream_tbEUlT_E1_NS1_11comp_targetILNS1_3genE2ELNS1_11target_archE906ELNS1_3gpuE6ELNS1_3repE0EEENS1_30default_config_static_selectorELNS0_4arch9wavefront6targetE1EEEvSF_
	.p2align	8
	.type	_ZN7rocprim17ROCPRIM_400000_NS6detail17trampoline_kernelINS0_14default_configENS1_22reduce_config_selectorIyEEZNS1_11reduce_implILb1ES3_PyS7_yN6thrust23THRUST_200600_302600_NS4plusIyEEEE10hipError_tPvRmT1_T2_T3_mT4_P12ihipStream_tbEUlT_E1_NS1_11comp_targetILNS1_3genE2ELNS1_11target_archE906ELNS1_3gpuE6ELNS1_3repE0EEENS1_30default_config_static_selectorELNS0_4arch9wavefront6targetE1EEEvSF_,@function
_ZN7rocprim17ROCPRIM_400000_NS6detail17trampoline_kernelINS0_14default_configENS1_22reduce_config_selectorIyEEZNS1_11reduce_implILb1ES3_PyS7_yN6thrust23THRUST_200600_302600_NS4plusIyEEEE10hipError_tPvRmT1_T2_T3_mT4_P12ihipStream_tbEUlT_E1_NS1_11comp_targetILNS1_3genE2ELNS1_11target_archE906ELNS1_3gpuE6ELNS1_3repE0EEENS1_30default_config_static_selectorELNS0_4arch9wavefront6targetE1EEEvSF_: ; @_ZN7rocprim17ROCPRIM_400000_NS6detail17trampoline_kernelINS0_14default_configENS1_22reduce_config_selectorIyEEZNS1_11reduce_implILb1ES3_PyS7_yN6thrust23THRUST_200600_302600_NS4plusIyEEEE10hipError_tPvRmT1_T2_T3_mT4_P12ihipStream_tbEUlT_E1_NS1_11comp_targetILNS1_3genE2ELNS1_11target_archE906ELNS1_3gpuE6ELNS1_3repE0EEENS1_30default_config_static_selectorELNS0_4arch9wavefront6targetE1EEEvSF_
; %bb.0:
	.section	.rodata,"a",@progbits
	.p2align	6, 0x0
	.amdhsa_kernel _ZN7rocprim17ROCPRIM_400000_NS6detail17trampoline_kernelINS0_14default_configENS1_22reduce_config_selectorIyEEZNS1_11reduce_implILb1ES3_PyS7_yN6thrust23THRUST_200600_302600_NS4plusIyEEEE10hipError_tPvRmT1_T2_T3_mT4_P12ihipStream_tbEUlT_E1_NS1_11comp_targetILNS1_3genE2ELNS1_11target_archE906ELNS1_3gpuE6ELNS1_3repE0EEENS1_30default_config_static_selectorELNS0_4arch9wavefront6targetE1EEEvSF_
		.amdhsa_group_segment_fixed_size 0
		.amdhsa_private_segment_fixed_size 0
		.amdhsa_kernarg_size 48
		.amdhsa_user_sgpr_count 2
		.amdhsa_user_sgpr_dispatch_ptr 0
		.amdhsa_user_sgpr_queue_ptr 0
		.amdhsa_user_sgpr_kernarg_segment_ptr 1
		.amdhsa_user_sgpr_dispatch_id 0
		.amdhsa_user_sgpr_kernarg_preload_length 0
		.amdhsa_user_sgpr_kernarg_preload_offset 0
		.amdhsa_user_sgpr_private_segment_size 0
		.amdhsa_uses_dynamic_stack 0
		.amdhsa_enable_private_segment 0
		.amdhsa_system_sgpr_workgroup_id_x 1
		.amdhsa_system_sgpr_workgroup_id_y 0
		.amdhsa_system_sgpr_workgroup_id_z 0
		.amdhsa_system_sgpr_workgroup_info 0
		.amdhsa_system_vgpr_workitem_id 0
		.amdhsa_next_free_vgpr 1
		.amdhsa_next_free_sgpr 0
		.amdhsa_accum_offset 4
		.amdhsa_reserve_vcc 0
		.amdhsa_float_round_mode_32 0
		.amdhsa_float_round_mode_16_64 0
		.amdhsa_float_denorm_mode_32 3
		.amdhsa_float_denorm_mode_16_64 3
		.amdhsa_dx10_clamp 1
		.amdhsa_ieee_mode 1
		.amdhsa_fp16_overflow 0
		.amdhsa_tg_split 0
		.amdhsa_exception_fp_ieee_invalid_op 0
		.amdhsa_exception_fp_denorm_src 0
		.amdhsa_exception_fp_ieee_div_zero 0
		.amdhsa_exception_fp_ieee_overflow 0
		.amdhsa_exception_fp_ieee_underflow 0
		.amdhsa_exception_fp_ieee_inexact 0
		.amdhsa_exception_int_div_zero 0
	.end_amdhsa_kernel
	.section	.text._ZN7rocprim17ROCPRIM_400000_NS6detail17trampoline_kernelINS0_14default_configENS1_22reduce_config_selectorIyEEZNS1_11reduce_implILb1ES3_PyS7_yN6thrust23THRUST_200600_302600_NS4plusIyEEEE10hipError_tPvRmT1_T2_T3_mT4_P12ihipStream_tbEUlT_E1_NS1_11comp_targetILNS1_3genE2ELNS1_11target_archE906ELNS1_3gpuE6ELNS1_3repE0EEENS1_30default_config_static_selectorELNS0_4arch9wavefront6targetE1EEEvSF_,"axG",@progbits,_ZN7rocprim17ROCPRIM_400000_NS6detail17trampoline_kernelINS0_14default_configENS1_22reduce_config_selectorIyEEZNS1_11reduce_implILb1ES3_PyS7_yN6thrust23THRUST_200600_302600_NS4plusIyEEEE10hipError_tPvRmT1_T2_T3_mT4_P12ihipStream_tbEUlT_E1_NS1_11comp_targetILNS1_3genE2ELNS1_11target_archE906ELNS1_3gpuE6ELNS1_3repE0EEENS1_30default_config_static_selectorELNS0_4arch9wavefront6targetE1EEEvSF_,comdat
.Lfunc_end89:
	.size	_ZN7rocprim17ROCPRIM_400000_NS6detail17trampoline_kernelINS0_14default_configENS1_22reduce_config_selectorIyEEZNS1_11reduce_implILb1ES3_PyS7_yN6thrust23THRUST_200600_302600_NS4plusIyEEEE10hipError_tPvRmT1_T2_T3_mT4_P12ihipStream_tbEUlT_E1_NS1_11comp_targetILNS1_3genE2ELNS1_11target_archE906ELNS1_3gpuE6ELNS1_3repE0EEENS1_30default_config_static_selectorELNS0_4arch9wavefront6targetE1EEEvSF_, .Lfunc_end89-_ZN7rocprim17ROCPRIM_400000_NS6detail17trampoline_kernelINS0_14default_configENS1_22reduce_config_selectorIyEEZNS1_11reduce_implILb1ES3_PyS7_yN6thrust23THRUST_200600_302600_NS4plusIyEEEE10hipError_tPvRmT1_T2_T3_mT4_P12ihipStream_tbEUlT_E1_NS1_11comp_targetILNS1_3genE2ELNS1_11target_archE906ELNS1_3gpuE6ELNS1_3repE0EEENS1_30default_config_static_selectorELNS0_4arch9wavefront6targetE1EEEvSF_
                                        ; -- End function
	.set _ZN7rocprim17ROCPRIM_400000_NS6detail17trampoline_kernelINS0_14default_configENS1_22reduce_config_selectorIyEEZNS1_11reduce_implILb1ES3_PyS7_yN6thrust23THRUST_200600_302600_NS4plusIyEEEE10hipError_tPvRmT1_T2_T3_mT4_P12ihipStream_tbEUlT_E1_NS1_11comp_targetILNS1_3genE2ELNS1_11target_archE906ELNS1_3gpuE6ELNS1_3repE0EEENS1_30default_config_static_selectorELNS0_4arch9wavefront6targetE1EEEvSF_.num_vgpr, 0
	.set _ZN7rocprim17ROCPRIM_400000_NS6detail17trampoline_kernelINS0_14default_configENS1_22reduce_config_selectorIyEEZNS1_11reduce_implILb1ES3_PyS7_yN6thrust23THRUST_200600_302600_NS4plusIyEEEE10hipError_tPvRmT1_T2_T3_mT4_P12ihipStream_tbEUlT_E1_NS1_11comp_targetILNS1_3genE2ELNS1_11target_archE906ELNS1_3gpuE6ELNS1_3repE0EEENS1_30default_config_static_selectorELNS0_4arch9wavefront6targetE1EEEvSF_.num_agpr, 0
	.set _ZN7rocprim17ROCPRIM_400000_NS6detail17trampoline_kernelINS0_14default_configENS1_22reduce_config_selectorIyEEZNS1_11reduce_implILb1ES3_PyS7_yN6thrust23THRUST_200600_302600_NS4plusIyEEEE10hipError_tPvRmT1_T2_T3_mT4_P12ihipStream_tbEUlT_E1_NS1_11comp_targetILNS1_3genE2ELNS1_11target_archE906ELNS1_3gpuE6ELNS1_3repE0EEENS1_30default_config_static_selectorELNS0_4arch9wavefront6targetE1EEEvSF_.numbered_sgpr, 0
	.set _ZN7rocprim17ROCPRIM_400000_NS6detail17trampoline_kernelINS0_14default_configENS1_22reduce_config_selectorIyEEZNS1_11reduce_implILb1ES3_PyS7_yN6thrust23THRUST_200600_302600_NS4plusIyEEEE10hipError_tPvRmT1_T2_T3_mT4_P12ihipStream_tbEUlT_E1_NS1_11comp_targetILNS1_3genE2ELNS1_11target_archE906ELNS1_3gpuE6ELNS1_3repE0EEENS1_30default_config_static_selectorELNS0_4arch9wavefront6targetE1EEEvSF_.num_named_barrier, 0
	.set _ZN7rocprim17ROCPRIM_400000_NS6detail17trampoline_kernelINS0_14default_configENS1_22reduce_config_selectorIyEEZNS1_11reduce_implILb1ES3_PyS7_yN6thrust23THRUST_200600_302600_NS4plusIyEEEE10hipError_tPvRmT1_T2_T3_mT4_P12ihipStream_tbEUlT_E1_NS1_11comp_targetILNS1_3genE2ELNS1_11target_archE906ELNS1_3gpuE6ELNS1_3repE0EEENS1_30default_config_static_selectorELNS0_4arch9wavefront6targetE1EEEvSF_.private_seg_size, 0
	.set _ZN7rocprim17ROCPRIM_400000_NS6detail17trampoline_kernelINS0_14default_configENS1_22reduce_config_selectorIyEEZNS1_11reduce_implILb1ES3_PyS7_yN6thrust23THRUST_200600_302600_NS4plusIyEEEE10hipError_tPvRmT1_T2_T3_mT4_P12ihipStream_tbEUlT_E1_NS1_11comp_targetILNS1_3genE2ELNS1_11target_archE906ELNS1_3gpuE6ELNS1_3repE0EEENS1_30default_config_static_selectorELNS0_4arch9wavefront6targetE1EEEvSF_.uses_vcc, 0
	.set _ZN7rocprim17ROCPRIM_400000_NS6detail17trampoline_kernelINS0_14default_configENS1_22reduce_config_selectorIyEEZNS1_11reduce_implILb1ES3_PyS7_yN6thrust23THRUST_200600_302600_NS4plusIyEEEE10hipError_tPvRmT1_T2_T3_mT4_P12ihipStream_tbEUlT_E1_NS1_11comp_targetILNS1_3genE2ELNS1_11target_archE906ELNS1_3gpuE6ELNS1_3repE0EEENS1_30default_config_static_selectorELNS0_4arch9wavefront6targetE1EEEvSF_.uses_flat_scratch, 0
	.set _ZN7rocprim17ROCPRIM_400000_NS6detail17trampoline_kernelINS0_14default_configENS1_22reduce_config_selectorIyEEZNS1_11reduce_implILb1ES3_PyS7_yN6thrust23THRUST_200600_302600_NS4plusIyEEEE10hipError_tPvRmT1_T2_T3_mT4_P12ihipStream_tbEUlT_E1_NS1_11comp_targetILNS1_3genE2ELNS1_11target_archE906ELNS1_3gpuE6ELNS1_3repE0EEENS1_30default_config_static_selectorELNS0_4arch9wavefront6targetE1EEEvSF_.has_dyn_sized_stack, 0
	.set _ZN7rocprim17ROCPRIM_400000_NS6detail17trampoline_kernelINS0_14default_configENS1_22reduce_config_selectorIyEEZNS1_11reduce_implILb1ES3_PyS7_yN6thrust23THRUST_200600_302600_NS4plusIyEEEE10hipError_tPvRmT1_T2_T3_mT4_P12ihipStream_tbEUlT_E1_NS1_11comp_targetILNS1_3genE2ELNS1_11target_archE906ELNS1_3gpuE6ELNS1_3repE0EEENS1_30default_config_static_selectorELNS0_4arch9wavefront6targetE1EEEvSF_.has_recursion, 0
	.set _ZN7rocprim17ROCPRIM_400000_NS6detail17trampoline_kernelINS0_14default_configENS1_22reduce_config_selectorIyEEZNS1_11reduce_implILb1ES3_PyS7_yN6thrust23THRUST_200600_302600_NS4plusIyEEEE10hipError_tPvRmT1_T2_T3_mT4_P12ihipStream_tbEUlT_E1_NS1_11comp_targetILNS1_3genE2ELNS1_11target_archE906ELNS1_3gpuE6ELNS1_3repE0EEENS1_30default_config_static_selectorELNS0_4arch9wavefront6targetE1EEEvSF_.has_indirect_call, 0
	.section	.AMDGPU.csdata,"",@progbits
; Kernel info:
; codeLenInByte = 0
; TotalNumSgprs: 6
; NumVgprs: 0
; NumAgprs: 0
; TotalNumVgprs: 0
; ScratchSize: 0
; MemoryBound: 0
; FloatMode: 240
; IeeeMode: 1
; LDSByteSize: 0 bytes/workgroup (compile time only)
; SGPRBlocks: 0
; VGPRBlocks: 0
; NumSGPRsForWavesPerEU: 6
; NumVGPRsForWavesPerEU: 1
; AccumOffset: 4
; Occupancy: 8
; WaveLimiterHint : 0
; COMPUTE_PGM_RSRC2:SCRATCH_EN: 0
; COMPUTE_PGM_RSRC2:USER_SGPR: 2
; COMPUTE_PGM_RSRC2:TRAP_HANDLER: 0
; COMPUTE_PGM_RSRC2:TGID_X_EN: 1
; COMPUTE_PGM_RSRC2:TGID_Y_EN: 0
; COMPUTE_PGM_RSRC2:TGID_Z_EN: 0
; COMPUTE_PGM_RSRC2:TIDIG_COMP_CNT: 0
; COMPUTE_PGM_RSRC3_GFX90A:ACCUM_OFFSET: 0
; COMPUTE_PGM_RSRC3_GFX90A:TG_SPLIT: 0
	.section	.text._ZN7rocprim17ROCPRIM_400000_NS6detail17trampoline_kernelINS0_14default_configENS1_22reduce_config_selectorIyEEZNS1_11reduce_implILb1ES3_PyS7_yN6thrust23THRUST_200600_302600_NS4plusIyEEEE10hipError_tPvRmT1_T2_T3_mT4_P12ihipStream_tbEUlT_E1_NS1_11comp_targetILNS1_3genE10ELNS1_11target_archE1201ELNS1_3gpuE5ELNS1_3repE0EEENS1_30default_config_static_selectorELNS0_4arch9wavefront6targetE1EEEvSF_,"axG",@progbits,_ZN7rocprim17ROCPRIM_400000_NS6detail17trampoline_kernelINS0_14default_configENS1_22reduce_config_selectorIyEEZNS1_11reduce_implILb1ES3_PyS7_yN6thrust23THRUST_200600_302600_NS4plusIyEEEE10hipError_tPvRmT1_T2_T3_mT4_P12ihipStream_tbEUlT_E1_NS1_11comp_targetILNS1_3genE10ELNS1_11target_archE1201ELNS1_3gpuE5ELNS1_3repE0EEENS1_30default_config_static_selectorELNS0_4arch9wavefront6targetE1EEEvSF_,comdat
	.protected	_ZN7rocprim17ROCPRIM_400000_NS6detail17trampoline_kernelINS0_14default_configENS1_22reduce_config_selectorIyEEZNS1_11reduce_implILb1ES3_PyS7_yN6thrust23THRUST_200600_302600_NS4plusIyEEEE10hipError_tPvRmT1_T2_T3_mT4_P12ihipStream_tbEUlT_E1_NS1_11comp_targetILNS1_3genE10ELNS1_11target_archE1201ELNS1_3gpuE5ELNS1_3repE0EEENS1_30default_config_static_selectorELNS0_4arch9wavefront6targetE1EEEvSF_ ; -- Begin function _ZN7rocprim17ROCPRIM_400000_NS6detail17trampoline_kernelINS0_14default_configENS1_22reduce_config_selectorIyEEZNS1_11reduce_implILb1ES3_PyS7_yN6thrust23THRUST_200600_302600_NS4plusIyEEEE10hipError_tPvRmT1_T2_T3_mT4_P12ihipStream_tbEUlT_E1_NS1_11comp_targetILNS1_3genE10ELNS1_11target_archE1201ELNS1_3gpuE5ELNS1_3repE0EEENS1_30default_config_static_selectorELNS0_4arch9wavefront6targetE1EEEvSF_
	.globl	_ZN7rocprim17ROCPRIM_400000_NS6detail17trampoline_kernelINS0_14default_configENS1_22reduce_config_selectorIyEEZNS1_11reduce_implILb1ES3_PyS7_yN6thrust23THRUST_200600_302600_NS4plusIyEEEE10hipError_tPvRmT1_T2_T3_mT4_P12ihipStream_tbEUlT_E1_NS1_11comp_targetILNS1_3genE10ELNS1_11target_archE1201ELNS1_3gpuE5ELNS1_3repE0EEENS1_30default_config_static_selectorELNS0_4arch9wavefront6targetE1EEEvSF_
	.p2align	8
	.type	_ZN7rocprim17ROCPRIM_400000_NS6detail17trampoline_kernelINS0_14default_configENS1_22reduce_config_selectorIyEEZNS1_11reduce_implILb1ES3_PyS7_yN6thrust23THRUST_200600_302600_NS4plusIyEEEE10hipError_tPvRmT1_T2_T3_mT4_P12ihipStream_tbEUlT_E1_NS1_11comp_targetILNS1_3genE10ELNS1_11target_archE1201ELNS1_3gpuE5ELNS1_3repE0EEENS1_30default_config_static_selectorELNS0_4arch9wavefront6targetE1EEEvSF_,@function
_ZN7rocprim17ROCPRIM_400000_NS6detail17trampoline_kernelINS0_14default_configENS1_22reduce_config_selectorIyEEZNS1_11reduce_implILb1ES3_PyS7_yN6thrust23THRUST_200600_302600_NS4plusIyEEEE10hipError_tPvRmT1_T2_T3_mT4_P12ihipStream_tbEUlT_E1_NS1_11comp_targetILNS1_3genE10ELNS1_11target_archE1201ELNS1_3gpuE5ELNS1_3repE0EEENS1_30default_config_static_selectorELNS0_4arch9wavefront6targetE1EEEvSF_: ; @_ZN7rocprim17ROCPRIM_400000_NS6detail17trampoline_kernelINS0_14default_configENS1_22reduce_config_selectorIyEEZNS1_11reduce_implILb1ES3_PyS7_yN6thrust23THRUST_200600_302600_NS4plusIyEEEE10hipError_tPvRmT1_T2_T3_mT4_P12ihipStream_tbEUlT_E1_NS1_11comp_targetILNS1_3genE10ELNS1_11target_archE1201ELNS1_3gpuE5ELNS1_3repE0EEENS1_30default_config_static_selectorELNS0_4arch9wavefront6targetE1EEEvSF_
; %bb.0:
	.section	.rodata,"a",@progbits
	.p2align	6, 0x0
	.amdhsa_kernel _ZN7rocprim17ROCPRIM_400000_NS6detail17trampoline_kernelINS0_14default_configENS1_22reduce_config_selectorIyEEZNS1_11reduce_implILb1ES3_PyS7_yN6thrust23THRUST_200600_302600_NS4plusIyEEEE10hipError_tPvRmT1_T2_T3_mT4_P12ihipStream_tbEUlT_E1_NS1_11comp_targetILNS1_3genE10ELNS1_11target_archE1201ELNS1_3gpuE5ELNS1_3repE0EEENS1_30default_config_static_selectorELNS0_4arch9wavefront6targetE1EEEvSF_
		.amdhsa_group_segment_fixed_size 0
		.amdhsa_private_segment_fixed_size 0
		.amdhsa_kernarg_size 48
		.amdhsa_user_sgpr_count 2
		.amdhsa_user_sgpr_dispatch_ptr 0
		.amdhsa_user_sgpr_queue_ptr 0
		.amdhsa_user_sgpr_kernarg_segment_ptr 1
		.amdhsa_user_sgpr_dispatch_id 0
		.amdhsa_user_sgpr_kernarg_preload_length 0
		.amdhsa_user_sgpr_kernarg_preload_offset 0
		.amdhsa_user_sgpr_private_segment_size 0
		.amdhsa_uses_dynamic_stack 0
		.amdhsa_enable_private_segment 0
		.amdhsa_system_sgpr_workgroup_id_x 1
		.amdhsa_system_sgpr_workgroup_id_y 0
		.amdhsa_system_sgpr_workgroup_id_z 0
		.amdhsa_system_sgpr_workgroup_info 0
		.amdhsa_system_vgpr_workitem_id 0
		.amdhsa_next_free_vgpr 1
		.amdhsa_next_free_sgpr 0
		.amdhsa_accum_offset 4
		.amdhsa_reserve_vcc 0
		.amdhsa_float_round_mode_32 0
		.amdhsa_float_round_mode_16_64 0
		.amdhsa_float_denorm_mode_32 3
		.amdhsa_float_denorm_mode_16_64 3
		.amdhsa_dx10_clamp 1
		.amdhsa_ieee_mode 1
		.amdhsa_fp16_overflow 0
		.amdhsa_tg_split 0
		.amdhsa_exception_fp_ieee_invalid_op 0
		.amdhsa_exception_fp_denorm_src 0
		.amdhsa_exception_fp_ieee_div_zero 0
		.amdhsa_exception_fp_ieee_overflow 0
		.amdhsa_exception_fp_ieee_underflow 0
		.amdhsa_exception_fp_ieee_inexact 0
		.amdhsa_exception_int_div_zero 0
	.end_amdhsa_kernel
	.section	.text._ZN7rocprim17ROCPRIM_400000_NS6detail17trampoline_kernelINS0_14default_configENS1_22reduce_config_selectorIyEEZNS1_11reduce_implILb1ES3_PyS7_yN6thrust23THRUST_200600_302600_NS4plusIyEEEE10hipError_tPvRmT1_T2_T3_mT4_P12ihipStream_tbEUlT_E1_NS1_11comp_targetILNS1_3genE10ELNS1_11target_archE1201ELNS1_3gpuE5ELNS1_3repE0EEENS1_30default_config_static_selectorELNS0_4arch9wavefront6targetE1EEEvSF_,"axG",@progbits,_ZN7rocprim17ROCPRIM_400000_NS6detail17trampoline_kernelINS0_14default_configENS1_22reduce_config_selectorIyEEZNS1_11reduce_implILb1ES3_PyS7_yN6thrust23THRUST_200600_302600_NS4plusIyEEEE10hipError_tPvRmT1_T2_T3_mT4_P12ihipStream_tbEUlT_E1_NS1_11comp_targetILNS1_3genE10ELNS1_11target_archE1201ELNS1_3gpuE5ELNS1_3repE0EEENS1_30default_config_static_selectorELNS0_4arch9wavefront6targetE1EEEvSF_,comdat
.Lfunc_end90:
	.size	_ZN7rocprim17ROCPRIM_400000_NS6detail17trampoline_kernelINS0_14default_configENS1_22reduce_config_selectorIyEEZNS1_11reduce_implILb1ES3_PyS7_yN6thrust23THRUST_200600_302600_NS4plusIyEEEE10hipError_tPvRmT1_T2_T3_mT4_P12ihipStream_tbEUlT_E1_NS1_11comp_targetILNS1_3genE10ELNS1_11target_archE1201ELNS1_3gpuE5ELNS1_3repE0EEENS1_30default_config_static_selectorELNS0_4arch9wavefront6targetE1EEEvSF_, .Lfunc_end90-_ZN7rocprim17ROCPRIM_400000_NS6detail17trampoline_kernelINS0_14default_configENS1_22reduce_config_selectorIyEEZNS1_11reduce_implILb1ES3_PyS7_yN6thrust23THRUST_200600_302600_NS4plusIyEEEE10hipError_tPvRmT1_T2_T3_mT4_P12ihipStream_tbEUlT_E1_NS1_11comp_targetILNS1_3genE10ELNS1_11target_archE1201ELNS1_3gpuE5ELNS1_3repE0EEENS1_30default_config_static_selectorELNS0_4arch9wavefront6targetE1EEEvSF_
                                        ; -- End function
	.set _ZN7rocprim17ROCPRIM_400000_NS6detail17trampoline_kernelINS0_14default_configENS1_22reduce_config_selectorIyEEZNS1_11reduce_implILb1ES3_PyS7_yN6thrust23THRUST_200600_302600_NS4plusIyEEEE10hipError_tPvRmT1_T2_T3_mT4_P12ihipStream_tbEUlT_E1_NS1_11comp_targetILNS1_3genE10ELNS1_11target_archE1201ELNS1_3gpuE5ELNS1_3repE0EEENS1_30default_config_static_selectorELNS0_4arch9wavefront6targetE1EEEvSF_.num_vgpr, 0
	.set _ZN7rocprim17ROCPRIM_400000_NS6detail17trampoline_kernelINS0_14default_configENS1_22reduce_config_selectorIyEEZNS1_11reduce_implILb1ES3_PyS7_yN6thrust23THRUST_200600_302600_NS4plusIyEEEE10hipError_tPvRmT1_T2_T3_mT4_P12ihipStream_tbEUlT_E1_NS1_11comp_targetILNS1_3genE10ELNS1_11target_archE1201ELNS1_3gpuE5ELNS1_3repE0EEENS1_30default_config_static_selectorELNS0_4arch9wavefront6targetE1EEEvSF_.num_agpr, 0
	.set _ZN7rocprim17ROCPRIM_400000_NS6detail17trampoline_kernelINS0_14default_configENS1_22reduce_config_selectorIyEEZNS1_11reduce_implILb1ES3_PyS7_yN6thrust23THRUST_200600_302600_NS4plusIyEEEE10hipError_tPvRmT1_T2_T3_mT4_P12ihipStream_tbEUlT_E1_NS1_11comp_targetILNS1_3genE10ELNS1_11target_archE1201ELNS1_3gpuE5ELNS1_3repE0EEENS1_30default_config_static_selectorELNS0_4arch9wavefront6targetE1EEEvSF_.numbered_sgpr, 0
	.set _ZN7rocprim17ROCPRIM_400000_NS6detail17trampoline_kernelINS0_14default_configENS1_22reduce_config_selectorIyEEZNS1_11reduce_implILb1ES3_PyS7_yN6thrust23THRUST_200600_302600_NS4plusIyEEEE10hipError_tPvRmT1_T2_T3_mT4_P12ihipStream_tbEUlT_E1_NS1_11comp_targetILNS1_3genE10ELNS1_11target_archE1201ELNS1_3gpuE5ELNS1_3repE0EEENS1_30default_config_static_selectorELNS0_4arch9wavefront6targetE1EEEvSF_.num_named_barrier, 0
	.set _ZN7rocprim17ROCPRIM_400000_NS6detail17trampoline_kernelINS0_14default_configENS1_22reduce_config_selectorIyEEZNS1_11reduce_implILb1ES3_PyS7_yN6thrust23THRUST_200600_302600_NS4plusIyEEEE10hipError_tPvRmT1_T2_T3_mT4_P12ihipStream_tbEUlT_E1_NS1_11comp_targetILNS1_3genE10ELNS1_11target_archE1201ELNS1_3gpuE5ELNS1_3repE0EEENS1_30default_config_static_selectorELNS0_4arch9wavefront6targetE1EEEvSF_.private_seg_size, 0
	.set _ZN7rocprim17ROCPRIM_400000_NS6detail17trampoline_kernelINS0_14default_configENS1_22reduce_config_selectorIyEEZNS1_11reduce_implILb1ES3_PyS7_yN6thrust23THRUST_200600_302600_NS4plusIyEEEE10hipError_tPvRmT1_T2_T3_mT4_P12ihipStream_tbEUlT_E1_NS1_11comp_targetILNS1_3genE10ELNS1_11target_archE1201ELNS1_3gpuE5ELNS1_3repE0EEENS1_30default_config_static_selectorELNS0_4arch9wavefront6targetE1EEEvSF_.uses_vcc, 0
	.set _ZN7rocprim17ROCPRIM_400000_NS6detail17trampoline_kernelINS0_14default_configENS1_22reduce_config_selectorIyEEZNS1_11reduce_implILb1ES3_PyS7_yN6thrust23THRUST_200600_302600_NS4plusIyEEEE10hipError_tPvRmT1_T2_T3_mT4_P12ihipStream_tbEUlT_E1_NS1_11comp_targetILNS1_3genE10ELNS1_11target_archE1201ELNS1_3gpuE5ELNS1_3repE0EEENS1_30default_config_static_selectorELNS0_4arch9wavefront6targetE1EEEvSF_.uses_flat_scratch, 0
	.set _ZN7rocprim17ROCPRIM_400000_NS6detail17trampoline_kernelINS0_14default_configENS1_22reduce_config_selectorIyEEZNS1_11reduce_implILb1ES3_PyS7_yN6thrust23THRUST_200600_302600_NS4plusIyEEEE10hipError_tPvRmT1_T2_T3_mT4_P12ihipStream_tbEUlT_E1_NS1_11comp_targetILNS1_3genE10ELNS1_11target_archE1201ELNS1_3gpuE5ELNS1_3repE0EEENS1_30default_config_static_selectorELNS0_4arch9wavefront6targetE1EEEvSF_.has_dyn_sized_stack, 0
	.set _ZN7rocprim17ROCPRIM_400000_NS6detail17trampoline_kernelINS0_14default_configENS1_22reduce_config_selectorIyEEZNS1_11reduce_implILb1ES3_PyS7_yN6thrust23THRUST_200600_302600_NS4plusIyEEEE10hipError_tPvRmT1_T2_T3_mT4_P12ihipStream_tbEUlT_E1_NS1_11comp_targetILNS1_3genE10ELNS1_11target_archE1201ELNS1_3gpuE5ELNS1_3repE0EEENS1_30default_config_static_selectorELNS0_4arch9wavefront6targetE1EEEvSF_.has_recursion, 0
	.set _ZN7rocprim17ROCPRIM_400000_NS6detail17trampoline_kernelINS0_14default_configENS1_22reduce_config_selectorIyEEZNS1_11reduce_implILb1ES3_PyS7_yN6thrust23THRUST_200600_302600_NS4plusIyEEEE10hipError_tPvRmT1_T2_T3_mT4_P12ihipStream_tbEUlT_E1_NS1_11comp_targetILNS1_3genE10ELNS1_11target_archE1201ELNS1_3gpuE5ELNS1_3repE0EEENS1_30default_config_static_selectorELNS0_4arch9wavefront6targetE1EEEvSF_.has_indirect_call, 0
	.section	.AMDGPU.csdata,"",@progbits
; Kernel info:
; codeLenInByte = 0
; TotalNumSgprs: 6
; NumVgprs: 0
; NumAgprs: 0
; TotalNumVgprs: 0
; ScratchSize: 0
; MemoryBound: 0
; FloatMode: 240
; IeeeMode: 1
; LDSByteSize: 0 bytes/workgroup (compile time only)
; SGPRBlocks: 0
; VGPRBlocks: 0
; NumSGPRsForWavesPerEU: 6
; NumVGPRsForWavesPerEU: 1
; AccumOffset: 4
; Occupancy: 8
; WaveLimiterHint : 0
; COMPUTE_PGM_RSRC2:SCRATCH_EN: 0
; COMPUTE_PGM_RSRC2:USER_SGPR: 2
; COMPUTE_PGM_RSRC2:TRAP_HANDLER: 0
; COMPUTE_PGM_RSRC2:TGID_X_EN: 1
; COMPUTE_PGM_RSRC2:TGID_Y_EN: 0
; COMPUTE_PGM_RSRC2:TGID_Z_EN: 0
; COMPUTE_PGM_RSRC2:TIDIG_COMP_CNT: 0
; COMPUTE_PGM_RSRC3_GFX90A:ACCUM_OFFSET: 0
; COMPUTE_PGM_RSRC3_GFX90A:TG_SPLIT: 0
	.section	.text._ZN7rocprim17ROCPRIM_400000_NS6detail17trampoline_kernelINS0_14default_configENS1_22reduce_config_selectorIyEEZNS1_11reduce_implILb1ES3_PyS7_yN6thrust23THRUST_200600_302600_NS4plusIyEEEE10hipError_tPvRmT1_T2_T3_mT4_P12ihipStream_tbEUlT_E1_NS1_11comp_targetILNS1_3genE10ELNS1_11target_archE1200ELNS1_3gpuE4ELNS1_3repE0EEENS1_30default_config_static_selectorELNS0_4arch9wavefront6targetE1EEEvSF_,"axG",@progbits,_ZN7rocprim17ROCPRIM_400000_NS6detail17trampoline_kernelINS0_14default_configENS1_22reduce_config_selectorIyEEZNS1_11reduce_implILb1ES3_PyS7_yN6thrust23THRUST_200600_302600_NS4plusIyEEEE10hipError_tPvRmT1_T2_T3_mT4_P12ihipStream_tbEUlT_E1_NS1_11comp_targetILNS1_3genE10ELNS1_11target_archE1200ELNS1_3gpuE4ELNS1_3repE0EEENS1_30default_config_static_selectorELNS0_4arch9wavefront6targetE1EEEvSF_,comdat
	.protected	_ZN7rocprim17ROCPRIM_400000_NS6detail17trampoline_kernelINS0_14default_configENS1_22reduce_config_selectorIyEEZNS1_11reduce_implILb1ES3_PyS7_yN6thrust23THRUST_200600_302600_NS4plusIyEEEE10hipError_tPvRmT1_T2_T3_mT4_P12ihipStream_tbEUlT_E1_NS1_11comp_targetILNS1_3genE10ELNS1_11target_archE1200ELNS1_3gpuE4ELNS1_3repE0EEENS1_30default_config_static_selectorELNS0_4arch9wavefront6targetE1EEEvSF_ ; -- Begin function _ZN7rocprim17ROCPRIM_400000_NS6detail17trampoline_kernelINS0_14default_configENS1_22reduce_config_selectorIyEEZNS1_11reduce_implILb1ES3_PyS7_yN6thrust23THRUST_200600_302600_NS4plusIyEEEE10hipError_tPvRmT1_T2_T3_mT4_P12ihipStream_tbEUlT_E1_NS1_11comp_targetILNS1_3genE10ELNS1_11target_archE1200ELNS1_3gpuE4ELNS1_3repE0EEENS1_30default_config_static_selectorELNS0_4arch9wavefront6targetE1EEEvSF_
	.globl	_ZN7rocprim17ROCPRIM_400000_NS6detail17trampoline_kernelINS0_14default_configENS1_22reduce_config_selectorIyEEZNS1_11reduce_implILb1ES3_PyS7_yN6thrust23THRUST_200600_302600_NS4plusIyEEEE10hipError_tPvRmT1_T2_T3_mT4_P12ihipStream_tbEUlT_E1_NS1_11comp_targetILNS1_3genE10ELNS1_11target_archE1200ELNS1_3gpuE4ELNS1_3repE0EEENS1_30default_config_static_selectorELNS0_4arch9wavefront6targetE1EEEvSF_
	.p2align	8
	.type	_ZN7rocprim17ROCPRIM_400000_NS6detail17trampoline_kernelINS0_14default_configENS1_22reduce_config_selectorIyEEZNS1_11reduce_implILb1ES3_PyS7_yN6thrust23THRUST_200600_302600_NS4plusIyEEEE10hipError_tPvRmT1_T2_T3_mT4_P12ihipStream_tbEUlT_E1_NS1_11comp_targetILNS1_3genE10ELNS1_11target_archE1200ELNS1_3gpuE4ELNS1_3repE0EEENS1_30default_config_static_selectorELNS0_4arch9wavefront6targetE1EEEvSF_,@function
_ZN7rocprim17ROCPRIM_400000_NS6detail17trampoline_kernelINS0_14default_configENS1_22reduce_config_selectorIyEEZNS1_11reduce_implILb1ES3_PyS7_yN6thrust23THRUST_200600_302600_NS4plusIyEEEE10hipError_tPvRmT1_T2_T3_mT4_P12ihipStream_tbEUlT_E1_NS1_11comp_targetILNS1_3genE10ELNS1_11target_archE1200ELNS1_3gpuE4ELNS1_3repE0EEENS1_30default_config_static_selectorELNS0_4arch9wavefront6targetE1EEEvSF_: ; @_ZN7rocprim17ROCPRIM_400000_NS6detail17trampoline_kernelINS0_14default_configENS1_22reduce_config_selectorIyEEZNS1_11reduce_implILb1ES3_PyS7_yN6thrust23THRUST_200600_302600_NS4plusIyEEEE10hipError_tPvRmT1_T2_T3_mT4_P12ihipStream_tbEUlT_E1_NS1_11comp_targetILNS1_3genE10ELNS1_11target_archE1200ELNS1_3gpuE4ELNS1_3repE0EEENS1_30default_config_static_selectorELNS0_4arch9wavefront6targetE1EEEvSF_
; %bb.0:
	.section	.rodata,"a",@progbits
	.p2align	6, 0x0
	.amdhsa_kernel _ZN7rocprim17ROCPRIM_400000_NS6detail17trampoline_kernelINS0_14default_configENS1_22reduce_config_selectorIyEEZNS1_11reduce_implILb1ES3_PyS7_yN6thrust23THRUST_200600_302600_NS4plusIyEEEE10hipError_tPvRmT1_T2_T3_mT4_P12ihipStream_tbEUlT_E1_NS1_11comp_targetILNS1_3genE10ELNS1_11target_archE1200ELNS1_3gpuE4ELNS1_3repE0EEENS1_30default_config_static_selectorELNS0_4arch9wavefront6targetE1EEEvSF_
		.amdhsa_group_segment_fixed_size 0
		.amdhsa_private_segment_fixed_size 0
		.amdhsa_kernarg_size 48
		.amdhsa_user_sgpr_count 2
		.amdhsa_user_sgpr_dispatch_ptr 0
		.amdhsa_user_sgpr_queue_ptr 0
		.amdhsa_user_sgpr_kernarg_segment_ptr 1
		.amdhsa_user_sgpr_dispatch_id 0
		.amdhsa_user_sgpr_kernarg_preload_length 0
		.amdhsa_user_sgpr_kernarg_preload_offset 0
		.amdhsa_user_sgpr_private_segment_size 0
		.amdhsa_uses_dynamic_stack 0
		.amdhsa_enable_private_segment 0
		.amdhsa_system_sgpr_workgroup_id_x 1
		.amdhsa_system_sgpr_workgroup_id_y 0
		.amdhsa_system_sgpr_workgroup_id_z 0
		.amdhsa_system_sgpr_workgroup_info 0
		.amdhsa_system_vgpr_workitem_id 0
		.amdhsa_next_free_vgpr 1
		.amdhsa_next_free_sgpr 0
		.amdhsa_accum_offset 4
		.amdhsa_reserve_vcc 0
		.amdhsa_float_round_mode_32 0
		.amdhsa_float_round_mode_16_64 0
		.amdhsa_float_denorm_mode_32 3
		.amdhsa_float_denorm_mode_16_64 3
		.amdhsa_dx10_clamp 1
		.amdhsa_ieee_mode 1
		.amdhsa_fp16_overflow 0
		.amdhsa_tg_split 0
		.amdhsa_exception_fp_ieee_invalid_op 0
		.amdhsa_exception_fp_denorm_src 0
		.amdhsa_exception_fp_ieee_div_zero 0
		.amdhsa_exception_fp_ieee_overflow 0
		.amdhsa_exception_fp_ieee_underflow 0
		.amdhsa_exception_fp_ieee_inexact 0
		.amdhsa_exception_int_div_zero 0
	.end_amdhsa_kernel
	.section	.text._ZN7rocprim17ROCPRIM_400000_NS6detail17trampoline_kernelINS0_14default_configENS1_22reduce_config_selectorIyEEZNS1_11reduce_implILb1ES3_PyS7_yN6thrust23THRUST_200600_302600_NS4plusIyEEEE10hipError_tPvRmT1_T2_T3_mT4_P12ihipStream_tbEUlT_E1_NS1_11comp_targetILNS1_3genE10ELNS1_11target_archE1200ELNS1_3gpuE4ELNS1_3repE0EEENS1_30default_config_static_selectorELNS0_4arch9wavefront6targetE1EEEvSF_,"axG",@progbits,_ZN7rocprim17ROCPRIM_400000_NS6detail17trampoline_kernelINS0_14default_configENS1_22reduce_config_selectorIyEEZNS1_11reduce_implILb1ES3_PyS7_yN6thrust23THRUST_200600_302600_NS4plusIyEEEE10hipError_tPvRmT1_T2_T3_mT4_P12ihipStream_tbEUlT_E1_NS1_11comp_targetILNS1_3genE10ELNS1_11target_archE1200ELNS1_3gpuE4ELNS1_3repE0EEENS1_30default_config_static_selectorELNS0_4arch9wavefront6targetE1EEEvSF_,comdat
.Lfunc_end91:
	.size	_ZN7rocprim17ROCPRIM_400000_NS6detail17trampoline_kernelINS0_14default_configENS1_22reduce_config_selectorIyEEZNS1_11reduce_implILb1ES3_PyS7_yN6thrust23THRUST_200600_302600_NS4plusIyEEEE10hipError_tPvRmT1_T2_T3_mT4_P12ihipStream_tbEUlT_E1_NS1_11comp_targetILNS1_3genE10ELNS1_11target_archE1200ELNS1_3gpuE4ELNS1_3repE0EEENS1_30default_config_static_selectorELNS0_4arch9wavefront6targetE1EEEvSF_, .Lfunc_end91-_ZN7rocprim17ROCPRIM_400000_NS6detail17trampoline_kernelINS0_14default_configENS1_22reduce_config_selectorIyEEZNS1_11reduce_implILb1ES3_PyS7_yN6thrust23THRUST_200600_302600_NS4plusIyEEEE10hipError_tPvRmT1_T2_T3_mT4_P12ihipStream_tbEUlT_E1_NS1_11comp_targetILNS1_3genE10ELNS1_11target_archE1200ELNS1_3gpuE4ELNS1_3repE0EEENS1_30default_config_static_selectorELNS0_4arch9wavefront6targetE1EEEvSF_
                                        ; -- End function
	.set _ZN7rocprim17ROCPRIM_400000_NS6detail17trampoline_kernelINS0_14default_configENS1_22reduce_config_selectorIyEEZNS1_11reduce_implILb1ES3_PyS7_yN6thrust23THRUST_200600_302600_NS4plusIyEEEE10hipError_tPvRmT1_T2_T3_mT4_P12ihipStream_tbEUlT_E1_NS1_11comp_targetILNS1_3genE10ELNS1_11target_archE1200ELNS1_3gpuE4ELNS1_3repE0EEENS1_30default_config_static_selectorELNS0_4arch9wavefront6targetE1EEEvSF_.num_vgpr, 0
	.set _ZN7rocprim17ROCPRIM_400000_NS6detail17trampoline_kernelINS0_14default_configENS1_22reduce_config_selectorIyEEZNS1_11reduce_implILb1ES3_PyS7_yN6thrust23THRUST_200600_302600_NS4plusIyEEEE10hipError_tPvRmT1_T2_T3_mT4_P12ihipStream_tbEUlT_E1_NS1_11comp_targetILNS1_3genE10ELNS1_11target_archE1200ELNS1_3gpuE4ELNS1_3repE0EEENS1_30default_config_static_selectorELNS0_4arch9wavefront6targetE1EEEvSF_.num_agpr, 0
	.set _ZN7rocprim17ROCPRIM_400000_NS6detail17trampoline_kernelINS0_14default_configENS1_22reduce_config_selectorIyEEZNS1_11reduce_implILb1ES3_PyS7_yN6thrust23THRUST_200600_302600_NS4plusIyEEEE10hipError_tPvRmT1_T2_T3_mT4_P12ihipStream_tbEUlT_E1_NS1_11comp_targetILNS1_3genE10ELNS1_11target_archE1200ELNS1_3gpuE4ELNS1_3repE0EEENS1_30default_config_static_selectorELNS0_4arch9wavefront6targetE1EEEvSF_.numbered_sgpr, 0
	.set _ZN7rocprim17ROCPRIM_400000_NS6detail17trampoline_kernelINS0_14default_configENS1_22reduce_config_selectorIyEEZNS1_11reduce_implILb1ES3_PyS7_yN6thrust23THRUST_200600_302600_NS4plusIyEEEE10hipError_tPvRmT1_T2_T3_mT4_P12ihipStream_tbEUlT_E1_NS1_11comp_targetILNS1_3genE10ELNS1_11target_archE1200ELNS1_3gpuE4ELNS1_3repE0EEENS1_30default_config_static_selectorELNS0_4arch9wavefront6targetE1EEEvSF_.num_named_barrier, 0
	.set _ZN7rocprim17ROCPRIM_400000_NS6detail17trampoline_kernelINS0_14default_configENS1_22reduce_config_selectorIyEEZNS1_11reduce_implILb1ES3_PyS7_yN6thrust23THRUST_200600_302600_NS4plusIyEEEE10hipError_tPvRmT1_T2_T3_mT4_P12ihipStream_tbEUlT_E1_NS1_11comp_targetILNS1_3genE10ELNS1_11target_archE1200ELNS1_3gpuE4ELNS1_3repE0EEENS1_30default_config_static_selectorELNS0_4arch9wavefront6targetE1EEEvSF_.private_seg_size, 0
	.set _ZN7rocprim17ROCPRIM_400000_NS6detail17trampoline_kernelINS0_14default_configENS1_22reduce_config_selectorIyEEZNS1_11reduce_implILb1ES3_PyS7_yN6thrust23THRUST_200600_302600_NS4plusIyEEEE10hipError_tPvRmT1_T2_T3_mT4_P12ihipStream_tbEUlT_E1_NS1_11comp_targetILNS1_3genE10ELNS1_11target_archE1200ELNS1_3gpuE4ELNS1_3repE0EEENS1_30default_config_static_selectorELNS0_4arch9wavefront6targetE1EEEvSF_.uses_vcc, 0
	.set _ZN7rocprim17ROCPRIM_400000_NS6detail17trampoline_kernelINS0_14default_configENS1_22reduce_config_selectorIyEEZNS1_11reduce_implILb1ES3_PyS7_yN6thrust23THRUST_200600_302600_NS4plusIyEEEE10hipError_tPvRmT1_T2_T3_mT4_P12ihipStream_tbEUlT_E1_NS1_11comp_targetILNS1_3genE10ELNS1_11target_archE1200ELNS1_3gpuE4ELNS1_3repE0EEENS1_30default_config_static_selectorELNS0_4arch9wavefront6targetE1EEEvSF_.uses_flat_scratch, 0
	.set _ZN7rocprim17ROCPRIM_400000_NS6detail17trampoline_kernelINS0_14default_configENS1_22reduce_config_selectorIyEEZNS1_11reduce_implILb1ES3_PyS7_yN6thrust23THRUST_200600_302600_NS4plusIyEEEE10hipError_tPvRmT1_T2_T3_mT4_P12ihipStream_tbEUlT_E1_NS1_11comp_targetILNS1_3genE10ELNS1_11target_archE1200ELNS1_3gpuE4ELNS1_3repE0EEENS1_30default_config_static_selectorELNS0_4arch9wavefront6targetE1EEEvSF_.has_dyn_sized_stack, 0
	.set _ZN7rocprim17ROCPRIM_400000_NS6detail17trampoline_kernelINS0_14default_configENS1_22reduce_config_selectorIyEEZNS1_11reduce_implILb1ES3_PyS7_yN6thrust23THRUST_200600_302600_NS4plusIyEEEE10hipError_tPvRmT1_T2_T3_mT4_P12ihipStream_tbEUlT_E1_NS1_11comp_targetILNS1_3genE10ELNS1_11target_archE1200ELNS1_3gpuE4ELNS1_3repE0EEENS1_30default_config_static_selectorELNS0_4arch9wavefront6targetE1EEEvSF_.has_recursion, 0
	.set _ZN7rocprim17ROCPRIM_400000_NS6detail17trampoline_kernelINS0_14default_configENS1_22reduce_config_selectorIyEEZNS1_11reduce_implILb1ES3_PyS7_yN6thrust23THRUST_200600_302600_NS4plusIyEEEE10hipError_tPvRmT1_T2_T3_mT4_P12ihipStream_tbEUlT_E1_NS1_11comp_targetILNS1_3genE10ELNS1_11target_archE1200ELNS1_3gpuE4ELNS1_3repE0EEENS1_30default_config_static_selectorELNS0_4arch9wavefront6targetE1EEEvSF_.has_indirect_call, 0
	.section	.AMDGPU.csdata,"",@progbits
; Kernel info:
; codeLenInByte = 0
; TotalNumSgprs: 6
; NumVgprs: 0
; NumAgprs: 0
; TotalNumVgprs: 0
; ScratchSize: 0
; MemoryBound: 0
; FloatMode: 240
; IeeeMode: 1
; LDSByteSize: 0 bytes/workgroup (compile time only)
; SGPRBlocks: 0
; VGPRBlocks: 0
; NumSGPRsForWavesPerEU: 6
; NumVGPRsForWavesPerEU: 1
; AccumOffset: 4
; Occupancy: 8
; WaveLimiterHint : 0
; COMPUTE_PGM_RSRC2:SCRATCH_EN: 0
; COMPUTE_PGM_RSRC2:USER_SGPR: 2
; COMPUTE_PGM_RSRC2:TRAP_HANDLER: 0
; COMPUTE_PGM_RSRC2:TGID_X_EN: 1
; COMPUTE_PGM_RSRC2:TGID_Y_EN: 0
; COMPUTE_PGM_RSRC2:TGID_Z_EN: 0
; COMPUTE_PGM_RSRC2:TIDIG_COMP_CNT: 0
; COMPUTE_PGM_RSRC3_GFX90A:ACCUM_OFFSET: 0
; COMPUTE_PGM_RSRC3_GFX90A:TG_SPLIT: 0
	.section	.text._ZN7rocprim17ROCPRIM_400000_NS6detail17trampoline_kernelINS0_14default_configENS1_22reduce_config_selectorIyEEZNS1_11reduce_implILb1ES3_PyS7_yN6thrust23THRUST_200600_302600_NS4plusIyEEEE10hipError_tPvRmT1_T2_T3_mT4_P12ihipStream_tbEUlT_E1_NS1_11comp_targetILNS1_3genE9ELNS1_11target_archE1100ELNS1_3gpuE3ELNS1_3repE0EEENS1_30default_config_static_selectorELNS0_4arch9wavefront6targetE1EEEvSF_,"axG",@progbits,_ZN7rocprim17ROCPRIM_400000_NS6detail17trampoline_kernelINS0_14default_configENS1_22reduce_config_selectorIyEEZNS1_11reduce_implILb1ES3_PyS7_yN6thrust23THRUST_200600_302600_NS4plusIyEEEE10hipError_tPvRmT1_T2_T3_mT4_P12ihipStream_tbEUlT_E1_NS1_11comp_targetILNS1_3genE9ELNS1_11target_archE1100ELNS1_3gpuE3ELNS1_3repE0EEENS1_30default_config_static_selectorELNS0_4arch9wavefront6targetE1EEEvSF_,comdat
	.protected	_ZN7rocprim17ROCPRIM_400000_NS6detail17trampoline_kernelINS0_14default_configENS1_22reduce_config_selectorIyEEZNS1_11reduce_implILb1ES3_PyS7_yN6thrust23THRUST_200600_302600_NS4plusIyEEEE10hipError_tPvRmT1_T2_T3_mT4_P12ihipStream_tbEUlT_E1_NS1_11comp_targetILNS1_3genE9ELNS1_11target_archE1100ELNS1_3gpuE3ELNS1_3repE0EEENS1_30default_config_static_selectorELNS0_4arch9wavefront6targetE1EEEvSF_ ; -- Begin function _ZN7rocprim17ROCPRIM_400000_NS6detail17trampoline_kernelINS0_14default_configENS1_22reduce_config_selectorIyEEZNS1_11reduce_implILb1ES3_PyS7_yN6thrust23THRUST_200600_302600_NS4plusIyEEEE10hipError_tPvRmT1_T2_T3_mT4_P12ihipStream_tbEUlT_E1_NS1_11comp_targetILNS1_3genE9ELNS1_11target_archE1100ELNS1_3gpuE3ELNS1_3repE0EEENS1_30default_config_static_selectorELNS0_4arch9wavefront6targetE1EEEvSF_
	.globl	_ZN7rocprim17ROCPRIM_400000_NS6detail17trampoline_kernelINS0_14default_configENS1_22reduce_config_selectorIyEEZNS1_11reduce_implILb1ES3_PyS7_yN6thrust23THRUST_200600_302600_NS4plusIyEEEE10hipError_tPvRmT1_T2_T3_mT4_P12ihipStream_tbEUlT_E1_NS1_11comp_targetILNS1_3genE9ELNS1_11target_archE1100ELNS1_3gpuE3ELNS1_3repE0EEENS1_30default_config_static_selectorELNS0_4arch9wavefront6targetE1EEEvSF_
	.p2align	8
	.type	_ZN7rocprim17ROCPRIM_400000_NS6detail17trampoline_kernelINS0_14default_configENS1_22reduce_config_selectorIyEEZNS1_11reduce_implILb1ES3_PyS7_yN6thrust23THRUST_200600_302600_NS4plusIyEEEE10hipError_tPvRmT1_T2_T3_mT4_P12ihipStream_tbEUlT_E1_NS1_11comp_targetILNS1_3genE9ELNS1_11target_archE1100ELNS1_3gpuE3ELNS1_3repE0EEENS1_30default_config_static_selectorELNS0_4arch9wavefront6targetE1EEEvSF_,@function
_ZN7rocprim17ROCPRIM_400000_NS6detail17trampoline_kernelINS0_14default_configENS1_22reduce_config_selectorIyEEZNS1_11reduce_implILb1ES3_PyS7_yN6thrust23THRUST_200600_302600_NS4plusIyEEEE10hipError_tPvRmT1_T2_T3_mT4_P12ihipStream_tbEUlT_E1_NS1_11comp_targetILNS1_3genE9ELNS1_11target_archE1100ELNS1_3gpuE3ELNS1_3repE0EEENS1_30default_config_static_selectorELNS0_4arch9wavefront6targetE1EEEvSF_: ; @_ZN7rocprim17ROCPRIM_400000_NS6detail17trampoline_kernelINS0_14default_configENS1_22reduce_config_selectorIyEEZNS1_11reduce_implILb1ES3_PyS7_yN6thrust23THRUST_200600_302600_NS4plusIyEEEE10hipError_tPvRmT1_T2_T3_mT4_P12ihipStream_tbEUlT_E1_NS1_11comp_targetILNS1_3genE9ELNS1_11target_archE1100ELNS1_3gpuE3ELNS1_3repE0EEENS1_30default_config_static_selectorELNS0_4arch9wavefront6targetE1EEEvSF_
; %bb.0:
	.section	.rodata,"a",@progbits
	.p2align	6, 0x0
	.amdhsa_kernel _ZN7rocprim17ROCPRIM_400000_NS6detail17trampoline_kernelINS0_14default_configENS1_22reduce_config_selectorIyEEZNS1_11reduce_implILb1ES3_PyS7_yN6thrust23THRUST_200600_302600_NS4plusIyEEEE10hipError_tPvRmT1_T2_T3_mT4_P12ihipStream_tbEUlT_E1_NS1_11comp_targetILNS1_3genE9ELNS1_11target_archE1100ELNS1_3gpuE3ELNS1_3repE0EEENS1_30default_config_static_selectorELNS0_4arch9wavefront6targetE1EEEvSF_
		.amdhsa_group_segment_fixed_size 0
		.amdhsa_private_segment_fixed_size 0
		.amdhsa_kernarg_size 48
		.amdhsa_user_sgpr_count 2
		.amdhsa_user_sgpr_dispatch_ptr 0
		.amdhsa_user_sgpr_queue_ptr 0
		.amdhsa_user_sgpr_kernarg_segment_ptr 1
		.amdhsa_user_sgpr_dispatch_id 0
		.amdhsa_user_sgpr_kernarg_preload_length 0
		.amdhsa_user_sgpr_kernarg_preload_offset 0
		.amdhsa_user_sgpr_private_segment_size 0
		.amdhsa_uses_dynamic_stack 0
		.amdhsa_enable_private_segment 0
		.amdhsa_system_sgpr_workgroup_id_x 1
		.amdhsa_system_sgpr_workgroup_id_y 0
		.amdhsa_system_sgpr_workgroup_id_z 0
		.amdhsa_system_sgpr_workgroup_info 0
		.amdhsa_system_vgpr_workitem_id 0
		.amdhsa_next_free_vgpr 1
		.amdhsa_next_free_sgpr 0
		.amdhsa_accum_offset 4
		.amdhsa_reserve_vcc 0
		.amdhsa_float_round_mode_32 0
		.amdhsa_float_round_mode_16_64 0
		.amdhsa_float_denorm_mode_32 3
		.amdhsa_float_denorm_mode_16_64 3
		.amdhsa_dx10_clamp 1
		.amdhsa_ieee_mode 1
		.amdhsa_fp16_overflow 0
		.amdhsa_tg_split 0
		.amdhsa_exception_fp_ieee_invalid_op 0
		.amdhsa_exception_fp_denorm_src 0
		.amdhsa_exception_fp_ieee_div_zero 0
		.amdhsa_exception_fp_ieee_overflow 0
		.amdhsa_exception_fp_ieee_underflow 0
		.amdhsa_exception_fp_ieee_inexact 0
		.amdhsa_exception_int_div_zero 0
	.end_amdhsa_kernel
	.section	.text._ZN7rocprim17ROCPRIM_400000_NS6detail17trampoline_kernelINS0_14default_configENS1_22reduce_config_selectorIyEEZNS1_11reduce_implILb1ES3_PyS7_yN6thrust23THRUST_200600_302600_NS4plusIyEEEE10hipError_tPvRmT1_T2_T3_mT4_P12ihipStream_tbEUlT_E1_NS1_11comp_targetILNS1_3genE9ELNS1_11target_archE1100ELNS1_3gpuE3ELNS1_3repE0EEENS1_30default_config_static_selectorELNS0_4arch9wavefront6targetE1EEEvSF_,"axG",@progbits,_ZN7rocprim17ROCPRIM_400000_NS6detail17trampoline_kernelINS0_14default_configENS1_22reduce_config_selectorIyEEZNS1_11reduce_implILb1ES3_PyS7_yN6thrust23THRUST_200600_302600_NS4plusIyEEEE10hipError_tPvRmT1_T2_T3_mT4_P12ihipStream_tbEUlT_E1_NS1_11comp_targetILNS1_3genE9ELNS1_11target_archE1100ELNS1_3gpuE3ELNS1_3repE0EEENS1_30default_config_static_selectorELNS0_4arch9wavefront6targetE1EEEvSF_,comdat
.Lfunc_end92:
	.size	_ZN7rocprim17ROCPRIM_400000_NS6detail17trampoline_kernelINS0_14default_configENS1_22reduce_config_selectorIyEEZNS1_11reduce_implILb1ES3_PyS7_yN6thrust23THRUST_200600_302600_NS4plusIyEEEE10hipError_tPvRmT1_T2_T3_mT4_P12ihipStream_tbEUlT_E1_NS1_11comp_targetILNS1_3genE9ELNS1_11target_archE1100ELNS1_3gpuE3ELNS1_3repE0EEENS1_30default_config_static_selectorELNS0_4arch9wavefront6targetE1EEEvSF_, .Lfunc_end92-_ZN7rocprim17ROCPRIM_400000_NS6detail17trampoline_kernelINS0_14default_configENS1_22reduce_config_selectorIyEEZNS1_11reduce_implILb1ES3_PyS7_yN6thrust23THRUST_200600_302600_NS4plusIyEEEE10hipError_tPvRmT1_T2_T3_mT4_P12ihipStream_tbEUlT_E1_NS1_11comp_targetILNS1_3genE9ELNS1_11target_archE1100ELNS1_3gpuE3ELNS1_3repE0EEENS1_30default_config_static_selectorELNS0_4arch9wavefront6targetE1EEEvSF_
                                        ; -- End function
	.set _ZN7rocprim17ROCPRIM_400000_NS6detail17trampoline_kernelINS0_14default_configENS1_22reduce_config_selectorIyEEZNS1_11reduce_implILb1ES3_PyS7_yN6thrust23THRUST_200600_302600_NS4plusIyEEEE10hipError_tPvRmT1_T2_T3_mT4_P12ihipStream_tbEUlT_E1_NS1_11comp_targetILNS1_3genE9ELNS1_11target_archE1100ELNS1_3gpuE3ELNS1_3repE0EEENS1_30default_config_static_selectorELNS0_4arch9wavefront6targetE1EEEvSF_.num_vgpr, 0
	.set _ZN7rocprim17ROCPRIM_400000_NS6detail17trampoline_kernelINS0_14default_configENS1_22reduce_config_selectorIyEEZNS1_11reduce_implILb1ES3_PyS7_yN6thrust23THRUST_200600_302600_NS4plusIyEEEE10hipError_tPvRmT1_T2_T3_mT4_P12ihipStream_tbEUlT_E1_NS1_11comp_targetILNS1_3genE9ELNS1_11target_archE1100ELNS1_3gpuE3ELNS1_3repE0EEENS1_30default_config_static_selectorELNS0_4arch9wavefront6targetE1EEEvSF_.num_agpr, 0
	.set _ZN7rocprim17ROCPRIM_400000_NS6detail17trampoline_kernelINS0_14default_configENS1_22reduce_config_selectorIyEEZNS1_11reduce_implILb1ES3_PyS7_yN6thrust23THRUST_200600_302600_NS4plusIyEEEE10hipError_tPvRmT1_T2_T3_mT4_P12ihipStream_tbEUlT_E1_NS1_11comp_targetILNS1_3genE9ELNS1_11target_archE1100ELNS1_3gpuE3ELNS1_3repE0EEENS1_30default_config_static_selectorELNS0_4arch9wavefront6targetE1EEEvSF_.numbered_sgpr, 0
	.set _ZN7rocprim17ROCPRIM_400000_NS6detail17trampoline_kernelINS0_14default_configENS1_22reduce_config_selectorIyEEZNS1_11reduce_implILb1ES3_PyS7_yN6thrust23THRUST_200600_302600_NS4plusIyEEEE10hipError_tPvRmT1_T2_T3_mT4_P12ihipStream_tbEUlT_E1_NS1_11comp_targetILNS1_3genE9ELNS1_11target_archE1100ELNS1_3gpuE3ELNS1_3repE0EEENS1_30default_config_static_selectorELNS0_4arch9wavefront6targetE1EEEvSF_.num_named_barrier, 0
	.set _ZN7rocprim17ROCPRIM_400000_NS6detail17trampoline_kernelINS0_14default_configENS1_22reduce_config_selectorIyEEZNS1_11reduce_implILb1ES3_PyS7_yN6thrust23THRUST_200600_302600_NS4plusIyEEEE10hipError_tPvRmT1_T2_T3_mT4_P12ihipStream_tbEUlT_E1_NS1_11comp_targetILNS1_3genE9ELNS1_11target_archE1100ELNS1_3gpuE3ELNS1_3repE0EEENS1_30default_config_static_selectorELNS0_4arch9wavefront6targetE1EEEvSF_.private_seg_size, 0
	.set _ZN7rocprim17ROCPRIM_400000_NS6detail17trampoline_kernelINS0_14default_configENS1_22reduce_config_selectorIyEEZNS1_11reduce_implILb1ES3_PyS7_yN6thrust23THRUST_200600_302600_NS4plusIyEEEE10hipError_tPvRmT1_T2_T3_mT4_P12ihipStream_tbEUlT_E1_NS1_11comp_targetILNS1_3genE9ELNS1_11target_archE1100ELNS1_3gpuE3ELNS1_3repE0EEENS1_30default_config_static_selectorELNS0_4arch9wavefront6targetE1EEEvSF_.uses_vcc, 0
	.set _ZN7rocprim17ROCPRIM_400000_NS6detail17trampoline_kernelINS0_14default_configENS1_22reduce_config_selectorIyEEZNS1_11reduce_implILb1ES3_PyS7_yN6thrust23THRUST_200600_302600_NS4plusIyEEEE10hipError_tPvRmT1_T2_T3_mT4_P12ihipStream_tbEUlT_E1_NS1_11comp_targetILNS1_3genE9ELNS1_11target_archE1100ELNS1_3gpuE3ELNS1_3repE0EEENS1_30default_config_static_selectorELNS0_4arch9wavefront6targetE1EEEvSF_.uses_flat_scratch, 0
	.set _ZN7rocprim17ROCPRIM_400000_NS6detail17trampoline_kernelINS0_14default_configENS1_22reduce_config_selectorIyEEZNS1_11reduce_implILb1ES3_PyS7_yN6thrust23THRUST_200600_302600_NS4plusIyEEEE10hipError_tPvRmT1_T2_T3_mT4_P12ihipStream_tbEUlT_E1_NS1_11comp_targetILNS1_3genE9ELNS1_11target_archE1100ELNS1_3gpuE3ELNS1_3repE0EEENS1_30default_config_static_selectorELNS0_4arch9wavefront6targetE1EEEvSF_.has_dyn_sized_stack, 0
	.set _ZN7rocprim17ROCPRIM_400000_NS6detail17trampoline_kernelINS0_14default_configENS1_22reduce_config_selectorIyEEZNS1_11reduce_implILb1ES3_PyS7_yN6thrust23THRUST_200600_302600_NS4plusIyEEEE10hipError_tPvRmT1_T2_T3_mT4_P12ihipStream_tbEUlT_E1_NS1_11comp_targetILNS1_3genE9ELNS1_11target_archE1100ELNS1_3gpuE3ELNS1_3repE0EEENS1_30default_config_static_selectorELNS0_4arch9wavefront6targetE1EEEvSF_.has_recursion, 0
	.set _ZN7rocprim17ROCPRIM_400000_NS6detail17trampoline_kernelINS0_14default_configENS1_22reduce_config_selectorIyEEZNS1_11reduce_implILb1ES3_PyS7_yN6thrust23THRUST_200600_302600_NS4plusIyEEEE10hipError_tPvRmT1_T2_T3_mT4_P12ihipStream_tbEUlT_E1_NS1_11comp_targetILNS1_3genE9ELNS1_11target_archE1100ELNS1_3gpuE3ELNS1_3repE0EEENS1_30default_config_static_selectorELNS0_4arch9wavefront6targetE1EEEvSF_.has_indirect_call, 0
	.section	.AMDGPU.csdata,"",@progbits
; Kernel info:
; codeLenInByte = 0
; TotalNumSgprs: 6
; NumVgprs: 0
; NumAgprs: 0
; TotalNumVgprs: 0
; ScratchSize: 0
; MemoryBound: 0
; FloatMode: 240
; IeeeMode: 1
; LDSByteSize: 0 bytes/workgroup (compile time only)
; SGPRBlocks: 0
; VGPRBlocks: 0
; NumSGPRsForWavesPerEU: 6
; NumVGPRsForWavesPerEU: 1
; AccumOffset: 4
; Occupancy: 8
; WaveLimiterHint : 0
; COMPUTE_PGM_RSRC2:SCRATCH_EN: 0
; COMPUTE_PGM_RSRC2:USER_SGPR: 2
; COMPUTE_PGM_RSRC2:TRAP_HANDLER: 0
; COMPUTE_PGM_RSRC2:TGID_X_EN: 1
; COMPUTE_PGM_RSRC2:TGID_Y_EN: 0
; COMPUTE_PGM_RSRC2:TGID_Z_EN: 0
; COMPUTE_PGM_RSRC2:TIDIG_COMP_CNT: 0
; COMPUTE_PGM_RSRC3_GFX90A:ACCUM_OFFSET: 0
; COMPUTE_PGM_RSRC3_GFX90A:TG_SPLIT: 0
	.section	.text._ZN7rocprim17ROCPRIM_400000_NS6detail17trampoline_kernelINS0_14default_configENS1_22reduce_config_selectorIyEEZNS1_11reduce_implILb1ES3_PyS7_yN6thrust23THRUST_200600_302600_NS4plusIyEEEE10hipError_tPvRmT1_T2_T3_mT4_P12ihipStream_tbEUlT_E1_NS1_11comp_targetILNS1_3genE8ELNS1_11target_archE1030ELNS1_3gpuE2ELNS1_3repE0EEENS1_30default_config_static_selectorELNS0_4arch9wavefront6targetE1EEEvSF_,"axG",@progbits,_ZN7rocprim17ROCPRIM_400000_NS6detail17trampoline_kernelINS0_14default_configENS1_22reduce_config_selectorIyEEZNS1_11reduce_implILb1ES3_PyS7_yN6thrust23THRUST_200600_302600_NS4plusIyEEEE10hipError_tPvRmT1_T2_T3_mT4_P12ihipStream_tbEUlT_E1_NS1_11comp_targetILNS1_3genE8ELNS1_11target_archE1030ELNS1_3gpuE2ELNS1_3repE0EEENS1_30default_config_static_selectorELNS0_4arch9wavefront6targetE1EEEvSF_,comdat
	.protected	_ZN7rocprim17ROCPRIM_400000_NS6detail17trampoline_kernelINS0_14default_configENS1_22reduce_config_selectorIyEEZNS1_11reduce_implILb1ES3_PyS7_yN6thrust23THRUST_200600_302600_NS4plusIyEEEE10hipError_tPvRmT1_T2_T3_mT4_P12ihipStream_tbEUlT_E1_NS1_11comp_targetILNS1_3genE8ELNS1_11target_archE1030ELNS1_3gpuE2ELNS1_3repE0EEENS1_30default_config_static_selectorELNS0_4arch9wavefront6targetE1EEEvSF_ ; -- Begin function _ZN7rocprim17ROCPRIM_400000_NS6detail17trampoline_kernelINS0_14default_configENS1_22reduce_config_selectorIyEEZNS1_11reduce_implILb1ES3_PyS7_yN6thrust23THRUST_200600_302600_NS4plusIyEEEE10hipError_tPvRmT1_T2_T3_mT4_P12ihipStream_tbEUlT_E1_NS1_11comp_targetILNS1_3genE8ELNS1_11target_archE1030ELNS1_3gpuE2ELNS1_3repE0EEENS1_30default_config_static_selectorELNS0_4arch9wavefront6targetE1EEEvSF_
	.globl	_ZN7rocprim17ROCPRIM_400000_NS6detail17trampoline_kernelINS0_14default_configENS1_22reduce_config_selectorIyEEZNS1_11reduce_implILb1ES3_PyS7_yN6thrust23THRUST_200600_302600_NS4plusIyEEEE10hipError_tPvRmT1_T2_T3_mT4_P12ihipStream_tbEUlT_E1_NS1_11comp_targetILNS1_3genE8ELNS1_11target_archE1030ELNS1_3gpuE2ELNS1_3repE0EEENS1_30default_config_static_selectorELNS0_4arch9wavefront6targetE1EEEvSF_
	.p2align	8
	.type	_ZN7rocprim17ROCPRIM_400000_NS6detail17trampoline_kernelINS0_14default_configENS1_22reduce_config_selectorIyEEZNS1_11reduce_implILb1ES3_PyS7_yN6thrust23THRUST_200600_302600_NS4plusIyEEEE10hipError_tPvRmT1_T2_T3_mT4_P12ihipStream_tbEUlT_E1_NS1_11comp_targetILNS1_3genE8ELNS1_11target_archE1030ELNS1_3gpuE2ELNS1_3repE0EEENS1_30default_config_static_selectorELNS0_4arch9wavefront6targetE1EEEvSF_,@function
_ZN7rocprim17ROCPRIM_400000_NS6detail17trampoline_kernelINS0_14default_configENS1_22reduce_config_selectorIyEEZNS1_11reduce_implILb1ES3_PyS7_yN6thrust23THRUST_200600_302600_NS4plusIyEEEE10hipError_tPvRmT1_T2_T3_mT4_P12ihipStream_tbEUlT_E1_NS1_11comp_targetILNS1_3genE8ELNS1_11target_archE1030ELNS1_3gpuE2ELNS1_3repE0EEENS1_30default_config_static_selectorELNS0_4arch9wavefront6targetE1EEEvSF_: ; @_ZN7rocprim17ROCPRIM_400000_NS6detail17trampoline_kernelINS0_14default_configENS1_22reduce_config_selectorIyEEZNS1_11reduce_implILb1ES3_PyS7_yN6thrust23THRUST_200600_302600_NS4plusIyEEEE10hipError_tPvRmT1_T2_T3_mT4_P12ihipStream_tbEUlT_E1_NS1_11comp_targetILNS1_3genE8ELNS1_11target_archE1030ELNS1_3gpuE2ELNS1_3repE0EEENS1_30default_config_static_selectorELNS0_4arch9wavefront6targetE1EEEvSF_
; %bb.0:
	.section	.rodata,"a",@progbits
	.p2align	6, 0x0
	.amdhsa_kernel _ZN7rocprim17ROCPRIM_400000_NS6detail17trampoline_kernelINS0_14default_configENS1_22reduce_config_selectorIyEEZNS1_11reduce_implILb1ES3_PyS7_yN6thrust23THRUST_200600_302600_NS4plusIyEEEE10hipError_tPvRmT1_T2_T3_mT4_P12ihipStream_tbEUlT_E1_NS1_11comp_targetILNS1_3genE8ELNS1_11target_archE1030ELNS1_3gpuE2ELNS1_3repE0EEENS1_30default_config_static_selectorELNS0_4arch9wavefront6targetE1EEEvSF_
		.amdhsa_group_segment_fixed_size 0
		.amdhsa_private_segment_fixed_size 0
		.amdhsa_kernarg_size 48
		.amdhsa_user_sgpr_count 2
		.amdhsa_user_sgpr_dispatch_ptr 0
		.amdhsa_user_sgpr_queue_ptr 0
		.amdhsa_user_sgpr_kernarg_segment_ptr 1
		.amdhsa_user_sgpr_dispatch_id 0
		.amdhsa_user_sgpr_kernarg_preload_length 0
		.amdhsa_user_sgpr_kernarg_preload_offset 0
		.amdhsa_user_sgpr_private_segment_size 0
		.amdhsa_uses_dynamic_stack 0
		.amdhsa_enable_private_segment 0
		.amdhsa_system_sgpr_workgroup_id_x 1
		.amdhsa_system_sgpr_workgroup_id_y 0
		.amdhsa_system_sgpr_workgroup_id_z 0
		.amdhsa_system_sgpr_workgroup_info 0
		.amdhsa_system_vgpr_workitem_id 0
		.amdhsa_next_free_vgpr 1
		.amdhsa_next_free_sgpr 0
		.amdhsa_accum_offset 4
		.amdhsa_reserve_vcc 0
		.amdhsa_float_round_mode_32 0
		.amdhsa_float_round_mode_16_64 0
		.amdhsa_float_denorm_mode_32 3
		.amdhsa_float_denorm_mode_16_64 3
		.amdhsa_dx10_clamp 1
		.amdhsa_ieee_mode 1
		.amdhsa_fp16_overflow 0
		.amdhsa_tg_split 0
		.amdhsa_exception_fp_ieee_invalid_op 0
		.amdhsa_exception_fp_denorm_src 0
		.amdhsa_exception_fp_ieee_div_zero 0
		.amdhsa_exception_fp_ieee_overflow 0
		.amdhsa_exception_fp_ieee_underflow 0
		.amdhsa_exception_fp_ieee_inexact 0
		.amdhsa_exception_int_div_zero 0
	.end_amdhsa_kernel
	.section	.text._ZN7rocprim17ROCPRIM_400000_NS6detail17trampoline_kernelINS0_14default_configENS1_22reduce_config_selectorIyEEZNS1_11reduce_implILb1ES3_PyS7_yN6thrust23THRUST_200600_302600_NS4plusIyEEEE10hipError_tPvRmT1_T2_T3_mT4_P12ihipStream_tbEUlT_E1_NS1_11comp_targetILNS1_3genE8ELNS1_11target_archE1030ELNS1_3gpuE2ELNS1_3repE0EEENS1_30default_config_static_selectorELNS0_4arch9wavefront6targetE1EEEvSF_,"axG",@progbits,_ZN7rocprim17ROCPRIM_400000_NS6detail17trampoline_kernelINS0_14default_configENS1_22reduce_config_selectorIyEEZNS1_11reduce_implILb1ES3_PyS7_yN6thrust23THRUST_200600_302600_NS4plusIyEEEE10hipError_tPvRmT1_T2_T3_mT4_P12ihipStream_tbEUlT_E1_NS1_11comp_targetILNS1_3genE8ELNS1_11target_archE1030ELNS1_3gpuE2ELNS1_3repE0EEENS1_30default_config_static_selectorELNS0_4arch9wavefront6targetE1EEEvSF_,comdat
.Lfunc_end93:
	.size	_ZN7rocprim17ROCPRIM_400000_NS6detail17trampoline_kernelINS0_14default_configENS1_22reduce_config_selectorIyEEZNS1_11reduce_implILb1ES3_PyS7_yN6thrust23THRUST_200600_302600_NS4plusIyEEEE10hipError_tPvRmT1_T2_T3_mT4_P12ihipStream_tbEUlT_E1_NS1_11comp_targetILNS1_3genE8ELNS1_11target_archE1030ELNS1_3gpuE2ELNS1_3repE0EEENS1_30default_config_static_selectorELNS0_4arch9wavefront6targetE1EEEvSF_, .Lfunc_end93-_ZN7rocprim17ROCPRIM_400000_NS6detail17trampoline_kernelINS0_14default_configENS1_22reduce_config_selectorIyEEZNS1_11reduce_implILb1ES3_PyS7_yN6thrust23THRUST_200600_302600_NS4plusIyEEEE10hipError_tPvRmT1_T2_T3_mT4_P12ihipStream_tbEUlT_E1_NS1_11comp_targetILNS1_3genE8ELNS1_11target_archE1030ELNS1_3gpuE2ELNS1_3repE0EEENS1_30default_config_static_selectorELNS0_4arch9wavefront6targetE1EEEvSF_
                                        ; -- End function
	.set _ZN7rocprim17ROCPRIM_400000_NS6detail17trampoline_kernelINS0_14default_configENS1_22reduce_config_selectorIyEEZNS1_11reduce_implILb1ES3_PyS7_yN6thrust23THRUST_200600_302600_NS4plusIyEEEE10hipError_tPvRmT1_T2_T3_mT4_P12ihipStream_tbEUlT_E1_NS1_11comp_targetILNS1_3genE8ELNS1_11target_archE1030ELNS1_3gpuE2ELNS1_3repE0EEENS1_30default_config_static_selectorELNS0_4arch9wavefront6targetE1EEEvSF_.num_vgpr, 0
	.set _ZN7rocprim17ROCPRIM_400000_NS6detail17trampoline_kernelINS0_14default_configENS1_22reduce_config_selectorIyEEZNS1_11reduce_implILb1ES3_PyS7_yN6thrust23THRUST_200600_302600_NS4plusIyEEEE10hipError_tPvRmT1_T2_T3_mT4_P12ihipStream_tbEUlT_E1_NS1_11comp_targetILNS1_3genE8ELNS1_11target_archE1030ELNS1_3gpuE2ELNS1_3repE0EEENS1_30default_config_static_selectorELNS0_4arch9wavefront6targetE1EEEvSF_.num_agpr, 0
	.set _ZN7rocprim17ROCPRIM_400000_NS6detail17trampoline_kernelINS0_14default_configENS1_22reduce_config_selectorIyEEZNS1_11reduce_implILb1ES3_PyS7_yN6thrust23THRUST_200600_302600_NS4plusIyEEEE10hipError_tPvRmT1_T2_T3_mT4_P12ihipStream_tbEUlT_E1_NS1_11comp_targetILNS1_3genE8ELNS1_11target_archE1030ELNS1_3gpuE2ELNS1_3repE0EEENS1_30default_config_static_selectorELNS0_4arch9wavefront6targetE1EEEvSF_.numbered_sgpr, 0
	.set _ZN7rocprim17ROCPRIM_400000_NS6detail17trampoline_kernelINS0_14default_configENS1_22reduce_config_selectorIyEEZNS1_11reduce_implILb1ES3_PyS7_yN6thrust23THRUST_200600_302600_NS4plusIyEEEE10hipError_tPvRmT1_T2_T3_mT4_P12ihipStream_tbEUlT_E1_NS1_11comp_targetILNS1_3genE8ELNS1_11target_archE1030ELNS1_3gpuE2ELNS1_3repE0EEENS1_30default_config_static_selectorELNS0_4arch9wavefront6targetE1EEEvSF_.num_named_barrier, 0
	.set _ZN7rocprim17ROCPRIM_400000_NS6detail17trampoline_kernelINS0_14default_configENS1_22reduce_config_selectorIyEEZNS1_11reduce_implILb1ES3_PyS7_yN6thrust23THRUST_200600_302600_NS4plusIyEEEE10hipError_tPvRmT1_T2_T3_mT4_P12ihipStream_tbEUlT_E1_NS1_11comp_targetILNS1_3genE8ELNS1_11target_archE1030ELNS1_3gpuE2ELNS1_3repE0EEENS1_30default_config_static_selectorELNS0_4arch9wavefront6targetE1EEEvSF_.private_seg_size, 0
	.set _ZN7rocprim17ROCPRIM_400000_NS6detail17trampoline_kernelINS0_14default_configENS1_22reduce_config_selectorIyEEZNS1_11reduce_implILb1ES3_PyS7_yN6thrust23THRUST_200600_302600_NS4plusIyEEEE10hipError_tPvRmT1_T2_T3_mT4_P12ihipStream_tbEUlT_E1_NS1_11comp_targetILNS1_3genE8ELNS1_11target_archE1030ELNS1_3gpuE2ELNS1_3repE0EEENS1_30default_config_static_selectorELNS0_4arch9wavefront6targetE1EEEvSF_.uses_vcc, 0
	.set _ZN7rocprim17ROCPRIM_400000_NS6detail17trampoline_kernelINS0_14default_configENS1_22reduce_config_selectorIyEEZNS1_11reduce_implILb1ES3_PyS7_yN6thrust23THRUST_200600_302600_NS4plusIyEEEE10hipError_tPvRmT1_T2_T3_mT4_P12ihipStream_tbEUlT_E1_NS1_11comp_targetILNS1_3genE8ELNS1_11target_archE1030ELNS1_3gpuE2ELNS1_3repE0EEENS1_30default_config_static_selectorELNS0_4arch9wavefront6targetE1EEEvSF_.uses_flat_scratch, 0
	.set _ZN7rocprim17ROCPRIM_400000_NS6detail17trampoline_kernelINS0_14default_configENS1_22reduce_config_selectorIyEEZNS1_11reduce_implILb1ES3_PyS7_yN6thrust23THRUST_200600_302600_NS4plusIyEEEE10hipError_tPvRmT1_T2_T3_mT4_P12ihipStream_tbEUlT_E1_NS1_11comp_targetILNS1_3genE8ELNS1_11target_archE1030ELNS1_3gpuE2ELNS1_3repE0EEENS1_30default_config_static_selectorELNS0_4arch9wavefront6targetE1EEEvSF_.has_dyn_sized_stack, 0
	.set _ZN7rocprim17ROCPRIM_400000_NS6detail17trampoline_kernelINS0_14default_configENS1_22reduce_config_selectorIyEEZNS1_11reduce_implILb1ES3_PyS7_yN6thrust23THRUST_200600_302600_NS4plusIyEEEE10hipError_tPvRmT1_T2_T3_mT4_P12ihipStream_tbEUlT_E1_NS1_11comp_targetILNS1_3genE8ELNS1_11target_archE1030ELNS1_3gpuE2ELNS1_3repE0EEENS1_30default_config_static_selectorELNS0_4arch9wavefront6targetE1EEEvSF_.has_recursion, 0
	.set _ZN7rocprim17ROCPRIM_400000_NS6detail17trampoline_kernelINS0_14default_configENS1_22reduce_config_selectorIyEEZNS1_11reduce_implILb1ES3_PyS7_yN6thrust23THRUST_200600_302600_NS4plusIyEEEE10hipError_tPvRmT1_T2_T3_mT4_P12ihipStream_tbEUlT_E1_NS1_11comp_targetILNS1_3genE8ELNS1_11target_archE1030ELNS1_3gpuE2ELNS1_3repE0EEENS1_30default_config_static_selectorELNS0_4arch9wavefront6targetE1EEEvSF_.has_indirect_call, 0
	.section	.AMDGPU.csdata,"",@progbits
; Kernel info:
; codeLenInByte = 0
; TotalNumSgprs: 6
; NumVgprs: 0
; NumAgprs: 0
; TotalNumVgprs: 0
; ScratchSize: 0
; MemoryBound: 0
; FloatMode: 240
; IeeeMode: 1
; LDSByteSize: 0 bytes/workgroup (compile time only)
; SGPRBlocks: 0
; VGPRBlocks: 0
; NumSGPRsForWavesPerEU: 6
; NumVGPRsForWavesPerEU: 1
; AccumOffset: 4
; Occupancy: 8
; WaveLimiterHint : 0
; COMPUTE_PGM_RSRC2:SCRATCH_EN: 0
; COMPUTE_PGM_RSRC2:USER_SGPR: 2
; COMPUTE_PGM_RSRC2:TRAP_HANDLER: 0
; COMPUTE_PGM_RSRC2:TGID_X_EN: 1
; COMPUTE_PGM_RSRC2:TGID_Y_EN: 0
; COMPUTE_PGM_RSRC2:TGID_Z_EN: 0
; COMPUTE_PGM_RSRC2:TIDIG_COMP_CNT: 0
; COMPUTE_PGM_RSRC3_GFX90A:ACCUM_OFFSET: 0
; COMPUTE_PGM_RSRC3_GFX90A:TG_SPLIT: 0
	.section	.text._ZN7rocprim17ROCPRIM_400000_NS6detail17trampoline_kernelINS0_14default_configENS1_22reduce_config_selectorIyEEZNS1_11reduce_implILb1ES3_N6thrust23THRUST_200600_302600_NS6detail15normal_iteratorINS8_10device_ptrIyEEEEPyyNS8_4plusIyEEEE10hipError_tPvRmT1_T2_T3_mT4_P12ihipStream_tbEUlT_E0_NS1_11comp_targetILNS1_3genE0ELNS1_11target_archE4294967295ELNS1_3gpuE0ELNS1_3repE0EEENS1_30default_config_static_selectorELNS0_4arch9wavefront6targetE1EEEvSK_,"axG",@progbits,_ZN7rocprim17ROCPRIM_400000_NS6detail17trampoline_kernelINS0_14default_configENS1_22reduce_config_selectorIyEEZNS1_11reduce_implILb1ES3_N6thrust23THRUST_200600_302600_NS6detail15normal_iteratorINS8_10device_ptrIyEEEEPyyNS8_4plusIyEEEE10hipError_tPvRmT1_T2_T3_mT4_P12ihipStream_tbEUlT_E0_NS1_11comp_targetILNS1_3genE0ELNS1_11target_archE4294967295ELNS1_3gpuE0ELNS1_3repE0EEENS1_30default_config_static_selectorELNS0_4arch9wavefront6targetE1EEEvSK_,comdat
	.protected	_ZN7rocprim17ROCPRIM_400000_NS6detail17trampoline_kernelINS0_14default_configENS1_22reduce_config_selectorIyEEZNS1_11reduce_implILb1ES3_N6thrust23THRUST_200600_302600_NS6detail15normal_iteratorINS8_10device_ptrIyEEEEPyyNS8_4plusIyEEEE10hipError_tPvRmT1_T2_T3_mT4_P12ihipStream_tbEUlT_E0_NS1_11comp_targetILNS1_3genE0ELNS1_11target_archE4294967295ELNS1_3gpuE0ELNS1_3repE0EEENS1_30default_config_static_selectorELNS0_4arch9wavefront6targetE1EEEvSK_ ; -- Begin function _ZN7rocprim17ROCPRIM_400000_NS6detail17trampoline_kernelINS0_14default_configENS1_22reduce_config_selectorIyEEZNS1_11reduce_implILb1ES3_N6thrust23THRUST_200600_302600_NS6detail15normal_iteratorINS8_10device_ptrIyEEEEPyyNS8_4plusIyEEEE10hipError_tPvRmT1_T2_T3_mT4_P12ihipStream_tbEUlT_E0_NS1_11comp_targetILNS1_3genE0ELNS1_11target_archE4294967295ELNS1_3gpuE0ELNS1_3repE0EEENS1_30default_config_static_selectorELNS0_4arch9wavefront6targetE1EEEvSK_
	.globl	_ZN7rocprim17ROCPRIM_400000_NS6detail17trampoline_kernelINS0_14default_configENS1_22reduce_config_selectorIyEEZNS1_11reduce_implILb1ES3_N6thrust23THRUST_200600_302600_NS6detail15normal_iteratorINS8_10device_ptrIyEEEEPyyNS8_4plusIyEEEE10hipError_tPvRmT1_T2_T3_mT4_P12ihipStream_tbEUlT_E0_NS1_11comp_targetILNS1_3genE0ELNS1_11target_archE4294967295ELNS1_3gpuE0ELNS1_3repE0EEENS1_30default_config_static_selectorELNS0_4arch9wavefront6targetE1EEEvSK_
	.p2align	8
	.type	_ZN7rocprim17ROCPRIM_400000_NS6detail17trampoline_kernelINS0_14default_configENS1_22reduce_config_selectorIyEEZNS1_11reduce_implILb1ES3_N6thrust23THRUST_200600_302600_NS6detail15normal_iteratorINS8_10device_ptrIyEEEEPyyNS8_4plusIyEEEE10hipError_tPvRmT1_T2_T3_mT4_P12ihipStream_tbEUlT_E0_NS1_11comp_targetILNS1_3genE0ELNS1_11target_archE4294967295ELNS1_3gpuE0ELNS1_3repE0EEENS1_30default_config_static_selectorELNS0_4arch9wavefront6targetE1EEEvSK_,@function
_ZN7rocprim17ROCPRIM_400000_NS6detail17trampoline_kernelINS0_14default_configENS1_22reduce_config_selectorIyEEZNS1_11reduce_implILb1ES3_N6thrust23THRUST_200600_302600_NS6detail15normal_iteratorINS8_10device_ptrIyEEEEPyyNS8_4plusIyEEEE10hipError_tPvRmT1_T2_T3_mT4_P12ihipStream_tbEUlT_E0_NS1_11comp_targetILNS1_3genE0ELNS1_11target_archE4294967295ELNS1_3gpuE0ELNS1_3repE0EEENS1_30default_config_static_selectorELNS0_4arch9wavefront6targetE1EEEvSK_: ; @_ZN7rocprim17ROCPRIM_400000_NS6detail17trampoline_kernelINS0_14default_configENS1_22reduce_config_selectorIyEEZNS1_11reduce_implILb1ES3_N6thrust23THRUST_200600_302600_NS6detail15normal_iteratorINS8_10device_ptrIyEEEEPyyNS8_4plusIyEEEE10hipError_tPvRmT1_T2_T3_mT4_P12ihipStream_tbEUlT_E0_NS1_11comp_targetILNS1_3genE0ELNS1_11target_archE4294967295ELNS1_3gpuE0ELNS1_3repE0EEENS1_30default_config_static_selectorELNS0_4arch9wavefront6targetE1EEEvSK_
; %bb.0:
	s_load_dwordx8 s[36:43], s[0:1], 0x0
	s_load_dwordx4 s[44:47], s[0:1], 0x20
	s_load_dwordx2 s[30:31], s[0:1], 0x30
	v_lshlrev_b32_e32 v34, 3, v0
	v_mbcnt_lo_u32_b32 v1, -1, 0
	s_waitcnt lgkmcnt(0)
	s_lshl_b64 s[0:1], s[38:39], 3
	s_add_u32 s8, s36, s0
	s_addc_u32 s9, s37, s1
	s_lshl_b32 s0, s2, 12
	s_mov_b32 s1, 0
	s_lshr_b64 s[4:5], s[40:41], 12
	s_lshl_b64 s[6:7], s[0:1], 3
	s_add_u32 s34, s8, s6
	s_mov_b32 s3, s1
	s_addc_u32 s35, s9, s7
	s_cmp_lg_u64 s[4:5], s[2:3]
	s_cbranch_scc0 .LBB94_6
; %bb.1:
	v_mov_b32_e32 v35, 0
	v_lshl_add_u64 v[2:3], s[34:35], 0, v[34:35]
	v_add_co_u32_e32 v4, vcc, 0x1000, v2
	v_mov_b32_e32 v41, v35
	s_nop 0
	v_addc_co_u32_e32 v5, vcc, 0, v3, vcc
	flat_load_dwordx2 v[6:7], v[2:3]
	flat_load_dwordx2 v[8:9], v[2:3] offset:2048
	flat_load_dwordx2 v[10:11], v[4:5]
	flat_load_dwordx2 v[12:13], v[4:5] offset:2048
	v_add_co_u32_e32 v4, vcc, 0x2000, v2
	v_mov_b32_e32 v45, v35
	s_nop 0
	v_addc_co_u32_e32 v5, vcc, 0, v3, vcc
	v_add_co_u32_e32 v14, vcc, 0x3000, v2
	v_mov_b32_e32 v42, v35
	s_nop 0
	v_addc_co_u32_e32 v15, vcc, 0, v3, vcc
	flat_load_dwordx2 v[16:17], v[4:5]
	flat_load_dwordx2 v[18:19], v[4:5] offset:2048
	flat_load_dwordx2 v[20:21], v[14:15]
	flat_load_dwordx2 v[22:23], v[14:15] offset:2048
	v_add_co_u32_e32 v4, vcc, 0x4000, v2
	v_mov_b32_e32 v49, v35
	s_nop 0
	v_addc_co_u32_e32 v5, vcc, 0, v3, vcc
	v_add_co_u32_e32 v14, vcc, 0x5000, v2
	v_mov_b32_e32 v46, v35
	s_nop 0
	v_addc_co_u32_e32 v15, vcc, 0, v3, vcc
	flat_load_dwordx2 v[24:25], v[4:5]
	flat_load_dwordx2 v[26:27], v[4:5] offset:2048
	flat_load_dwordx2 v[28:29], v[14:15]
	flat_load_dwordx2 v[30:31], v[14:15] offset:2048
	v_add_co_u32_e32 v4, vcc, 0x6000, v2
	v_mov_b32_e32 v53, v35
	s_nop 0
	v_addc_co_u32_e32 v5, vcc, 0, v3, vcc
	v_add_co_u32_e32 v2, vcc, 0x7000, v2
	v_mov_b32_e32 v50, v35
	s_nop 0
	v_addc_co_u32_e32 v3, vcc, 0, v3, vcc
	flat_load_dwordx2 v[14:15], v[4:5]
	flat_load_dwordx2 v[32:33], v[4:5] offset:2048
	flat_load_dwordx2 v[36:37], v[2:3]
	flat_load_dwordx2 v[38:39], v[2:3] offset:2048
	v_mov_b32_e32 v2, v35
	v_mov_b32_e32 v57, v35
	;; [unrolled: 1-line block ×3, first 2 shown]
	v_mbcnt_hi_u32_b32 v4, -1, v1
	v_mov_b32_e32 v59, v35
	v_lshlrev_b32_e32 v5, 2, v4
	v_or_b32_e32 v35, 0xfc, v5
	v_cmp_eq_u32_e32 vcc, 0, v4
	s_waitcnt vmcnt(0) lgkmcnt(0)
	v_lshl_add_u64 v[6:7], v[8:9], 0, v[6:7]
	v_lshl_add_u64 v[6:7], v[6:7], 0, v[10:11]
	v_lshl_add_u64 v[6:7], v[6:7], 0, v[12:13]
	v_lshl_add_u64 v[6:7], v[6:7], 0, v[16:17]
	v_lshl_add_u64 v[6:7], v[6:7], 0, v[18:19]
	v_lshl_add_u64 v[6:7], v[6:7], 0, v[20:21]
	v_lshl_add_u64 v[6:7], v[6:7], 0, v[22:23]
	v_lshl_add_u64 v[6:7], v[6:7], 0, v[24:25]
	v_lshl_add_u64 v[6:7], v[6:7], 0, v[26:27]
	v_lshl_add_u64 v[6:7], v[6:7], 0, v[28:29]
	v_lshl_add_u64 v[6:7], v[6:7], 0, v[30:31]
	v_lshl_add_u64 v[6:7], v[6:7], 0, v[14:15]
	v_lshl_add_u64 v[6:7], v[6:7], 0, v[32:33]
	v_lshl_add_u64 v[6:7], v[6:7], 0, v[36:37]
	v_lshl_add_u64 v[6:7], v[6:7], 0, v[38:39]
	s_nop 1
	v_mov_b32_dpp v40, v6 quad_perm:[1,0,3,2] row_mask:0xf bank_mask:0xf bound_ctrl:1
	v_mov_b32_dpp v3, v7 quad_perm:[1,0,3,2] row_mask:0xf bank_mask:0xf bound_ctrl:1
	v_lshl_add_u64 v[6:7], v[6:7], 0, v[40:41]
	v_lshl_add_u64 v[2:3], v[2:3], 0, v[6:7]
	s_nop 0
	v_mov_b32_dpp v44, v6 quad_perm:[2,3,0,1] row_mask:0xf bank_mask:0xf bound_ctrl:1
	v_mov_b32_dpp v43, v3 quad_perm:[2,3,0,1] row_mask:0xf bank_mask:0xf bound_ctrl:1
	v_lshl_add_u64 v[2:3], v[2:3], 0, v[44:45]
	v_lshl_add_u64 v[6:7], v[2:3], 0, v[42:43]
	s_nop 0
	v_mov_b32_dpp v48, v2 row_ror:4 row_mask:0xf bank_mask:0xf bound_ctrl:1
	v_mov_b32_dpp v47, v7 row_ror:4 row_mask:0xf bank_mask:0xf bound_ctrl:1
	v_lshl_add_u64 v[2:3], v[6:7], 0, v[48:49]
	v_lshl_add_u64 v[6:7], v[2:3], 0, v[46:47]
	s_nop 0
	v_mov_b32_dpp v52, v2 row_ror:8 row_mask:0xf bank_mask:0xf bound_ctrl:1
	v_mov_b32_dpp v51, v7 row_ror:8 row_mask:0xf bank_mask:0xf bound_ctrl:1
	v_lshl_add_u64 v[2:3], v[6:7], 0, v[52:53]
	v_lshl_add_u64 v[6:7], v[2:3], 0, v[50:51]
	s_nop 0
	v_mov_b32_dpp v56, v2 row_bcast:15 row_mask:0xf bank_mask:0xf bound_ctrl:1
	v_mov_b32_dpp v55, v7 row_bcast:15 row_mask:0xf bank_mask:0xf bound_ctrl:1
	v_lshl_add_u64 v[2:3], v[6:7], 0, v[56:57]
	v_lshl_add_u64 v[6:7], v[2:3], 0, v[54:55]
	s_nop 0
	v_mov_b32_dpp v58, v2 row_bcast:31 row_mask:0xf bank_mask:0xf bound_ctrl:1
	v_lshl_add_u64 v[2:3], v[6:7], 0, v[58:59]
	ds_bpermute_b32 v2, v35, v2
	s_nop 0
	v_add_u32_dpp v3, v7, v3 row_bcast:31 row_mask:0xf bank_mask:0xf bound_ctrl:1
	ds_bpermute_b32 v3, v35, v3
	s_and_saveexec_b64 s[4:5], vcc
	s_cbranch_execz .LBB94_3
; %bb.2:
	v_lshrrev_b32_e32 v6, 3, v0
	v_and_b32_e32 v6, 24, v6
	s_waitcnt lgkmcnt(0)
	ds_write_b64 v6, v[2:3]
.LBB94_3:
	s_or_b64 exec, exec, s[4:5]
	v_cmp_gt_u32_e32 vcc, 64, v0
	s_waitcnt lgkmcnt(0)
	s_barrier
	s_and_saveexec_b64 s[4:5], vcc
	s_cbranch_execz .LBB94_5
; %bb.4:
	v_and_b32_e32 v6, 3, v4
	v_lshlrev_b32_e32 v2, 3, v6
	ds_read_b64 v[2:3], v2
	v_cmp_ne_u32_e32 vcc, 3, v6
	v_or_b32_e32 v8, 8, v5
	s_nop 0
	v_addc_co_u32_e32 v4, vcc, 0, v4, vcc
	v_lshlrev_b32_e32 v6, 2, v4
	s_waitcnt lgkmcnt(0)
	ds_bpermute_b32 v4, v6, v2
	ds_bpermute_b32 v7, v6, v3
	v_mov_b32_e32 v6, 0
	v_mov_b32_e32 v5, v6
	s_waitcnt lgkmcnt(1)
	v_lshl_add_u64 v[2:3], v[2:3], 0, v[4:5]
	s_waitcnt lgkmcnt(0)
	v_lshl_add_u64 v[4:5], v[6:7], 0, v[2:3]
	ds_bpermute_b32 v2, v8, v2
	ds_bpermute_b32 v7, v8, v5
	v_mov_b32_e32 v3, v6
	s_waitcnt lgkmcnt(1)
	v_lshl_add_u64 v[2:3], v[4:5], 0, v[2:3]
	s_waitcnt lgkmcnt(0)
	v_lshl_add_u64 v[2:3], v[2:3], 0, v[6:7]
.LBB94_5:
	s_or_b64 exec, exec, s[4:5]
	s_branch .LBB94_48
.LBB94_6:
                                        ; implicit-def: $vgpr2_vgpr3
	s_cbranch_execz .LBB94_48
; %bb.7:
	s_sub_i32 s33, s40, s0
	v_mov_b32_e32 v2, 0
	v_cmp_gt_u32_e32 vcc, s33, v0
	v_mov_b32_e32 v3, v2
	v_mov_b32_e32 v4, v2
	;; [unrolled: 1-line block ×31, first 2 shown]
	s_and_saveexec_b64 s[0:1], vcc
	s_cbranch_execz .LBB94_9
; %bb.8:
	v_mov_b32_e32 v35, v2
	v_lshl_add_u64 v[4:5], s[34:35], 0, v[34:35]
	flat_load_dwordx2 v[36:37], v[4:5]
	v_mov_b32_e32 v38, v2
	v_mov_b32_e32 v39, v2
	;; [unrolled: 1-line block ×30, first 2 shown]
	s_waitcnt vmcnt(0) lgkmcnt(0)
	v_mov_b64_e32 v[2:3], v[36:37]
	v_mov_b64_e32 v[4:5], v[38:39]
	v_mov_b64_e32 v[6:7], v[40:41]
	v_mov_b64_e32 v[8:9], v[42:43]
	v_mov_b64_e32 v[10:11], v[44:45]
	v_mov_b64_e32 v[12:13], v[46:47]
	v_mov_b64_e32 v[14:15], v[48:49]
	v_mov_b64_e32 v[16:17], v[50:51]
	v_mov_b64_e32 v[18:19], v[52:53]
	v_mov_b64_e32 v[20:21], v[54:55]
	v_mov_b64_e32 v[22:23], v[56:57]
	v_mov_b64_e32 v[24:25], v[58:59]
	v_mov_b64_e32 v[26:27], v[60:61]
	v_mov_b64_e32 v[28:29], v[62:63]
	v_mov_b64_e32 v[30:31], v[64:65]
	v_mov_b64_e32 v[32:33], v[66:67]
.LBB94_9:
	s_or_b64 exec, exec, s[0:1]
	v_or_b32_e32 v35, 0x100, v0
	v_cmp_gt_u32_e32 vcc, s33, v35
	s_and_saveexec_b64 s[0:1], vcc
	s_cbranch_execz .LBB94_11
; %bb.10:
	v_mov_b32_e32 v35, 0
	v_lshl_add_u64 v[4:5], s[34:35], 0, v[34:35]
	flat_load_dwordx2 v[4:5], v[4:5] offset:2048
.LBB94_11:
	s_or_b64 exec, exec, s[0:1]
	v_or_b32_e32 v34, 0x200, v0
	v_cmp_gt_u32_e64 s[0:1], s33, v34
	s_and_saveexec_b64 s[4:5], s[0:1]
	s_cbranch_execz .LBB94_13
; %bb.12:
	v_lshlrev_b32_e32 v6, 3, v34
	v_mov_b32_e32 v7, 0
	v_lshl_add_u64 v[6:7], s[34:35], 0, v[6:7]
	flat_load_dwordx2 v[6:7], v[6:7]
.LBB94_13:
	s_or_b64 exec, exec, s[4:5]
	v_or_b32_e32 v34, 0x300, v0
	v_cmp_gt_u32_e64 s[4:5], s33, v34
	s_and_saveexec_b64 s[6:7], s[4:5]
	s_cbranch_execz .LBB94_15
; %bb.14:
	v_lshlrev_b32_e32 v8, 3, v34
	v_mov_b32_e32 v9, 0
	v_lshl_add_u64 v[8:9], s[34:35], 0, v[8:9]
	flat_load_dwordx2 v[8:9], v[8:9]
.LBB94_15:
	;; [unrolled: 11-line block ×14, first 2 shown]
	s_or_b64 exec, exec, s[36:37]
	s_waitcnt vmcnt(0) lgkmcnt(0)
	v_cndmask_b32_e32 v5, 0, v5, vcc
	v_cndmask_b32_e32 v4, 0, v4, vcc
	v_lshl_add_u64 v[2:3], v[4:5], 0, v[2:3]
	v_cndmask_b32_e64 v5, 0, v7, s[0:1]
	v_cndmask_b32_e64 v4, 0, v6, s[0:1]
	v_lshl_add_u64 v[2:3], v[2:3], 0, v[4:5]
	v_cndmask_b32_e64 v5, 0, v9, s[4:5]
	v_cndmask_b32_e64 v4, 0, v8, s[4:5]
	;; [unrolled: 3-line block ×13, first 2 shown]
	v_mbcnt_hi_u32_b32 v1, -1, v1
	v_lshl_add_u64 v[2:3], v[2:3], 0, v[4:5]
	v_cndmask_b32_e64 v5, 0, v33, s[28:29]
	v_cndmask_b32_e64 v4, 0, v32, s[28:29]
	v_and_b32_e32 v9, 63, v1
	v_lshl_add_u64 v[2:3], v[2:3], 0, v[4:5]
	s_min_u32 s6, s33, 0x100
	v_and_b32_e32 v4, 0xc0, v0
	v_cmp_ne_u32_e32 vcc, 63, v9
	v_sub_u32_e64 v8, s6, v4 clamp
	v_mov_b32_e32 v6, 0
	v_addc_co_u32_e32 v4, vcc, 0, v1, vcc
	v_lshlrev_b32_e32 v5, 2, v4
	ds_bpermute_b32 v4, v5, v2
	ds_bpermute_b32 v7, v5, v3
	v_add_u32_e32 v10, 1, v9
	v_mov_b32_e32 v5, v6
	v_cmp_lt_u32_e64 s[0:1], v10, v8
	s_waitcnt lgkmcnt(1)
	v_lshl_add_u64 v[4:5], v[2:3], 0, v[4:5]
	v_cmp_gt_u32_e32 vcc, 62, v9
	s_waitcnt lgkmcnt(0)
	v_lshl_add_u64 v[6:7], v[4:5], 0, v[6:7]
	v_cndmask_b32_e64 v12, v2, v4, s[0:1]
	v_cndmask_b32_e64 v4, 0, 2, vcc
	v_cndmask_b32_e64 v5, v3, v7, s[0:1]
	v_add_lshl_u32 v4, v4, v1, 2
	ds_bpermute_b32 v10, v4, v12
	ds_bpermute_b32 v11, v4, v5
	v_cndmask_b32_e64 v4, v2, v6, s[0:1]
	v_add_u32_e32 v13, 2, v9
	v_cmp_lt_u32_e32 vcc, v13, v8
	v_cmp_gt_u32_e64 s[4:5], 60, v9
	s_waitcnt lgkmcnt(0)
	v_lshl_add_u64 v[6:7], v[10:11], 0, v[4:5]
	v_cndmask_b32_e32 v5, v5, v7, vcc
	v_cndmask_b32_e64 v7, 0, 4, s[4:5]
	v_cndmask_b32_e32 v12, v12, v6, vcc
	v_add_lshl_u32 v7, v7, v1, 2
	ds_bpermute_b32 v10, v7, v12
	ds_bpermute_b32 v11, v7, v5
	v_cndmask_b32_e32 v4, v4, v6, vcc
	v_add_u32_e32 v13, 4, v9
	v_cmp_lt_u32_e32 vcc, v13, v8
	v_cmp_gt_u32_e64 s[4:5], 56, v9
	s_waitcnt lgkmcnt(0)
	v_lshl_add_u64 v[6:7], v[10:11], 0, v[4:5]
	v_cndmask_b32_e32 v5, v5, v7, vcc
	v_cndmask_b32_e64 v7, 0, 8, s[4:5]
	v_cndmask_b32_e32 v12, v12, v6, vcc
	v_add_lshl_u32 v7, v7, v1, 2
	ds_bpermute_b32 v10, v7, v12
	ds_bpermute_b32 v11, v7, v5
	v_cndmask_b32_e32 v4, v4, v6, vcc
	;; [unrolled: 12-line block ×3, first 2 shown]
	v_add_u32_e32 v13, 16, v9
	v_cmp_lt_u32_e32 vcc, v13, v8
	s_waitcnt lgkmcnt(0)
	v_lshl_add_u64 v[6:7], v[10:11], 0, v[4:5]
	v_lshlrev_b32_e32 v10, 2, v1
	v_cndmask_b32_e32 v13, v5, v7, vcc
	v_cndmask_b32_e32 v11, v12, v6, vcc
	v_or_b32_e32 v12, 0x80, v10
	ds_bpermute_b32 v11, v12, v11
	ds_bpermute_b32 v12, v12, v13
	s_and_saveexec_b64 s[4:5], s[0:1]
	s_cbranch_execz .LBB94_41
; %bb.40:
	v_add_u32_e32 v9, 32, v9
	v_cndmask_b32_e32 v3, v5, v7, vcc
	v_cndmask_b32_e32 v2, v4, v6, vcc
	v_cmp_lt_u32_e32 vcc, v9, v8
	s_waitcnt lgkmcnt(0)
	s_nop 0
	v_cndmask_b32_e32 v5, 0, v12, vcc
	v_cndmask_b32_e32 v4, 0, v11, vcc
	v_lshl_add_u64 v[2:3], v[2:3], 0, v[4:5]
.LBB94_41:
	s_or_b64 exec, exec, s[4:5]
	v_cmp_eq_u32_e32 vcc, 0, v1
	s_and_saveexec_b64 s[0:1], vcc
; %bb.42:
	v_lshrrev_b32_e32 v4, 3, v0
	v_and_b32_e32 v4, 24, v4
	ds_write_b64 v4, v[2:3] offset:32
; %bb.43:
	s_or_b64 exec, exec, s[0:1]
	v_cmp_gt_u32_e32 vcc, 4, v0
	s_waitcnt lgkmcnt(0)
	s_barrier
	s_and_saveexec_b64 s[0:1], vcc
	s_cbranch_execz .LBB94_47
; %bb.44:
	v_lshlrev_b32_e32 v2, 3, v1
	ds_read_b64 v[2:3], v2 offset:32
	v_and_b32_e32 v6, 3, v1
	v_cmp_ne_u32_e32 vcc, 3, v6
	v_mov_b32_e32 v8, 0
	s_add_i32 s6, s6, 63
	v_addc_co_u32_e32 v1, vcc, 0, v1, vcc
	v_lshlrev_b32_e32 v1, 2, v1
	s_waitcnt lgkmcnt(0)
	ds_bpermute_b32 v4, v1, v2
	ds_bpermute_b32 v9, v1, v3
	v_mov_b32_e32 v5, v8
	s_lshr_b32 s6, s6, 6
	v_add_u32_e32 v1, 1, v6
	s_waitcnt lgkmcnt(1)
	v_lshl_add_u64 v[12:13], v[2:3], 0, v[4:5]
	s_waitcnt lgkmcnt(0)
	v_lshl_add_u64 v[4:5], v[8:9], 0, v[12:13]
	v_cmp_gt_u32_e32 vcc, s6, v1
	v_or_b32_e32 v8, 8, v10
	s_nop 0
	v_cndmask_b32_e32 v7, v3, v5, vcc
	v_cndmask_b32_e32 v1, v2, v12, vcc
	ds_bpermute_b32 v1, v8, v1
	ds_bpermute_b32 v7, v8, v7
	s_and_saveexec_b64 s[4:5], vcc
	s_cbranch_execz .LBB94_46
; %bb.45:
	v_add_u32_e32 v2, 2, v6
	v_cmp_gt_u32_e32 vcc, s6, v2
	s_waitcnt lgkmcnt(0)
	s_nop 0
	v_cndmask_b32_e32 v3, 0, v7, vcc
	v_cndmask_b32_e32 v2, 0, v1, vcc
	v_lshl_add_u64 v[2:3], v[2:3], 0, v[4:5]
.LBB94_46:
	s_or_b64 exec, exec, s[4:5]
.LBB94_47:
	s_or_b64 exec, exec, s[0:1]
.LBB94_48:
	v_cmp_eq_u32_e32 vcc, 0, v0
	s_and_saveexec_b64 s[0:1], vcc
	s_cbranch_execnz .LBB94_50
; %bb.49:
	s_endpgm
.LBB94_50:
	s_mul_i32 s0, s46, s45
	s_mul_hi_u32 s1, s46, s44
	s_add_i32 s0, s1, s0
	s_mul_i32 s1, s47, s44
	s_add_i32 s1, s0, s1
	s_mul_i32 s0, s46, s44
	s_lshl_b64 s[0:1], s[0:1], 3
	s_add_u32 s4, s42, s0
	s_addc_u32 s5, s43, s1
	s_cmp_eq_u64 s[40:41], 0
	v_mov_b32_e32 v0, s31
	s_cselect_b64 vcc, -1, 0
	s_lshl_b64 s[0:1], s[2:3], 3
	s_waitcnt lgkmcnt(1)
	v_cndmask_b32_e32 v1, v3, v0, vcc
	v_mov_b32_e32 v0, s30
	s_add_u32 s0, s4, s0
	v_cndmask_b32_e32 v0, v2, v0, vcc
	s_addc_u32 s1, s5, s1
	v_mov_b32_e32 v2, 0
	global_store_dwordx2 v2, v[0:1], s[0:1]
	s_endpgm
	.section	.rodata,"a",@progbits
	.p2align	6, 0x0
	.amdhsa_kernel _ZN7rocprim17ROCPRIM_400000_NS6detail17trampoline_kernelINS0_14default_configENS1_22reduce_config_selectorIyEEZNS1_11reduce_implILb1ES3_N6thrust23THRUST_200600_302600_NS6detail15normal_iteratorINS8_10device_ptrIyEEEEPyyNS8_4plusIyEEEE10hipError_tPvRmT1_T2_T3_mT4_P12ihipStream_tbEUlT_E0_NS1_11comp_targetILNS1_3genE0ELNS1_11target_archE4294967295ELNS1_3gpuE0ELNS1_3repE0EEENS1_30default_config_static_selectorELNS0_4arch9wavefront6targetE1EEEvSK_
		.amdhsa_group_segment_fixed_size 64
		.amdhsa_private_segment_fixed_size 0
		.amdhsa_kernarg_size 64
		.amdhsa_user_sgpr_count 2
		.amdhsa_user_sgpr_dispatch_ptr 0
		.amdhsa_user_sgpr_queue_ptr 0
		.amdhsa_user_sgpr_kernarg_segment_ptr 1
		.amdhsa_user_sgpr_dispatch_id 0
		.amdhsa_user_sgpr_kernarg_preload_length 0
		.amdhsa_user_sgpr_kernarg_preload_offset 0
		.amdhsa_user_sgpr_private_segment_size 0
		.amdhsa_uses_dynamic_stack 0
		.amdhsa_enable_private_segment 0
		.amdhsa_system_sgpr_workgroup_id_x 1
		.amdhsa_system_sgpr_workgroup_id_y 0
		.amdhsa_system_sgpr_workgroup_id_z 0
		.amdhsa_system_sgpr_workgroup_info 0
		.amdhsa_system_vgpr_workitem_id 0
		.amdhsa_next_free_vgpr 68
		.amdhsa_next_free_sgpr 48
		.amdhsa_accum_offset 68
		.amdhsa_reserve_vcc 1
		.amdhsa_float_round_mode_32 0
		.amdhsa_float_round_mode_16_64 0
		.amdhsa_float_denorm_mode_32 3
		.amdhsa_float_denorm_mode_16_64 3
		.amdhsa_dx10_clamp 1
		.amdhsa_ieee_mode 1
		.amdhsa_fp16_overflow 0
		.amdhsa_tg_split 0
		.amdhsa_exception_fp_ieee_invalid_op 0
		.amdhsa_exception_fp_denorm_src 0
		.amdhsa_exception_fp_ieee_div_zero 0
		.amdhsa_exception_fp_ieee_overflow 0
		.amdhsa_exception_fp_ieee_underflow 0
		.amdhsa_exception_fp_ieee_inexact 0
		.amdhsa_exception_int_div_zero 0
	.end_amdhsa_kernel
	.section	.text._ZN7rocprim17ROCPRIM_400000_NS6detail17trampoline_kernelINS0_14default_configENS1_22reduce_config_selectorIyEEZNS1_11reduce_implILb1ES3_N6thrust23THRUST_200600_302600_NS6detail15normal_iteratorINS8_10device_ptrIyEEEEPyyNS8_4plusIyEEEE10hipError_tPvRmT1_T2_T3_mT4_P12ihipStream_tbEUlT_E0_NS1_11comp_targetILNS1_3genE0ELNS1_11target_archE4294967295ELNS1_3gpuE0ELNS1_3repE0EEENS1_30default_config_static_selectorELNS0_4arch9wavefront6targetE1EEEvSK_,"axG",@progbits,_ZN7rocprim17ROCPRIM_400000_NS6detail17trampoline_kernelINS0_14default_configENS1_22reduce_config_selectorIyEEZNS1_11reduce_implILb1ES3_N6thrust23THRUST_200600_302600_NS6detail15normal_iteratorINS8_10device_ptrIyEEEEPyyNS8_4plusIyEEEE10hipError_tPvRmT1_T2_T3_mT4_P12ihipStream_tbEUlT_E0_NS1_11comp_targetILNS1_3genE0ELNS1_11target_archE4294967295ELNS1_3gpuE0ELNS1_3repE0EEENS1_30default_config_static_selectorELNS0_4arch9wavefront6targetE1EEEvSK_,comdat
.Lfunc_end94:
	.size	_ZN7rocprim17ROCPRIM_400000_NS6detail17trampoline_kernelINS0_14default_configENS1_22reduce_config_selectorIyEEZNS1_11reduce_implILb1ES3_N6thrust23THRUST_200600_302600_NS6detail15normal_iteratorINS8_10device_ptrIyEEEEPyyNS8_4plusIyEEEE10hipError_tPvRmT1_T2_T3_mT4_P12ihipStream_tbEUlT_E0_NS1_11comp_targetILNS1_3genE0ELNS1_11target_archE4294967295ELNS1_3gpuE0ELNS1_3repE0EEENS1_30default_config_static_selectorELNS0_4arch9wavefront6targetE1EEEvSK_, .Lfunc_end94-_ZN7rocprim17ROCPRIM_400000_NS6detail17trampoline_kernelINS0_14default_configENS1_22reduce_config_selectorIyEEZNS1_11reduce_implILb1ES3_N6thrust23THRUST_200600_302600_NS6detail15normal_iteratorINS8_10device_ptrIyEEEEPyyNS8_4plusIyEEEE10hipError_tPvRmT1_T2_T3_mT4_P12ihipStream_tbEUlT_E0_NS1_11comp_targetILNS1_3genE0ELNS1_11target_archE4294967295ELNS1_3gpuE0ELNS1_3repE0EEENS1_30default_config_static_selectorELNS0_4arch9wavefront6targetE1EEEvSK_
                                        ; -- End function
	.set _ZN7rocprim17ROCPRIM_400000_NS6detail17trampoline_kernelINS0_14default_configENS1_22reduce_config_selectorIyEEZNS1_11reduce_implILb1ES3_N6thrust23THRUST_200600_302600_NS6detail15normal_iteratorINS8_10device_ptrIyEEEEPyyNS8_4plusIyEEEE10hipError_tPvRmT1_T2_T3_mT4_P12ihipStream_tbEUlT_E0_NS1_11comp_targetILNS1_3genE0ELNS1_11target_archE4294967295ELNS1_3gpuE0ELNS1_3repE0EEENS1_30default_config_static_selectorELNS0_4arch9wavefront6targetE1EEEvSK_.num_vgpr, 68
	.set _ZN7rocprim17ROCPRIM_400000_NS6detail17trampoline_kernelINS0_14default_configENS1_22reduce_config_selectorIyEEZNS1_11reduce_implILb1ES3_N6thrust23THRUST_200600_302600_NS6detail15normal_iteratorINS8_10device_ptrIyEEEEPyyNS8_4plusIyEEEE10hipError_tPvRmT1_T2_T3_mT4_P12ihipStream_tbEUlT_E0_NS1_11comp_targetILNS1_3genE0ELNS1_11target_archE4294967295ELNS1_3gpuE0ELNS1_3repE0EEENS1_30default_config_static_selectorELNS0_4arch9wavefront6targetE1EEEvSK_.num_agpr, 0
	.set _ZN7rocprim17ROCPRIM_400000_NS6detail17trampoline_kernelINS0_14default_configENS1_22reduce_config_selectorIyEEZNS1_11reduce_implILb1ES3_N6thrust23THRUST_200600_302600_NS6detail15normal_iteratorINS8_10device_ptrIyEEEEPyyNS8_4plusIyEEEE10hipError_tPvRmT1_T2_T3_mT4_P12ihipStream_tbEUlT_E0_NS1_11comp_targetILNS1_3genE0ELNS1_11target_archE4294967295ELNS1_3gpuE0ELNS1_3repE0EEENS1_30default_config_static_selectorELNS0_4arch9wavefront6targetE1EEEvSK_.numbered_sgpr, 48
	.set _ZN7rocprim17ROCPRIM_400000_NS6detail17trampoline_kernelINS0_14default_configENS1_22reduce_config_selectorIyEEZNS1_11reduce_implILb1ES3_N6thrust23THRUST_200600_302600_NS6detail15normal_iteratorINS8_10device_ptrIyEEEEPyyNS8_4plusIyEEEE10hipError_tPvRmT1_T2_T3_mT4_P12ihipStream_tbEUlT_E0_NS1_11comp_targetILNS1_3genE0ELNS1_11target_archE4294967295ELNS1_3gpuE0ELNS1_3repE0EEENS1_30default_config_static_selectorELNS0_4arch9wavefront6targetE1EEEvSK_.num_named_barrier, 0
	.set _ZN7rocprim17ROCPRIM_400000_NS6detail17trampoline_kernelINS0_14default_configENS1_22reduce_config_selectorIyEEZNS1_11reduce_implILb1ES3_N6thrust23THRUST_200600_302600_NS6detail15normal_iteratorINS8_10device_ptrIyEEEEPyyNS8_4plusIyEEEE10hipError_tPvRmT1_T2_T3_mT4_P12ihipStream_tbEUlT_E0_NS1_11comp_targetILNS1_3genE0ELNS1_11target_archE4294967295ELNS1_3gpuE0ELNS1_3repE0EEENS1_30default_config_static_selectorELNS0_4arch9wavefront6targetE1EEEvSK_.private_seg_size, 0
	.set _ZN7rocprim17ROCPRIM_400000_NS6detail17trampoline_kernelINS0_14default_configENS1_22reduce_config_selectorIyEEZNS1_11reduce_implILb1ES3_N6thrust23THRUST_200600_302600_NS6detail15normal_iteratorINS8_10device_ptrIyEEEEPyyNS8_4plusIyEEEE10hipError_tPvRmT1_T2_T3_mT4_P12ihipStream_tbEUlT_E0_NS1_11comp_targetILNS1_3genE0ELNS1_11target_archE4294967295ELNS1_3gpuE0ELNS1_3repE0EEENS1_30default_config_static_selectorELNS0_4arch9wavefront6targetE1EEEvSK_.uses_vcc, 1
	.set _ZN7rocprim17ROCPRIM_400000_NS6detail17trampoline_kernelINS0_14default_configENS1_22reduce_config_selectorIyEEZNS1_11reduce_implILb1ES3_N6thrust23THRUST_200600_302600_NS6detail15normal_iteratorINS8_10device_ptrIyEEEEPyyNS8_4plusIyEEEE10hipError_tPvRmT1_T2_T3_mT4_P12ihipStream_tbEUlT_E0_NS1_11comp_targetILNS1_3genE0ELNS1_11target_archE4294967295ELNS1_3gpuE0ELNS1_3repE0EEENS1_30default_config_static_selectorELNS0_4arch9wavefront6targetE1EEEvSK_.uses_flat_scratch, 0
	.set _ZN7rocprim17ROCPRIM_400000_NS6detail17trampoline_kernelINS0_14default_configENS1_22reduce_config_selectorIyEEZNS1_11reduce_implILb1ES3_N6thrust23THRUST_200600_302600_NS6detail15normal_iteratorINS8_10device_ptrIyEEEEPyyNS8_4plusIyEEEE10hipError_tPvRmT1_T2_T3_mT4_P12ihipStream_tbEUlT_E0_NS1_11comp_targetILNS1_3genE0ELNS1_11target_archE4294967295ELNS1_3gpuE0ELNS1_3repE0EEENS1_30default_config_static_selectorELNS0_4arch9wavefront6targetE1EEEvSK_.has_dyn_sized_stack, 0
	.set _ZN7rocprim17ROCPRIM_400000_NS6detail17trampoline_kernelINS0_14default_configENS1_22reduce_config_selectorIyEEZNS1_11reduce_implILb1ES3_N6thrust23THRUST_200600_302600_NS6detail15normal_iteratorINS8_10device_ptrIyEEEEPyyNS8_4plusIyEEEE10hipError_tPvRmT1_T2_T3_mT4_P12ihipStream_tbEUlT_E0_NS1_11comp_targetILNS1_3genE0ELNS1_11target_archE4294967295ELNS1_3gpuE0ELNS1_3repE0EEENS1_30default_config_static_selectorELNS0_4arch9wavefront6targetE1EEEvSK_.has_recursion, 0
	.set _ZN7rocprim17ROCPRIM_400000_NS6detail17trampoline_kernelINS0_14default_configENS1_22reduce_config_selectorIyEEZNS1_11reduce_implILb1ES3_N6thrust23THRUST_200600_302600_NS6detail15normal_iteratorINS8_10device_ptrIyEEEEPyyNS8_4plusIyEEEE10hipError_tPvRmT1_T2_T3_mT4_P12ihipStream_tbEUlT_E0_NS1_11comp_targetILNS1_3genE0ELNS1_11target_archE4294967295ELNS1_3gpuE0ELNS1_3repE0EEENS1_30default_config_static_selectorELNS0_4arch9wavefront6targetE1EEEvSK_.has_indirect_call, 0
	.section	.AMDGPU.csdata,"",@progbits
; Kernel info:
; codeLenInByte = 3264
; TotalNumSgprs: 54
; NumVgprs: 68
; NumAgprs: 0
; TotalNumVgprs: 68
; ScratchSize: 0
; MemoryBound: 0
; FloatMode: 240
; IeeeMode: 1
; LDSByteSize: 64 bytes/workgroup (compile time only)
; SGPRBlocks: 6
; VGPRBlocks: 8
; NumSGPRsForWavesPerEU: 54
; NumVGPRsForWavesPerEU: 68
; AccumOffset: 68
; Occupancy: 7
; WaveLimiterHint : 1
; COMPUTE_PGM_RSRC2:SCRATCH_EN: 0
; COMPUTE_PGM_RSRC2:USER_SGPR: 2
; COMPUTE_PGM_RSRC2:TRAP_HANDLER: 0
; COMPUTE_PGM_RSRC2:TGID_X_EN: 1
; COMPUTE_PGM_RSRC2:TGID_Y_EN: 0
; COMPUTE_PGM_RSRC2:TGID_Z_EN: 0
; COMPUTE_PGM_RSRC2:TIDIG_COMP_CNT: 0
; COMPUTE_PGM_RSRC3_GFX90A:ACCUM_OFFSET: 16
; COMPUTE_PGM_RSRC3_GFX90A:TG_SPLIT: 0
	.section	.text._ZN7rocprim17ROCPRIM_400000_NS6detail17trampoline_kernelINS0_14default_configENS1_22reduce_config_selectorIyEEZNS1_11reduce_implILb1ES3_N6thrust23THRUST_200600_302600_NS6detail15normal_iteratorINS8_10device_ptrIyEEEEPyyNS8_4plusIyEEEE10hipError_tPvRmT1_T2_T3_mT4_P12ihipStream_tbEUlT_E0_NS1_11comp_targetILNS1_3genE5ELNS1_11target_archE942ELNS1_3gpuE9ELNS1_3repE0EEENS1_30default_config_static_selectorELNS0_4arch9wavefront6targetE1EEEvSK_,"axG",@progbits,_ZN7rocprim17ROCPRIM_400000_NS6detail17trampoline_kernelINS0_14default_configENS1_22reduce_config_selectorIyEEZNS1_11reduce_implILb1ES3_N6thrust23THRUST_200600_302600_NS6detail15normal_iteratorINS8_10device_ptrIyEEEEPyyNS8_4plusIyEEEE10hipError_tPvRmT1_T2_T3_mT4_P12ihipStream_tbEUlT_E0_NS1_11comp_targetILNS1_3genE5ELNS1_11target_archE942ELNS1_3gpuE9ELNS1_3repE0EEENS1_30default_config_static_selectorELNS0_4arch9wavefront6targetE1EEEvSK_,comdat
	.protected	_ZN7rocprim17ROCPRIM_400000_NS6detail17trampoline_kernelINS0_14default_configENS1_22reduce_config_selectorIyEEZNS1_11reduce_implILb1ES3_N6thrust23THRUST_200600_302600_NS6detail15normal_iteratorINS8_10device_ptrIyEEEEPyyNS8_4plusIyEEEE10hipError_tPvRmT1_T2_T3_mT4_P12ihipStream_tbEUlT_E0_NS1_11comp_targetILNS1_3genE5ELNS1_11target_archE942ELNS1_3gpuE9ELNS1_3repE0EEENS1_30default_config_static_selectorELNS0_4arch9wavefront6targetE1EEEvSK_ ; -- Begin function _ZN7rocprim17ROCPRIM_400000_NS6detail17trampoline_kernelINS0_14default_configENS1_22reduce_config_selectorIyEEZNS1_11reduce_implILb1ES3_N6thrust23THRUST_200600_302600_NS6detail15normal_iteratorINS8_10device_ptrIyEEEEPyyNS8_4plusIyEEEE10hipError_tPvRmT1_T2_T3_mT4_P12ihipStream_tbEUlT_E0_NS1_11comp_targetILNS1_3genE5ELNS1_11target_archE942ELNS1_3gpuE9ELNS1_3repE0EEENS1_30default_config_static_selectorELNS0_4arch9wavefront6targetE1EEEvSK_
	.globl	_ZN7rocprim17ROCPRIM_400000_NS6detail17trampoline_kernelINS0_14default_configENS1_22reduce_config_selectorIyEEZNS1_11reduce_implILb1ES3_N6thrust23THRUST_200600_302600_NS6detail15normal_iteratorINS8_10device_ptrIyEEEEPyyNS8_4plusIyEEEE10hipError_tPvRmT1_T2_T3_mT4_P12ihipStream_tbEUlT_E0_NS1_11comp_targetILNS1_3genE5ELNS1_11target_archE942ELNS1_3gpuE9ELNS1_3repE0EEENS1_30default_config_static_selectorELNS0_4arch9wavefront6targetE1EEEvSK_
	.p2align	8
	.type	_ZN7rocprim17ROCPRIM_400000_NS6detail17trampoline_kernelINS0_14default_configENS1_22reduce_config_selectorIyEEZNS1_11reduce_implILb1ES3_N6thrust23THRUST_200600_302600_NS6detail15normal_iteratorINS8_10device_ptrIyEEEEPyyNS8_4plusIyEEEE10hipError_tPvRmT1_T2_T3_mT4_P12ihipStream_tbEUlT_E0_NS1_11comp_targetILNS1_3genE5ELNS1_11target_archE942ELNS1_3gpuE9ELNS1_3repE0EEENS1_30default_config_static_selectorELNS0_4arch9wavefront6targetE1EEEvSK_,@function
_ZN7rocprim17ROCPRIM_400000_NS6detail17trampoline_kernelINS0_14default_configENS1_22reduce_config_selectorIyEEZNS1_11reduce_implILb1ES3_N6thrust23THRUST_200600_302600_NS6detail15normal_iteratorINS8_10device_ptrIyEEEEPyyNS8_4plusIyEEEE10hipError_tPvRmT1_T2_T3_mT4_P12ihipStream_tbEUlT_E0_NS1_11comp_targetILNS1_3genE5ELNS1_11target_archE942ELNS1_3gpuE9ELNS1_3repE0EEENS1_30default_config_static_selectorELNS0_4arch9wavefront6targetE1EEEvSK_: ; @_ZN7rocprim17ROCPRIM_400000_NS6detail17trampoline_kernelINS0_14default_configENS1_22reduce_config_selectorIyEEZNS1_11reduce_implILb1ES3_N6thrust23THRUST_200600_302600_NS6detail15normal_iteratorINS8_10device_ptrIyEEEEPyyNS8_4plusIyEEEE10hipError_tPvRmT1_T2_T3_mT4_P12ihipStream_tbEUlT_E0_NS1_11comp_targetILNS1_3genE5ELNS1_11target_archE942ELNS1_3gpuE9ELNS1_3repE0EEENS1_30default_config_static_selectorELNS0_4arch9wavefront6targetE1EEEvSK_
; %bb.0:
	.section	.rodata,"a",@progbits
	.p2align	6, 0x0
	.amdhsa_kernel _ZN7rocprim17ROCPRIM_400000_NS6detail17trampoline_kernelINS0_14default_configENS1_22reduce_config_selectorIyEEZNS1_11reduce_implILb1ES3_N6thrust23THRUST_200600_302600_NS6detail15normal_iteratorINS8_10device_ptrIyEEEEPyyNS8_4plusIyEEEE10hipError_tPvRmT1_T2_T3_mT4_P12ihipStream_tbEUlT_E0_NS1_11comp_targetILNS1_3genE5ELNS1_11target_archE942ELNS1_3gpuE9ELNS1_3repE0EEENS1_30default_config_static_selectorELNS0_4arch9wavefront6targetE1EEEvSK_
		.amdhsa_group_segment_fixed_size 0
		.amdhsa_private_segment_fixed_size 0
		.amdhsa_kernarg_size 64
		.amdhsa_user_sgpr_count 2
		.amdhsa_user_sgpr_dispatch_ptr 0
		.amdhsa_user_sgpr_queue_ptr 0
		.amdhsa_user_sgpr_kernarg_segment_ptr 1
		.amdhsa_user_sgpr_dispatch_id 0
		.amdhsa_user_sgpr_kernarg_preload_length 0
		.amdhsa_user_sgpr_kernarg_preload_offset 0
		.amdhsa_user_sgpr_private_segment_size 0
		.amdhsa_uses_dynamic_stack 0
		.amdhsa_enable_private_segment 0
		.amdhsa_system_sgpr_workgroup_id_x 1
		.amdhsa_system_sgpr_workgroup_id_y 0
		.amdhsa_system_sgpr_workgroup_id_z 0
		.amdhsa_system_sgpr_workgroup_info 0
		.amdhsa_system_vgpr_workitem_id 0
		.amdhsa_next_free_vgpr 1
		.amdhsa_next_free_sgpr 0
		.amdhsa_accum_offset 4
		.amdhsa_reserve_vcc 0
		.amdhsa_float_round_mode_32 0
		.amdhsa_float_round_mode_16_64 0
		.amdhsa_float_denorm_mode_32 3
		.amdhsa_float_denorm_mode_16_64 3
		.amdhsa_dx10_clamp 1
		.amdhsa_ieee_mode 1
		.amdhsa_fp16_overflow 0
		.amdhsa_tg_split 0
		.amdhsa_exception_fp_ieee_invalid_op 0
		.amdhsa_exception_fp_denorm_src 0
		.amdhsa_exception_fp_ieee_div_zero 0
		.amdhsa_exception_fp_ieee_overflow 0
		.amdhsa_exception_fp_ieee_underflow 0
		.amdhsa_exception_fp_ieee_inexact 0
		.amdhsa_exception_int_div_zero 0
	.end_amdhsa_kernel
	.section	.text._ZN7rocprim17ROCPRIM_400000_NS6detail17trampoline_kernelINS0_14default_configENS1_22reduce_config_selectorIyEEZNS1_11reduce_implILb1ES3_N6thrust23THRUST_200600_302600_NS6detail15normal_iteratorINS8_10device_ptrIyEEEEPyyNS8_4plusIyEEEE10hipError_tPvRmT1_T2_T3_mT4_P12ihipStream_tbEUlT_E0_NS1_11comp_targetILNS1_3genE5ELNS1_11target_archE942ELNS1_3gpuE9ELNS1_3repE0EEENS1_30default_config_static_selectorELNS0_4arch9wavefront6targetE1EEEvSK_,"axG",@progbits,_ZN7rocprim17ROCPRIM_400000_NS6detail17trampoline_kernelINS0_14default_configENS1_22reduce_config_selectorIyEEZNS1_11reduce_implILb1ES3_N6thrust23THRUST_200600_302600_NS6detail15normal_iteratorINS8_10device_ptrIyEEEEPyyNS8_4plusIyEEEE10hipError_tPvRmT1_T2_T3_mT4_P12ihipStream_tbEUlT_E0_NS1_11comp_targetILNS1_3genE5ELNS1_11target_archE942ELNS1_3gpuE9ELNS1_3repE0EEENS1_30default_config_static_selectorELNS0_4arch9wavefront6targetE1EEEvSK_,comdat
.Lfunc_end95:
	.size	_ZN7rocprim17ROCPRIM_400000_NS6detail17trampoline_kernelINS0_14default_configENS1_22reduce_config_selectorIyEEZNS1_11reduce_implILb1ES3_N6thrust23THRUST_200600_302600_NS6detail15normal_iteratorINS8_10device_ptrIyEEEEPyyNS8_4plusIyEEEE10hipError_tPvRmT1_T2_T3_mT4_P12ihipStream_tbEUlT_E0_NS1_11comp_targetILNS1_3genE5ELNS1_11target_archE942ELNS1_3gpuE9ELNS1_3repE0EEENS1_30default_config_static_selectorELNS0_4arch9wavefront6targetE1EEEvSK_, .Lfunc_end95-_ZN7rocprim17ROCPRIM_400000_NS6detail17trampoline_kernelINS0_14default_configENS1_22reduce_config_selectorIyEEZNS1_11reduce_implILb1ES3_N6thrust23THRUST_200600_302600_NS6detail15normal_iteratorINS8_10device_ptrIyEEEEPyyNS8_4plusIyEEEE10hipError_tPvRmT1_T2_T3_mT4_P12ihipStream_tbEUlT_E0_NS1_11comp_targetILNS1_3genE5ELNS1_11target_archE942ELNS1_3gpuE9ELNS1_3repE0EEENS1_30default_config_static_selectorELNS0_4arch9wavefront6targetE1EEEvSK_
                                        ; -- End function
	.set _ZN7rocprim17ROCPRIM_400000_NS6detail17trampoline_kernelINS0_14default_configENS1_22reduce_config_selectorIyEEZNS1_11reduce_implILb1ES3_N6thrust23THRUST_200600_302600_NS6detail15normal_iteratorINS8_10device_ptrIyEEEEPyyNS8_4plusIyEEEE10hipError_tPvRmT1_T2_T3_mT4_P12ihipStream_tbEUlT_E0_NS1_11comp_targetILNS1_3genE5ELNS1_11target_archE942ELNS1_3gpuE9ELNS1_3repE0EEENS1_30default_config_static_selectorELNS0_4arch9wavefront6targetE1EEEvSK_.num_vgpr, 0
	.set _ZN7rocprim17ROCPRIM_400000_NS6detail17trampoline_kernelINS0_14default_configENS1_22reduce_config_selectorIyEEZNS1_11reduce_implILb1ES3_N6thrust23THRUST_200600_302600_NS6detail15normal_iteratorINS8_10device_ptrIyEEEEPyyNS8_4plusIyEEEE10hipError_tPvRmT1_T2_T3_mT4_P12ihipStream_tbEUlT_E0_NS1_11comp_targetILNS1_3genE5ELNS1_11target_archE942ELNS1_3gpuE9ELNS1_3repE0EEENS1_30default_config_static_selectorELNS0_4arch9wavefront6targetE1EEEvSK_.num_agpr, 0
	.set _ZN7rocprim17ROCPRIM_400000_NS6detail17trampoline_kernelINS0_14default_configENS1_22reduce_config_selectorIyEEZNS1_11reduce_implILb1ES3_N6thrust23THRUST_200600_302600_NS6detail15normal_iteratorINS8_10device_ptrIyEEEEPyyNS8_4plusIyEEEE10hipError_tPvRmT1_T2_T3_mT4_P12ihipStream_tbEUlT_E0_NS1_11comp_targetILNS1_3genE5ELNS1_11target_archE942ELNS1_3gpuE9ELNS1_3repE0EEENS1_30default_config_static_selectorELNS0_4arch9wavefront6targetE1EEEvSK_.numbered_sgpr, 0
	.set _ZN7rocprim17ROCPRIM_400000_NS6detail17trampoline_kernelINS0_14default_configENS1_22reduce_config_selectorIyEEZNS1_11reduce_implILb1ES3_N6thrust23THRUST_200600_302600_NS6detail15normal_iteratorINS8_10device_ptrIyEEEEPyyNS8_4plusIyEEEE10hipError_tPvRmT1_T2_T3_mT4_P12ihipStream_tbEUlT_E0_NS1_11comp_targetILNS1_3genE5ELNS1_11target_archE942ELNS1_3gpuE9ELNS1_3repE0EEENS1_30default_config_static_selectorELNS0_4arch9wavefront6targetE1EEEvSK_.num_named_barrier, 0
	.set _ZN7rocprim17ROCPRIM_400000_NS6detail17trampoline_kernelINS0_14default_configENS1_22reduce_config_selectorIyEEZNS1_11reduce_implILb1ES3_N6thrust23THRUST_200600_302600_NS6detail15normal_iteratorINS8_10device_ptrIyEEEEPyyNS8_4plusIyEEEE10hipError_tPvRmT1_T2_T3_mT4_P12ihipStream_tbEUlT_E0_NS1_11comp_targetILNS1_3genE5ELNS1_11target_archE942ELNS1_3gpuE9ELNS1_3repE0EEENS1_30default_config_static_selectorELNS0_4arch9wavefront6targetE1EEEvSK_.private_seg_size, 0
	.set _ZN7rocprim17ROCPRIM_400000_NS6detail17trampoline_kernelINS0_14default_configENS1_22reduce_config_selectorIyEEZNS1_11reduce_implILb1ES3_N6thrust23THRUST_200600_302600_NS6detail15normal_iteratorINS8_10device_ptrIyEEEEPyyNS8_4plusIyEEEE10hipError_tPvRmT1_T2_T3_mT4_P12ihipStream_tbEUlT_E0_NS1_11comp_targetILNS1_3genE5ELNS1_11target_archE942ELNS1_3gpuE9ELNS1_3repE0EEENS1_30default_config_static_selectorELNS0_4arch9wavefront6targetE1EEEvSK_.uses_vcc, 0
	.set _ZN7rocprim17ROCPRIM_400000_NS6detail17trampoline_kernelINS0_14default_configENS1_22reduce_config_selectorIyEEZNS1_11reduce_implILb1ES3_N6thrust23THRUST_200600_302600_NS6detail15normal_iteratorINS8_10device_ptrIyEEEEPyyNS8_4plusIyEEEE10hipError_tPvRmT1_T2_T3_mT4_P12ihipStream_tbEUlT_E0_NS1_11comp_targetILNS1_3genE5ELNS1_11target_archE942ELNS1_3gpuE9ELNS1_3repE0EEENS1_30default_config_static_selectorELNS0_4arch9wavefront6targetE1EEEvSK_.uses_flat_scratch, 0
	.set _ZN7rocprim17ROCPRIM_400000_NS6detail17trampoline_kernelINS0_14default_configENS1_22reduce_config_selectorIyEEZNS1_11reduce_implILb1ES3_N6thrust23THRUST_200600_302600_NS6detail15normal_iteratorINS8_10device_ptrIyEEEEPyyNS8_4plusIyEEEE10hipError_tPvRmT1_T2_T3_mT4_P12ihipStream_tbEUlT_E0_NS1_11comp_targetILNS1_3genE5ELNS1_11target_archE942ELNS1_3gpuE9ELNS1_3repE0EEENS1_30default_config_static_selectorELNS0_4arch9wavefront6targetE1EEEvSK_.has_dyn_sized_stack, 0
	.set _ZN7rocprim17ROCPRIM_400000_NS6detail17trampoline_kernelINS0_14default_configENS1_22reduce_config_selectorIyEEZNS1_11reduce_implILb1ES3_N6thrust23THRUST_200600_302600_NS6detail15normal_iteratorINS8_10device_ptrIyEEEEPyyNS8_4plusIyEEEE10hipError_tPvRmT1_T2_T3_mT4_P12ihipStream_tbEUlT_E0_NS1_11comp_targetILNS1_3genE5ELNS1_11target_archE942ELNS1_3gpuE9ELNS1_3repE0EEENS1_30default_config_static_selectorELNS0_4arch9wavefront6targetE1EEEvSK_.has_recursion, 0
	.set _ZN7rocprim17ROCPRIM_400000_NS6detail17trampoline_kernelINS0_14default_configENS1_22reduce_config_selectorIyEEZNS1_11reduce_implILb1ES3_N6thrust23THRUST_200600_302600_NS6detail15normal_iteratorINS8_10device_ptrIyEEEEPyyNS8_4plusIyEEEE10hipError_tPvRmT1_T2_T3_mT4_P12ihipStream_tbEUlT_E0_NS1_11comp_targetILNS1_3genE5ELNS1_11target_archE942ELNS1_3gpuE9ELNS1_3repE0EEENS1_30default_config_static_selectorELNS0_4arch9wavefront6targetE1EEEvSK_.has_indirect_call, 0
	.section	.AMDGPU.csdata,"",@progbits
; Kernel info:
; codeLenInByte = 0
; TotalNumSgprs: 6
; NumVgprs: 0
; NumAgprs: 0
; TotalNumVgprs: 0
; ScratchSize: 0
; MemoryBound: 0
; FloatMode: 240
; IeeeMode: 1
; LDSByteSize: 0 bytes/workgroup (compile time only)
; SGPRBlocks: 0
; VGPRBlocks: 0
; NumSGPRsForWavesPerEU: 6
; NumVGPRsForWavesPerEU: 1
; AccumOffset: 4
; Occupancy: 8
; WaveLimiterHint : 0
; COMPUTE_PGM_RSRC2:SCRATCH_EN: 0
; COMPUTE_PGM_RSRC2:USER_SGPR: 2
; COMPUTE_PGM_RSRC2:TRAP_HANDLER: 0
; COMPUTE_PGM_RSRC2:TGID_X_EN: 1
; COMPUTE_PGM_RSRC2:TGID_Y_EN: 0
; COMPUTE_PGM_RSRC2:TGID_Z_EN: 0
; COMPUTE_PGM_RSRC2:TIDIG_COMP_CNT: 0
; COMPUTE_PGM_RSRC3_GFX90A:ACCUM_OFFSET: 0
; COMPUTE_PGM_RSRC3_GFX90A:TG_SPLIT: 0
	.section	.text._ZN7rocprim17ROCPRIM_400000_NS6detail17trampoline_kernelINS0_14default_configENS1_22reduce_config_selectorIyEEZNS1_11reduce_implILb1ES3_N6thrust23THRUST_200600_302600_NS6detail15normal_iteratorINS8_10device_ptrIyEEEEPyyNS8_4plusIyEEEE10hipError_tPvRmT1_T2_T3_mT4_P12ihipStream_tbEUlT_E0_NS1_11comp_targetILNS1_3genE4ELNS1_11target_archE910ELNS1_3gpuE8ELNS1_3repE0EEENS1_30default_config_static_selectorELNS0_4arch9wavefront6targetE1EEEvSK_,"axG",@progbits,_ZN7rocprim17ROCPRIM_400000_NS6detail17trampoline_kernelINS0_14default_configENS1_22reduce_config_selectorIyEEZNS1_11reduce_implILb1ES3_N6thrust23THRUST_200600_302600_NS6detail15normal_iteratorINS8_10device_ptrIyEEEEPyyNS8_4plusIyEEEE10hipError_tPvRmT1_T2_T3_mT4_P12ihipStream_tbEUlT_E0_NS1_11comp_targetILNS1_3genE4ELNS1_11target_archE910ELNS1_3gpuE8ELNS1_3repE0EEENS1_30default_config_static_selectorELNS0_4arch9wavefront6targetE1EEEvSK_,comdat
	.protected	_ZN7rocprim17ROCPRIM_400000_NS6detail17trampoline_kernelINS0_14default_configENS1_22reduce_config_selectorIyEEZNS1_11reduce_implILb1ES3_N6thrust23THRUST_200600_302600_NS6detail15normal_iteratorINS8_10device_ptrIyEEEEPyyNS8_4plusIyEEEE10hipError_tPvRmT1_T2_T3_mT4_P12ihipStream_tbEUlT_E0_NS1_11comp_targetILNS1_3genE4ELNS1_11target_archE910ELNS1_3gpuE8ELNS1_3repE0EEENS1_30default_config_static_selectorELNS0_4arch9wavefront6targetE1EEEvSK_ ; -- Begin function _ZN7rocprim17ROCPRIM_400000_NS6detail17trampoline_kernelINS0_14default_configENS1_22reduce_config_selectorIyEEZNS1_11reduce_implILb1ES3_N6thrust23THRUST_200600_302600_NS6detail15normal_iteratorINS8_10device_ptrIyEEEEPyyNS8_4plusIyEEEE10hipError_tPvRmT1_T2_T3_mT4_P12ihipStream_tbEUlT_E0_NS1_11comp_targetILNS1_3genE4ELNS1_11target_archE910ELNS1_3gpuE8ELNS1_3repE0EEENS1_30default_config_static_selectorELNS0_4arch9wavefront6targetE1EEEvSK_
	.globl	_ZN7rocprim17ROCPRIM_400000_NS6detail17trampoline_kernelINS0_14default_configENS1_22reduce_config_selectorIyEEZNS1_11reduce_implILb1ES3_N6thrust23THRUST_200600_302600_NS6detail15normal_iteratorINS8_10device_ptrIyEEEEPyyNS8_4plusIyEEEE10hipError_tPvRmT1_T2_T3_mT4_P12ihipStream_tbEUlT_E0_NS1_11comp_targetILNS1_3genE4ELNS1_11target_archE910ELNS1_3gpuE8ELNS1_3repE0EEENS1_30default_config_static_selectorELNS0_4arch9wavefront6targetE1EEEvSK_
	.p2align	8
	.type	_ZN7rocprim17ROCPRIM_400000_NS6detail17trampoline_kernelINS0_14default_configENS1_22reduce_config_selectorIyEEZNS1_11reduce_implILb1ES3_N6thrust23THRUST_200600_302600_NS6detail15normal_iteratorINS8_10device_ptrIyEEEEPyyNS8_4plusIyEEEE10hipError_tPvRmT1_T2_T3_mT4_P12ihipStream_tbEUlT_E0_NS1_11comp_targetILNS1_3genE4ELNS1_11target_archE910ELNS1_3gpuE8ELNS1_3repE0EEENS1_30default_config_static_selectorELNS0_4arch9wavefront6targetE1EEEvSK_,@function
_ZN7rocprim17ROCPRIM_400000_NS6detail17trampoline_kernelINS0_14default_configENS1_22reduce_config_selectorIyEEZNS1_11reduce_implILb1ES3_N6thrust23THRUST_200600_302600_NS6detail15normal_iteratorINS8_10device_ptrIyEEEEPyyNS8_4plusIyEEEE10hipError_tPvRmT1_T2_T3_mT4_P12ihipStream_tbEUlT_E0_NS1_11comp_targetILNS1_3genE4ELNS1_11target_archE910ELNS1_3gpuE8ELNS1_3repE0EEENS1_30default_config_static_selectorELNS0_4arch9wavefront6targetE1EEEvSK_: ; @_ZN7rocprim17ROCPRIM_400000_NS6detail17trampoline_kernelINS0_14default_configENS1_22reduce_config_selectorIyEEZNS1_11reduce_implILb1ES3_N6thrust23THRUST_200600_302600_NS6detail15normal_iteratorINS8_10device_ptrIyEEEEPyyNS8_4plusIyEEEE10hipError_tPvRmT1_T2_T3_mT4_P12ihipStream_tbEUlT_E0_NS1_11comp_targetILNS1_3genE4ELNS1_11target_archE910ELNS1_3gpuE8ELNS1_3repE0EEENS1_30default_config_static_selectorELNS0_4arch9wavefront6targetE1EEEvSK_
; %bb.0:
	.section	.rodata,"a",@progbits
	.p2align	6, 0x0
	.amdhsa_kernel _ZN7rocprim17ROCPRIM_400000_NS6detail17trampoline_kernelINS0_14default_configENS1_22reduce_config_selectorIyEEZNS1_11reduce_implILb1ES3_N6thrust23THRUST_200600_302600_NS6detail15normal_iteratorINS8_10device_ptrIyEEEEPyyNS8_4plusIyEEEE10hipError_tPvRmT1_T2_T3_mT4_P12ihipStream_tbEUlT_E0_NS1_11comp_targetILNS1_3genE4ELNS1_11target_archE910ELNS1_3gpuE8ELNS1_3repE0EEENS1_30default_config_static_selectorELNS0_4arch9wavefront6targetE1EEEvSK_
		.amdhsa_group_segment_fixed_size 0
		.amdhsa_private_segment_fixed_size 0
		.amdhsa_kernarg_size 64
		.amdhsa_user_sgpr_count 2
		.amdhsa_user_sgpr_dispatch_ptr 0
		.amdhsa_user_sgpr_queue_ptr 0
		.amdhsa_user_sgpr_kernarg_segment_ptr 1
		.amdhsa_user_sgpr_dispatch_id 0
		.amdhsa_user_sgpr_kernarg_preload_length 0
		.amdhsa_user_sgpr_kernarg_preload_offset 0
		.amdhsa_user_sgpr_private_segment_size 0
		.amdhsa_uses_dynamic_stack 0
		.amdhsa_enable_private_segment 0
		.amdhsa_system_sgpr_workgroup_id_x 1
		.amdhsa_system_sgpr_workgroup_id_y 0
		.amdhsa_system_sgpr_workgroup_id_z 0
		.amdhsa_system_sgpr_workgroup_info 0
		.amdhsa_system_vgpr_workitem_id 0
		.amdhsa_next_free_vgpr 1
		.amdhsa_next_free_sgpr 0
		.amdhsa_accum_offset 4
		.amdhsa_reserve_vcc 0
		.amdhsa_float_round_mode_32 0
		.amdhsa_float_round_mode_16_64 0
		.amdhsa_float_denorm_mode_32 3
		.amdhsa_float_denorm_mode_16_64 3
		.amdhsa_dx10_clamp 1
		.amdhsa_ieee_mode 1
		.amdhsa_fp16_overflow 0
		.amdhsa_tg_split 0
		.amdhsa_exception_fp_ieee_invalid_op 0
		.amdhsa_exception_fp_denorm_src 0
		.amdhsa_exception_fp_ieee_div_zero 0
		.amdhsa_exception_fp_ieee_overflow 0
		.amdhsa_exception_fp_ieee_underflow 0
		.amdhsa_exception_fp_ieee_inexact 0
		.amdhsa_exception_int_div_zero 0
	.end_amdhsa_kernel
	.section	.text._ZN7rocprim17ROCPRIM_400000_NS6detail17trampoline_kernelINS0_14default_configENS1_22reduce_config_selectorIyEEZNS1_11reduce_implILb1ES3_N6thrust23THRUST_200600_302600_NS6detail15normal_iteratorINS8_10device_ptrIyEEEEPyyNS8_4plusIyEEEE10hipError_tPvRmT1_T2_T3_mT4_P12ihipStream_tbEUlT_E0_NS1_11comp_targetILNS1_3genE4ELNS1_11target_archE910ELNS1_3gpuE8ELNS1_3repE0EEENS1_30default_config_static_selectorELNS0_4arch9wavefront6targetE1EEEvSK_,"axG",@progbits,_ZN7rocprim17ROCPRIM_400000_NS6detail17trampoline_kernelINS0_14default_configENS1_22reduce_config_selectorIyEEZNS1_11reduce_implILb1ES3_N6thrust23THRUST_200600_302600_NS6detail15normal_iteratorINS8_10device_ptrIyEEEEPyyNS8_4plusIyEEEE10hipError_tPvRmT1_T2_T3_mT4_P12ihipStream_tbEUlT_E0_NS1_11comp_targetILNS1_3genE4ELNS1_11target_archE910ELNS1_3gpuE8ELNS1_3repE0EEENS1_30default_config_static_selectorELNS0_4arch9wavefront6targetE1EEEvSK_,comdat
.Lfunc_end96:
	.size	_ZN7rocprim17ROCPRIM_400000_NS6detail17trampoline_kernelINS0_14default_configENS1_22reduce_config_selectorIyEEZNS1_11reduce_implILb1ES3_N6thrust23THRUST_200600_302600_NS6detail15normal_iteratorINS8_10device_ptrIyEEEEPyyNS8_4plusIyEEEE10hipError_tPvRmT1_T2_T3_mT4_P12ihipStream_tbEUlT_E0_NS1_11comp_targetILNS1_3genE4ELNS1_11target_archE910ELNS1_3gpuE8ELNS1_3repE0EEENS1_30default_config_static_selectorELNS0_4arch9wavefront6targetE1EEEvSK_, .Lfunc_end96-_ZN7rocprim17ROCPRIM_400000_NS6detail17trampoline_kernelINS0_14default_configENS1_22reduce_config_selectorIyEEZNS1_11reduce_implILb1ES3_N6thrust23THRUST_200600_302600_NS6detail15normal_iteratorINS8_10device_ptrIyEEEEPyyNS8_4plusIyEEEE10hipError_tPvRmT1_T2_T3_mT4_P12ihipStream_tbEUlT_E0_NS1_11comp_targetILNS1_3genE4ELNS1_11target_archE910ELNS1_3gpuE8ELNS1_3repE0EEENS1_30default_config_static_selectorELNS0_4arch9wavefront6targetE1EEEvSK_
                                        ; -- End function
	.set _ZN7rocprim17ROCPRIM_400000_NS6detail17trampoline_kernelINS0_14default_configENS1_22reduce_config_selectorIyEEZNS1_11reduce_implILb1ES3_N6thrust23THRUST_200600_302600_NS6detail15normal_iteratorINS8_10device_ptrIyEEEEPyyNS8_4plusIyEEEE10hipError_tPvRmT1_T2_T3_mT4_P12ihipStream_tbEUlT_E0_NS1_11comp_targetILNS1_3genE4ELNS1_11target_archE910ELNS1_3gpuE8ELNS1_3repE0EEENS1_30default_config_static_selectorELNS0_4arch9wavefront6targetE1EEEvSK_.num_vgpr, 0
	.set _ZN7rocprim17ROCPRIM_400000_NS6detail17trampoline_kernelINS0_14default_configENS1_22reduce_config_selectorIyEEZNS1_11reduce_implILb1ES3_N6thrust23THRUST_200600_302600_NS6detail15normal_iteratorINS8_10device_ptrIyEEEEPyyNS8_4plusIyEEEE10hipError_tPvRmT1_T2_T3_mT4_P12ihipStream_tbEUlT_E0_NS1_11comp_targetILNS1_3genE4ELNS1_11target_archE910ELNS1_3gpuE8ELNS1_3repE0EEENS1_30default_config_static_selectorELNS0_4arch9wavefront6targetE1EEEvSK_.num_agpr, 0
	.set _ZN7rocprim17ROCPRIM_400000_NS6detail17trampoline_kernelINS0_14default_configENS1_22reduce_config_selectorIyEEZNS1_11reduce_implILb1ES3_N6thrust23THRUST_200600_302600_NS6detail15normal_iteratorINS8_10device_ptrIyEEEEPyyNS8_4plusIyEEEE10hipError_tPvRmT1_T2_T3_mT4_P12ihipStream_tbEUlT_E0_NS1_11comp_targetILNS1_3genE4ELNS1_11target_archE910ELNS1_3gpuE8ELNS1_3repE0EEENS1_30default_config_static_selectorELNS0_4arch9wavefront6targetE1EEEvSK_.numbered_sgpr, 0
	.set _ZN7rocprim17ROCPRIM_400000_NS6detail17trampoline_kernelINS0_14default_configENS1_22reduce_config_selectorIyEEZNS1_11reduce_implILb1ES3_N6thrust23THRUST_200600_302600_NS6detail15normal_iteratorINS8_10device_ptrIyEEEEPyyNS8_4plusIyEEEE10hipError_tPvRmT1_T2_T3_mT4_P12ihipStream_tbEUlT_E0_NS1_11comp_targetILNS1_3genE4ELNS1_11target_archE910ELNS1_3gpuE8ELNS1_3repE0EEENS1_30default_config_static_selectorELNS0_4arch9wavefront6targetE1EEEvSK_.num_named_barrier, 0
	.set _ZN7rocprim17ROCPRIM_400000_NS6detail17trampoline_kernelINS0_14default_configENS1_22reduce_config_selectorIyEEZNS1_11reduce_implILb1ES3_N6thrust23THRUST_200600_302600_NS6detail15normal_iteratorINS8_10device_ptrIyEEEEPyyNS8_4plusIyEEEE10hipError_tPvRmT1_T2_T3_mT4_P12ihipStream_tbEUlT_E0_NS1_11comp_targetILNS1_3genE4ELNS1_11target_archE910ELNS1_3gpuE8ELNS1_3repE0EEENS1_30default_config_static_selectorELNS0_4arch9wavefront6targetE1EEEvSK_.private_seg_size, 0
	.set _ZN7rocprim17ROCPRIM_400000_NS6detail17trampoline_kernelINS0_14default_configENS1_22reduce_config_selectorIyEEZNS1_11reduce_implILb1ES3_N6thrust23THRUST_200600_302600_NS6detail15normal_iteratorINS8_10device_ptrIyEEEEPyyNS8_4plusIyEEEE10hipError_tPvRmT1_T2_T3_mT4_P12ihipStream_tbEUlT_E0_NS1_11comp_targetILNS1_3genE4ELNS1_11target_archE910ELNS1_3gpuE8ELNS1_3repE0EEENS1_30default_config_static_selectorELNS0_4arch9wavefront6targetE1EEEvSK_.uses_vcc, 0
	.set _ZN7rocprim17ROCPRIM_400000_NS6detail17trampoline_kernelINS0_14default_configENS1_22reduce_config_selectorIyEEZNS1_11reduce_implILb1ES3_N6thrust23THRUST_200600_302600_NS6detail15normal_iteratorINS8_10device_ptrIyEEEEPyyNS8_4plusIyEEEE10hipError_tPvRmT1_T2_T3_mT4_P12ihipStream_tbEUlT_E0_NS1_11comp_targetILNS1_3genE4ELNS1_11target_archE910ELNS1_3gpuE8ELNS1_3repE0EEENS1_30default_config_static_selectorELNS0_4arch9wavefront6targetE1EEEvSK_.uses_flat_scratch, 0
	.set _ZN7rocprim17ROCPRIM_400000_NS6detail17trampoline_kernelINS0_14default_configENS1_22reduce_config_selectorIyEEZNS1_11reduce_implILb1ES3_N6thrust23THRUST_200600_302600_NS6detail15normal_iteratorINS8_10device_ptrIyEEEEPyyNS8_4plusIyEEEE10hipError_tPvRmT1_T2_T3_mT4_P12ihipStream_tbEUlT_E0_NS1_11comp_targetILNS1_3genE4ELNS1_11target_archE910ELNS1_3gpuE8ELNS1_3repE0EEENS1_30default_config_static_selectorELNS0_4arch9wavefront6targetE1EEEvSK_.has_dyn_sized_stack, 0
	.set _ZN7rocprim17ROCPRIM_400000_NS6detail17trampoline_kernelINS0_14default_configENS1_22reduce_config_selectorIyEEZNS1_11reduce_implILb1ES3_N6thrust23THRUST_200600_302600_NS6detail15normal_iteratorINS8_10device_ptrIyEEEEPyyNS8_4plusIyEEEE10hipError_tPvRmT1_T2_T3_mT4_P12ihipStream_tbEUlT_E0_NS1_11comp_targetILNS1_3genE4ELNS1_11target_archE910ELNS1_3gpuE8ELNS1_3repE0EEENS1_30default_config_static_selectorELNS0_4arch9wavefront6targetE1EEEvSK_.has_recursion, 0
	.set _ZN7rocprim17ROCPRIM_400000_NS6detail17trampoline_kernelINS0_14default_configENS1_22reduce_config_selectorIyEEZNS1_11reduce_implILb1ES3_N6thrust23THRUST_200600_302600_NS6detail15normal_iteratorINS8_10device_ptrIyEEEEPyyNS8_4plusIyEEEE10hipError_tPvRmT1_T2_T3_mT4_P12ihipStream_tbEUlT_E0_NS1_11comp_targetILNS1_3genE4ELNS1_11target_archE910ELNS1_3gpuE8ELNS1_3repE0EEENS1_30default_config_static_selectorELNS0_4arch9wavefront6targetE1EEEvSK_.has_indirect_call, 0
	.section	.AMDGPU.csdata,"",@progbits
; Kernel info:
; codeLenInByte = 0
; TotalNumSgprs: 6
; NumVgprs: 0
; NumAgprs: 0
; TotalNumVgprs: 0
; ScratchSize: 0
; MemoryBound: 0
; FloatMode: 240
; IeeeMode: 1
; LDSByteSize: 0 bytes/workgroup (compile time only)
; SGPRBlocks: 0
; VGPRBlocks: 0
; NumSGPRsForWavesPerEU: 6
; NumVGPRsForWavesPerEU: 1
; AccumOffset: 4
; Occupancy: 8
; WaveLimiterHint : 0
; COMPUTE_PGM_RSRC2:SCRATCH_EN: 0
; COMPUTE_PGM_RSRC2:USER_SGPR: 2
; COMPUTE_PGM_RSRC2:TRAP_HANDLER: 0
; COMPUTE_PGM_RSRC2:TGID_X_EN: 1
; COMPUTE_PGM_RSRC2:TGID_Y_EN: 0
; COMPUTE_PGM_RSRC2:TGID_Z_EN: 0
; COMPUTE_PGM_RSRC2:TIDIG_COMP_CNT: 0
; COMPUTE_PGM_RSRC3_GFX90A:ACCUM_OFFSET: 0
; COMPUTE_PGM_RSRC3_GFX90A:TG_SPLIT: 0
	.section	.text._ZN7rocprim17ROCPRIM_400000_NS6detail17trampoline_kernelINS0_14default_configENS1_22reduce_config_selectorIyEEZNS1_11reduce_implILb1ES3_N6thrust23THRUST_200600_302600_NS6detail15normal_iteratorINS8_10device_ptrIyEEEEPyyNS8_4plusIyEEEE10hipError_tPvRmT1_T2_T3_mT4_P12ihipStream_tbEUlT_E0_NS1_11comp_targetILNS1_3genE3ELNS1_11target_archE908ELNS1_3gpuE7ELNS1_3repE0EEENS1_30default_config_static_selectorELNS0_4arch9wavefront6targetE1EEEvSK_,"axG",@progbits,_ZN7rocprim17ROCPRIM_400000_NS6detail17trampoline_kernelINS0_14default_configENS1_22reduce_config_selectorIyEEZNS1_11reduce_implILb1ES3_N6thrust23THRUST_200600_302600_NS6detail15normal_iteratorINS8_10device_ptrIyEEEEPyyNS8_4plusIyEEEE10hipError_tPvRmT1_T2_T3_mT4_P12ihipStream_tbEUlT_E0_NS1_11comp_targetILNS1_3genE3ELNS1_11target_archE908ELNS1_3gpuE7ELNS1_3repE0EEENS1_30default_config_static_selectorELNS0_4arch9wavefront6targetE1EEEvSK_,comdat
	.protected	_ZN7rocprim17ROCPRIM_400000_NS6detail17trampoline_kernelINS0_14default_configENS1_22reduce_config_selectorIyEEZNS1_11reduce_implILb1ES3_N6thrust23THRUST_200600_302600_NS6detail15normal_iteratorINS8_10device_ptrIyEEEEPyyNS8_4plusIyEEEE10hipError_tPvRmT1_T2_T3_mT4_P12ihipStream_tbEUlT_E0_NS1_11comp_targetILNS1_3genE3ELNS1_11target_archE908ELNS1_3gpuE7ELNS1_3repE0EEENS1_30default_config_static_selectorELNS0_4arch9wavefront6targetE1EEEvSK_ ; -- Begin function _ZN7rocprim17ROCPRIM_400000_NS6detail17trampoline_kernelINS0_14default_configENS1_22reduce_config_selectorIyEEZNS1_11reduce_implILb1ES3_N6thrust23THRUST_200600_302600_NS6detail15normal_iteratorINS8_10device_ptrIyEEEEPyyNS8_4plusIyEEEE10hipError_tPvRmT1_T2_T3_mT4_P12ihipStream_tbEUlT_E0_NS1_11comp_targetILNS1_3genE3ELNS1_11target_archE908ELNS1_3gpuE7ELNS1_3repE0EEENS1_30default_config_static_selectorELNS0_4arch9wavefront6targetE1EEEvSK_
	.globl	_ZN7rocprim17ROCPRIM_400000_NS6detail17trampoline_kernelINS0_14default_configENS1_22reduce_config_selectorIyEEZNS1_11reduce_implILb1ES3_N6thrust23THRUST_200600_302600_NS6detail15normal_iteratorINS8_10device_ptrIyEEEEPyyNS8_4plusIyEEEE10hipError_tPvRmT1_T2_T3_mT4_P12ihipStream_tbEUlT_E0_NS1_11comp_targetILNS1_3genE3ELNS1_11target_archE908ELNS1_3gpuE7ELNS1_3repE0EEENS1_30default_config_static_selectorELNS0_4arch9wavefront6targetE1EEEvSK_
	.p2align	8
	.type	_ZN7rocprim17ROCPRIM_400000_NS6detail17trampoline_kernelINS0_14default_configENS1_22reduce_config_selectorIyEEZNS1_11reduce_implILb1ES3_N6thrust23THRUST_200600_302600_NS6detail15normal_iteratorINS8_10device_ptrIyEEEEPyyNS8_4plusIyEEEE10hipError_tPvRmT1_T2_T3_mT4_P12ihipStream_tbEUlT_E0_NS1_11comp_targetILNS1_3genE3ELNS1_11target_archE908ELNS1_3gpuE7ELNS1_3repE0EEENS1_30default_config_static_selectorELNS0_4arch9wavefront6targetE1EEEvSK_,@function
_ZN7rocprim17ROCPRIM_400000_NS6detail17trampoline_kernelINS0_14default_configENS1_22reduce_config_selectorIyEEZNS1_11reduce_implILb1ES3_N6thrust23THRUST_200600_302600_NS6detail15normal_iteratorINS8_10device_ptrIyEEEEPyyNS8_4plusIyEEEE10hipError_tPvRmT1_T2_T3_mT4_P12ihipStream_tbEUlT_E0_NS1_11comp_targetILNS1_3genE3ELNS1_11target_archE908ELNS1_3gpuE7ELNS1_3repE0EEENS1_30default_config_static_selectorELNS0_4arch9wavefront6targetE1EEEvSK_: ; @_ZN7rocprim17ROCPRIM_400000_NS6detail17trampoline_kernelINS0_14default_configENS1_22reduce_config_selectorIyEEZNS1_11reduce_implILb1ES3_N6thrust23THRUST_200600_302600_NS6detail15normal_iteratorINS8_10device_ptrIyEEEEPyyNS8_4plusIyEEEE10hipError_tPvRmT1_T2_T3_mT4_P12ihipStream_tbEUlT_E0_NS1_11comp_targetILNS1_3genE3ELNS1_11target_archE908ELNS1_3gpuE7ELNS1_3repE0EEENS1_30default_config_static_selectorELNS0_4arch9wavefront6targetE1EEEvSK_
; %bb.0:
	.section	.rodata,"a",@progbits
	.p2align	6, 0x0
	.amdhsa_kernel _ZN7rocprim17ROCPRIM_400000_NS6detail17trampoline_kernelINS0_14default_configENS1_22reduce_config_selectorIyEEZNS1_11reduce_implILb1ES3_N6thrust23THRUST_200600_302600_NS6detail15normal_iteratorINS8_10device_ptrIyEEEEPyyNS8_4plusIyEEEE10hipError_tPvRmT1_T2_T3_mT4_P12ihipStream_tbEUlT_E0_NS1_11comp_targetILNS1_3genE3ELNS1_11target_archE908ELNS1_3gpuE7ELNS1_3repE0EEENS1_30default_config_static_selectorELNS0_4arch9wavefront6targetE1EEEvSK_
		.amdhsa_group_segment_fixed_size 0
		.amdhsa_private_segment_fixed_size 0
		.amdhsa_kernarg_size 64
		.amdhsa_user_sgpr_count 2
		.amdhsa_user_sgpr_dispatch_ptr 0
		.amdhsa_user_sgpr_queue_ptr 0
		.amdhsa_user_sgpr_kernarg_segment_ptr 1
		.amdhsa_user_sgpr_dispatch_id 0
		.amdhsa_user_sgpr_kernarg_preload_length 0
		.amdhsa_user_sgpr_kernarg_preload_offset 0
		.amdhsa_user_sgpr_private_segment_size 0
		.amdhsa_uses_dynamic_stack 0
		.amdhsa_enable_private_segment 0
		.amdhsa_system_sgpr_workgroup_id_x 1
		.amdhsa_system_sgpr_workgroup_id_y 0
		.amdhsa_system_sgpr_workgroup_id_z 0
		.amdhsa_system_sgpr_workgroup_info 0
		.amdhsa_system_vgpr_workitem_id 0
		.amdhsa_next_free_vgpr 1
		.amdhsa_next_free_sgpr 0
		.amdhsa_accum_offset 4
		.amdhsa_reserve_vcc 0
		.amdhsa_float_round_mode_32 0
		.amdhsa_float_round_mode_16_64 0
		.amdhsa_float_denorm_mode_32 3
		.amdhsa_float_denorm_mode_16_64 3
		.amdhsa_dx10_clamp 1
		.amdhsa_ieee_mode 1
		.amdhsa_fp16_overflow 0
		.amdhsa_tg_split 0
		.amdhsa_exception_fp_ieee_invalid_op 0
		.amdhsa_exception_fp_denorm_src 0
		.amdhsa_exception_fp_ieee_div_zero 0
		.amdhsa_exception_fp_ieee_overflow 0
		.amdhsa_exception_fp_ieee_underflow 0
		.amdhsa_exception_fp_ieee_inexact 0
		.amdhsa_exception_int_div_zero 0
	.end_amdhsa_kernel
	.section	.text._ZN7rocprim17ROCPRIM_400000_NS6detail17trampoline_kernelINS0_14default_configENS1_22reduce_config_selectorIyEEZNS1_11reduce_implILb1ES3_N6thrust23THRUST_200600_302600_NS6detail15normal_iteratorINS8_10device_ptrIyEEEEPyyNS8_4plusIyEEEE10hipError_tPvRmT1_T2_T3_mT4_P12ihipStream_tbEUlT_E0_NS1_11comp_targetILNS1_3genE3ELNS1_11target_archE908ELNS1_3gpuE7ELNS1_3repE0EEENS1_30default_config_static_selectorELNS0_4arch9wavefront6targetE1EEEvSK_,"axG",@progbits,_ZN7rocprim17ROCPRIM_400000_NS6detail17trampoline_kernelINS0_14default_configENS1_22reduce_config_selectorIyEEZNS1_11reduce_implILb1ES3_N6thrust23THRUST_200600_302600_NS6detail15normal_iteratorINS8_10device_ptrIyEEEEPyyNS8_4plusIyEEEE10hipError_tPvRmT1_T2_T3_mT4_P12ihipStream_tbEUlT_E0_NS1_11comp_targetILNS1_3genE3ELNS1_11target_archE908ELNS1_3gpuE7ELNS1_3repE0EEENS1_30default_config_static_selectorELNS0_4arch9wavefront6targetE1EEEvSK_,comdat
.Lfunc_end97:
	.size	_ZN7rocprim17ROCPRIM_400000_NS6detail17trampoline_kernelINS0_14default_configENS1_22reduce_config_selectorIyEEZNS1_11reduce_implILb1ES3_N6thrust23THRUST_200600_302600_NS6detail15normal_iteratorINS8_10device_ptrIyEEEEPyyNS8_4plusIyEEEE10hipError_tPvRmT1_T2_T3_mT4_P12ihipStream_tbEUlT_E0_NS1_11comp_targetILNS1_3genE3ELNS1_11target_archE908ELNS1_3gpuE7ELNS1_3repE0EEENS1_30default_config_static_selectorELNS0_4arch9wavefront6targetE1EEEvSK_, .Lfunc_end97-_ZN7rocprim17ROCPRIM_400000_NS6detail17trampoline_kernelINS0_14default_configENS1_22reduce_config_selectorIyEEZNS1_11reduce_implILb1ES3_N6thrust23THRUST_200600_302600_NS6detail15normal_iteratorINS8_10device_ptrIyEEEEPyyNS8_4plusIyEEEE10hipError_tPvRmT1_T2_T3_mT4_P12ihipStream_tbEUlT_E0_NS1_11comp_targetILNS1_3genE3ELNS1_11target_archE908ELNS1_3gpuE7ELNS1_3repE0EEENS1_30default_config_static_selectorELNS0_4arch9wavefront6targetE1EEEvSK_
                                        ; -- End function
	.set _ZN7rocprim17ROCPRIM_400000_NS6detail17trampoline_kernelINS0_14default_configENS1_22reduce_config_selectorIyEEZNS1_11reduce_implILb1ES3_N6thrust23THRUST_200600_302600_NS6detail15normal_iteratorINS8_10device_ptrIyEEEEPyyNS8_4plusIyEEEE10hipError_tPvRmT1_T2_T3_mT4_P12ihipStream_tbEUlT_E0_NS1_11comp_targetILNS1_3genE3ELNS1_11target_archE908ELNS1_3gpuE7ELNS1_3repE0EEENS1_30default_config_static_selectorELNS0_4arch9wavefront6targetE1EEEvSK_.num_vgpr, 0
	.set _ZN7rocprim17ROCPRIM_400000_NS6detail17trampoline_kernelINS0_14default_configENS1_22reduce_config_selectorIyEEZNS1_11reduce_implILb1ES3_N6thrust23THRUST_200600_302600_NS6detail15normal_iteratorINS8_10device_ptrIyEEEEPyyNS8_4plusIyEEEE10hipError_tPvRmT1_T2_T3_mT4_P12ihipStream_tbEUlT_E0_NS1_11comp_targetILNS1_3genE3ELNS1_11target_archE908ELNS1_3gpuE7ELNS1_3repE0EEENS1_30default_config_static_selectorELNS0_4arch9wavefront6targetE1EEEvSK_.num_agpr, 0
	.set _ZN7rocprim17ROCPRIM_400000_NS6detail17trampoline_kernelINS0_14default_configENS1_22reduce_config_selectorIyEEZNS1_11reduce_implILb1ES3_N6thrust23THRUST_200600_302600_NS6detail15normal_iteratorINS8_10device_ptrIyEEEEPyyNS8_4plusIyEEEE10hipError_tPvRmT1_T2_T3_mT4_P12ihipStream_tbEUlT_E0_NS1_11comp_targetILNS1_3genE3ELNS1_11target_archE908ELNS1_3gpuE7ELNS1_3repE0EEENS1_30default_config_static_selectorELNS0_4arch9wavefront6targetE1EEEvSK_.numbered_sgpr, 0
	.set _ZN7rocprim17ROCPRIM_400000_NS6detail17trampoline_kernelINS0_14default_configENS1_22reduce_config_selectorIyEEZNS1_11reduce_implILb1ES3_N6thrust23THRUST_200600_302600_NS6detail15normal_iteratorINS8_10device_ptrIyEEEEPyyNS8_4plusIyEEEE10hipError_tPvRmT1_T2_T3_mT4_P12ihipStream_tbEUlT_E0_NS1_11comp_targetILNS1_3genE3ELNS1_11target_archE908ELNS1_3gpuE7ELNS1_3repE0EEENS1_30default_config_static_selectorELNS0_4arch9wavefront6targetE1EEEvSK_.num_named_barrier, 0
	.set _ZN7rocprim17ROCPRIM_400000_NS6detail17trampoline_kernelINS0_14default_configENS1_22reduce_config_selectorIyEEZNS1_11reduce_implILb1ES3_N6thrust23THRUST_200600_302600_NS6detail15normal_iteratorINS8_10device_ptrIyEEEEPyyNS8_4plusIyEEEE10hipError_tPvRmT1_T2_T3_mT4_P12ihipStream_tbEUlT_E0_NS1_11comp_targetILNS1_3genE3ELNS1_11target_archE908ELNS1_3gpuE7ELNS1_3repE0EEENS1_30default_config_static_selectorELNS0_4arch9wavefront6targetE1EEEvSK_.private_seg_size, 0
	.set _ZN7rocprim17ROCPRIM_400000_NS6detail17trampoline_kernelINS0_14default_configENS1_22reduce_config_selectorIyEEZNS1_11reduce_implILb1ES3_N6thrust23THRUST_200600_302600_NS6detail15normal_iteratorINS8_10device_ptrIyEEEEPyyNS8_4plusIyEEEE10hipError_tPvRmT1_T2_T3_mT4_P12ihipStream_tbEUlT_E0_NS1_11comp_targetILNS1_3genE3ELNS1_11target_archE908ELNS1_3gpuE7ELNS1_3repE0EEENS1_30default_config_static_selectorELNS0_4arch9wavefront6targetE1EEEvSK_.uses_vcc, 0
	.set _ZN7rocprim17ROCPRIM_400000_NS6detail17trampoline_kernelINS0_14default_configENS1_22reduce_config_selectorIyEEZNS1_11reduce_implILb1ES3_N6thrust23THRUST_200600_302600_NS6detail15normal_iteratorINS8_10device_ptrIyEEEEPyyNS8_4plusIyEEEE10hipError_tPvRmT1_T2_T3_mT4_P12ihipStream_tbEUlT_E0_NS1_11comp_targetILNS1_3genE3ELNS1_11target_archE908ELNS1_3gpuE7ELNS1_3repE0EEENS1_30default_config_static_selectorELNS0_4arch9wavefront6targetE1EEEvSK_.uses_flat_scratch, 0
	.set _ZN7rocprim17ROCPRIM_400000_NS6detail17trampoline_kernelINS0_14default_configENS1_22reduce_config_selectorIyEEZNS1_11reduce_implILb1ES3_N6thrust23THRUST_200600_302600_NS6detail15normal_iteratorINS8_10device_ptrIyEEEEPyyNS8_4plusIyEEEE10hipError_tPvRmT1_T2_T3_mT4_P12ihipStream_tbEUlT_E0_NS1_11comp_targetILNS1_3genE3ELNS1_11target_archE908ELNS1_3gpuE7ELNS1_3repE0EEENS1_30default_config_static_selectorELNS0_4arch9wavefront6targetE1EEEvSK_.has_dyn_sized_stack, 0
	.set _ZN7rocprim17ROCPRIM_400000_NS6detail17trampoline_kernelINS0_14default_configENS1_22reduce_config_selectorIyEEZNS1_11reduce_implILb1ES3_N6thrust23THRUST_200600_302600_NS6detail15normal_iteratorINS8_10device_ptrIyEEEEPyyNS8_4plusIyEEEE10hipError_tPvRmT1_T2_T3_mT4_P12ihipStream_tbEUlT_E0_NS1_11comp_targetILNS1_3genE3ELNS1_11target_archE908ELNS1_3gpuE7ELNS1_3repE0EEENS1_30default_config_static_selectorELNS0_4arch9wavefront6targetE1EEEvSK_.has_recursion, 0
	.set _ZN7rocprim17ROCPRIM_400000_NS6detail17trampoline_kernelINS0_14default_configENS1_22reduce_config_selectorIyEEZNS1_11reduce_implILb1ES3_N6thrust23THRUST_200600_302600_NS6detail15normal_iteratorINS8_10device_ptrIyEEEEPyyNS8_4plusIyEEEE10hipError_tPvRmT1_T2_T3_mT4_P12ihipStream_tbEUlT_E0_NS1_11comp_targetILNS1_3genE3ELNS1_11target_archE908ELNS1_3gpuE7ELNS1_3repE0EEENS1_30default_config_static_selectorELNS0_4arch9wavefront6targetE1EEEvSK_.has_indirect_call, 0
	.section	.AMDGPU.csdata,"",@progbits
; Kernel info:
; codeLenInByte = 0
; TotalNumSgprs: 6
; NumVgprs: 0
; NumAgprs: 0
; TotalNumVgprs: 0
; ScratchSize: 0
; MemoryBound: 0
; FloatMode: 240
; IeeeMode: 1
; LDSByteSize: 0 bytes/workgroup (compile time only)
; SGPRBlocks: 0
; VGPRBlocks: 0
; NumSGPRsForWavesPerEU: 6
; NumVGPRsForWavesPerEU: 1
; AccumOffset: 4
; Occupancy: 8
; WaveLimiterHint : 0
; COMPUTE_PGM_RSRC2:SCRATCH_EN: 0
; COMPUTE_PGM_RSRC2:USER_SGPR: 2
; COMPUTE_PGM_RSRC2:TRAP_HANDLER: 0
; COMPUTE_PGM_RSRC2:TGID_X_EN: 1
; COMPUTE_PGM_RSRC2:TGID_Y_EN: 0
; COMPUTE_PGM_RSRC2:TGID_Z_EN: 0
; COMPUTE_PGM_RSRC2:TIDIG_COMP_CNT: 0
; COMPUTE_PGM_RSRC3_GFX90A:ACCUM_OFFSET: 0
; COMPUTE_PGM_RSRC3_GFX90A:TG_SPLIT: 0
	.section	.text._ZN7rocprim17ROCPRIM_400000_NS6detail17trampoline_kernelINS0_14default_configENS1_22reduce_config_selectorIyEEZNS1_11reduce_implILb1ES3_N6thrust23THRUST_200600_302600_NS6detail15normal_iteratorINS8_10device_ptrIyEEEEPyyNS8_4plusIyEEEE10hipError_tPvRmT1_T2_T3_mT4_P12ihipStream_tbEUlT_E0_NS1_11comp_targetILNS1_3genE2ELNS1_11target_archE906ELNS1_3gpuE6ELNS1_3repE0EEENS1_30default_config_static_selectorELNS0_4arch9wavefront6targetE1EEEvSK_,"axG",@progbits,_ZN7rocprim17ROCPRIM_400000_NS6detail17trampoline_kernelINS0_14default_configENS1_22reduce_config_selectorIyEEZNS1_11reduce_implILb1ES3_N6thrust23THRUST_200600_302600_NS6detail15normal_iteratorINS8_10device_ptrIyEEEEPyyNS8_4plusIyEEEE10hipError_tPvRmT1_T2_T3_mT4_P12ihipStream_tbEUlT_E0_NS1_11comp_targetILNS1_3genE2ELNS1_11target_archE906ELNS1_3gpuE6ELNS1_3repE0EEENS1_30default_config_static_selectorELNS0_4arch9wavefront6targetE1EEEvSK_,comdat
	.protected	_ZN7rocprim17ROCPRIM_400000_NS6detail17trampoline_kernelINS0_14default_configENS1_22reduce_config_selectorIyEEZNS1_11reduce_implILb1ES3_N6thrust23THRUST_200600_302600_NS6detail15normal_iteratorINS8_10device_ptrIyEEEEPyyNS8_4plusIyEEEE10hipError_tPvRmT1_T2_T3_mT4_P12ihipStream_tbEUlT_E0_NS1_11comp_targetILNS1_3genE2ELNS1_11target_archE906ELNS1_3gpuE6ELNS1_3repE0EEENS1_30default_config_static_selectorELNS0_4arch9wavefront6targetE1EEEvSK_ ; -- Begin function _ZN7rocprim17ROCPRIM_400000_NS6detail17trampoline_kernelINS0_14default_configENS1_22reduce_config_selectorIyEEZNS1_11reduce_implILb1ES3_N6thrust23THRUST_200600_302600_NS6detail15normal_iteratorINS8_10device_ptrIyEEEEPyyNS8_4plusIyEEEE10hipError_tPvRmT1_T2_T3_mT4_P12ihipStream_tbEUlT_E0_NS1_11comp_targetILNS1_3genE2ELNS1_11target_archE906ELNS1_3gpuE6ELNS1_3repE0EEENS1_30default_config_static_selectorELNS0_4arch9wavefront6targetE1EEEvSK_
	.globl	_ZN7rocprim17ROCPRIM_400000_NS6detail17trampoline_kernelINS0_14default_configENS1_22reduce_config_selectorIyEEZNS1_11reduce_implILb1ES3_N6thrust23THRUST_200600_302600_NS6detail15normal_iteratorINS8_10device_ptrIyEEEEPyyNS8_4plusIyEEEE10hipError_tPvRmT1_T2_T3_mT4_P12ihipStream_tbEUlT_E0_NS1_11comp_targetILNS1_3genE2ELNS1_11target_archE906ELNS1_3gpuE6ELNS1_3repE0EEENS1_30default_config_static_selectorELNS0_4arch9wavefront6targetE1EEEvSK_
	.p2align	8
	.type	_ZN7rocprim17ROCPRIM_400000_NS6detail17trampoline_kernelINS0_14default_configENS1_22reduce_config_selectorIyEEZNS1_11reduce_implILb1ES3_N6thrust23THRUST_200600_302600_NS6detail15normal_iteratorINS8_10device_ptrIyEEEEPyyNS8_4plusIyEEEE10hipError_tPvRmT1_T2_T3_mT4_P12ihipStream_tbEUlT_E0_NS1_11comp_targetILNS1_3genE2ELNS1_11target_archE906ELNS1_3gpuE6ELNS1_3repE0EEENS1_30default_config_static_selectorELNS0_4arch9wavefront6targetE1EEEvSK_,@function
_ZN7rocprim17ROCPRIM_400000_NS6detail17trampoline_kernelINS0_14default_configENS1_22reduce_config_selectorIyEEZNS1_11reduce_implILb1ES3_N6thrust23THRUST_200600_302600_NS6detail15normal_iteratorINS8_10device_ptrIyEEEEPyyNS8_4plusIyEEEE10hipError_tPvRmT1_T2_T3_mT4_P12ihipStream_tbEUlT_E0_NS1_11comp_targetILNS1_3genE2ELNS1_11target_archE906ELNS1_3gpuE6ELNS1_3repE0EEENS1_30default_config_static_selectorELNS0_4arch9wavefront6targetE1EEEvSK_: ; @_ZN7rocprim17ROCPRIM_400000_NS6detail17trampoline_kernelINS0_14default_configENS1_22reduce_config_selectorIyEEZNS1_11reduce_implILb1ES3_N6thrust23THRUST_200600_302600_NS6detail15normal_iteratorINS8_10device_ptrIyEEEEPyyNS8_4plusIyEEEE10hipError_tPvRmT1_T2_T3_mT4_P12ihipStream_tbEUlT_E0_NS1_11comp_targetILNS1_3genE2ELNS1_11target_archE906ELNS1_3gpuE6ELNS1_3repE0EEENS1_30default_config_static_selectorELNS0_4arch9wavefront6targetE1EEEvSK_
; %bb.0:
	.section	.rodata,"a",@progbits
	.p2align	6, 0x0
	.amdhsa_kernel _ZN7rocprim17ROCPRIM_400000_NS6detail17trampoline_kernelINS0_14default_configENS1_22reduce_config_selectorIyEEZNS1_11reduce_implILb1ES3_N6thrust23THRUST_200600_302600_NS6detail15normal_iteratorINS8_10device_ptrIyEEEEPyyNS8_4plusIyEEEE10hipError_tPvRmT1_T2_T3_mT4_P12ihipStream_tbEUlT_E0_NS1_11comp_targetILNS1_3genE2ELNS1_11target_archE906ELNS1_3gpuE6ELNS1_3repE0EEENS1_30default_config_static_selectorELNS0_4arch9wavefront6targetE1EEEvSK_
		.amdhsa_group_segment_fixed_size 0
		.amdhsa_private_segment_fixed_size 0
		.amdhsa_kernarg_size 64
		.amdhsa_user_sgpr_count 2
		.amdhsa_user_sgpr_dispatch_ptr 0
		.amdhsa_user_sgpr_queue_ptr 0
		.amdhsa_user_sgpr_kernarg_segment_ptr 1
		.amdhsa_user_sgpr_dispatch_id 0
		.amdhsa_user_sgpr_kernarg_preload_length 0
		.amdhsa_user_sgpr_kernarg_preload_offset 0
		.amdhsa_user_sgpr_private_segment_size 0
		.amdhsa_uses_dynamic_stack 0
		.amdhsa_enable_private_segment 0
		.amdhsa_system_sgpr_workgroup_id_x 1
		.amdhsa_system_sgpr_workgroup_id_y 0
		.amdhsa_system_sgpr_workgroup_id_z 0
		.amdhsa_system_sgpr_workgroup_info 0
		.amdhsa_system_vgpr_workitem_id 0
		.amdhsa_next_free_vgpr 1
		.amdhsa_next_free_sgpr 0
		.amdhsa_accum_offset 4
		.amdhsa_reserve_vcc 0
		.amdhsa_float_round_mode_32 0
		.amdhsa_float_round_mode_16_64 0
		.amdhsa_float_denorm_mode_32 3
		.amdhsa_float_denorm_mode_16_64 3
		.amdhsa_dx10_clamp 1
		.amdhsa_ieee_mode 1
		.amdhsa_fp16_overflow 0
		.amdhsa_tg_split 0
		.amdhsa_exception_fp_ieee_invalid_op 0
		.amdhsa_exception_fp_denorm_src 0
		.amdhsa_exception_fp_ieee_div_zero 0
		.amdhsa_exception_fp_ieee_overflow 0
		.amdhsa_exception_fp_ieee_underflow 0
		.amdhsa_exception_fp_ieee_inexact 0
		.amdhsa_exception_int_div_zero 0
	.end_amdhsa_kernel
	.section	.text._ZN7rocprim17ROCPRIM_400000_NS6detail17trampoline_kernelINS0_14default_configENS1_22reduce_config_selectorIyEEZNS1_11reduce_implILb1ES3_N6thrust23THRUST_200600_302600_NS6detail15normal_iteratorINS8_10device_ptrIyEEEEPyyNS8_4plusIyEEEE10hipError_tPvRmT1_T2_T3_mT4_P12ihipStream_tbEUlT_E0_NS1_11comp_targetILNS1_3genE2ELNS1_11target_archE906ELNS1_3gpuE6ELNS1_3repE0EEENS1_30default_config_static_selectorELNS0_4arch9wavefront6targetE1EEEvSK_,"axG",@progbits,_ZN7rocprim17ROCPRIM_400000_NS6detail17trampoline_kernelINS0_14default_configENS1_22reduce_config_selectorIyEEZNS1_11reduce_implILb1ES3_N6thrust23THRUST_200600_302600_NS6detail15normal_iteratorINS8_10device_ptrIyEEEEPyyNS8_4plusIyEEEE10hipError_tPvRmT1_T2_T3_mT4_P12ihipStream_tbEUlT_E0_NS1_11comp_targetILNS1_3genE2ELNS1_11target_archE906ELNS1_3gpuE6ELNS1_3repE0EEENS1_30default_config_static_selectorELNS0_4arch9wavefront6targetE1EEEvSK_,comdat
.Lfunc_end98:
	.size	_ZN7rocprim17ROCPRIM_400000_NS6detail17trampoline_kernelINS0_14default_configENS1_22reduce_config_selectorIyEEZNS1_11reduce_implILb1ES3_N6thrust23THRUST_200600_302600_NS6detail15normal_iteratorINS8_10device_ptrIyEEEEPyyNS8_4plusIyEEEE10hipError_tPvRmT1_T2_T3_mT4_P12ihipStream_tbEUlT_E0_NS1_11comp_targetILNS1_3genE2ELNS1_11target_archE906ELNS1_3gpuE6ELNS1_3repE0EEENS1_30default_config_static_selectorELNS0_4arch9wavefront6targetE1EEEvSK_, .Lfunc_end98-_ZN7rocprim17ROCPRIM_400000_NS6detail17trampoline_kernelINS0_14default_configENS1_22reduce_config_selectorIyEEZNS1_11reduce_implILb1ES3_N6thrust23THRUST_200600_302600_NS6detail15normal_iteratorINS8_10device_ptrIyEEEEPyyNS8_4plusIyEEEE10hipError_tPvRmT1_T2_T3_mT4_P12ihipStream_tbEUlT_E0_NS1_11comp_targetILNS1_3genE2ELNS1_11target_archE906ELNS1_3gpuE6ELNS1_3repE0EEENS1_30default_config_static_selectorELNS0_4arch9wavefront6targetE1EEEvSK_
                                        ; -- End function
	.set _ZN7rocprim17ROCPRIM_400000_NS6detail17trampoline_kernelINS0_14default_configENS1_22reduce_config_selectorIyEEZNS1_11reduce_implILb1ES3_N6thrust23THRUST_200600_302600_NS6detail15normal_iteratorINS8_10device_ptrIyEEEEPyyNS8_4plusIyEEEE10hipError_tPvRmT1_T2_T3_mT4_P12ihipStream_tbEUlT_E0_NS1_11comp_targetILNS1_3genE2ELNS1_11target_archE906ELNS1_3gpuE6ELNS1_3repE0EEENS1_30default_config_static_selectorELNS0_4arch9wavefront6targetE1EEEvSK_.num_vgpr, 0
	.set _ZN7rocprim17ROCPRIM_400000_NS6detail17trampoline_kernelINS0_14default_configENS1_22reduce_config_selectorIyEEZNS1_11reduce_implILb1ES3_N6thrust23THRUST_200600_302600_NS6detail15normal_iteratorINS8_10device_ptrIyEEEEPyyNS8_4plusIyEEEE10hipError_tPvRmT1_T2_T3_mT4_P12ihipStream_tbEUlT_E0_NS1_11comp_targetILNS1_3genE2ELNS1_11target_archE906ELNS1_3gpuE6ELNS1_3repE0EEENS1_30default_config_static_selectorELNS0_4arch9wavefront6targetE1EEEvSK_.num_agpr, 0
	.set _ZN7rocprim17ROCPRIM_400000_NS6detail17trampoline_kernelINS0_14default_configENS1_22reduce_config_selectorIyEEZNS1_11reduce_implILb1ES3_N6thrust23THRUST_200600_302600_NS6detail15normal_iteratorINS8_10device_ptrIyEEEEPyyNS8_4plusIyEEEE10hipError_tPvRmT1_T2_T3_mT4_P12ihipStream_tbEUlT_E0_NS1_11comp_targetILNS1_3genE2ELNS1_11target_archE906ELNS1_3gpuE6ELNS1_3repE0EEENS1_30default_config_static_selectorELNS0_4arch9wavefront6targetE1EEEvSK_.numbered_sgpr, 0
	.set _ZN7rocprim17ROCPRIM_400000_NS6detail17trampoline_kernelINS0_14default_configENS1_22reduce_config_selectorIyEEZNS1_11reduce_implILb1ES3_N6thrust23THRUST_200600_302600_NS6detail15normal_iteratorINS8_10device_ptrIyEEEEPyyNS8_4plusIyEEEE10hipError_tPvRmT1_T2_T3_mT4_P12ihipStream_tbEUlT_E0_NS1_11comp_targetILNS1_3genE2ELNS1_11target_archE906ELNS1_3gpuE6ELNS1_3repE0EEENS1_30default_config_static_selectorELNS0_4arch9wavefront6targetE1EEEvSK_.num_named_barrier, 0
	.set _ZN7rocprim17ROCPRIM_400000_NS6detail17trampoline_kernelINS0_14default_configENS1_22reduce_config_selectorIyEEZNS1_11reduce_implILb1ES3_N6thrust23THRUST_200600_302600_NS6detail15normal_iteratorINS8_10device_ptrIyEEEEPyyNS8_4plusIyEEEE10hipError_tPvRmT1_T2_T3_mT4_P12ihipStream_tbEUlT_E0_NS1_11comp_targetILNS1_3genE2ELNS1_11target_archE906ELNS1_3gpuE6ELNS1_3repE0EEENS1_30default_config_static_selectorELNS0_4arch9wavefront6targetE1EEEvSK_.private_seg_size, 0
	.set _ZN7rocprim17ROCPRIM_400000_NS6detail17trampoline_kernelINS0_14default_configENS1_22reduce_config_selectorIyEEZNS1_11reduce_implILb1ES3_N6thrust23THRUST_200600_302600_NS6detail15normal_iteratorINS8_10device_ptrIyEEEEPyyNS8_4plusIyEEEE10hipError_tPvRmT1_T2_T3_mT4_P12ihipStream_tbEUlT_E0_NS1_11comp_targetILNS1_3genE2ELNS1_11target_archE906ELNS1_3gpuE6ELNS1_3repE0EEENS1_30default_config_static_selectorELNS0_4arch9wavefront6targetE1EEEvSK_.uses_vcc, 0
	.set _ZN7rocprim17ROCPRIM_400000_NS6detail17trampoline_kernelINS0_14default_configENS1_22reduce_config_selectorIyEEZNS1_11reduce_implILb1ES3_N6thrust23THRUST_200600_302600_NS6detail15normal_iteratorINS8_10device_ptrIyEEEEPyyNS8_4plusIyEEEE10hipError_tPvRmT1_T2_T3_mT4_P12ihipStream_tbEUlT_E0_NS1_11comp_targetILNS1_3genE2ELNS1_11target_archE906ELNS1_3gpuE6ELNS1_3repE0EEENS1_30default_config_static_selectorELNS0_4arch9wavefront6targetE1EEEvSK_.uses_flat_scratch, 0
	.set _ZN7rocprim17ROCPRIM_400000_NS6detail17trampoline_kernelINS0_14default_configENS1_22reduce_config_selectorIyEEZNS1_11reduce_implILb1ES3_N6thrust23THRUST_200600_302600_NS6detail15normal_iteratorINS8_10device_ptrIyEEEEPyyNS8_4plusIyEEEE10hipError_tPvRmT1_T2_T3_mT4_P12ihipStream_tbEUlT_E0_NS1_11comp_targetILNS1_3genE2ELNS1_11target_archE906ELNS1_3gpuE6ELNS1_3repE0EEENS1_30default_config_static_selectorELNS0_4arch9wavefront6targetE1EEEvSK_.has_dyn_sized_stack, 0
	.set _ZN7rocprim17ROCPRIM_400000_NS6detail17trampoline_kernelINS0_14default_configENS1_22reduce_config_selectorIyEEZNS1_11reduce_implILb1ES3_N6thrust23THRUST_200600_302600_NS6detail15normal_iteratorINS8_10device_ptrIyEEEEPyyNS8_4plusIyEEEE10hipError_tPvRmT1_T2_T3_mT4_P12ihipStream_tbEUlT_E0_NS1_11comp_targetILNS1_3genE2ELNS1_11target_archE906ELNS1_3gpuE6ELNS1_3repE0EEENS1_30default_config_static_selectorELNS0_4arch9wavefront6targetE1EEEvSK_.has_recursion, 0
	.set _ZN7rocprim17ROCPRIM_400000_NS6detail17trampoline_kernelINS0_14default_configENS1_22reduce_config_selectorIyEEZNS1_11reduce_implILb1ES3_N6thrust23THRUST_200600_302600_NS6detail15normal_iteratorINS8_10device_ptrIyEEEEPyyNS8_4plusIyEEEE10hipError_tPvRmT1_T2_T3_mT4_P12ihipStream_tbEUlT_E0_NS1_11comp_targetILNS1_3genE2ELNS1_11target_archE906ELNS1_3gpuE6ELNS1_3repE0EEENS1_30default_config_static_selectorELNS0_4arch9wavefront6targetE1EEEvSK_.has_indirect_call, 0
	.section	.AMDGPU.csdata,"",@progbits
; Kernel info:
; codeLenInByte = 0
; TotalNumSgprs: 6
; NumVgprs: 0
; NumAgprs: 0
; TotalNumVgprs: 0
; ScratchSize: 0
; MemoryBound: 0
; FloatMode: 240
; IeeeMode: 1
; LDSByteSize: 0 bytes/workgroup (compile time only)
; SGPRBlocks: 0
; VGPRBlocks: 0
; NumSGPRsForWavesPerEU: 6
; NumVGPRsForWavesPerEU: 1
; AccumOffset: 4
; Occupancy: 8
; WaveLimiterHint : 0
; COMPUTE_PGM_RSRC2:SCRATCH_EN: 0
; COMPUTE_PGM_RSRC2:USER_SGPR: 2
; COMPUTE_PGM_RSRC2:TRAP_HANDLER: 0
; COMPUTE_PGM_RSRC2:TGID_X_EN: 1
; COMPUTE_PGM_RSRC2:TGID_Y_EN: 0
; COMPUTE_PGM_RSRC2:TGID_Z_EN: 0
; COMPUTE_PGM_RSRC2:TIDIG_COMP_CNT: 0
; COMPUTE_PGM_RSRC3_GFX90A:ACCUM_OFFSET: 0
; COMPUTE_PGM_RSRC3_GFX90A:TG_SPLIT: 0
	.section	.text._ZN7rocprim17ROCPRIM_400000_NS6detail17trampoline_kernelINS0_14default_configENS1_22reduce_config_selectorIyEEZNS1_11reduce_implILb1ES3_N6thrust23THRUST_200600_302600_NS6detail15normal_iteratorINS8_10device_ptrIyEEEEPyyNS8_4plusIyEEEE10hipError_tPvRmT1_T2_T3_mT4_P12ihipStream_tbEUlT_E0_NS1_11comp_targetILNS1_3genE10ELNS1_11target_archE1201ELNS1_3gpuE5ELNS1_3repE0EEENS1_30default_config_static_selectorELNS0_4arch9wavefront6targetE1EEEvSK_,"axG",@progbits,_ZN7rocprim17ROCPRIM_400000_NS6detail17trampoline_kernelINS0_14default_configENS1_22reduce_config_selectorIyEEZNS1_11reduce_implILb1ES3_N6thrust23THRUST_200600_302600_NS6detail15normal_iteratorINS8_10device_ptrIyEEEEPyyNS8_4plusIyEEEE10hipError_tPvRmT1_T2_T3_mT4_P12ihipStream_tbEUlT_E0_NS1_11comp_targetILNS1_3genE10ELNS1_11target_archE1201ELNS1_3gpuE5ELNS1_3repE0EEENS1_30default_config_static_selectorELNS0_4arch9wavefront6targetE1EEEvSK_,comdat
	.protected	_ZN7rocprim17ROCPRIM_400000_NS6detail17trampoline_kernelINS0_14default_configENS1_22reduce_config_selectorIyEEZNS1_11reduce_implILb1ES3_N6thrust23THRUST_200600_302600_NS6detail15normal_iteratorINS8_10device_ptrIyEEEEPyyNS8_4plusIyEEEE10hipError_tPvRmT1_T2_T3_mT4_P12ihipStream_tbEUlT_E0_NS1_11comp_targetILNS1_3genE10ELNS1_11target_archE1201ELNS1_3gpuE5ELNS1_3repE0EEENS1_30default_config_static_selectorELNS0_4arch9wavefront6targetE1EEEvSK_ ; -- Begin function _ZN7rocprim17ROCPRIM_400000_NS6detail17trampoline_kernelINS0_14default_configENS1_22reduce_config_selectorIyEEZNS1_11reduce_implILb1ES3_N6thrust23THRUST_200600_302600_NS6detail15normal_iteratorINS8_10device_ptrIyEEEEPyyNS8_4plusIyEEEE10hipError_tPvRmT1_T2_T3_mT4_P12ihipStream_tbEUlT_E0_NS1_11comp_targetILNS1_3genE10ELNS1_11target_archE1201ELNS1_3gpuE5ELNS1_3repE0EEENS1_30default_config_static_selectorELNS0_4arch9wavefront6targetE1EEEvSK_
	.globl	_ZN7rocprim17ROCPRIM_400000_NS6detail17trampoline_kernelINS0_14default_configENS1_22reduce_config_selectorIyEEZNS1_11reduce_implILb1ES3_N6thrust23THRUST_200600_302600_NS6detail15normal_iteratorINS8_10device_ptrIyEEEEPyyNS8_4plusIyEEEE10hipError_tPvRmT1_T2_T3_mT4_P12ihipStream_tbEUlT_E0_NS1_11comp_targetILNS1_3genE10ELNS1_11target_archE1201ELNS1_3gpuE5ELNS1_3repE0EEENS1_30default_config_static_selectorELNS0_4arch9wavefront6targetE1EEEvSK_
	.p2align	8
	.type	_ZN7rocprim17ROCPRIM_400000_NS6detail17trampoline_kernelINS0_14default_configENS1_22reduce_config_selectorIyEEZNS1_11reduce_implILb1ES3_N6thrust23THRUST_200600_302600_NS6detail15normal_iteratorINS8_10device_ptrIyEEEEPyyNS8_4plusIyEEEE10hipError_tPvRmT1_T2_T3_mT4_P12ihipStream_tbEUlT_E0_NS1_11comp_targetILNS1_3genE10ELNS1_11target_archE1201ELNS1_3gpuE5ELNS1_3repE0EEENS1_30default_config_static_selectorELNS0_4arch9wavefront6targetE1EEEvSK_,@function
_ZN7rocprim17ROCPRIM_400000_NS6detail17trampoline_kernelINS0_14default_configENS1_22reduce_config_selectorIyEEZNS1_11reduce_implILb1ES3_N6thrust23THRUST_200600_302600_NS6detail15normal_iteratorINS8_10device_ptrIyEEEEPyyNS8_4plusIyEEEE10hipError_tPvRmT1_T2_T3_mT4_P12ihipStream_tbEUlT_E0_NS1_11comp_targetILNS1_3genE10ELNS1_11target_archE1201ELNS1_3gpuE5ELNS1_3repE0EEENS1_30default_config_static_selectorELNS0_4arch9wavefront6targetE1EEEvSK_: ; @_ZN7rocprim17ROCPRIM_400000_NS6detail17trampoline_kernelINS0_14default_configENS1_22reduce_config_selectorIyEEZNS1_11reduce_implILb1ES3_N6thrust23THRUST_200600_302600_NS6detail15normal_iteratorINS8_10device_ptrIyEEEEPyyNS8_4plusIyEEEE10hipError_tPvRmT1_T2_T3_mT4_P12ihipStream_tbEUlT_E0_NS1_11comp_targetILNS1_3genE10ELNS1_11target_archE1201ELNS1_3gpuE5ELNS1_3repE0EEENS1_30default_config_static_selectorELNS0_4arch9wavefront6targetE1EEEvSK_
; %bb.0:
	.section	.rodata,"a",@progbits
	.p2align	6, 0x0
	.amdhsa_kernel _ZN7rocprim17ROCPRIM_400000_NS6detail17trampoline_kernelINS0_14default_configENS1_22reduce_config_selectorIyEEZNS1_11reduce_implILb1ES3_N6thrust23THRUST_200600_302600_NS6detail15normal_iteratorINS8_10device_ptrIyEEEEPyyNS8_4plusIyEEEE10hipError_tPvRmT1_T2_T3_mT4_P12ihipStream_tbEUlT_E0_NS1_11comp_targetILNS1_3genE10ELNS1_11target_archE1201ELNS1_3gpuE5ELNS1_3repE0EEENS1_30default_config_static_selectorELNS0_4arch9wavefront6targetE1EEEvSK_
		.amdhsa_group_segment_fixed_size 0
		.amdhsa_private_segment_fixed_size 0
		.amdhsa_kernarg_size 64
		.amdhsa_user_sgpr_count 2
		.amdhsa_user_sgpr_dispatch_ptr 0
		.amdhsa_user_sgpr_queue_ptr 0
		.amdhsa_user_sgpr_kernarg_segment_ptr 1
		.amdhsa_user_sgpr_dispatch_id 0
		.amdhsa_user_sgpr_kernarg_preload_length 0
		.amdhsa_user_sgpr_kernarg_preload_offset 0
		.amdhsa_user_sgpr_private_segment_size 0
		.amdhsa_uses_dynamic_stack 0
		.amdhsa_enable_private_segment 0
		.amdhsa_system_sgpr_workgroup_id_x 1
		.amdhsa_system_sgpr_workgroup_id_y 0
		.amdhsa_system_sgpr_workgroup_id_z 0
		.amdhsa_system_sgpr_workgroup_info 0
		.amdhsa_system_vgpr_workitem_id 0
		.amdhsa_next_free_vgpr 1
		.amdhsa_next_free_sgpr 0
		.amdhsa_accum_offset 4
		.amdhsa_reserve_vcc 0
		.amdhsa_float_round_mode_32 0
		.amdhsa_float_round_mode_16_64 0
		.amdhsa_float_denorm_mode_32 3
		.amdhsa_float_denorm_mode_16_64 3
		.amdhsa_dx10_clamp 1
		.amdhsa_ieee_mode 1
		.amdhsa_fp16_overflow 0
		.amdhsa_tg_split 0
		.amdhsa_exception_fp_ieee_invalid_op 0
		.amdhsa_exception_fp_denorm_src 0
		.amdhsa_exception_fp_ieee_div_zero 0
		.amdhsa_exception_fp_ieee_overflow 0
		.amdhsa_exception_fp_ieee_underflow 0
		.amdhsa_exception_fp_ieee_inexact 0
		.amdhsa_exception_int_div_zero 0
	.end_amdhsa_kernel
	.section	.text._ZN7rocprim17ROCPRIM_400000_NS6detail17trampoline_kernelINS0_14default_configENS1_22reduce_config_selectorIyEEZNS1_11reduce_implILb1ES3_N6thrust23THRUST_200600_302600_NS6detail15normal_iteratorINS8_10device_ptrIyEEEEPyyNS8_4plusIyEEEE10hipError_tPvRmT1_T2_T3_mT4_P12ihipStream_tbEUlT_E0_NS1_11comp_targetILNS1_3genE10ELNS1_11target_archE1201ELNS1_3gpuE5ELNS1_3repE0EEENS1_30default_config_static_selectorELNS0_4arch9wavefront6targetE1EEEvSK_,"axG",@progbits,_ZN7rocprim17ROCPRIM_400000_NS6detail17trampoline_kernelINS0_14default_configENS1_22reduce_config_selectorIyEEZNS1_11reduce_implILb1ES3_N6thrust23THRUST_200600_302600_NS6detail15normal_iteratorINS8_10device_ptrIyEEEEPyyNS8_4plusIyEEEE10hipError_tPvRmT1_T2_T3_mT4_P12ihipStream_tbEUlT_E0_NS1_11comp_targetILNS1_3genE10ELNS1_11target_archE1201ELNS1_3gpuE5ELNS1_3repE0EEENS1_30default_config_static_selectorELNS0_4arch9wavefront6targetE1EEEvSK_,comdat
.Lfunc_end99:
	.size	_ZN7rocprim17ROCPRIM_400000_NS6detail17trampoline_kernelINS0_14default_configENS1_22reduce_config_selectorIyEEZNS1_11reduce_implILb1ES3_N6thrust23THRUST_200600_302600_NS6detail15normal_iteratorINS8_10device_ptrIyEEEEPyyNS8_4plusIyEEEE10hipError_tPvRmT1_T2_T3_mT4_P12ihipStream_tbEUlT_E0_NS1_11comp_targetILNS1_3genE10ELNS1_11target_archE1201ELNS1_3gpuE5ELNS1_3repE0EEENS1_30default_config_static_selectorELNS0_4arch9wavefront6targetE1EEEvSK_, .Lfunc_end99-_ZN7rocprim17ROCPRIM_400000_NS6detail17trampoline_kernelINS0_14default_configENS1_22reduce_config_selectorIyEEZNS1_11reduce_implILb1ES3_N6thrust23THRUST_200600_302600_NS6detail15normal_iteratorINS8_10device_ptrIyEEEEPyyNS8_4plusIyEEEE10hipError_tPvRmT1_T2_T3_mT4_P12ihipStream_tbEUlT_E0_NS1_11comp_targetILNS1_3genE10ELNS1_11target_archE1201ELNS1_3gpuE5ELNS1_3repE0EEENS1_30default_config_static_selectorELNS0_4arch9wavefront6targetE1EEEvSK_
                                        ; -- End function
	.set _ZN7rocprim17ROCPRIM_400000_NS6detail17trampoline_kernelINS0_14default_configENS1_22reduce_config_selectorIyEEZNS1_11reduce_implILb1ES3_N6thrust23THRUST_200600_302600_NS6detail15normal_iteratorINS8_10device_ptrIyEEEEPyyNS8_4plusIyEEEE10hipError_tPvRmT1_T2_T3_mT4_P12ihipStream_tbEUlT_E0_NS1_11comp_targetILNS1_3genE10ELNS1_11target_archE1201ELNS1_3gpuE5ELNS1_3repE0EEENS1_30default_config_static_selectorELNS0_4arch9wavefront6targetE1EEEvSK_.num_vgpr, 0
	.set _ZN7rocprim17ROCPRIM_400000_NS6detail17trampoline_kernelINS0_14default_configENS1_22reduce_config_selectorIyEEZNS1_11reduce_implILb1ES3_N6thrust23THRUST_200600_302600_NS6detail15normal_iteratorINS8_10device_ptrIyEEEEPyyNS8_4plusIyEEEE10hipError_tPvRmT1_T2_T3_mT4_P12ihipStream_tbEUlT_E0_NS1_11comp_targetILNS1_3genE10ELNS1_11target_archE1201ELNS1_3gpuE5ELNS1_3repE0EEENS1_30default_config_static_selectorELNS0_4arch9wavefront6targetE1EEEvSK_.num_agpr, 0
	.set _ZN7rocprim17ROCPRIM_400000_NS6detail17trampoline_kernelINS0_14default_configENS1_22reduce_config_selectorIyEEZNS1_11reduce_implILb1ES3_N6thrust23THRUST_200600_302600_NS6detail15normal_iteratorINS8_10device_ptrIyEEEEPyyNS8_4plusIyEEEE10hipError_tPvRmT1_T2_T3_mT4_P12ihipStream_tbEUlT_E0_NS1_11comp_targetILNS1_3genE10ELNS1_11target_archE1201ELNS1_3gpuE5ELNS1_3repE0EEENS1_30default_config_static_selectorELNS0_4arch9wavefront6targetE1EEEvSK_.numbered_sgpr, 0
	.set _ZN7rocprim17ROCPRIM_400000_NS6detail17trampoline_kernelINS0_14default_configENS1_22reduce_config_selectorIyEEZNS1_11reduce_implILb1ES3_N6thrust23THRUST_200600_302600_NS6detail15normal_iteratorINS8_10device_ptrIyEEEEPyyNS8_4plusIyEEEE10hipError_tPvRmT1_T2_T3_mT4_P12ihipStream_tbEUlT_E0_NS1_11comp_targetILNS1_3genE10ELNS1_11target_archE1201ELNS1_3gpuE5ELNS1_3repE0EEENS1_30default_config_static_selectorELNS0_4arch9wavefront6targetE1EEEvSK_.num_named_barrier, 0
	.set _ZN7rocprim17ROCPRIM_400000_NS6detail17trampoline_kernelINS0_14default_configENS1_22reduce_config_selectorIyEEZNS1_11reduce_implILb1ES3_N6thrust23THRUST_200600_302600_NS6detail15normal_iteratorINS8_10device_ptrIyEEEEPyyNS8_4plusIyEEEE10hipError_tPvRmT1_T2_T3_mT4_P12ihipStream_tbEUlT_E0_NS1_11comp_targetILNS1_3genE10ELNS1_11target_archE1201ELNS1_3gpuE5ELNS1_3repE0EEENS1_30default_config_static_selectorELNS0_4arch9wavefront6targetE1EEEvSK_.private_seg_size, 0
	.set _ZN7rocprim17ROCPRIM_400000_NS6detail17trampoline_kernelINS0_14default_configENS1_22reduce_config_selectorIyEEZNS1_11reduce_implILb1ES3_N6thrust23THRUST_200600_302600_NS6detail15normal_iteratorINS8_10device_ptrIyEEEEPyyNS8_4plusIyEEEE10hipError_tPvRmT1_T2_T3_mT4_P12ihipStream_tbEUlT_E0_NS1_11comp_targetILNS1_3genE10ELNS1_11target_archE1201ELNS1_3gpuE5ELNS1_3repE0EEENS1_30default_config_static_selectorELNS0_4arch9wavefront6targetE1EEEvSK_.uses_vcc, 0
	.set _ZN7rocprim17ROCPRIM_400000_NS6detail17trampoline_kernelINS0_14default_configENS1_22reduce_config_selectorIyEEZNS1_11reduce_implILb1ES3_N6thrust23THRUST_200600_302600_NS6detail15normal_iteratorINS8_10device_ptrIyEEEEPyyNS8_4plusIyEEEE10hipError_tPvRmT1_T2_T3_mT4_P12ihipStream_tbEUlT_E0_NS1_11comp_targetILNS1_3genE10ELNS1_11target_archE1201ELNS1_3gpuE5ELNS1_3repE0EEENS1_30default_config_static_selectorELNS0_4arch9wavefront6targetE1EEEvSK_.uses_flat_scratch, 0
	.set _ZN7rocprim17ROCPRIM_400000_NS6detail17trampoline_kernelINS0_14default_configENS1_22reduce_config_selectorIyEEZNS1_11reduce_implILb1ES3_N6thrust23THRUST_200600_302600_NS6detail15normal_iteratorINS8_10device_ptrIyEEEEPyyNS8_4plusIyEEEE10hipError_tPvRmT1_T2_T3_mT4_P12ihipStream_tbEUlT_E0_NS1_11comp_targetILNS1_3genE10ELNS1_11target_archE1201ELNS1_3gpuE5ELNS1_3repE0EEENS1_30default_config_static_selectorELNS0_4arch9wavefront6targetE1EEEvSK_.has_dyn_sized_stack, 0
	.set _ZN7rocprim17ROCPRIM_400000_NS6detail17trampoline_kernelINS0_14default_configENS1_22reduce_config_selectorIyEEZNS1_11reduce_implILb1ES3_N6thrust23THRUST_200600_302600_NS6detail15normal_iteratorINS8_10device_ptrIyEEEEPyyNS8_4plusIyEEEE10hipError_tPvRmT1_T2_T3_mT4_P12ihipStream_tbEUlT_E0_NS1_11comp_targetILNS1_3genE10ELNS1_11target_archE1201ELNS1_3gpuE5ELNS1_3repE0EEENS1_30default_config_static_selectorELNS0_4arch9wavefront6targetE1EEEvSK_.has_recursion, 0
	.set _ZN7rocprim17ROCPRIM_400000_NS6detail17trampoline_kernelINS0_14default_configENS1_22reduce_config_selectorIyEEZNS1_11reduce_implILb1ES3_N6thrust23THRUST_200600_302600_NS6detail15normal_iteratorINS8_10device_ptrIyEEEEPyyNS8_4plusIyEEEE10hipError_tPvRmT1_T2_T3_mT4_P12ihipStream_tbEUlT_E0_NS1_11comp_targetILNS1_3genE10ELNS1_11target_archE1201ELNS1_3gpuE5ELNS1_3repE0EEENS1_30default_config_static_selectorELNS0_4arch9wavefront6targetE1EEEvSK_.has_indirect_call, 0
	.section	.AMDGPU.csdata,"",@progbits
; Kernel info:
; codeLenInByte = 0
; TotalNumSgprs: 6
; NumVgprs: 0
; NumAgprs: 0
; TotalNumVgprs: 0
; ScratchSize: 0
; MemoryBound: 0
; FloatMode: 240
; IeeeMode: 1
; LDSByteSize: 0 bytes/workgroup (compile time only)
; SGPRBlocks: 0
; VGPRBlocks: 0
; NumSGPRsForWavesPerEU: 6
; NumVGPRsForWavesPerEU: 1
; AccumOffset: 4
; Occupancy: 8
; WaveLimiterHint : 0
; COMPUTE_PGM_RSRC2:SCRATCH_EN: 0
; COMPUTE_PGM_RSRC2:USER_SGPR: 2
; COMPUTE_PGM_RSRC2:TRAP_HANDLER: 0
; COMPUTE_PGM_RSRC2:TGID_X_EN: 1
; COMPUTE_PGM_RSRC2:TGID_Y_EN: 0
; COMPUTE_PGM_RSRC2:TGID_Z_EN: 0
; COMPUTE_PGM_RSRC2:TIDIG_COMP_CNT: 0
; COMPUTE_PGM_RSRC3_GFX90A:ACCUM_OFFSET: 0
; COMPUTE_PGM_RSRC3_GFX90A:TG_SPLIT: 0
	.section	.text._ZN7rocprim17ROCPRIM_400000_NS6detail17trampoline_kernelINS0_14default_configENS1_22reduce_config_selectorIyEEZNS1_11reduce_implILb1ES3_N6thrust23THRUST_200600_302600_NS6detail15normal_iteratorINS8_10device_ptrIyEEEEPyyNS8_4plusIyEEEE10hipError_tPvRmT1_T2_T3_mT4_P12ihipStream_tbEUlT_E0_NS1_11comp_targetILNS1_3genE10ELNS1_11target_archE1200ELNS1_3gpuE4ELNS1_3repE0EEENS1_30default_config_static_selectorELNS0_4arch9wavefront6targetE1EEEvSK_,"axG",@progbits,_ZN7rocprim17ROCPRIM_400000_NS6detail17trampoline_kernelINS0_14default_configENS1_22reduce_config_selectorIyEEZNS1_11reduce_implILb1ES3_N6thrust23THRUST_200600_302600_NS6detail15normal_iteratorINS8_10device_ptrIyEEEEPyyNS8_4plusIyEEEE10hipError_tPvRmT1_T2_T3_mT4_P12ihipStream_tbEUlT_E0_NS1_11comp_targetILNS1_3genE10ELNS1_11target_archE1200ELNS1_3gpuE4ELNS1_3repE0EEENS1_30default_config_static_selectorELNS0_4arch9wavefront6targetE1EEEvSK_,comdat
	.protected	_ZN7rocprim17ROCPRIM_400000_NS6detail17trampoline_kernelINS0_14default_configENS1_22reduce_config_selectorIyEEZNS1_11reduce_implILb1ES3_N6thrust23THRUST_200600_302600_NS6detail15normal_iteratorINS8_10device_ptrIyEEEEPyyNS8_4plusIyEEEE10hipError_tPvRmT1_T2_T3_mT4_P12ihipStream_tbEUlT_E0_NS1_11comp_targetILNS1_3genE10ELNS1_11target_archE1200ELNS1_3gpuE4ELNS1_3repE0EEENS1_30default_config_static_selectorELNS0_4arch9wavefront6targetE1EEEvSK_ ; -- Begin function _ZN7rocprim17ROCPRIM_400000_NS6detail17trampoline_kernelINS0_14default_configENS1_22reduce_config_selectorIyEEZNS1_11reduce_implILb1ES3_N6thrust23THRUST_200600_302600_NS6detail15normal_iteratorINS8_10device_ptrIyEEEEPyyNS8_4plusIyEEEE10hipError_tPvRmT1_T2_T3_mT4_P12ihipStream_tbEUlT_E0_NS1_11comp_targetILNS1_3genE10ELNS1_11target_archE1200ELNS1_3gpuE4ELNS1_3repE0EEENS1_30default_config_static_selectorELNS0_4arch9wavefront6targetE1EEEvSK_
	.globl	_ZN7rocprim17ROCPRIM_400000_NS6detail17trampoline_kernelINS0_14default_configENS1_22reduce_config_selectorIyEEZNS1_11reduce_implILb1ES3_N6thrust23THRUST_200600_302600_NS6detail15normal_iteratorINS8_10device_ptrIyEEEEPyyNS8_4plusIyEEEE10hipError_tPvRmT1_T2_T3_mT4_P12ihipStream_tbEUlT_E0_NS1_11comp_targetILNS1_3genE10ELNS1_11target_archE1200ELNS1_3gpuE4ELNS1_3repE0EEENS1_30default_config_static_selectorELNS0_4arch9wavefront6targetE1EEEvSK_
	.p2align	8
	.type	_ZN7rocprim17ROCPRIM_400000_NS6detail17trampoline_kernelINS0_14default_configENS1_22reduce_config_selectorIyEEZNS1_11reduce_implILb1ES3_N6thrust23THRUST_200600_302600_NS6detail15normal_iteratorINS8_10device_ptrIyEEEEPyyNS8_4plusIyEEEE10hipError_tPvRmT1_T2_T3_mT4_P12ihipStream_tbEUlT_E0_NS1_11comp_targetILNS1_3genE10ELNS1_11target_archE1200ELNS1_3gpuE4ELNS1_3repE0EEENS1_30default_config_static_selectorELNS0_4arch9wavefront6targetE1EEEvSK_,@function
_ZN7rocprim17ROCPRIM_400000_NS6detail17trampoline_kernelINS0_14default_configENS1_22reduce_config_selectorIyEEZNS1_11reduce_implILb1ES3_N6thrust23THRUST_200600_302600_NS6detail15normal_iteratorINS8_10device_ptrIyEEEEPyyNS8_4plusIyEEEE10hipError_tPvRmT1_T2_T3_mT4_P12ihipStream_tbEUlT_E0_NS1_11comp_targetILNS1_3genE10ELNS1_11target_archE1200ELNS1_3gpuE4ELNS1_3repE0EEENS1_30default_config_static_selectorELNS0_4arch9wavefront6targetE1EEEvSK_: ; @_ZN7rocprim17ROCPRIM_400000_NS6detail17trampoline_kernelINS0_14default_configENS1_22reduce_config_selectorIyEEZNS1_11reduce_implILb1ES3_N6thrust23THRUST_200600_302600_NS6detail15normal_iteratorINS8_10device_ptrIyEEEEPyyNS8_4plusIyEEEE10hipError_tPvRmT1_T2_T3_mT4_P12ihipStream_tbEUlT_E0_NS1_11comp_targetILNS1_3genE10ELNS1_11target_archE1200ELNS1_3gpuE4ELNS1_3repE0EEENS1_30default_config_static_selectorELNS0_4arch9wavefront6targetE1EEEvSK_
; %bb.0:
	.section	.rodata,"a",@progbits
	.p2align	6, 0x0
	.amdhsa_kernel _ZN7rocprim17ROCPRIM_400000_NS6detail17trampoline_kernelINS0_14default_configENS1_22reduce_config_selectorIyEEZNS1_11reduce_implILb1ES3_N6thrust23THRUST_200600_302600_NS6detail15normal_iteratorINS8_10device_ptrIyEEEEPyyNS8_4plusIyEEEE10hipError_tPvRmT1_T2_T3_mT4_P12ihipStream_tbEUlT_E0_NS1_11comp_targetILNS1_3genE10ELNS1_11target_archE1200ELNS1_3gpuE4ELNS1_3repE0EEENS1_30default_config_static_selectorELNS0_4arch9wavefront6targetE1EEEvSK_
		.amdhsa_group_segment_fixed_size 0
		.amdhsa_private_segment_fixed_size 0
		.amdhsa_kernarg_size 64
		.amdhsa_user_sgpr_count 2
		.amdhsa_user_sgpr_dispatch_ptr 0
		.amdhsa_user_sgpr_queue_ptr 0
		.amdhsa_user_sgpr_kernarg_segment_ptr 1
		.amdhsa_user_sgpr_dispatch_id 0
		.amdhsa_user_sgpr_kernarg_preload_length 0
		.amdhsa_user_sgpr_kernarg_preload_offset 0
		.amdhsa_user_sgpr_private_segment_size 0
		.amdhsa_uses_dynamic_stack 0
		.amdhsa_enable_private_segment 0
		.amdhsa_system_sgpr_workgroup_id_x 1
		.amdhsa_system_sgpr_workgroup_id_y 0
		.amdhsa_system_sgpr_workgroup_id_z 0
		.amdhsa_system_sgpr_workgroup_info 0
		.amdhsa_system_vgpr_workitem_id 0
		.amdhsa_next_free_vgpr 1
		.amdhsa_next_free_sgpr 0
		.amdhsa_accum_offset 4
		.amdhsa_reserve_vcc 0
		.amdhsa_float_round_mode_32 0
		.amdhsa_float_round_mode_16_64 0
		.amdhsa_float_denorm_mode_32 3
		.amdhsa_float_denorm_mode_16_64 3
		.amdhsa_dx10_clamp 1
		.amdhsa_ieee_mode 1
		.amdhsa_fp16_overflow 0
		.amdhsa_tg_split 0
		.amdhsa_exception_fp_ieee_invalid_op 0
		.amdhsa_exception_fp_denorm_src 0
		.amdhsa_exception_fp_ieee_div_zero 0
		.amdhsa_exception_fp_ieee_overflow 0
		.amdhsa_exception_fp_ieee_underflow 0
		.amdhsa_exception_fp_ieee_inexact 0
		.amdhsa_exception_int_div_zero 0
	.end_amdhsa_kernel
	.section	.text._ZN7rocprim17ROCPRIM_400000_NS6detail17trampoline_kernelINS0_14default_configENS1_22reduce_config_selectorIyEEZNS1_11reduce_implILb1ES3_N6thrust23THRUST_200600_302600_NS6detail15normal_iteratorINS8_10device_ptrIyEEEEPyyNS8_4plusIyEEEE10hipError_tPvRmT1_T2_T3_mT4_P12ihipStream_tbEUlT_E0_NS1_11comp_targetILNS1_3genE10ELNS1_11target_archE1200ELNS1_3gpuE4ELNS1_3repE0EEENS1_30default_config_static_selectorELNS0_4arch9wavefront6targetE1EEEvSK_,"axG",@progbits,_ZN7rocprim17ROCPRIM_400000_NS6detail17trampoline_kernelINS0_14default_configENS1_22reduce_config_selectorIyEEZNS1_11reduce_implILb1ES3_N6thrust23THRUST_200600_302600_NS6detail15normal_iteratorINS8_10device_ptrIyEEEEPyyNS8_4plusIyEEEE10hipError_tPvRmT1_T2_T3_mT4_P12ihipStream_tbEUlT_E0_NS1_11comp_targetILNS1_3genE10ELNS1_11target_archE1200ELNS1_3gpuE4ELNS1_3repE0EEENS1_30default_config_static_selectorELNS0_4arch9wavefront6targetE1EEEvSK_,comdat
.Lfunc_end100:
	.size	_ZN7rocprim17ROCPRIM_400000_NS6detail17trampoline_kernelINS0_14default_configENS1_22reduce_config_selectorIyEEZNS1_11reduce_implILb1ES3_N6thrust23THRUST_200600_302600_NS6detail15normal_iteratorINS8_10device_ptrIyEEEEPyyNS8_4plusIyEEEE10hipError_tPvRmT1_T2_T3_mT4_P12ihipStream_tbEUlT_E0_NS1_11comp_targetILNS1_3genE10ELNS1_11target_archE1200ELNS1_3gpuE4ELNS1_3repE0EEENS1_30default_config_static_selectorELNS0_4arch9wavefront6targetE1EEEvSK_, .Lfunc_end100-_ZN7rocprim17ROCPRIM_400000_NS6detail17trampoline_kernelINS0_14default_configENS1_22reduce_config_selectorIyEEZNS1_11reduce_implILb1ES3_N6thrust23THRUST_200600_302600_NS6detail15normal_iteratorINS8_10device_ptrIyEEEEPyyNS8_4plusIyEEEE10hipError_tPvRmT1_T2_T3_mT4_P12ihipStream_tbEUlT_E0_NS1_11comp_targetILNS1_3genE10ELNS1_11target_archE1200ELNS1_3gpuE4ELNS1_3repE0EEENS1_30default_config_static_selectorELNS0_4arch9wavefront6targetE1EEEvSK_
                                        ; -- End function
	.set _ZN7rocprim17ROCPRIM_400000_NS6detail17trampoline_kernelINS0_14default_configENS1_22reduce_config_selectorIyEEZNS1_11reduce_implILb1ES3_N6thrust23THRUST_200600_302600_NS6detail15normal_iteratorINS8_10device_ptrIyEEEEPyyNS8_4plusIyEEEE10hipError_tPvRmT1_T2_T3_mT4_P12ihipStream_tbEUlT_E0_NS1_11comp_targetILNS1_3genE10ELNS1_11target_archE1200ELNS1_3gpuE4ELNS1_3repE0EEENS1_30default_config_static_selectorELNS0_4arch9wavefront6targetE1EEEvSK_.num_vgpr, 0
	.set _ZN7rocprim17ROCPRIM_400000_NS6detail17trampoline_kernelINS0_14default_configENS1_22reduce_config_selectorIyEEZNS1_11reduce_implILb1ES3_N6thrust23THRUST_200600_302600_NS6detail15normal_iteratorINS8_10device_ptrIyEEEEPyyNS8_4plusIyEEEE10hipError_tPvRmT1_T2_T3_mT4_P12ihipStream_tbEUlT_E0_NS1_11comp_targetILNS1_3genE10ELNS1_11target_archE1200ELNS1_3gpuE4ELNS1_3repE0EEENS1_30default_config_static_selectorELNS0_4arch9wavefront6targetE1EEEvSK_.num_agpr, 0
	.set _ZN7rocprim17ROCPRIM_400000_NS6detail17trampoline_kernelINS0_14default_configENS1_22reduce_config_selectorIyEEZNS1_11reduce_implILb1ES3_N6thrust23THRUST_200600_302600_NS6detail15normal_iteratorINS8_10device_ptrIyEEEEPyyNS8_4plusIyEEEE10hipError_tPvRmT1_T2_T3_mT4_P12ihipStream_tbEUlT_E0_NS1_11comp_targetILNS1_3genE10ELNS1_11target_archE1200ELNS1_3gpuE4ELNS1_3repE0EEENS1_30default_config_static_selectorELNS0_4arch9wavefront6targetE1EEEvSK_.numbered_sgpr, 0
	.set _ZN7rocprim17ROCPRIM_400000_NS6detail17trampoline_kernelINS0_14default_configENS1_22reduce_config_selectorIyEEZNS1_11reduce_implILb1ES3_N6thrust23THRUST_200600_302600_NS6detail15normal_iteratorINS8_10device_ptrIyEEEEPyyNS8_4plusIyEEEE10hipError_tPvRmT1_T2_T3_mT4_P12ihipStream_tbEUlT_E0_NS1_11comp_targetILNS1_3genE10ELNS1_11target_archE1200ELNS1_3gpuE4ELNS1_3repE0EEENS1_30default_config_static_selectorELNS0_4arch9wavefront6targetE1EEEvSK_.num_named_barrier, 0
	.set _ZN7rocprim17ROCPRIM_400000_NS6detail17trampoline_kernelINS0_14default_configENS1_22reduce_config_selectorIyEEZNS1_11reduce_implILb1ES3_N6thrust23THRUST_200600_302600_NS6detail15normal_iteratorINS8_10device_ptrIyEEEEPyyNS8_4plusIyEEEE10hipError_tPvRmT1_T2_T3_mT4_P12ihipStream_tbEUlT_E0_NS1_11comp_targetILNS1_3genE10ELNS1_11target_archE1200ELNS1_3gpuE4ELNS1_3repE0EEENS1_30default_config_static_selectorELNS0_4arch9wavefront6targetE1EEEvSK_.private_seg_size, 0
	.set _ZN7rocprim17ROCPRIM_400000_NS6detail17trampoline_kernelINS0_14default_configENS1_22reduce_config_selectorIyEEZNS1_11reduce_implILb1ES3_N6thrust23THRUST_200600_302600_NS6detail15normal_iteratorINS8_10device_ptrIyEEEEPyyNS8_4plusIyEEEE10hipError_tPvRmT1_T2_T3_mT4_P12ihipStream_tbEUlT_E0_NS1_11comp_targetILNS1_3genE10ELNS1_11target_archE1200ELNS1_3gpuE4ELNS1_3repE0EEENS1_30default_config_static_selectorELNS0_4arch9wavefront6targetE1EEEvSK_.uses_vcc, 0
	.set _ZN7rocprim17ROCPRIM_400000_NS6detail17trampoline_kernelINS0_14default_configENS1_22reduce_config_selectorIyEEZNS1_11reduce_implILb1ES3_N6thrust23THRUST_200600_302600_NS6detail15normal_iteratorINS8_10device_ptrIyEEEEPyyNS8_4plusIyEEEE10hipError_tPvRmT1_T2_T3_mT4_P12ihipStream_tbEUlT_E0_NS1_11comp_targetILNS1_3genE10ELNS1_11target_archE1200ELNS1_3gpuE4ELNS1_3repE0EEENS1_30default_config_static_selectorELNS0_4arch9wavefront6targetE1EEEvSK_.uses_flat_scratch, 0
	.set _ZN7rocprim17ROCPRIM_400000_NS6detail17trampoline_kernelINS0_14default_configENS1_22reduce_config_selectorIyEEZNS1_11reduce_implILb1ES3_N6thrust23THRUST_200600_302600_NS6detail15normal_iteratorINS8_10device_ptrIyEEEEPyyNS8_4plusIyEEEE10hipError_tPvRmT1_T2_T3_mT4_P12ihipStream_tbEUlT_E0_NS1_11comp_targetILNS1_3genE10ELNS1_11target_archE1200ELNS1_3gpuE4ELNS1_3repE0EEENS1_30default_config_static_selectorELNS0_4arch9wavefront6targetE1EEEvSK_.has_dyn_sized_stack, 0
	.set _ZN7rocprim17ROCPRIM_400000_NS6detail17trampoline_kernelINS0_14default_configENS1_22reduce_config_selectorIyEEZNS1_11reduce_implILb1ES3_N6thrust23THRUST_200600_302600_NS6detail15normal_iteratorINS8_10device_ptrIyEEEEPyyNS8_4plusIyEEEE10hipError_tPvRmT1_T2_T3_mT4_P12ihipStream_tbEUlT_E0_NS1_11comp_targetILNS1_3genE10ELNS1_11target_archE1200ELNS1_3gpuE4ELNS1_3repE0EEENS1_30default_config_static_selectorELNS0_4arch9wavefront6targetE1EEEvSK_.has_recursion, 0
	.set _ZN7rocprim17ROCPRIM_400000_NS6detail17trampoline_kernelINS0_14default_configENS1_22reduce_config_selectorIyEEZNS1_11reduce_implILb1ES3_N6thrust23THRUST_200600_302600_NS6detail15normal_iteratorINS8_10device_ptrIyEEEEPyyNS8_4plusIyEEEE10hipError_tPvRmT1_T2_T3_mT4_P12ihipStream_tbEUlT_E0_NS1_11comp_targetILNS1_3genE10ELNS1_11target_archE1200ELNS1_3gpuE4ELNS1_3repE0EEENS1_30default_config_static_selectorELNS0_4arch9wavefront6targetE1EEEvSK_.has_indirect_call, 0
	.section	.AMDGPU.csdata,"",@progbits
; Kernel info:
; codeLenInByte = 0
; TotalNumSgprs: 6
; NumVgprs: 0
; NumAgprs: 0
; TotalNumVgprs: 0
; ScratchSize: 0
; MemoryBound: 0
; FloatMode: 240
; IeeeMode: 1
; LDSByteSize: 0 bytes/workgroup (compile time only)
; SGPRBlocks: 0
; VGPRBlocks: 0
; NumSGPRsForWavesPerEU: 6
; NumVGPRsForWavesPerEU: 1
; AccumOffset: 4
; Occupancy: 8
; WaveLimiterHint : 0
; COMPUTE_PGM_RSRC2:SCRATCH_EN: 0
; COMPUTE_PGM_RSRC2:USER_SGPR: 2
; COMPUTE_PGM_RSRC2:TRAP_HANDLER: 0
; COMPUTE_PGM_RSRC2:TGID_X_EN: 1
; COMPUTE_PGM_RSRC2:TGID_Y_EN: 0
; COMPUTE_PGM_RSRC2:TGID_Z_EN: 0
; COMPUTE_PGM_RSRC2:TIDIG_COMP_CNT: 0
; COMPUTE_PGM_RSRC3_GFX90A:ACCUM_OFFSET: 0
; COMPUTE_PGM_RSRC3_GFX90A:TG_SPLIT: 0
	.section	.text._ZN7rocprim17ROCPRIM_400000_NS6detail17trampoline_kernelINS0_14default_configENS1_22reduce_config_selectorIyEEZNS1_11reduce_implILb1ES3_N6thrust23THRUST_200600_302600_NS6detail15normal_iteratorINS8_10device_ptrIyEEEEPyyNS8_4plusIyEEEE10hipError_tPvRmT1_T2_T3_mT4_P12ihipStream_tbEUlT_E0_NS1_11comp_targetILNS1_3genE9ELNS1_11target_archE1100ELNS1_3gpuE3ELNS1_3repE0EEENS1_30default_config_static_selectorELNS0_4arch9wavefront6targetE1EEEvSK_,"axG",@progbits,_ZN7rocprim17ROCPRIM_400000_NS6detail17trampoline_kernelINS0_14default_configENS1_22reduce_config_selectorIyEEZNS1_11reduce_implILb1ES3_N6thrust23THRUST_200600_302600_NS6detail15normal_iteratorINS8_10device_ptrIyEEEEPyyNS8_4plusIyEEEE10hipError_tPvRmT1_T2_T3_mT4_P12ihipStream_tbEUlT_E0_NS1_11comp_targetILNS1_3genE9ELNS1_11target_archE1100ELNS1_3gpuE3ELNS1_3repE0EEENS1_30default_config_static_selectorELNS0_4arch9wavefront6targetE1EEEvSK_,comdat
	.protected	_ZN7rocprim17ROCPRIM_400000_NS6detail17trampoline_kernelINS0_14default_configENS1_22reduce_config_selectorIyEEZNS1_11reduce_implILb1ES3_N6thrust23THRUST_200600_302600_NS6detail15normal_iteratorINS8_10device_ptrIyEEEEPyyNS8_4plusIyEEEE10hipError_tPvRmT1_T2_T3_mT4_P12ihipStream_tbEUlT_E0_NS1_11comp_targetILNS1_3genE9ELNS1_11target_archE1100ELNS1_3gpuE3ELNS1_3repE0EEENS1_30default_config_static_selectorELNS0_4arch9wavefront6targetE1EEEvSK_ ; -- Begin function _ZN7rocprim17ROCPRIM_400000_NS6detail17trampoline_kernelINS0_14default_configENS1_22reduce_config_selectorIyEEZNS1_11reduce_implILb1ES3_N6thrust23THRUST_200600_302600_NS6detail15normal_iteratorINS8_10device_ptrIyEEEEPyyNS8_4plusIyEEEE10hipError_tPvRmT1_T2_T3_mT4_P12ihipStream_tbEUlT_E0_NS1_11comp_targetILNS1_3genE9ELNS1_11target_archE1100ELNS1_3gpuE3ELNS1_3repE0EEENS1_30default_config_static_selectorELNS0_4arch9wavefront6targetE1EEEvSK_
	.globl	_ZN7rocprim17ROCPRIM_400000_NS6detail17trampoline_kernelINS0_14default_configENS1_22reduce_config_selectorIyEEZNS1_11reduce_implILb1ES3_N6thrust23THRUST_200600_302600_NS6detail15normal_iteratorINS8_10device_ptrIyEEEEPyyNS8_4plusIyEEEE10hipError_tPvRmT1_T2_T3_mT4_P12ihipStream_tbEUlT_E0_NS1_11comp_targetILNS1_3genE9ELNS1_11target_archE1100ELNS1_3gpuE3ELNS1_3repE0EEENS1_30default_config_static_selectorELNS0_4arch9wavefront6targetE1EEEvSK_
	.p2align	8
	.type	_ZN7rocprim17ROCPRIM_400000_NS6detail17trampoline_kernelINS0_14default_configENS1_22reduce_config_selectorIyEEZNS1_11reduce_implILb1ES3_N6thrust23THRUST_200600_302600_NS6detail15normal_iteratorINS8_10device_ptrIyEEEEPyyNS8_4plusIyEEEE10hipError_tPvRmT1_T2_T3_mT4_P12ihipStream_tbEUlT_E0_NS1_11comp_targetILNS1_3genE9ELNS1_11target_archE1100ELNS1_3gpuE3ELNS1_3repE0EEENS1_30default_config_static_selectorELNS0_4arch9wavefront6targetE1EEEvSK_,@function
_ZN7rocprim17ROCPRIM_400000_NS6detail17trampoline_kernelINS0_14default_configENS1_22reduce_config_selectorIyEEZNS1_11reduce_implILb1ES3_N6thrust23THRUST_200600_302600_NS6detail15normal_iteratorINS8_10device_ptrIyEEEEPyyNS8_4plusIyEEEE10hipError_tPvRmT1_T2_T3_mT4_P12ihipStream_tbEUlT_E0_NS1_11comp_targetILNS1_3genE9ELNS1_11target_archE1100ELNS1_3gpuE3ELNS1_3repE0EEENS1_30default_config_static_selectorELNS0_4arch9wavefront6targetE1EEEvSK_: ; @_ZN7rocprim17ROCPRIM_400000_NS6detail17trampoline_kernelINS0_14default_configENS1_22reduce_config_selectorIyEEZNS1_11reduce_implILb1ES3_N6thrust23THRUST_200600_302600_NS6detail15normal_iteratorINS8_10device_ptrIyEEEEPyyNS8_4plusIyEEEE10hipError_tPvRmT1_T2_T3_mT4_P12ihipStream_tbEUlT_E0_NS1_11comp_targetILNS1_3genE9ELNS1_11target_archE1100ELNS1_3gpuE3ELNS1_3repE0EEENS1_30default_config_static_selectorELNS0_4arch9wavefront6targetE1EEEvSK_
; %bb.0:
	.section	.rodata,"a",@progbits
	.p2align	6, 0x0
	.amdhsa_kernel _ZN7rocprim17ROCPRIM_400000_NS6detail17trampoline_kernelINS0_14default_configENS1_22reduce_config_selectorIyEEZNS1_11reduce_implILb1ES3_N6thrust23THRUST_200600_302600_NS6detail15normal_iteratorINS8_10device_ptrIyEEEEPyyNS8_4plusIyEEEE10hipError_tPvRmT1_T2_T3_mT4_P12ihipStream_tbEUlT_E0_NS1_11comp_targetILNS1_3genE9ELNS1_11target_archE1100ELNS1_3gpuE3ELNS1_3repE0EEENS1_30default_config_static_selectorELNS0_4arch9wavefront6targetE1EEEvSK_
		.amdhsa_group_segment_fixed_size 0
		.amdhsa_private_segment_fixed_size 0
		.amdhsa_kernarg_size 64
		.amdhsa_user_sgpr_count 2
		.amdhsa_user_sgpr_dispatch_ptr 0
		.amdhsa_user_sgpr_queue_ptr 0
		.amdhsa_user_sgpr_kernarg_segment_ptr 1
		.amdhsa_user_sgpr_dispatch_id 0
		.amdhsa_user_sgpr_kernarg_preload_length 0
		.amdhsa_user_sgpr_kernarg_preload_offset 0
		.amdhsa_user_sgpr_private_segment_size 0
		.amdhsa_uses_dynamic_stack 0
		.amdhsa_enable_private_segment 0
		.amdhsa_system_sgpr_workgroup_id_x 1
		.amdhsa_system_sgpr_workgroup_id_y 0
		.amdhsa_system_sgpr_workgroup_id_z 0
		.amdhsa_system_sgpr_workgroup_info 0
		.amdhsa_system_vgpr_workitem_id 0
		.amdhsa_next_free_vgpr 1
		.amdhsa_next_free_sgpr 0
		.amdhsa_accum_offset 4
		.amdhsa_reserve_vcc 0
		.amdhsa_float_round_mode_32 0
		.amdhsa_float_round_mode_16_64 0
		.amdhsa_float_denorm_mode_32 3
		.amdhsa_float_denorm_mode_16_64 3
		.amdhsa_dx10_clamp 1
		.amdhsa_ieee_mode 1
		.amdhsa_fp16_overflow 0
		.amdhsa_tg_split 0
		.amdhsa_exception_fp_ieee_invalid_op 0
		.amdhsa_exception_fp_denorm_src 0
		.amdhsa_exception_fp_ieee_div_zero 0
		.amdhsa_exception_fp_ieee_overflow 0
		.amdhsa_exception_fp_ieee_underflow 0
		.amdhsa_exception_fp_ieee_inexact 0
		.amdhsa_exception_int_div_zero 0
	.end_amdhsa_kernel
	.section	.text._ZN7rocprim17ROCPRIM_400000_NS6detail17trampoline_kernelINS0_14default_configENS1_22reduce_config_selectorIyEEZNS1_11reduce_implILb1ES3_N6thrust23THRUST_200600_302600_NS6detail15normal_iteratorINS8_10device_ptrIyEEEEPyyNS8_4plusIyEEEE10hipError_tPvRmT1_T2_T3_mT4_P12ihipStream_tbEUlT_E0_NS1_11comp_targetILNS1_3genE9ELNS1_11target_archE1100ELNS1_3gpuE3ELNS1_3repE0EEENS1_30default_config_static_selectorELNS0_4arch9wavefront6targetE1EEEvSK_,"axG",@progbits,_ZN7rocprim17ROCPRIM_400000_NS6detail17trampoline_kernelINS0_14default_configENS1_22reduce_config_selectorIyEEZNS1_11reduce_implILb1ES3_N6thrust23THRUST_200600_302600_NS6detail15normal_iteratorINS8_10device_ptrIyEEEEPyyNS8_4plusIyEEEE10hipError_tPvRmT1_T2_T3_mT4_P12ihipStream_tbEUlT_E0_NS1_11comp_targetILNS1_3genE9ELNS1_11target_archE1100ELNS1_3gpuE3ELNS1_3repE0EEENS1_30default_config_static_selectorELNS0_4arch9wavefront6targetE1EEEvSK_,comdat
.Lfunc_end101:
	.size	_ZN7rocprim17ROCPRIM_400000_NS6detail17trampoline_kernelINS0_14default_configENS1_22reduce_config_selectorIyEEZNS1_11reduce_implILb1ES3_N6thrust23THRUST_200600_302600_NS6detail15normal_iteratorINS8_10device_ptrIyEEEEPyyNS8_4plusIyEEEE10hipError_tPvRmT1_T2_T3_mT4_P12ihipStream_tbEUlT_E0_NS1_11comp_targetILNS1_3genE9ELNS1_11target_archE1100ELNS1_3gpuE3ELNS1_3repE0EEENS1_30default_config_static_selectorELNS0_4arch9wavefront6targetE1EEEvSK_, .Lfunc_end101-_ZN7rocprim17ROCPRIM_400000_NS6detail17trampoline_kernelINS0_14default_configENS1_22reduce_config_selectorIyEEZNS1_11reduce_implILb1ES3_N6thrust23THRUST_200600_302600_NS6detail15normal_iteratorINS8_10device_ptrIyEEEEPyyNS8_4plusIyEEEE10hipError_tPvRmT1_T2_T3_mT4_P12ihipStream_tbEUlT_E0_NS1_11comp_targetILNS1_3genE9ELNS1_11target_archE1100ELNS1_3gpuE3ELNS1_3repE0EEENS1_30default_config_static_selectorELNS0_4arch9wavefront6targetE1EEEvSK_
                                        ; -- End function
	.set _ZN7rocprim17ROCPRIM_400000_NS6detail17trampoline_kernelINS0_14default_configENS1_22reduce_config_selectorIyEEZNS1_11reduce_implILb1ES3_N6thrust23THRUST_200600_302600_NS6detail15normal_iteratorINS8_10device_ptrIyEEEEPyyNS8_4plusIyEEEE10hipError_tPvRmT1_T2_T3_mT4_P12ihipStream_tbEUlT_E0_NS1_11comp_targetILNS1_3genE9ELNS1_11target_archE1100ELNS1_3gpuE3ELNS1_3repE0EEENS1_30default_config_static_selectorELNS0_4arch9wavefront6targetE1EEEvSK_.num_vgpr, 0
	.set _ZN7rocprim17ROCPRIM_400000_NS6detail17trampoline_kernelINS0_14default_configENS1_22reduce_config_selectorIyEEZNS1_11reduce_implILb1ES3_N6thrust23THRUST_200600_302600_NS6detail15normal_iteratorINS8_10device_ptrIyEEEEPyyNS8_4plusIyEEEE10hipError_tPvRmT1_T2_T3_mT4_P12ihipStream_tbEUlT_E0_NS1_11comp_targetILNS1_3genE9ELNS1_11target_archE1100ELNS1_3gpuE3ELNS1_3repE0EEENS1_30default_config_static_selectorELNS0_4arch9wavefront6targetE1EEEvSK_.num_agpr, 0
	.set _ZN7rocprim17ROCPRIM_400000_NS6detail17trampoline_kernelINS0_14default_configENS1_22reduce_config_selectorIyEEZNS1_11reduce_implILb1ES3_N6thrust23THRUST_200600_302600_NS6detail15normal_iteratorINS8_10device_ptrIyEEEEPyyNS8_4plusIyEEEE10hipError_tPvRmT1_T2_T3_mT4_P12ihipStream_tbEUlT_E0_NS1_11comp_targetILNS1_3genE9ELNS1_11target_archE1100ELNS1_3gpuE3ELNS1_3repE0EEENS1_30default_config_static_selectorELNS0_4arch9wavefront6targetE1EEEvSK_.numbered_sgpr, 0
	.set _ZN7rocprim17ROCPRIM_400000_NS6detail17trampoline_kernelINS0_14default_configENS1_22reduce_config_selectorIyEEZNS1_11reduce_implILb1ES3_N6thrust23THRUST_200600_302600_NS6detail15normal_iteratorINS8_10device_ptrIyEEEEPyyNS8_4plusIyEEEE10hipError_tPvRmT1_T2_T3_mT4_P12ihipStream_tbEUlT_E0_NS1_11comp_targetILNS1_3genE9ELNS1_11target_archE1100ELNS1_3gpuE3ELNS1_3repE0EEENS1_30default_config_static_selectorELNS0_4arch9wavefront6targetE1EEEvSK_.num_named_barrier, 0
	.set _ZN7rocprim17ROCPRIM_400000_NS6detail17trampoline_kernelINS0_14default_configENS1_22reduce_config_selectorIyEEZNS1_11reduce_implILb1ES3_N6thrust23THRUST_200600_302600_NS6detail15normal_iteratorINS8_10device_ptrIyEEEEPyyNS8_4plusIyEEEE10hipError_tPvRmT1_T2_T3_mT4_P12ihipStream_tbEUlT_E0_NS1_11comp_targetILNS1_3genE9ELNS1_11target_archE1100ELNS1_3gpuE3ELNS1_3repE0EEENS1_30default_config_static_selectorELNS0_4arch9wavefront6targetE1EEEvSK_.private_seg_size, 0
	.set _ZN7rocprim17ROCPRIM_400000_NS6detail17trampoline_kernelINS0_14default_configENS1_22reduce_config_selectorIyEEZNS1_11reduce_implILb1ES3_N6thrust23THRUST_200600_302600_NS6detail15normal_iteratorINS8_10device_ptrIyEEEEPyyNS8_4plusIyEEEE10hipError_tPvRmT1_T2_T3_mT4_P12ihipStream_tbEUlT_E0_NS1_11comp_targetILNS1_3genE9ELNS1_11target_archE1100ELNS1_3gpuE3ELNS1_3repE0EEENS1_30default_config_static_selectorELNS0_4arch9wavefront6targetE1EEEvSK_.uses_vcc, 0
	.set _ZN7rocprim17ROCPRIM_400000_NS6detail17trampoline_kernelINS0_14default_configENS1_22reduce_config_selectorIyEEZNS1_11reduce_implILb1ES3_N6thrust23THRUST_200600_302600_NS6detail15normal_iteratorINS8_10device_ptrIyEEEEPyyNS8_4plusIyEEEE10hipError_tPvRmT1_T2_T3_mT4_P12ihipStream_tbEUlT_E0_NS1_11comp_targetILNS1_3genE9ELNS1_11target_archE1100ELNS1_3gpuE3ELNS1_3repE0EEENS1_30default_config_static_selectorELNS0_4arch9wavefront6targetE1EEEvSK_.uses_flat_scratch, 0
	.set _ZN7rocprim17ROCPRIM_400000_NS6detail17trampoline_kernelINS0_14default_configENS1_22reduce_config_selectorIyEEZNS1_11reduce_implILb1ES3_N6thrust23THRUST_200600_302600_NS6detail15normal_iteratorINS8_10device_ptrIyEEEEPyyNS8_4plusIyEEEE10hipError_tPvRmT1_T2_T3_mT4_P12ihipStream_tbEUlT_E0_NS1_11comp_targetILNS1_3genE9ELNS1_11target_archE1100ELNS1_3gpuE3ELNS1_3repE0EEENS1_30default_config_static_selectorELNS0_4arch9wavefront6targetE1EEEvSK_.has_dyn_sized_stack, 0
	.set _ZN7rocprim17ROCPRIM_400000_NS6detail17trampoline_kernelINS0_14default_configENS1_22reduce_config_selectorIyEEZNS1_11reduce_implILb1ES3_N6thrust23THRUST_200600_302600_NS6detail15normal_iteratorINS8_10device_ptrIyEEEEPyyNS8_4plusIyEEEE10hipError_tPvRmT1_T2_T3_mT4_P12ihipStream_tbEUlT_E0_NS1_11comp_targetILNS1_3genE9ELNS1_11target_archE1100ELNS1_3gpuE3ELNS1_3repE0EEENS1_30default_config_static_selectorELNS0_4arch9wavefront6targetE1EEEvSK_.has_recursion, 0
	.set _ZN7rocprim17ROCPRIM_400000_NS6detail17trampoline_kernelINS0_14default_configENS1_22reduce_config_selectorIyEEZNS1_11reduce_implILb1ES3_N6thrust23THRUST_200600_302600_NS6detail15normal_iteratorINS8_10device_ptrIyEEEEPyyNS8_4plusIyEEEE10hipError_tPvRmT1_T2_T3_mT4_P12ihipStream_tbEUlT_E0_NS1_11comp_targetILNS1_3genE9ELNS1_11target_archE1100ELNS1_3gpuE3ELNS1_3repE0EEENS1_30default_config_static_selectorELNS0_4arch9wavefront6targetE1EEEvSK_.has_indirect_call, 0
	.section	.AMDGPU.csdata,"",@progbits
; Kernel info:
; codeLenInByte = 0
; TotalNumSgprs: 6
; NumVgprs: 0
; NumAgprs: 0
; TotalNumVgprs: 0
; ScratchSize: 0
; MemoryBound: 0
; FloatMode: 240
; IeeeMode: 1
; LDSByteSize: 0 bytes/workgroup (compile time only)
; SGPRBlocks: 0
; VGPRBlocks: 0
; NumSGPRsForWavesPerEU: 6
; NumVGPRsForWavesPerEU: 1
; AccumOffset: 4
; Occupancy: 8
; WaveLimiterHint : 0
; COMPUTE_PGM_RSRC2:SCRATCH_EN: 0
; COMPUTE_PGM_RSRC2:USER_SGPR: 2
; COMPUTE_PGM_RSRC2:TRAP_HANDLER: 0
; COMPUTE_PGM_RSRC2:TGID_X_EN: 1
; COMPUTE_PGM_RSRC2:TGID_Y_EN: 0
; COMPUTE_PGM_RSRC2:TGID_Z_EN: 0
; COMPUTE_PGM_RSRC2:TIDIG_COMP_CNT: 0
; COMPUTE_PGM_RSRC3_GFX90A:ACCUM_OFFSET: 0
; COMPUTE_PGM_RSRC3_GFX90A:TG_SPLIT: 0
	.section	.text._ZN7rocprim17ROCPRIM_400000_NS6detail17trampoline_kernelINS0_14default_configENS1_22reduce_config_selectorIyEEZNS1_11reduce_implILb1ES3_N6thrust23THRUST_200600_302600_NS6detail15normal_iteratorINS8_10device_ptrIyEEEEPyyNS8_4plusIyEEEE10hipError_tPvRmT1_T2_T3_mT4_P12ihipStream_tbEUlT_E0_NS1_11comp_targetILNS1_3genE8ELNS1_11target_archE1030ELNS1_3gpuE2ELNS1_3repE0EEENS1_30default_config_static_selectorELNS0_4arch9wavefront6targetE1EEEvSK_,"axG",@progbits,_ZN7rocprim17ROCPRIM_400000_NS6detail17trampoline_kernelINS0_14default_configENS1_22reduce_config_selectorIyEEZNS1_11reduce_implILb1ES3_N6thrust23THRUST_200600_302600_NS6detail15normal_iteratorINS8_10device_ptrIyEEEEPyyNS8_4plusIyEEEE10hipError_tPvRmT1_T2_T3_mT4_P12ihipStream_tbEUlT_E0_NS1_11comp_targetILNS1_3genE8ELNS1_11target_archE1030ELNS1_3gpuE2ELNS1_3repE0EEENS1_30default_config_static_selectorELNS0_4arch9wavefront6targetE1EEEvSK_,comdat
	.protected	_ZN7rocprim17ROCPRIM_400000_NS6detail17trampoline_kernelINS0_14default_configENS1_22reduce_config_selectorIyEEZNS1_11reduce_implILb1ES3_N6thrust23THRUST_200600_302600_NS6detail15normal_iteratorINS8_10device_ptrIyEEEEPyyNS8_4plusIyEEEE10hipError_tPvRmT1_T2_T3_mT4_P12ihipStream_tbEUlT_E0_NS1_11comp_targetILNS1_3genE8ELNS1_11target_archE1030ELNS1_3gpuE2ELNS1_3repE0EEENS1_30default_config_static_selectorELNS0_4arch9wavefront6targetE1EEEvSK_ ; -- Begin function _ZN7rocprim17ROCPRIM_400000_NS6detail17trampoline_kernelINS0_14default_configENS1_22reduce_config_selectorIyEEZNS1_11reduce_implILb1ES3_N6thrust23THRUST_200600_302600_NS6detail15normal_iteratorINS8_10device_ptrIyEEEEPyyNS8_4plusIyEEEE10hipError_tPvRmT1_T2_T3_mT4_P12ihipStream_tbEUlT_E0_NS1_11comp_targetILNS1_3genE8ELNS1_11target_archE1030ELNS1_3gpuE2ELNS1_3repE0EEENS1_30default_config_static_selectorELNS0_4arch9wavefront6targetE1EEEvSK_
	.globl	_ZN7rocprim17ROCPRIM_400000_NS6detail17trampoline_kernelINS0_14default_configENS1_22reduce_config_selectorIyEEZNS1_11reduce_implILb1ES3_N6thrust23THRUST_200600_302600_NS6detail15normal_iteratorINS8_10device_ptrIyEEEEPyyNS8_4plusIyEEEE10hipError_tPvRmT1_T2_T3_mT4_P12ihipStream_tbEUlT_E0_NS1_11comp_targetILNS1_3genE8ELNS1_11target_archE1030ELNS1_3gpuE2ELNS1_3repE0EEENS1_30default_config_static_selectorELNS0_4arch9wavefront6targetE1EEEvSK_
	.p2align	8
	.type	_ZN7rocprim17ROCPRIM_400000_NS6detail17trampoline_kernelINS0_14default_configENS1_22reduce_config_selectorIyEEZNS1_11reduce_implILb1ES3_N6thrust23THRUST_200600_302600_NS6detail15normal_iteratorINS8_10device_ptrIyEEEEPyyNS8_4plusIyEEEE10hipError_tPvRmT1_T2_T3_mT4_P12ihipStream_tbEUlT_E0_NS1_11comp_targetILNS1_3genE8ELNS1_11target_archE1030ELNS1_3gpuE2ELNS1_3repE0EEENS1_30default_config_static_selectorELNS0_4arch9wavefront6targetE1EEEvSK_,@function
_ZN7rocprim17ROCPRIM_400000_NS6detail17trampoline_kernelINS0_14default_configENS1_22reduce_config_selectorIyEEZNS1_11reduce_implILb1ES3_N6thrust23THRUST_200600_302600_NS6detail15normal_iteratorINS8_10device_ptrIyEEEEPyyNS8_4plusIyEEEE10hipError_tPvRmT1_T2_T3_mT4_P12ihipStream_tbEUlT_E0_NS1_11comp_targetILNS1_3genE8ELNS1_11target_archE1030ELNS1_3gpuE2ELNS1_3repE0EEENS1_30default_config_static_selectorELNS0_4arch9wavefront6targetE1EEEvSK_: ; @_ZN7rocprim17ROCPRIM_400000_NS6detail17trampoline_kernelINS0_14default_configENS1_22reduce_config_selectorIyEEZNS1_11reduce_implILb1ES3_N6thrust23THRUST_200600_302600_NS6detail15normal_iteratorINS8_10device_ptrIyEEEEPyyNS8_4plusIyEEEE10hipError_tPvRmT1_T2_T3_mT4_P12ihipStream_tbEUlT_E0_NS1_11comp_targetILNS1_3genE8ELNS1_11target_archE1030ELNS1_3gpuE2ELNS1_3repE0EEENS1_30default_config_static_selectorELNS0_4arch9wavefront6targetE1EEEvSK_
; %bb.0:
	.section	.rodata,"a",@progbits
	.p2align	6, 0x0
	.amdhsa_kernel _ZN7rocprim17ROCPRIM_400000_NS6detail17trampoline_kernelINS0_14default_configENS1_22reduce_config_selectorIyEEZNS1_11reduce_implILb1ES3_N6thrust23THRUST_200600_302600_NS6detail15normal_iteratorINS8_10device_ptrIyEEEEPyyNS8_4plusIyEEEE10hipError_tPvRmT1_T2_T3_mT4_P12ihipStream_tbEUlT_E0_NS1_11comp_targetILNS1_3genE8ELNS1_11target_archE1030ELNS1_3gpuE2ELNS1_3repE0EEENS1_30default_config_static_selectorELNS0_4arch9wavefront6targetE1EEEvSK_
		.amdhsa_group_segment_fixed_size 0
		.amdhsa_private_segment_fixed_size 0
		.amdhsa_kernarg_size 64
		.amdhsa_user_sgpr_count 2
		.amdhsa_user_sgpr_dispatch_ptr 0
		.amdhsa_user_sgpr_queue_ptr 0
		.amdhsa_user_sgpr_kernarg_segment_ptr 1
		.amdhsa_user_sgpr_dispatch_id 0
		.amdhsa_user_sgpr_kernarg_preload_length 0
		.amdhsa_user_sgpr_kernarg_preload_offset 0
		.amdhsa_user_sgpr_private_segment_size 0
		.amdhsa_uses_dynamic_stack 0
		.amdhsa_enable_private_segment 0
		.amdhsa_system_sgpr_workgroup_id_x 1
		.amdhsa_system_sgpr_workgroup_id_y 0
		.amdhsa_system_sgpr_workgroup_id_z 0
		.amdhsa_system_sgpr_workgroup_info 0
		.amdhsa_system_vgpr_workitem_id 0
		.amdhsa_next_free_vgpr 1
		.amdhsa_next_free_sgpr 0
		.amdhsa_accum_offset 4
		.amdhsa_reserve_vcc 0
		.amdhsa_float_round_mode_32 0
		.amdhsa_float_round_mode_16_64 0
		.amdhsa_float_denorm_mode_32 3
		.amdhsa_float_denorm_mode_16_64 3
		.amdhsa_dx10_clamp 1
		.amdhsa_ieee_mode 1
		.amdhsa_fp16_overflow 0
		.amdhsa_tg_split 0
		.amdhsa_exception_fp_ieee_invalid_op 0
		.amdhsa_exception_fp_denorm_src 0
		.amdhsa_exception_fp_ieee_div_zero 0
		.amdhsa_exception_fp_ieee_overflow 0
		.amdhsa_exception_fp_ieee_underflow 0
		.amdhsa_exception_fp_ieee_inexact 0
		.amdhsa_exception_int_div_zero 0
	.end_amdhsa_kernel
	.section	.text._ZN7rocprim17ROCPRIM_400000_NS6detail17trampoline_kernelINS0_14default_configENS1_22reduce_config_selectorIyEEZNS1_11reduce_implILb1ES3_N6thrust23THRUST_200600_302600_NS6detail15normal_iteratorINS8_10device_ptrIyEEEEPyyNS8_4plusIyEEEE10hipError_tPvRmT1_T2_T3_mT4_P12ihipStream_tbEUlT_E0_NS1_11comp_targetILNS1_3genE8ELNS1_11target_archE1030ELNS1_3gpuE2ELNS1_3repE0EEENS1_30default_config_static_selectorELNS0_4arch9wavefront6targetE1EEEvSK_,"axG",@progbits,_ZN7rocprim17ROCPRIM_400000_NS6detail17trampoline_kernelINS0_14default_configENS1_22reduce_config_selectorIyEEZNS1_11reduce_implILb1ES3_N6thrust23THRUST_200600_302600_NS6detail15normal_iteratorINS8_10device_ptrIyEEEEPyyNS8_4plusIyEEEE10hipError_tPvRmT1_T2_T3_mT4_P12ihipStream_tbEUlT_E0_NS1_11comp_targetILNS1_3genE8ELNS1_11target_archE1030ELNS1_3gpuE2ELNS1_3repE0EEENS1_30default_config_static_selectorELNS0_4arch9wavefront6targetE1EEEvSK_,comdat
.Lfunc_end102:
	.size	_ZN7rocprim17ROCPRIM_400000_NS6detail17trampoline_kernelINS0_14default_configENS1_22reduce_config_selectorIyEEZNS1_11reduce_implILb1ES3_N6thrust23THRUST_200600_302600_NS6detail15normal_iteratorINS8_10device_ptrIyEEEEPyyNS8_4plusIyEEEE10hipError_tPvRmT1_T2_T3_mT4_P12ihipStream_tbEUlT_E0_NS1_11comp_targetILNS1_3genE8ELNS1_11target_archE1030ELNS1_3gpuE2ELNS1_3repE0EEENS1_30default_config_static_selectorELNS0_4arch9wavefront6targetE1EEEvSK_, .Lfunc_end102-_ZN7rocprim17ROCPRIM_400000_NS6detail17trampoline_kernelINS0_14default_configENS1_22reduce_config_selectorIyEEZNS1_11reduce_implILb1ES3_N6thrust23THRUST_200600_302600_NS6detail15normal_iteratorINS8_10device_ptrIyEEEEPyyNS8_4plusIyEEEE10hipError_tPvRmT1_T2_T3_mT4_P12ihipStream_tbEUlT_E0_NS1_11comp_targetILNS1_3genE8ELNS1_11target_archE1030ELNS1_3gpuE2ELNS1_3repE0EEENS1_30default_config_static_selectorELNS0_4arch9wavefront6targetE1EEEvSK_
                                        ; -- End function
	.set _ZN7rocprim17ROCPRIM_400000_NS6detail17trampoline_kernelINS0_14default_configENS1_22reduce_config_selectorIyEEZNS1_11reduce_implILb1ES3_N6thrust23THRUST_200600_302600_NS6detail15normal_iteratorINS8_10device_ptrIyEEEEPyyNS8_4plusIyEEEE10hipError_tPvRmT1_T2_T3_mT4_P12ihipStream_tbEUlT_E0_NS1_11comp_targetILNS1_3genE8ELNS1_11target_archE1030ELNS1_3gpuE2ELNS1_3repE0EEENS1_30default_config_static_selectorELNS0_4arch9wavefront6targetE1EEEvSK_.num_vgpr, 0
	.set _ZN7rocprim17ROCPRIM_400000_NS6detail17trampoline_kernelINS0_14default_configENS1_22reduce_config_selectorIyEEZNS1_11reduce_implILb1ES3_N6thrust23THRUST_200600_302600_NS6detail15normal_iteratorINS8_10device_ptrIyEEEEPyyNS8_4plusIyEEEE10hipError_tPvRmT1_T2_T3_mT4_P12ihipStream_tbEUlT_E0_NS1_11comp_targetILNS1_3genE8ELNS1_11target_archE1030ELNS1_3gpuE2ELNS1_3repE0EEENS1_30default_config_static_selectorELNS0_4arch9wavefront6targetE1EEEvSK_.num_agpr, 0
	.set _ZN7rocprim17ROCPRIM_400000_NS6detail17trampoline_kernelINS0_14default_configENS1_22reduce_config_selectorIyEEZNS1_11reduce_implILb1ES3_N6thrust23THRUST_200600_302600_NS6detail15normal_iteratorINS8_10device_ptrIyEEEEPyyNS8_4plusIyEEEE10hipError_tPvRmT1_T2_T3_mT4_P12ihipStream_tbEUlT_E0_NS1_11comp_targetILNS1_3genE8ELNS1_11target_archE1030ELNS1_3gpuE2ELNS1_3repE0EEENS1_30default_config_static_selectorELNS0_4arch9wavefront6targetE1EEEvSK_.numbered_sgpr, 0
	.set _ZN7rocprim17ROCPRIM_400000_NS6detail17trampoline_kernelINS0_14default_configENS1_22reduce_config_selectorIyEEZNS1_11reduce_implILb1ES3_N6thrust23THRUST_200600_302600_NS6detail15normal_iteratorINS8_10device_ptrIyEEEEPyyNS8_4plusIyEEEE10hipError_tPvRmT1_T2_T3_mT4_P12ihipStream_tbEUlT_E0_NS1_11comp_targetILNS1_3genE8ELNS1_11target_archE1030ELNS1_3gpuE2ELNS1_3repE0EEENS1_30default_config_static_selectorELNS0_4arch9wavefront6targetE1EEEvSK_.num_named_barrier, 0
	.set _ZN7rocprim17ROCPRIM_400000_NS6detail17trampoline_kernelINS0_14default_configENS1_22reduce_config_selectorIyEEZNS1_11reduce_implILb1ES3_N6thrust23THRUST_200600_302600_NS6detail15normal_iteratorINS8_10device_ptrIyEEEEPyyNS8_4plusIyEEEE10hipError_tPvRmT1_T2_T3_mT4_P12ihipStream_tbEUlT_E0_NS1_11comp_targetILNS1_3genE8ELNS1_11target_archE1030ELNS1_3gpuE2ELNS1_3repE0EEENS1_30default_config_static_selectorELNS0_4arch9wavefront6targetE1EEEvSK_.private_seg_size, 0
	.set _ZN7rocprim17ROCPRIM_400000_NS6detail17trampoline_kernelINS0_14default_configENS1_22reduce_config_selectorIyEEZNS1_11reduce_implILb1ES3_N6thrust23THRUST_200600_302600_NS6detail15normal_iteratorINS8_10device_ptrIyEEEEPyyNS8_4plusIyEEEE10hipError_tPvRmT1_T2_T3_mT4_P12ihipStream_tbEUlT_E0_NS1_11comp_targetILNS1_3genE8ELNS1_11target_archE1030ELNS1_3gpuE2ELNS1_3repE0EEENS1_30default_config_static_selectorELNS0_4arch9wavefront6targetE1EEEvSK_.uses_vcc, 0
	.set _ZN7rocprim17ROCPRIM_400000_NS6detail17trampoline_kernelINS0_14default_configENS1_22reduce_config_selectorIyEEZNS1_11reduce_implILb1ES3_N6thrust23THRUST_200600_302600_NS6detail15normal_iteratorINS8_10device_ptrIyEEEEPyyNS8_4plusIyEEEE10hipError_tPvRmT1_T2_T3_mT4_P12ihipStream_tbEUlT_E0_NS1_11comp_targetILNS1_3genE8ELNS1_11target_archE1030ELNS1_3gpuE2ELNS1_3repE0EEENS1_30default_config_static_selectorELNS0_4arch9wavefront6targetE1EEEvSK_.uses_flat_scratch, 0
	.set _ZN7rocprim17ROCPRIM_400000_NS6detail17trampoline_kernelINS0_14default_configENS1_22reduce_config_selectorIyEEZNS1_11reduce_implILb1ES3_N6thrust23THRUST_200600_302600_NS6detail15normal_iteratorINS8_10device_ptrIyEEEEPyyNS8_4plusIyEEEE10hipError_tPvRmT1_T2_T3_mT4_P12ihipStream_tbEUlT_E0_NS1_11comp_targetILNS1_3genE8ELNS1_11target_archE1030ELNS1_3gpuE2ELNS1_3repE0EEENS1_30default_config_static_selectorELNS0_4arch9wavefront6targetE1EEEvSK_.has_dyn_sized_stack, 0
	.set _ZN7rocprim17ROCPRIM_400000_NS6detail17trampoline_kernelINS0_14default_configENS1_22reduce_config_selectorIyEEZNS1_11reduce_implILb1ES3_N6thrust23THRUST_200600_302600_NS6detail15normal_iteratorINS8_10device_ptrIyEEEEPyyNS8_4plusIyEEEE10hipError_tPvRmT1_T2_T3_mT4_P12ihipStream_tbEUlT_E0_NS1_11comp_targetILNS1_3genE8ELNS1_11target_archE1030ELNS1_3gpuE2ELNS1_3repE0EEENS1_30default_config_static_selectorELNS0_4arch9wavefront6targetE1EEEvSK_.has_recursion, 0
	.set _ZN7rocprim17ROCPRIM_400000_NS6detail17trampoline_kernelINS0_14default_configENS1_22reduce_config_selectorIyEEZNS1_11reduce_implILb1ES3_N6thrust23THRUST_200600_302600_NS6detail15normal_iteratorINS8_10device_ptrIyEEEEPyyNS8_4plusIyEEEE10hipError_tPvRmT1_T2_T3_mT4_P12ihipStream_tbEUlT_E0_NS1_11comp_targetILNS1_3genE8ELNS1_11target_archE1030ELNS1_3gpuE2ELNS1_3repE0EEENS1_30default_config_static_selectorELNS0_4arch9wavefront6targetE1EEEvSK_.has_indirect_call, 0
	.section	.AMDGPU.csdata,"",@progbits
; Kernel info:
; codeLenInByte = 0
; TotalNumSgprs: 6
; NumVgprs: 0
; NumAgprs: 0
; TotalNumVgprs: 0
; ScratchSize: 0
; MemoryBound: 0
; FloatMode: 240
; IeeeMode: 1
; LDSByteSize: 0 bytes/workgroup (compile time only)
; SGPRBlocks: 0
; VGPRBlocks: 0
; NumSGPRsForWavesPerEU: 6
; NumVGPRsForWavesPerEU: 1
; AccumOffset: 4
; Occupancy: 8
; WaveLimiterHint : 0
; COMPUTE_PGM_RSRC2:SCRATCH_EN: 0
; COMPUTE_PGM_RSRC2:USER_SGPR: 2
; COMPUTE_PGM_RSRC2:TRAP_HANDLER: 0
; COMPUTE_PGM_RSRC2:TGID_X_EN: 1
; COMPUTE_PGM_RSRC2:TGID_Y_EN: 0
; COMPUTE_PGM_RSRC2:TGID_Z_EN: 0
; COMPUTE_PGM_RSRC2:TIDIG_COMP_CNT: 0
; COMPUTE_PGM_RSRC3_GFX90A:ACCUM_OFFSET: 0
; COMPUTE_PGM_RSRC3_GFX90A:TG_SPLIT: 0
	.section	.text._ZN7rocprim17ROCPRIM_400000_NS6detail17trampoline_kernelINS0_14default_configENS1_22reduce_config_selectorIyEEZNS1_11reduce_implILb1ES3_N6thrust23THRUST_200600_302600_NS6detail15normal_iteratorINS8_10device_ptrIyEEEEPyyNS8_4plusIyEEEE10hipError_tPvRmT1_T2_T3_mT4_P12ihipStream_tbEUlT_E1_NS1_11comp_targetILNS1_3genE0ELNS1_11target_archE4294967295ELNS1_3gpuE0ELNS1_3repE0EEENS1_30default_config_static_selectorELNS0_4arch9wavefront6targetE1EEEvSK_,"axG",@progbits,_ZN7rocprim17ROCPRIM_400000_NS6detail17trampoline_kernelINS0_14default_configENS1_22reduce_config_selectorIyEEZNS1_11reduce_implILb1ES3_N6thrust23THRUST_200600_302600_NS6detail15normal_iteratorINS8_10device_ptrIyEEEEPyyNS8_4plusIyEEEE10hipError_tPvRmT1_T2_T3_mT4_P12ihipStream_tbEUlT_E1_NS1_11comp_targetILNS1_3genE0ELNS1_11target_archE4294967295ELNS1_3gpuE0ELNS1_3repE0EEENS1_30default_config_static_selectorELNS0_4arch9wavefront6targetE1EEEvSK_,comdat
	.protected	_ZN7rocprim17ROCPRIM_400000_NS6detail17trampoline_kernelINS0_14default_configENS1_22reduce_config_selectorIyEEZNS1_11reduce_implILb1ES3_N6thrust23THRUST_200600_302600_NS6detail15normal_iteratorINS8_10device_ptrIyEEEEPyyNS8_4plusIyEEEE10hipError_tPvRmT1_T2_T3_mT4_P12ihipStream_tbEUlT_E1_NS1_11comp_targetILNS1_3genE0ELNS1_11target_archE4294967295ELNS1_3gpuE0ELNS1_3repE0EEENS1_30default_config_static_selectorELNS0_4arch9wavefront6targetE1EEEvSK_ ; -- Begin function _ZN7rocprim17ROCPRIM_400000_NS6detail17trampoline_kernelINS0_14default_configENS1_22reduce_config_selectorIyEEZNS1_11reduce_implILb1ES3_N6thrust23THRUST_200600_302600_NS6detail15normal_iteratorINS8_10device_ptrIyEEEEPyyNS8_4plusIyEEEE10hipError_tPvRmT1_T2_T3_mT4_P12ihipStream_tbEUlT_E1_NS1_11comp_targetILNS1_3genE0ELNS1_11target_archE4294967295ELNS1_3gpuE0ELNS1_3repE0EEENS1_30default_config_static_selectorELNS0_4arch9wavefront6targetE1EEEvSK_
	.globl	_ZN7rocprim17ROCPRIM_400000_NS6detail17trampoline_kernelINS0_14default_configENS1_22reduce_config_selectorIyEEZNS1_11reduce_implILb1ES3_N6thrust23THRUST_200600_302600_NS6detail15normal_iteratorINS8_10device_ptrIyEEEEPyyNS8_4plusIyEEEE10hipError_tPvRmT1_T2_T3_mT4_P12ihipStream_tbEUlT_E1_NS1_11comp_targetILNS1_3genE0ELNS1_11target_archE4294967295ELNS1_3gpuE0ELNS1_3repE0EEENS1_30default_config_static_selectorELNS0_4arch9wavefront6targetE1EEEvSK_
	.p2align	8
	.type	_ZN7rocprim17ROCPRIM_400000_NS6detail17trampoline_kernelINS0_14default_configENS1_22reduce_config_selectorIyEEZNS1_11reduce_implILb1ES3_N6thrust23THRUST_200600_302600_NS6detail15normal_iteratorINS8_10device_ptrIyEEEEPyyNS8_4plusIyEEEE10hipError_tPvRmT1_T2_T3_mT4_P12ihipStream_tbEUlT_E1_NS1_11comp_targetILNS1_3genE0ELNS1_11target_archE4294967295ELNS1_3gpuE0ELNS1_3repE0EEENS1_30default_config_static_selectorELNS0_4arch9wavefront6targetE1EEEvSK_,@function
_ZN7rocprim17ROCPRIM_400000_NS6detail17trampoline_kernelINS0_14default_configENS1_22reduce_config_selectorIyEEZNS1_11reduce_implILb1ES3_N6thrust23THRUST_200600_302600_NS6detail15normal_iteratorINS8_10device_ptrIyEEEEPyyNS8_4plusIyEEEE10hipError_tPvRmT1_T2_T3_mT4_P12ihipStream_tbEUlT_E1_NS1_11comp_targetILNS1_3genE0ELNS1_11target_archE4294967295ELNS1_3gpuE0ELNS1_3repE0EEENS1_30default_config_static_selectorELNS0_4arch9wavefront6targetE1EEEvSK_: ; @_ZN7rocprim17ROCPRIM_400000_NS6detail17trampoline_kernelINS0_14default_configENS1_22reduce_config_selectorIyEEZNS1_11reduce_implILb1ES3_N6thrust23THRUST_200600_302600_NS6detail15normal_iteratorINS8_10device_ptrIyEEEEPyyNS8_4plusIyEEEE10hipError_tPvRmT1_T2_T3_mT4_P12ihipStream_tbEUlT_E1_NS1_11comp_targetILNS1_3genE0ELNS1_11target_archE4294967295ELNS1_3gpuE0ELNS1_3repE0EEENS1_30default_config_static_selectorELNS0_4arch9wavefront6targetE1EEEvSK_
; %bb.0:
	s_load_dword s33, s[0:1], 0x4
	s_load_dwordx8 s[36:43], s[0:1], 0x8
	s_waitcnt lgkmcnt(0)
	s_cmp_lt_i32 s33, 4
	s_cbranch_scc1 .LBB103_10
; %bb.1:
	s_cmp_gt_i32 s33, 7
	s_cbranch_scc0 .LBB103_11
; %bb.2:
	s_cmp_gt_i32 s33, 15
	s_cbranch_scc0 .LBB103_12
; %bb.3:
	s_mov_b64 s[30:31], 0
	s_cmp_eq_u32 s33, 16
	s_mov_b64 s[0:1], 0
                                        ; implicit-def: $vgpr2_vgpr3
                                        ; implicit-def: $vgpr4_vgpr5
	s_cbranch_scc0 .LBB103_13
; %bb.4:
	s_mov_b32 s3, 0
	s_lshl_b32 s0, s2, 12
	s_mov_b32 s1, s3
	s_lshr_b64 s[4:5], s[38:39], 12
	s_lshl_b64 s[6:7], s[0:1], 3
	s_add_u32 s34, s36, s6
	s_addc_u32 s35, s37, s7
	s_cmp_lg_u64 s[4:5], s[2:3]
	s_cbranch_scc0 .LBB103_21
; %bb.5:
	v_lshlrev_b32_e32 v2, 3, v0
	v_mov_b32_e32 v3, 0
	v_lshl_add_u64 v[4:5], s[34:35], 0, v[2:3]
	global_load_dwordx2 v[6:7], v2, s[34:35]
	global_load_dwordx2 v[8:9], v2, s[34:35] offset:2048
	v_add_co_u32_e32 v10, vcc, 0x1000, v4
	v_mov_b32_e32 v38, v3
	s_nop 0
	v_addc_co_u32_e32 v11, vcc, 0, v5, vcc
	v_add_co_u32_e32 v12, vcc, 0x2000, v4
	v_mov_b32_e32 v40, v3
	s_nop 0
	v_addc_co_u32_e32 v13, vcc, 0, v5, vcc
	global_load_dwordx2 v[14:15], v[10:11], off
	global_load_dwordx2 v[16:17], v[10:11], off offset:2048
	global_load_dwordx2 v[18:19], v[12:13], off
	global_load_dwordx2 v[20:21], v[12:13], off offset:2048
	v_add_co_u32_e32 v10, vcc, 0x3000, v4
	v_mov_b32_e32 v42, v3
	s_nop 0
	v_addc_co_u32_e32 v11, vcc, 0, v5, vcc
	v_add_co_u32_e32 v12, vcc, 0x4000, v4
	v_mov_b32_e32 v44, v3
	s_nop 0
	v_addc_co_u32_e32 v13, vcc, 0, v5, vcc
	global_load_dwordx2 v[22:23], v[10:11], off
	global_load_dwordx2 v[24:25], v[10:11], off offset:2048
	global_load_dwordx2 v[26:27], v[12:13], off
	global_load_dwordx2 v[28:29], v[12:13], off offset:2048
	v_add_co_u32_e32 v10, vcc, 0x5000, v4
	v_mbcnt_lo_u32_b32 v1, -1, 0
	s_nop 0
	v_addc_co_u32_e32 v11, vcc, 0, v5, vcc
	v_add_co_u32_e32 v12, vcc, 0x6000, v4
	v_mov_b32_e32 v46, v3
	s_nop 0
	v_addc_co_u32_e32 v13, vcc, 0, v5, vcc
	global_load_dwordx2 v[30:31], v[10:11], off
	global_load_dwordx2 v[32:33], v[10:11], off offset:2048
	global_load_dwordx2 v[34:35], v[12:13], off
	global_load_dwordx2 v[36:37], v[12:13], off offset:2048
	v_add_co_u32_e32 v4, vcc, 0x7000, v4
	v_mbcnt_hi_u32_b32 v1, -1, v1
	s_nop 0
	v_addc_co_u32_e32 v5, vcc, 0, v5, vcc
	global_load_dwordx2 v[10:11], v[4:5], off
	global_load_dwordx2 v[12:13], v[4:5], off offset:2048
	v_lshlrev_b32_e32 v4, 2, v1
	v_or_b32_e32 v5, 0xfc, v4
	v_cmp_eq_u32_e32 vcc, 0, v1
	s_waitcnt vmcnt(14)
	v_lshl_add_u64 v[6:7], v[8:9], 0, v[6:7]
	s_waitcnt vmcnt(13)
	v_lshl_add_u64 v[6:7], v[6:7], 0, v[14:15]
	;; [unrolled: 2-line block ×15, first 2 shown]
	s_nop 1
	v_mov_b32_dpp v2, v6 quad_perm:[1,0,3,2] row_mask:0xf bank_mask:0xf bound_ctrl:1
	v_mov_b32_dpp v39, v7 quad_perm:[1,0,3,2] row_mask:0xf bank_mask:0xf bound_ctrl:1
	v_lshl_add_u64 v[6:7], v[6:7], 0, v[2:3]
	v_lshl_add_u64 v[8:9], v[38:39], 0, v[6:7]
	s_nop 0
	v_mov_b32_dpp v2, v6 quad_perm:[2,3,0,1] row_mask:0xf bank_mask:0xf bound_ctrl:1
	v_mov_b32_dpp v41, v9 quad_perm:[2,3,0,1] row_mask:0xf bank_mask:0xf bound_ctrl:1
	v_lshl_add_u64 v[6:7], v[8:9], 0, v[2:3]
	v_lshl_add_u64 v[8:9], v[6:7], 0, v[40:41]
	s_nop 0
	v_mov_b32_dpp v2, v6 row_ror:4 row_mask:0xf bank_mask:0xf bound_ctrl:1
	v_mov_b32_dpp v43, v9 row_ror:4 row_mask:0xf bank_mask:0xf bound_ctrl:1
	v_lshl_add_u64 v[6:7], v[8:9], 0, v[2:3]
	v_lshl_add_u64 v[8:9], v[6:7], 0, v[42:43]
	s_nop 0
	v_mov_b32_dpp v2, v6 row_ror:8 row_mask:0xf bank_mask:0xf bound_ctrl:1
	v_mov_b32_dpp v45, v9 row_ror:8 row_mask:0xf bank_mask:0xf bound_ctrl:1
	v_lshl_add_u64 v[6:7], v[8:9], 0, v[2:3]
	v_lshl_add_u64 v[8:9], v[6:7], 0, v[44:45]
	s_nop 0
	v_mov_b32_dpp v2, v6 row_bcast:15 row_mask:0xf bank_mask:0xf bound_ctrl:1
	v_mov_b32_dpp v47, v9 row_bcast:15 row_mask:0xf bank_mask:0xf bound_ctrl:1
	v_lshl_add_u64 v[6:7], v[8:9], 0, v[2:3]
	v_lshl_add_u64 v[8:9], v[6:7], 0, v[46:47]
	s_nop 0
	v_mov_b32_dpp v2, v6 row_bcast:31 row_mask:0xf bank_mask:0xf bound_ctrl:1
	v_lshl_add_u64 v[2:3], v[8:9], 0, v[2:3]
	ds_bpermute_b32 v2, v5, v2
	s_nop 0
	v_add_u32_dpp v3, v9, v3 row_bcast:31 row_mask:0xf bank_mask:0xf bound_ctrl:1
	ds_bpermute_b32 v3, v5, v3
	s_and_saveexec_b64 s[4:5], vcc
	s_cbranch_execz .LBB103_7
; %bb.6:
	v_lshrrev_b32_e32 v5, 3, v0
	v_and_b32_e32 v5, 24, v5
	s_waitcnt lgkmcnt(0)
	ds_write_b64 v5, v[2:3]
.LBB103_7:
	s_or_b64 exec, exec, s[4:5]
	v_cmp_gt_u32_e32 vcc, 64, v0
	s_waitcnt lgkmcnt(0)
	s_barrier
	s_and_saveexec_b64 s[4:5], vcc
	s_cbranch_execz .LBB103_9
; %bb.8:
	v_and_b32_e32 v5, 3, v1
	v_lshlrev_b32_e32 v2, 3, v5
	ds_read_b64 v[2:3], v2
	v_cmp_ne_u32_e32 vcc, 3, v5
	v_mov_b32_e32 v8, 0
	v_mov_b32_e32 v7, v8
	v_addc_co_u32_e32 v1, vcc, 0, v1, vcc
	v_lshlrev_b32_e32 v1, 2, v1
	s_waitcnt lgkmcnt(0)
	ds_bpermute_b32 v6, v1, v2
	ds_bpermute_b32 v9, v1, v3
	v_or_b32_e32 v1, 8, v4
	s_waitcnt lgkmcnt(1)
	v_lshl_add_u64 v[2:3], v[2:3], 0, v[6:7]
	s_waitcnt lgkmcnt(0)
	v_lshl_add_u64 v[4:5], v[8:9], 0, v[2:3]
	ds_bpermute_b32 v2, v1, v2
	ds_bpermute_b32 v9, v1, v5
	v_mov_b32_e32 v3, v8
	s_waitcnt lgkmcnt(1)
	v_lshl_add_u64 v[2:3], v[4:5], 0, v[2:3]
	s_waitcnt lgkmcnt(0)
	v_lshl_add_u64 v[2:3], v[2:3], 0, v[8:9]
.LBB103_9:
	s_or_b64 exec, exec, s[4:5]
	s_mov_b64 s[4:5], 0
	s_branch .LBB103_22
.LBB103_10:
	s_mov_b64 s[0:1], 0
                                        ; implicit-def: $vgpr2_vgpr3
                                        ; implicit-def: $vgpr4_vgpr5
	s_cbranch_execnz .LBB103_121
	s_branch .LBB103_166
.LBB103_11:
	s_mov_b64 s[0:1], 0
                                        ; implicit-def: $vgpr2_vgpr3
                                        ; implicit-def: $vgpr4_vgpr5
	s_cbranch_execnz .LBB103_94
	s_branch .LBB103_120
.LBB103_12:
	s_mov_b64 s[30:31], -1
	s_mov_b64 s[0:1], 0
                                        ; implicit-def: $vgpr2_vgpr3
                                        ; implicit-def: $vgpr4_vgpr5
.LBB103_13:
	s_and_b64 vcc, exec, s[30:31]
	s_cbranch_vccz .LBB103_93
.LBB103_14:
	s_cmp_eq_u32 s33, 8
                                        ; implicit-def: $vgpr2_vgpr3
                                        ; implicit-def: $vgpr4_vgpr5
	s_cbranch_scc0 .LBB103_93
; %bb.15:
	s_mov_b32 s3, 0
	s_lshl_b32 s0, s2, 11
	s_mov_b32 s1, s3
	s_lshr_b64 s[4:5], s[38:39], 11
	s_lshl_b64 s[6:7], s[0:1], 3
	s_add_u32 s14, s36, s6
	s_addc_u32 s15, s37, s7
	s_cmp_lg_u64 s[4:5], s[2:3]
	s_cbranch_scc0 .LBB103_65
; %bb.16:
	v_lshlrev_b32_e32 v2, 3, v0
	v_mov_b32_e32 v3, 0
	v_lshl_add_u64 v[4:5], s[14:15], 0, v[2:3]
	s_waitcnt lgkmcnt(0)
	global_load_dwordx2 v[6:7], v2, s[14:15]
	global_load_dwordx2 v[8:9], v2, s[14:15] offset:2048
	v_add_co_u32_e32 v10, vcc, 0x1000, v4
	v_mov_b32_e32 v22, v3
	s_nop 0
	v_addc_co_u32_e32 v11, vcc, 0, v5, vcc
	v_add_co_u32_e32 v12, vcc, 0x2000, v4
	v_mov_b32_e32 v24, v3
	s_nop 0
	v_addc_co_u32_e32 v13, vcc, 0, v5, vcc
	global_load_dwordx2 v[14:15], v[10:11], off
	global_load_dwordx2 v[16:17], v[10:11], off offset:2048
	global_load_dwordx2 v[18:19], v[12:13], off
	global_load_dwordx2 v[20:21], v[12:13], off offset:2048
	v_add_co_u32_e32 v4, vcc, 0x3000, v4
	v_mov_b32_e32 v26, v3
	s_nop 0
	v_addc_co_u32_e32 v5, vcc, 0, v5, vcc
	global_load_dwordx2 v[10:11], v[4:5], off
	global_load_dwordx2 v[12:13], v[4:5], off offset:2048
	v_mov_b32_e32 v28, v3
	v_mbcnt_lo_u32_b32 v1, -1, 0
	v_mov_b32_e32 v30, v3
	v_mbcnt_hi_u32_b32 v1, -1, v1
	v_lshlrev_b32_e32 v4, 2, v1
	v_or_b32_e32 v5, 0xfc, v4
	v_cmp_eq_u32_e32 vcc, 0, v1
	s_waitcnt vmcnt(6)
	v_lshl_add_u64 v[6:7], v[8:9], 0, v[6:7]
	s_waitcnt vmcnt(5)
	v_lshl_add_u64 v[6:7], v[6:7], 0, v[14:15]
	;; [unrolled: 2-line block ×7, first 2 shown]
	s_nop 1
	v_mov_b32_dpp v2, v6 quad_perm:[1,0,3,2] row_mask:0xf bank_mask:0xf bound_ctrl:1
	v_mov_b32_dpp v23, v7 quad_perm:[1,0,3,2] row_mask:0xf bank_mask:0xf bound_ctrl:1
	v_lshl_add_u64 v[6:7], v[6:7], 0, v[2:3]
	v_lshl_add_u64 v[8:9], v[22:23], 0, v[6:7]
	s_nop 0
	v_mov_b32_dpp v2, v6 quad_perm:[2,3,0,1] row_mask:0xf bank_mask:0xf bound_ctrl:1
	v_mov_b32_dpp v25, v9 quad_perm:[2,3,0,1] row_mask:0xf bank_mask:0xf bound_ctrl:1
	v_lshl_add_u64 v[6:7], v[8:9], 0, v[2:3]
	v_lshl_add_u64 v[8:9], v[6:7], 0, v[24:25]
	s_nop 0
	v_mov_b32_dpp v2, v6 row_ror:4 row_mask:0xf bank_mask:0xf bound_ctrl:1
	v_mov_b32_dpp v27, v9 row_ror:4 row_mask:0xf bank_mask:0xf bound_ctrl:1
	v_lshl_add_u64 v[6:7], v[8:9], 0, v[2:3]
	v_lshl_add_u64 v[8:9], v[6:7], 0, v[26:27]
	s_nop 0
	v_mov_b32_dpp v2, v6 row_ror:8 row_mask:0xf bank_mask:0xf bound_ctrl:1
	v_mov_b32_dpp v29, v9 row_ror:8 row_mask:0xf bank_mask:0xf bound_ctrl:1
	v_lshl_add_u64 v[6:7], v[8:9], 0, v[2:3]
	v_lshl_add_u64 v[8:9], v[6:7], 0, v[28:29]
	s_nop 0
	v_mov_b32_dpp v2, v6 row_bcast:15 row_mask:0xf bank_mask:0xf bound_ctrl:1
	v_mov_b32_dpp v31, v9 row_bcast:15 row_mask:0xf bank_mask:0xf bound_ctrl:1
	v_lshl_add_u64 v[6:7], v[8:9], 0, v[2:3]
	v_lshl_add_u64 v[8:9], v[6:7], 0, v[30:31]
	s_nop 0
	v_mov_b32_dpp v2, v6 row_bcast:31 row_mask:0xf bank_mask:0xf bound_ctrl:1
	v_lshl_add_u64 v[2:3], v[8:9], 0, v[2:3]
	ds_bpermute_b32 v2, v5, v2
	s_nop 0
	v_add_u32_dpp v3, v9, v3 row_bcast:31 row_mask:0xf bank_mask:0xf bound_ctrl:1
	ds_bpermute_b32 v3, v5, v3
	s_and_saveexec_b64 s[4:5], vcc
	s_cbranch_execz .LBB103_18
; %bb.17:
	v_lshrrev_b32_e32 v5, 3, v0
	v_and_b32_e32 v5, 24, v5
	s_waitcnt lgkmcnt(0)
	ds_write_b64 v5, v[2:3] offset:128
.LBB103_18:
	s_or_b64 exec, exec, s[4:5]
	v_cmp_gt_u32_e32 vcc, 64, v0
	s_waitcnt lgkmcnt(0)
	s_barrier
	s_and_saveexec_b64 s[4:5], vcc
	s_cbranch_execz .LBB103_20
; %bb.19:
	v_and_b32_e32 v5, 3, v1
	v_lshlrev_b32_e32 v2, 3, v5
	ds_read_b64 v[2:3], v2 offset:128
	v_cmp_ne_u32_e32 vcc, 3, v5
	v_mov_b32_e32 v8, 0
	v_mov_b32_e32 v7, v8
	v_addc_co_u32_e32 v1, vcc, 0, v1, vcc
	v_lshlrev_b32_e32 v1, 2, v1
	s_waitcnt lgkmcnt(0)
	ds_bpermute_b32 v6, v1, v2
	ds_bpermute_b32 v9, v1, v3
	v_or_b32_e32 v1, 8, v4
	s_waitcnt lgkmcnt(1)
	v_lshl_add_u64 v[2:3], v[2:3], 0, v[6:7]
	s_waitcnt lgkmcnt(0)
	v_lshl_add_u64 v[4:5], v[8:9], 0, v[2:3]
	ds_bpermute_b32 v2, v1, v2
	ds_bpermute_b32 v9, v1, v5
	v_mov_b32_e32 v3, v8
	s_waitcnt lgkmcnt(1)
	v_lshl_add_u64 v[2:3], v[4:5], 0, v[2:3]
	s_waitcnt lgkmcnt(0)
	v_lshl_add_u64 v[2:3], v[2:3], 0, v[8:9]
.LBB103_20:
	s_or_b64 exec, exec, s[4:5]
	s_mov_b64 s[4:5], 0
	s_branch .LBB103_66
.LBB103_21:
	s_mov_b64 s[4:5], -1
                                        ; implicit-def: $vgpr2_vgpr3
.LBB103_22:
	s_and_b64 vcc, exec, s[4:5]
	s_cbranch_vccz .LBB103_64
; %bb.23:
	s_sub_i32 s46, s38, s0
	v_mov_b32_e32 v2, 0
	v_cmp_gt_u32_e32 vcc, s46, v0
	v_mov_b32_e32 v3, v2
	v_mov_b32_e32 v4, v2
	;; [unrolled: 1-line block ×31, first 2 shown]
	s_and_saveexec_b64 s[0:1], vcc
	s_cbranch_execz .LBB103_25
; %bb.24:
	v_lshlrev_b32_e32 v1, 3, v0
	global_load_dwordx2 v[4:5], v1, s[34:35]
	v_mov_b32_e32 v6, v2
	v_mov_b32_e32 v7, v2
	;; [unrolled: 1-line block ×30, first 2 shown]
	s_waitcnt vmcnt(0)
	v_mov_b64_e32 v[2:3], v[4:5]
	v_mov_b64_e32 v[4:5], v[6:7]
	;; [unrolled: 1-line block ×16, first 2 shown]
.LBB103_25:
	s_or_b64 exec, exec, s[0:1]
	v_or_b32_e32 v1, 0x100, v0
	v_cmp_gt_u32_e32 vcc, s46, v1
	s_and_saveexec_b64 s[0:1], vcc
	s_cbranch_execz .LBB103_27
; %bb.26:
	v_lshlrev_b32_e32 v1, 3, v0
	global_load_dwordx2 v[4:5], v1, s[34:35] offset:2048
.LBB103_27:
	s_or_b64 exec, exec, s[0:1]
	v_or_b32_e32 v1, 0x200, v0
	v_cmp_gt_u32_e64 s[0:1], s46, v1
	s_and_saveexec_b64 s[4:5], s[0:1]
	s_cbranch_execz .LBB103_29
; %bb.28:
	v_lshlrev_b32_e32 v1, 3, v1
	global_load_dwordx2 v[6:7], v1, s[34:35]
.LBB103_29:
	s_or_b64 exec, exec, s[4:5]
	v_or_b32_e32 v1, 0x300, v0
	v_cmp_gt_u32_e64 s[4:5], s46, v1
	s_and_saveexec_b64 s[6:7], s[4:5]
	s_cbranch_execz .LBB103_31
; %bb.30:
	v_lshlrev_b32_e32 v1, 3, v1
	global_load_dwordx2 v[8:9], v1, s[34:35]
.LBB103_31:
	;; [unrolled: 9-line block ×14, first 2 shown]
	s_or_b64 exec, exec, s[44:45]
	s_waitcnt vmcnt(0)
	v_cndmask_b32_e32 v5, 0, v5, vcc
	v_cndmask_b32_e32 v4, 0, v4, vcc
	v_lshl_add_u64 v[2:3], v[4:5], 0, v[2:3]
	v_cndmask_b32_e64 v5, 0, v7, s[0:1]
	v_cndmask_b32_e64 v4, 0, v6, s[0:1]
	v_lshl_add_u64 v[2:3], v[2:3], 0, v[4:5]
	v_cndmask_b32_e64 v5, 0, v9, s[4:5]
	v_cndmask_b32_e64 v4, 0, v8, s[4:5]
	;; [unrolled: 3-line block ×12, first 2 shown]
	v_mbcnt_lo_u32_b32 v1, -1, 0
	v_lshl_add_u64 v[2:3], v[2:3], 0, v[4:5]
	v_cndmask_b32_e64 v5, 0, v31, s[26:27]
	v_cndmask_b32_e64 v4, 0, v30, s[26:27]
	v_mbcnt_hi_u32_b32 v1, -1, v1
	v_lshl_add_u64 v[2:3], v[2:3], 0, v[4:5]
	v_cndmask_b32_e64 v5, 0, v33, s[28:29]
	v_cndmask_b32_e64 v4, 0, v32, s[28:29]
	v_and_b32_e32 v9, 63, v1
	v_lshl_add_u64 v[2:3], v[2:3], 0, v[4:5]
	s_min_u32 s6, s46, 0x100
	v_and_b32_e32 v4, 0xc0, v0
	v_cmp_ne_u32_e32 vcc, 63, v9
	v_sub_u32_e64 v8, s6, v4 clamp
	v_mov_b32_e32 v6, 0
	v_addc_co_u32_e32 v4, vcc, 0, v1, vcc
	v_lshlrev_b32_e32 v5, 2, v4
	ds_bpermute_b32 v4, v5, v2
	ds_bpermute_b32 v7, v5, v3
	v_add_u32_e32 v10, 1, v9
	v_mov_b32_e32 v5, v6
	v_cmp_lt_u32_e64 s[0:1], v10, v8
	s_waitcnt lgkmcnt(1)
	v_lshl_add_u64 v[4:5], v[2:3], 0, v[4:5]
	v_cmp_gt_u32_e32 vcc, 62, v9
	s_waitcnt lgkmcnt(0)
	v_lshl_add_u64 v[6:7], v[4:5], 0, v[6:7]
	v_cndmask_b32_e64 v12, v2, v4, s[0:1]
	v_cndmask_b32_e64 v4, 0, 2, vcc
	v_cndmask_b32_e64 v5, v3, v7, s[0:1]
	v_add_lshl_u32 v4, v4, v1, 2
	ds_bpermute_b32 v10, v4, v12
	ds_bpermute_b32 v11, v4, v5
	v_cndmask_b32_e64 v4, v2, v6, s[0:1]
	v_add_u32_e32 v13, 2, v9
	v_cmp_lt_u32_e32 vcc, v13, v8
	v_cmp_gt_u32_e64 s[4:5], 60, v9
	s_waitcnt lgkmcnt(0)
	v_lshl_add_u64 v[6:7], v[10:11], 0, v[4:5]
	v_cndmask_b32_e32 v5, v5, v7, vcc
	v_cndmask_b32_e64 v7, 0, 4, s[4:5]
	v_cndmask_b32_e32 v12, v12, v6, vcc
	v_add_lshl_u32 v7, v7, v1, 2
	ds_bpermute_b32 v10, v7, v12
	ds_bpermute_b32 v11, v7, v5
	v_cndmask_b32_e32 v4, v4, v6, vcc
	v_add_u32_e32 v13, 4, v9
	v_cmp_lt_u32_e32 vcc, v13, v8
	v_cmp_gt_u32_e64 s[4:5], 56, v9
	s_waitcnt lgkmcnt(0)
	v_lshl_add_u64 v[6:7], v[10:11], 0, v[4:5]
	v_cndmask_b32_e32 v5, v5, v7, vcc
	v_cndmask_b32_e64 v7, 0, 8, s[4:5]
	v_cndmask_b32_e32 v12, v12, v6, vcc
	v_add_lshl_u32 v7, v7, v1, 2
	ds_bpermute_b32 v10, v7, v12
	ds_bpermute_b32 v11, v7, v5
	v_cndmask_b32_e32 v4, v4, v6, vcc
	v_add_u32_e32 v13, 8, v9
	v_cmp_lt_u32_e32 vcc, v13, v8
	v_cmp_gt_u32_e64 s[4:5], 48, v9
	s_waitcnt lgkmcnt(0)
	v_lshl_add_u64 v[6:7], v[10:11], 0, v[4:5]
	v_cndmask_b32_e32 v5, v5, v7, vcc
	v_cndmask_b32_e64 v7, 0, 16, s[4:5]
	v_cndmask_b32_e32 v12, v12, v6, vcc
	v_add_lshl_u32 v7, v7, v1, 2
	ds_bpermute_b32 v10, v7, v12
	ds_bpermute_b32 v11, v7, v5
	v_cndmask_b32_e32 v4, v4, v6, vcc
	v_add_u32_e32 v13, 16, v9
	v_cmp_lt_u32_e32 vcc, v13, v8
	s_waitcnt lgkmcnt(0)
	v_lshl_add_u64 v[6:7], v[10:11], 0, v[4:5]
	v_lshlrev_b32_e32 v10, 2, v1
	v_cndmask_b32_e32 v13, v5, v7, vcc
	v_cndmask_b32_e32 v11, v12, v6, vcc
	v_or_b32_e32 v12, 0x80, v10
	ds_bpermute_b32 v11, v12, v11
	ds_bpermute_b32 v12, v12, v13
	s_and_saveexec_b64 s[4:5], s[0:1]
	s_cbranch_execz .LBB103_57
; %bb.56:
	v_add_u32_e32 v9, 32, v9
	v_cndmask_b32_e32 v3, v5, v7, vcc
	v_cndmask_b32_e32 v2, v4, v6, vcc
	v_cmp_lt_u32_e32 vcc, v9, v8
	s_waitcnt lgkmcnt(0)
	s_nop 0
	v_cndmask_b32_e32 v5, 0, v12, vcc
	v_cndmask_b32_e32 v4, 0, v11, vcc
	v_lshl_add_u64 v[2:3], v[2:3], 0, v[4:5]
.LBB103_57:
	s_or_b64 exec, exec, s[4:5]
	v_cmp_eq_u32_e32 vcc, 0, v1
	s_and_saveexec_b64 s[0:1], vcc
; %bb.58:
	v_lshrrev_b32_e32 v4, 3, v0
	v_and_b32_e32 v4, 24, v4
	ds_write_b64 v4, v[2:3] offset:160
; %bb.59:
	s_or_b64 exec, exec, s[0:1]
	v_cmp_gt_u32_e32 vcc, 4, v0
	s_waitcnt lgkmcnt(0)
	s_barrier
	s_and_saveexec_b64 s[0:1], vcc
	s_cbranch_execz .LBB103_63
; %bb.60:
	v_lshlrev_b32_e32 v2, 3, v1
	ds_read_b64 v[2:3], v2 offset:160
	v_and_b32_e32 v6, 3, v1
	v_cmp_ne_u32_e32 vcc, 3, v6
	v_mov_b32_e32 v8, 0
	s_add_i32 s6, s6, 63
	v_addc_co_u32_e32 v1, vcc, 0, v1, vcc
	v_lshlrev_b32_e32 v1, 2, v1
	s_waitcnt lgkmcnt(0)
	ds_bpermute_b32 v4, v1, v2
	ds_bpermute_b32 v9, v1, v3
	v_mov_b32_e32 v5, v8
	s_lshr_b32 s6, s6, 6
	v_add_u32_e32 v1, 1, v6
	s_waitcnt lgkmcnt(1)
	v_lshl_add_u64 v[12:13], v[2:3], 0, v[4:5]
	s_waitcnt lgkmcnt(0)
	v_lshl_add_u64 v[4:5], v[8:9], 0, v[12:13]
	v_cmp_gt_u32_e32 vcc, s6, v1
	v_or_b32_e32 v8, 8, v10
	s_nop 0
	v_cndmask_b32_e32 v7, v3, v5, vcc
	v_cndmask_b32_e32 v1, v2, v12, vcc
	ds_bpermute_b32 v1, v8, v1
	ds_bpermute_b32 v7, v8, v7
	s_and_saveexec_b64 s[4:5], vcc
	s_cbranch_execz .LBB103_62
; %bb.61:
	v_add_u32_e32 v2, 2, v6
	v_cmp_gt_u32_e32 vcc, s6, v2
	s_waitcnt lgkmcnt(0)
	s_nop 0
	v_cndmask_b32_e32 v3, 0, v7, vcc
	v_cndmask_b32_e32 v2, 0, v1, vcc
	v_lshl_add_u64 v[2:3], v[2:3], 0, v[4:5]
.LBB103_62:
	s_or_b64 exec, exec, s[4:5]
.LBB103_63:
	s_or_b64 exec, exec, s[0:1]
.LBB103_64:
	v_cmp_eq_u32_e64 s[0:1], 0, v0
	v_mov_b64_e32 v[4:5], s[2:3]
	s_and_b64 vcc, exec, s[30:31]
	s_cbranch_vccnz .LBB103_14
	s_branch .LBB103_93
.LBB103_65:
	s_mov_b64 s[4:5], -1
                                        ; implicit-def: $vgpr2_vgpr3
.LBB103_66:
	s_and_b64 vcc, exec, s[4:5]
	s_cbranch_vccz .LBB103_92
; %bb.67:
	s_sub_i32 s18, s38, s0
	v_mov_b32_e32 v2, 0
	v_cmp_gt_u32_e32 vcc, s18, v0
	v_mov_b32_e32 v3, v2
	v_mov_b32_e32 v4, v2
	;; [unrolled: 1-line block ×4, first 2 shown]
	s_waitcnt lgkmcnt(0)
	v_mov_b32_e32 v7, v2
	v_mov_b32_e32 v8, v2
	;; [unrolled: 1-line block ×11, first 2 shown]
	s_and_saveexec_b64 s[0:1], vcc
	s_cbranch_execz .LBB103_69
; %bb.68:
	v_lshlrev_b32_e32 v1, 3, v0
	global_load_dwordx2 v[4:5], v1, s[14:15]
	v_mov_b32_e32 v6, v2
	v_mov_b32_e32 v7, v2
	;; [unrolled: 1-line block ×14, first 2 shown]
	s_waitcnt vmcnt(0)
	v_mov_b64_e32 v[2:3], v[4:5]
	v_mov_b64_e32 v[4:5], v[6:7]
	;; [unrolled: 1-line block ×8, first 2 shown]
.LBB103_69:
	s_or_b64 exec, exec, s[0:1]
	v_or_b32_e32 v1, 0x100, v0
	v_cmp_gt_u32_e32 vcc, s18, v1
	s_and_saveexec_b64 s[0:1], vcc
	s_cbranch_execz .LBB103_71
; %bb.70:
	v_lshlrev_b32_e32 v1, 3, v0
	global_load_dwordx2 v[4:5], v1, s[14:15] offset:2048
.LBB103_71:
	s_or_b64 exec, exec, s[0:1]
	v_or_b32_e32 v1, 0x200, v0
	v_cmp_gt_u32_e64 s[0:1], s18, v1
	s_and_saveexec_b64 s[4:5], s[0:1]
	s_cbranch_execz .LBB103_73
; %bb.72:
	v_lshlrev_b32_e32 v1, 3, v1
	global_load_dwordx2 v[6:7], v1, s[14:15]
.LBB103_73:
	s_or_b64 exec, exec, s[4:5]
	v_or_b32_e32 v1, 0x300, v0
	v_cmp_gt_u32_e64 s[4:5], s18, v1
	s_and_saveexec_b64 s[6:7], s[4:5]
	s_cbranch_execz .LBB103_75
; %bb.74:
	v_lshlrev_b32_e32 v1, 3, v1
	global_load_dwordx2 v[8:9], v1, s[14:15]
.LBB103_75:
	;; [unrolled: 9-line block ×6, first 2 shown]
	s_or_b64 exec, exec, s[16:17]
	s_waitcnt vmcnt(0)
	v_cndmask_b32_e32 v5, 0, v5, vcc
	v_cndmask_b32_e32 v4, 0, v4, vcc
	v_lshl_add_u64 v[2:3], v[4:5], 0, v[2:3]
	v_cndmask_b32_e64 v5, 0, v7, s[0:1]
	v_cndmask_b32_e64 v4, 0, v6, s[0:1]
	v_lshl_add_u64 v[2:3], v[2:3], 0, v[4:5]
	v_cndmask_b32_e64 v5, 0, v9, s[4:5]
	v_cndmask_b32_e64 v4, 0, v8, s[4:5]
	;; [unrolled: 3-line block ×4, first 2 shown]
	v_mbcnt_lo_u32_b32 v1, -1, 0
	v_lshl_add_u64 v[2:3], v[2:3], 0, v[4:5]
	v_cndmask_b32_e64 v5, 0, v15, s[10:11]
	v_cndmask_b32_e64 v4, 0, v14, s[10:11]
	v_mbcnt_hi_u32_b32 v1, -1, v1
	v_lshl_add_u64 v[2:3], v[2:3], 0, v[4:5]
	v_cndmask_b32_e64 v5, 0, v17, s[12:13]
	v_cndmask_b32_e64 v4, 0, v16, s[12:13]
	v_and_b32_e32 v9, 63, v1
	v_lshl_add_u64 v[2:3], v[2:3], 0, v[4:5]
	s_min_u32 s6, s18, 0x100
	v_and_b32_e32 v4, 0xc0, v0
	v_cmp_ne_u32_e32 vcc, 63, v9
	v_sub_u32_e64 v8, s6, v4 clamp
	v_mov_b32_e32 v6, 0
	v_addc_co_u32_e32 v4, vcc, 0, v1, vcc
	v_lshlrev_b32_e32 v5, 2, v4
	ds_bpermute_b32 v4, v5, v2
	ds_bpermute_b32 v7, v5, v3
	v_add_u32_e32 v10, 1, v9
	v_mov_b32_e32 v5, v6
	v_cmp_lt_u32_e64 s[0:1], v10, v8
	s_waitcnt lgkmcnt(1)
	v_lshl_add_u64 v[4:5], v[2:3], 0, v[4:5]
	v_cmp_gt_u32_e32 vcc, 62, v9
	s_waitcnt lgkmcnt(0)
	v_lshl_add_u64 v[6:7], v[4:5], 0, v[6:7]
	v_cndmask_b32_e64 v12, v2, v4, s[0:1]
	v_cndmask_b32_e64 v4, 0, 2, vcc
	v_cndmask_b32_e64 v5, v3, v7, s[0:1]
	v_add_lshl_u32 v4, v4, v1, 2
	ds_bpermute_b32 v10, v4, v12
	ds_bpermute_b32 v11, v4, v5
	v_cndmask_b32_e64 v4, v2, v6, s[0:1]
	v_add_u32_e32 v13, 2, v9
	v_cmp_lt_u32_e32 vcc, v13, v8
	v_cmp_gt_u32_e64 s[4:5], 60, v9
	s_waitcnt lgkmcnt(0)
	v_lshl_add_u64 v[6:7], v[10:11], 0, v[4:5]
	v_cndmask_b32_e32 v5, v5, v7, vcc
	v_cndmask_b32_e64 v7, 0, 4, s[4:5]
	v_cndmask_b32_e32 v12, v12, v6, vcc
	v_add_lshl_u32 v7, v7, v1, 2
	ds_bpermute_b32 v10, v7, v12
	ds_bpermute_b32 v11, v7, v5
	v_cndmask_b32_e32 v4, v4, v6, vcc
	v_add_u32_e32 v13, 4, v9
	v_cmp_lt_u32_e32 vcc, v13, v8
	v_cmp_gt_u32_e64 s[4:5], 56, v9
	s_waitcnt lgkmcnt(0)
	v_lshl_add_u64 v[6:7], v[10:11], 0, v[4:5]
	v_cndmask_b32_e32 v5, v5, v7, vcc
	v_cndmask_b32_e64 v7, 0, 8, s[4:5]
	v_cndmask_b32_e32 v12, v12, v6, vcc
	v_add_lshl_u32 v7, v7, v1, 2
	ds_bpermute_b32 v10, v7, v12
	ds_bpermute_b32 v11, v7, v5
	v_cndmask_b32_e32 v4, v4, v6, vcc
	v_add_u32_e32 v13, 8, v9
	v_cmp_lt_u32_e32 vcc, v13, v8
	v_cmp_gt_u32_e64 s[4:5], 48, v9
	s_waitcnt lgkmcnt(0)
	v_lshl_add_u64 v[6:7], v[10:11], 0, v[4:5]
	v_cndmask_b32_e32 v5, v5, v7, vcc
	v_cndmask_b32_e64 v7, 0, 16, s[4:5]
	v_cndmask_b32_e32 v12, v12, v6, vcc
	v_add_lshl_u32 v7, v7, v1, 2
	ds_bpermute_b32 v10, v7, v12
	ds_bpermute_b32 v11, v7, v5
	v_cndmask_b32_e32 v4, v4, v6, vcc
	v_add_u32_e32 v13, 16, v9
	v_cmp_lt_u32_e32 vcc, v13, v8
	s_waitcnt lgkmcnt(0)
	v_lshl_add_u64 v[6:7], v[10:11], 0, v[4:5]
	v_lshlrev_b32_e32 v10, 2, v1
	v_cndmask_b32_e32 v13, v5, v7, vcc
	v_cndmask_b32_e32 v11, v12, v6, vcc
	v_or_b32_e32 v12, 0x80, v10
	ds_bpermute_b32 v11, v12, v11
	ds_bpermute_b32 v12, v12, v13
	s_and_saveexec_b64 s[4:5], s[0:1]
	s_cbranch_execz .LBB103_85
; %bb.84:
	v_add_u32_e32 v9, 32, v9
	v_cndmask_b32_e32 v3, v5, v7, vcc
	v_cndmask_b32_e32 v2, v4, v6, vcc
	v_cmp_lt_u32_e32 vcc, v9, v8
	s_waitcnt lgkmcnt(0)
	s_nop 0
	v_cndmask_b32_e32 v5, 0, v12, vcc
	v_cndmask_b32_e32 v4, 0, v11, vcc
	v_lshl_add_u64 v[2:3], v[2:3], 0, v[4:5]
.LBB103_85:
	s_or_b64 exec, exec, s[4:5]
	v_cmp_eq_u32_e32 vcc, 0, v1
	s_and_saveexec_b64 s[0:1], vcc
; %bb.86:
	v_lshrrev_b32_e32 v4, 3, v0
	v_and_b32_e32 v4, 24, v4
	ds_write_b64 v4, v[2:3] offset:160
; %bb.87:
	s_or_b64 exec, exec, s[0:1]
	v_cmp_gt_u32_e32 vcc, 4, v0
	s_waitcnt lgkmcnt(0)
	s_barrier
	s_and_saveexec_b64 s[0:1], vcc
	s_cbranch_execz .LBB103_91
; %bb.88:
	v_lshlrev_b32_e32 v2, 3, v1
	ds_read_b64 v[2:3], v2 offset:160
	v_and_b32_e32 v6, 3, v1
	v_cmp_ne_u32_e32 vcc, 3, v6
	v_mov_b32_e32 v8, 0
	s_add_i32 s6, s6, 63
	v_addc_co_u32_e32 v1, vcc, 0, v1, vcc
	v_lshlrev_b32_e32 v1, 2, v1
	s_waitcnt lgkmcnt(0)
	ds_bpermute_b32 v4, v1, v2
	ds_bpermute_b32 v9, v1, v3
	v_mov_b32_e32 v5, v8
	s_lshr_b32 s6, s6, 6
	v_add_u32_e32 v1, 1, v6
	s_waitcnt lgkmcnt(1)
	v_lshl_add_u64 v[12:13], v[2:3], 0, v[4:5]
	s_waitcnt lgkmcnt(0)
	v_lshl_add_u64 v[4:5], v[8:9], 0, v[12:13]
	v_cmp_gt_u32_e32 vcc, s6, v1
	v_or_b32_e32 v8, 8, v10
	s_nop 0
	v_cndmask_b32_e32 v7, v3, v5, vcc
	v_cndmask_b32_e32 v1, v2, v12, vcc
	ds_bpermute_b32 v1, v8, v1
	ds_bpermute_b32 v7, v8, v7
	s_and_saveexec_b64 s[4:5], vcc
	s_cbranch_execz .LBB103_90
; %bb.89:
	v_add_u32_e32 v2, 2, v6
	v_cmp_gt_u32_e32 vcc, s6, v2
	s_waitcnt lgkmcnt(0)
	s_nop 0
	v_cndmask_b32_e32 v3, 0, v7, vcc
	v_cndmask_b32_e32 v2, 0, v1, vcc
	v_lshl_add_u64 v[2:3], v[2:3], 0, v[4:5]
.LBB103_90:
	s_or_b64 exec, exec, s[4:5]
.LBB103_91:
	s_or_b64 exec, exec, s[0:1]
.LBB103_92:
	v_cmp_eq_u32_e64 s[0:1], 0, v0
	v_mov_b64_e32 v[4:5], s[2:3]
.LBB103_93:
	s_branch .LBB103_120
.LBB103_94:
	s_cmp_eq_u32 s33, 4
                                        ; implicit-def: $vgpr2_vgpr3
                                        ; implicit-def: $vgpr4_vgpr5
	s_cbranch_scc0 .LBB103_120
; %bb.95:
	s_mov_b32 s3, 0
	s_lshl_b32 s0, s2, 10
	s_mov_b32 s1, s3
	s_lshr_b64 s[4:5], s[38:39], 10
	s_lshl_b64 s[6:7], s[0:1], 3
	s_add_u32 s6, s36, s6
	s_addc_u32 s7, s37, s7
	s_cmp_lg_u64 s[4:5], s[2:3]
	s_cbranch_scc0 .LBB103_101
; %bb.96:
	v_lshlrev_b32_e32 v2, 3, v0
	v_mov_b32_e32 v3, 0
	v_lshl_add_u64 v[4:5], s[6:7], 0, v[2:3]
	v_add_co_u32_e32 v4, vcc, 0x1000, v4
	v_mov_b32_e32 v14, v3
	s_nop 0
	v_addc_co_u32_e32 v5, vcc, 0, v5, vcc
	s_waitcnt lgkmcnt(0)
	global_load_dwordx2 v[6:7], v2, s[6:7]
	global_load_dwordx2 v[8:9], v2, s[6:7] offset:2048
	global_load_dwordx2 v[10:11], v[4:5], off
	global_load_dwordx2 v[12:13], v[4:5], off offset:2048
	v_mov_b32_e32 v16, v3
	v_mov_b32_e32 v18, v3
	;; [unrolled: 1-line block ×3, first 2 shown]
	v_mbcnt_lo_u32_b32 v1, -1, 0
	v_mov_b32_e32 v22, v3
	v_mbcnt_hi_u32_b32 v1, -1, v1
	v_lshlrev_b32_e32 v4, 2, v1
	v_or_b32_e32 v5, 0xfc, v4
	v_cmp_eq_u32_e32 vcc, 0, v1
	s_waitcnt vmcnt(2)
	v_lshl_add_u64 v[6:7], v[8:9], 0, v[6:7]
	s_waitcnt vmcnt(1)
	v_lshl_add_u64 v[6:7], v[6:7], 0, v[10:11]
	s_waitcnt vmcnt(0)
	v_lshl_add_u64 v[6:7], v[6:7], 0, v[12:13]
	s_nop 1
	v_mov_b32_dpp v2, v6 quad_perm:[1,0,3,2] row_mask:0xf bank_mask:0xf bound_ctrl:1
	v_mov_b32_dpp v15, v7 quad_perm:[1,0,3,2] row_mask:0xf bank_mask:0xf bound_ctrl:1
	v_lshl_add_u64 v[6:7], v[6:7], 0, v[2:3]
	v_lshl_add_u64 v[8:9], v[14:15], 0, v[6:7]
	s_nop 0
	v_mov_b32_dpp v2, v6 quad_perm:[2,3,0,1] row_mask:0xf bank_mask:0xf bound_ctrl:1
	v_mov_b32_dpp v17, v9 quad_perm:[2,3,0,1] row_mask:0xf bank_mask:0xf bound_ctrl:1
	v_lshl_add_u64 v[6:7], v[8:9], 0, v[2:3]
	v_lshl_add_u64 v[8:9], v[6:7], 0, v[16:17]
	s_nop 0
	v_mov_b32_dpp v2, v6 row_ror:4 row_mask:0xf bank_mask:0xf bound_ctrl:1
	v_mov_b32_dpp v19, v9 row_ror:4 row_mask:0xf bank_mask:0xf bound_ctrl:1
	v_lshl_add_u64 v[6:7], v[8:9], 0, v[2:3]
	v_lshl_add_u64 v[8:9], v[6:7], 0, v[18:19]
	s_nop 0
	v_mov_b32_dpp v2, v6 row_ror:8 row_mask:0xf bank_mask:0xf bound_ctrl:1
	v_mov_b32_dpp v21, v9 row_ror:8 row_mask:0xf bank_mask:0xf bound_ctrl:1
	v_lshl_add_u64 v[6:7], v[8:9], 0, v[2:3]
	v_lshl_add_u64 v[8:9], v[6:7], 0, v[20:21]
	s_nop 0
	v_mov_b32_dpp v2, v6 row_bcast:15 row_mask:0xf bank_mask:0xf bound_ctrl:1
	v_mov_b32_dpp v23, v9 row_bcast:15 row_mask:0xf bank_mask:0xf bound_ctrl:1
	v_lshl_add_u64 v[6:7], v[8:9], 0, v[2:3]
	v_lshl_add_u64 v[8:9], v[6:7], 0, v[22:23]
	s_nop 0
	v_mov_b32_dpp v2, v6 row_bcast:31 row_mask:0xf bank_mask:0xf bound_ctrl:1
	v_lshl_add_u64 v[2:3], v[8:9], 0, v[2:3]
	ds_bpermute_b32 v2, v5, v2
	s_nop 0
	v_add_u32_dpp v3, v9, v3 row_bcast:31 row_mask:0xf bank_mask:0xf bound_ctrl:1
	ds_bpermute_b32 v3, v5, v3
	s_and_saveexec_b64 s[4:5], vcc
	s_cbranch_execz .LBB103_98
; %bb.97:
	v_lshrrev_b32_e32 v5, 3, v0
	v_and_b32_e32 v5, 24, v5
	s_waitcnt lgkmcnt(0)
	ds_write_b64 v5, v[2:3] offset:96
.LBB103_98:
	s_or_b64 exec, exec, s[4:5]
	v_cmp_gt_u32_e32 vcc, 64, v0
	s_waitcnt lgkmcnt(0)
	s_barrier
	s_and_saveexec_b64 s[4:5], vcc
	s_cbranch_execz .LBB103_100
; %bb.99:
	v_and_b32_e32 v5, 3, v1
	v_lshlrev_b32_e32 v2, 3, v5
	ds_read_b64 v[2:3], v2 offset:96
	v_cmp_ne_u32_e32 vcc, 3, v5
	v_mov_b32_e32 v8, 0
	v_mov_b32_e32 v7, v8
	v_addc_co_u32_e32 v1, vcc, 0, v1, vcc
	v_lshlrev_b32_e32 v1, 2, v1
	s_waitcnt lgkmcnt(0)
	ds_bpermute_b32 v6, v1, v2
	ds_bpermute_b32 v9, v1, v3
	v_or_b32_e32 v1, 8, v4
	s_waitcnt lgkmcnt(1)
	v_lshl_add_u64 v[2:3], v[2:3], 0, v[6:7]
	s_waitcnt lgkmcnt(0)
	v_lshl_add_u64 v[4:5], v[8:9], 0, v[2:3]
	ds_bpermute_b32 v2, v1, v2
	ds_bpermute_b32 v9, v1, v5
	v_mov_b32_e32 v3, v8
	s_waitcnt lgkmcnt(1)
	v_lshl_add_u64 v[2:3], v[4:5], 0, v[2:3]
	s_waitcnt lgkmcnt(0)
	v_lshl_add_u64 v[2:3], v[2:3], 0, v[8:9]
.LBB103_100:
	s_or_b64 exec, exec, s[4:5]
	s_branch .LBB103_119
.LBB103_101:
                                        ; implicit-def: $vgpr2_vgpr3
	s_cbranch_execz .LBB103_119
; %bb.102:
	s_sub_i32 s10, s38, s0
	v_mov_b32_e32 v2, 0
	v_cmp_gt_u32_e32 vcc, s10, v0
	v_mov_b32_e32 v3, v2
	v_mov_b32_e32 v4, v2
	;; [unrolled: 1-line block ×4, first 2 shown]
	s_waitcnt lgkmcnt(0)
	v_mov_b32_e32 v7, v2
	v_mov_b32_e32 v8, v2
	;; [unrolled: 1-line block ×3, first 2 shown]
	s_and_saveexec_b64 s[0:1], vcc
	s_cbranch_execz .LBB103_104
; %bb.103:
	v_lshlrev_b32_e32 v1, 3, v0
	global_load_dwordx2 v[4:5], v1, s[6:7]
	v_mov_b32_e32 v6, v2
	v_mov_b32_e32 v7, v2
	;; [unrolled: 1-line block ×6, first 2 shown]
	s_waitcnt vmcnt(0)
	v_mov_b64_e32 v[2:3], v[4:5]
	v_mov_b64_e32 v[4:5], v[6:7]
	;; [unrolled: 1-line block ×4, first 2 shown]
.LBB103_104:
	s_or_b64 exec, exec, s[0:1]
	v_or_b32_e32 v1, 0x100, v0
	v_cmp_gt_u32_e32 vcc, s10, v1
	s_and_saveexec_b64 s[0:1], vcc
	s_cbranch_execz .LBB103_106
; %bb.105:
	v_lshlrev_b32_e32 v1, 3, v0
	global_load_dwordx2 v[4:5], v1, s[6:7] offset:2048
.LBB103_106:
	s_or_b64 exec, exec, s[0:1]
	v_or_b32_e32 v1, 0x200, v0
	v_cmp_gt_u32_e64 s[0:1], s10, v1
	s_and_saveexec_b64 s[4:5], s[0:1]
	s_cbranch_execz .LBB103_108
; %bb.107:
	v_lshlrev_b32_e32 v1, 3, v1
	global_load_dwordx2 v[6:7], v1, s[6:7]
.LBB103_108:
	s_or_b64 exec, exec, s[4:5]
	v_or_b32_e32 v1, 0x300, v0
	v_cmp_gt_u32_e64 s[4:5], s10, v1
	s_and_saveexec_b64 s[8:9], s[4:5]
	s_cbranch_execz .LBB103_110
; %bb.109:
	v_lshlrev_b32_e32 v1, 3, v1
	global_load_dwordx2 v[8:9], v1, s[6:7]
.LBB103_110:
	s_or_b64 exec, exec, s[8:9]
	s_waitcnt vmcnt(0)
	v_cndmask_b32_e32 v5, 0, v5, vcc
	v_cndmask_b32_e32 v4, 0, v4, vcc
	v_mbcnt_lo_u32_b32 v1, -1, 0
	v_lshl_add_u64 v[2:3], v[4:5], 0, v[2:3]
	v_cndmask_b32_e64 v5, 0, v7, s[0:1]
	v_cndmask_b32_e64 v4, 0, v6, s[0:1]
	v_mbcnt_hi_u32_b32 v1, -1, v1
	v_lshl_add_u64 v[2:3], v[2:3], 0, v[4:5]
	v_cndmask_b32_e64 v5, 0, v9, s[4:5]
	v_cndmask_b32_e64 v4, 0, v8, s[4:5]
	v_and_b32_e32 v9, 63, v1
	v_lshl_add_u64 v[2:3], v[2:3], 0, v[4:5]
	s_min_u32 s6, s10, 0x100
	v_and_b32_e32 v4, 0xc0, v0
	v_cmp_ne_u32_e32 vcc, 63, v9
	v_sub_u32_e64 v8, s6, v4 clamp
	v_mov_b32_e32 v6, 0
	v_addc_co_u32_e32 v4, vcc, 0, v1, vcc
	v_lshlrev_b32_e32 v5, 2, v4
	ds_bpermute_b32 v4, v5, v2
	ds_bpermute_b32 v7, v5, v3
	v_add_u32_e32 v10, 1, v9
	v_mov_b32_e32 v5, v6
	v_cmp_lt_u32_e64 s[0:1], v10, v8
	s_waitcnt lgkmcnt(1)
	v_lshl_add_u64 v[4:5], v[2:3], 0, v[4:5]
	v_cmp_gt_u32_e32 vcc, 62, v9
	s_waitcnt lgkmcnt(0)
	v_lshl_add_u64 v[6:7], v[6:7], 0, v[4:5]
	v_cndmask_b32_e64 v12, v2, v4, s[0:1]
	v_cndmask_b32_e64 v4, 0, 2, vcc
	v_cndmask_b32_e64 v5, v3, v7, s[0:1]
	v_add_lshl_u32 v4, v4, v1, 2
	ds_bpermute_b32 v10, v4, v12
	ds_bpermute_b32 v11, v4, v5
	v_cndmask_b32_e64 v4, v2, v6, s[0:1]
	v_add_u32_e32 v13, 2, v9
	v_cmp_lt_u32_e32 vcc, v13, v8
	v_cmp_gt_u32_e64 s[4:5], 60, v9
	s_waitcnt lgkmcnt(0)
	v_lshl_add_u64 v[6:7], v[10:11], 0, v[4:5]
	v_cndmask_b32_e32 v5, v5, v7, vcc
	v_cndmask_b32_e64 v7, 0, 4, s[4:5]
	v_cndmask_b32_e32 v12, v12, v6, vcc
	v_add_lshl_u32 v7, v7, v1, 2
	ds_bpermute_b32 v10, v7, v12
	ds_bpermute_b32 v11, v7, v5
	v_cndmask_b32_e32 v4, v4, v6, vcc
	v_add_u32_e32 v13, 4, v9
	v_cmp_lt_u32_e32 vcc, v13, v8
	v_cmp_gt_u32_e64 s[4:5], 56, v9
	s_waitcnt lgkmcnt(0)
	v_lshl_add_u64 v[6:7], v[10:11], 0, v[4:5]
	v_cndmask_b32_e32 v5, v5, v7, vcc
	v_cndmask_b32_e64 v7, 0, 8, s[4:5]
	v_cndmask_b32_e32 v12, v12, v6, vcc
	v_add_lshl_u32 v7, v7, v1, 2
	ds_bpermute_b32 v10, v7, v12
	ds_bpermute_b32 v11, v7, v5
	v_cndmask_b32_e32 v4, v4, v6, vcc
	;; [unrolled: 12-line block ×3, first 2 shown]
	v_add_u32_e32 v13, 16, v9
	v_cmp_lt_u32_e32 vcc, v13, v8
	s_waitcnt lgkmcnt(0)
	v_lshl_add_u64 v[6:7], v[10:11], 0, v[4:5]
	v_lshlrev_b32_e32 v10, 2, v1
	v_cndmask_b32_e32 v13, v5, v7, vcc
	v_cndmask_b32_e32 v11, v12, v6, vcc
	v_or_b32_e32 v12, 0x80, v10
	ds_bpermute_b32 v11, v12, v11
	ds_bpermute_b32 v12, v12, v13
	s_and_saveexec_b64 s[4:5], s[0:1]
	s_cbranch_execz .LBB103_112
; %bb.111:
	v_add_u32_e32 v9, 32, v9
	v_cndmask_b32_e32 v3, v5, v7, vcc
	v_cndmask_b32_e32 v2, v4, v6, vcc
	v_cmp_lt_u32_e32 vcc, v9, v8
	s_waitcnt lgkmcnt(0)
	s_nop 0
	v_cndmask_b32_e32 v5, 0, v12, vcc
	v_cndmask_b32_e32 v4, 0, v11, vcc
	v_lshl_add_u64 v[2:3], v[4:5], 0, v[2:3]
.LBB103_112:
	s_or_b64 exec, exec, s[4:5]
	v_cmp_eq_u32_e32 vcc, 0, v1
	s_and_saveexec_b64 s[0:1], vcc
; %bb.113:
	v_lshrrev_b32_e32 v4, 3, v0
	v_and_b32_e32 v4, 24, v4
	ds_write_b64 v4, v[2:3] offset:160
; %bb.114:
	s_or_b64 exec, exec, s[0:1]
	v_cmp_gt_u32_e32 vcc, 4, v0
	s_waitcnt lgkmcnt(0)
	s_barrier
	s_and_saveexec_b64 s[0:1], vcc
	s_cbranch_execz .LBB103_118
; %bb.115:
	v_lshlrev_b32_e32 v2, 3, v1
	ds_read_b64 v[2:3], v2 offset:160
	v_and_b32_e32 v6, 3, v1
	v_cmp_ne_u32_e32 vcc, 3, v6
	v_mov_b32_e32 v8, 0
	s_add_i32 s6, s6, 63
	v_addc_co_u32_e32 v1, vcc, 0, v1, vcc
	v_lshlrev_b32_e32 v1, 2, v1
	s_waitcnt lgkmcnt(0)
	ds_bpermute_b32 v4, v1, v2
	ds_bpermute_b32 v9, v1, v3
	v_mov_b32_e32 v5, v8
	s_lshr_b32 s6, s6, 6
	v_add_u32_e32 v1, 1, v6
	s_waitcnt lgkmcnt(1)
	v_lshl_add_u64 v[12:13], v[2:3], 0, v[4:5]
	s_waitcnt lgkmcnt(0)
	v_lshl_add_u64 v[4:5], v[8:9], 0, v[12:13]
	v_cmp_gt_u32_e32 vcc, s6, v1
	v_or_b32_e32 v8, 8, v10
	s_nop 0
	v_cndmask_b32_e32 v7, v3, v5, vcc
	v_cndmask_b32_e32 v1, v2, v12, vcc
	ds_bpermute_b32 v1, v8, v1
	ds_bpermute_b32 v7, v8, v7
	s_and_saveexec_b64 s[4:5], vcc
	s_cbranch_execz .LBB103_117
; %bb.116:
	v_add_u32_e32 v2, 2, v6
	v_cmp_gt_u32_e32 vcc, s6, v2
	s_waitcnt lgkmcnt(0)
	s_nop 0
	v_cndmask_b32_e32 v3, 0, v7, vcc
	v_cndmask_b32_e32 v2, 0, v1, vcc
	v_lshl_add_u64 v[2:3], v[2:3], 0, v[4:5]
.LBB103_117:
	s_or_b64 exec, exec, s[4:5]
.LBB103_118:
	s_or_b64 exec, exec, s[0:1]
.LBB103_119:
	v_cmp_eq_u32_e64 s[0:1], 0, v0
	v_mov_b64_e32 v[4:5], s[2:3]
.LBB103_120:
	s_branch .LBB103_166
.LBB103_121:
	s_cmp_gt_i32 s33, 1
	s_cbranch_scc0 .LBB103_129
; %bb.122:
	s_cmp_eq_u32 s33, 2
                                        ; implicit-def: $vgpr2_vgpr3
                                        ; implicit-def: $vgpr4_vgpr5
	s_cbranch_scc0 .LBB103_130
; %bb.123:
	s_mov_b32 s3, 0
	s_lshl_b32 s4, s2, 9
	s_mov_b32 s5, s3
	s_lshr_b64 s[6:7], s[38:39], 9
	s_lshl_b64 s[0:1], s[4:5], 3
	s_add_u32 s0, s36, s0
	s_addc_u32 s1, s37, s1
	s_cmp_lg_u64 s[6:7], s[2:3]
	s_cbranch_scc0 .LBB103_131
; %bb.124:
	s_waitcnt lgkmcnt(1)
	v_lshlrev_b32_e32 v1, 3, v0
	global_load_dwordx2 v[2:3], v1, s[0:1]
	s_waitcnt lgkmcnt(0)
	global_load_dwordx2 v[6:7], v1, s[0:1] offset:2048
	v_mov_b32_e32 v8, 0
	v_mov_b32_e32 v11, v8
	;; [unrolled: 1-line block ×6, first 2 shown]
	v_mbcnt_lo_u32_b32 v1, -1, 0
	v_mbcnt_hi_u32_b32 v1, -1, v1
	v_mov_b32_e32 v21, v8
	v_lshlrev_b32_e32 v4, 2, v1
	v_or_b32_e32 v5, 0xfc, v4
	v_cmp_eq_u32_e32 vcc, 0, v1
	s_waitcnt vmcnt(0)
	v_lshl_add_u64 v[2:3], v[6:7], 0, v[2:3]
	s_nop 1
	v_mov_b32_dpp v10, v2 quad_perm:[1,0,3,2] row_mask:0xf bank_mask:0xf bound_ctrl:1
	v_mov_b32_dpp v9, v3 quad_perm:[1,0,3,2] row_mask:0xf bank_mask:0xf bound_ctrl:1
	v_lshl_add_u64 v[2:3], v[2:3], 0, v[10:11]
	v_lshl_add_u64 v[6:7], v[8:9], 0, v[2:3]
	s_nop 0
	v_mov_b32_dpp v12, v2 quad_perm:[2,3,0,1] row_mask:0xf bank_mask:0xf bound_ctrl:1
	v_mov_b32_dpp v9, v7 quad_perm:[2,3,0,1] row_mask:0xf bank_mask:0xf bound_ctrl:1
	v_lshl_add_u64 v[2:3], v[6:7], 0, v[12:13]
	v_lshl_add_u64 v[6:7], v[2:3], 0, v[8:9]
	s_nop 0
	v_mov_b32_dpp v14, v2 row_ror:4 row_mask:0xf bank_mask:0xf bound_ctrl:1
	v_mov_b32_dpp v9, v7 row_ror:4 row_mask:0xf bank_mask:0xf bound_ctrl:1
	v_lshl_add_u64 v[2:3], v[6:7], 0, v[14:15]
	v_lshl_add_u64 v[6:7], v[2:3], 0, v[8:9]
	s_nop 0
	v_mov_b32_dpp v16, v2 row_ror:8 row_mask:0xf bank_mask:0xf bound_ctrl:1
	v_mov_b32_dpp v9, v7 row_ror:8 row_mask:0xf bank_mask:0xf bound_ctrl:1
	v_lshl_add_u64 v[2:3], v[6:7], 0, v[16:17]
	v_lshl_add_u64 v[6:7], v[2:3], 0, v[8:9]
	s_nop 0
	v_mov_b32_dpp v18, v2 row_bcast:15 row_mask:0xf bank_mask:0xf bound_ctrl:1
	v_mov_b32_dpp v9, v7 row_bcast:15 row_mask:0xf bank_mask:0xf bound_ctrl:1
	v_lshl_add_u64 v[2:3], v[6:7], 0, v[18:19]
	v_lshl_add_u64 v[6:7], v[2:3], 0, v[8:9]
	s_nop 0
	v_mov_b32_dpp v20, v2 row_bcast:31 row_mask:0xf bank_mask:0xf bound_ctrl:1
	v_lshl_add_u64 v[2:3], v[6:7], 0, v[20:21]
	ds_bpermute_b32 v2, v5, v2
	s_nop 0
	v_add_u32_dpp v3, v7, v3 row_bcast:31 row_mask:0xf bank_mask:0xf bound_ctrl:1
	ds_bpermute_b32 v3, v5, v3
	s_and_saveexec_b64 s[6:7], vcc
	s_cbranch_execz .LBB103_126
; %bb.125:
	v_lshrrev_b32_e32 v5, 3, v0
	v_and_b32_e32 v5, 24, v5
	s_waitcnt lgkmcnt(0)
	ds_write_b64 v5, v[2:3] offset:64
.LBB103_126:
	s_or_b64 exec, exec, s[6:7]
	v_cmp_gt_u32_e32 vcc, 64, v0
	s_waitcnt lgkmcnt(0)
	s_barrier
	s_and_saveexec_b64 s[6:7], vcc
	s_cbranch_execz .LBB103_128
; %bb.127:
	v_and_b32_e32 v5, 3, v1
	v_lshlrev_b32_e32 v2, 3, v5
	ds_read_b64 v[2:3], v2 offset:64
	v_cmp_ne_u32_e32 vcc, 3, v5
	v_mov_b32_e32 v8, 0
	v_mov_b32_e32 v7, v8
	v_addc_co_u32_e32 v1, vcc, 0, v1, vcc
	v_lshlrev_b32_e32 v1, 2, v1
	s_waitcnt lgkmcnt(0)
	ds_bpermute_b32 v6, v1, v2
	ds_bpermute_b32 v9, v1, v3
	v_or_b32_e32 v1, 8, v4
	s_waitcnt lgkmcnt(1)
	v_lshl_add_u64 v[2:3], v[2:3], 0, v[6:7]
	s_waitcnt lgkmcnt(0)
	v_lshl_add_u64 v[4:5], v[8:9], 0, v[2:3]
	ds_bpermute_b32 v2, v1, v2
	ds_bpermute_b32 v9, v1, v5
	v_mov_b32_e32 v3, v8
	s_waitcnt lgkmcnt(1)
	v_lshl_add_u64 v[2:3], v[4:5], 0, v[2:3]
	s_waitcnt lgkmcnt(0)
	v_lshl_add_u64 v[2:3], v[2:3], 0, v[8:9]
.LBB103_128:
	s_or_b64 exec, exec, s[6:7]
	s_branch .LBB103_145
.LBB103_129:
                                        ; implicit-def: $vgpr2_vgpr3
                                        ; implicit-def: $vgpr4_vgpr5
	s_cbranch_execnz .LBB103_146
	s_branch .LBB103_166
.LBB103_130:
	s_branch .LBB103_166
.LBB103_131:
                                        ; implicit-def: $vgpr2_vgpr3
	s_cbranch_execz .LBB103_145
; %bb.132:
	s_sub_i32 s6, s38, s4
	v_mov_b32_e32 v2, 0
	v_cmp_gt_u32_e32 vcc, s6, v0
	v_mov_b32_e32 v3, v2
	v_mov_b32_e32 v4, v2
	;; [unrolled: 1-line block ×3, first 2 shown]
	s_and_saveexec_b64 s[4:5], vcc
	s_cbranch_execz .LBB103_134
; %bb.133:
	s_waitcnt lgkmcnt(1)
	v_lshlrev_b32_e32 v1, 3, v0
	global_load_dwordx2 v[4:5], v1, s[0:1]
	v_mov_b32_e32 v6, v2
	s_waitcnt lgkmcnt(0)
	v_mov_b32_e32 v7, v2
	s_waitcnt vmcnt(0)
	v_mov_b64_e32 v[2:3], v[4:5]
	v_mov_b64_e32 v[4:5], v[6:7]
.LBB103_134:
	s_or_b64 exec, exec, s[4:5]
	s_waitcnt lgkmcnt(1)
	v_or_b32_e32 v1, 0x100, v0
	v_cmp_gt_u32_e32 vcc, s6, v1
	s_and_saveexec_b64 s[4:5], vcc
	s_cbranch_execz .LBB103_136
; %bb.135:
	v_lshlrev_b32_e32 v1, 3, v0
	global_load_dwordx2 v[4:5], v1, s[0:1] offset:2048
.LBB103_136:
	s_or_b64 exec, exec, s[4:5]
	v_mbcnt_lo_u32_b32 v1, -1, 0
	v_mbcnt_hi_u32_b32 v1, -1, v1
	s_waitcnt vmcnt(0)
	v_cndmask_b32_e32 v5, 0, v5, vcc
	v_cndmask_b32_e32 v4, 0, v4, vcc
	v_and_b32_e32 v9, 63, v1
	v_lshl_add_u64 v[2:3], v[4:5], 0, v[2:3]
	s_min_u32 s6, s6, 0x100
	v_and_b32_e32 v4, 0xc0, v0
	v_cmp_ne_u32_e32 vcc, 63, v9
	v_sub_u32_e64 v8, s6, v4 clamp
	v_mov_b32_e32 v6, 0
	v_addc_co_u32_e32 v4, vcc, 0, v1, vcc
	v_lshlrev_b32_e32 v5, 2, v4
	ds_bpermute_b32 v4, v5, v2
	s_waitcnt lgkmcnt(1)
	ds_bpermute_b32 v7, v5, v3
	v_add_u32_e32 v10, 1, v9
	v_mov_b32_e32 v5, v6
	v_cmp_lt_u32_e64 s[0:1], v10, v8
	s_waitcnt lgkmcnt(1)
	v_lshl_add_u64 v[4:5], v[2:3], 0, v[4:5]
	v_cmp_gt_u32_e32 vcc, 62, v9
	s_waitcnt lgkmcnt(0)
	v_lshl_add_u64 v[6:7], v[6:7], 0, v[4:5]
	v_cndmask_b32_e64 v12, v2, v4, s[0:1]
	v_cndmask_b32_e64 v4, 0, 2, vcc
	v_cndmask_b32_e64 v5, v3, v7, s[0:1]
	v_add_lshl_u32 v4, v4, v1, 2
	ds_bpermute_b32 v10, v4, v12
	ds_bpermute_b32 v11, v4, v5
	v_cndmask_b32_e64 v4, v2, v6, s[0:1]
	v_add_u32_e32 v13, 2, v9
	v_cmp_lt_u32_e32 vcc, v13, v8
	v_cmp_gt_u32_e64 s[4:5], 60, v9
	s_waitcnt lgkmcnt(0)
	v_lshl_add_u64 v[6:7], v[10:11], 0, v[4:5]
	v_cndmask_b32_e32 v5, v5, v7, vcc
	v_cndmask_b32_e64 v7, 0, 4, s[4:5]
	v_cndmask_b32_e32 v12, v12, v6, vcc
	v_add_lshl_u32 v7, v7, v1, 2
	ds_bpermute_b32 v10, v7, v12
	ds_bpermute_b32 v11, v7, v5
	v_cndmask_b32_e32 v4, v4, v6, vcc
	v_add_u32_e32 v13, 4, v9
	v_cmp_lt_u32_e32 vcc, v13, v8
	v_cmp_gt_u32_e64 s[4:5], 56, v9
	s_waitcnt lgkmcnt(0)
	v_lshl_add_u64 v[6:7], v[10:11], 0, v[4:5]
	v_cndmask_b32_e32 v5, v5, v7, vcc
	v_cndmask_b32_e64 v7, 0, 8, s[4:5]
	v_cndmask_b32_e32 v12, v12, v6, vcc
	v_add_lshl_u32 v7, v7, v1, 2
	ds_bpermute_b32 v10, v7, v12
	ds_bpermute_b32 v11, v7, v5
	v_cndmask_b32_e32 v4, v4, v6, vcc
	;; [unrolled: 12-line block ×3, first 2 shown]
	v_add_u32_e32 v13, 16, v9
	v_cmp_lt_u32_e32 vcc, v13, v8
	s_waitcnt lgkmcnt(0)
	v_lshl_add_u64 v[6:7], v[10:11], 0, v[4:5]
	v_lshlrev_b32_e32 v10, 2, v1
	v_cndmask_b32_e32 v13, v5, v7, vcc
	v_cndmask_b32_e32 v11, v12, v6, vcc
	v_or_b32_e32 v12, 0x80, v10
	ds_bpermute_b32 v11, v12, v11
	ds_bpermute_b32 v12, v12, v13
	s_and_saveexec_b64 s[4:5], s[0:1]
	s_cbranch_execz .LBB103_138
; %bb.137:
	v_add_u32_e32 v9, 32, v9
	v_cndmask_b32_e32 v3, v5, v7, vcc
	v_cndmask_b32_e32 v2, v4, v6, vcc
	v_cmp_lt_u32_e32 vcc, v9, v8
	s_waitcnt lgkmcnt(0)
	s_nop 0
	v_cndmask_b32_e32 v5, 0, v12, vcc
	v_cndmask_b32_e32 v4, 0, v11, vcc
	v_lshl_add_u64 v[2:3], v[4:5], 0, v[2:3]
.LBB103_138:
	s_or_b64 exec, exec, s[4:5]
	v_cmp_eq_u32_e32 vcc, 0, v1
	s_and_saveexec_b64 s[0:1], vcc
; %bb.139:
	v_lshrrev_b32_e32 v4, 3, v0
	v_and_b32_e32 v4, 24, v4
	ds_write_b64 v4, v[2:3] offset:160
; %bb.140:
	s_or_b64 exec, exec, s[0:1]
	v_cmp_gt_u32_e32 vcc, 4, v0
	s_waitcnt lgkmcnt(0)
	s_barrier
	s_and_saveexec_b64 s[0:1], vcc
	s_cbranch_execz .LBB103_144
; %bb.141:
	v_lshlrev_b32_e32 v2, 3, v1
	ds_read_b64 v[2:3], v2 offset:160
	v_and_b32_e32 v6, 3, v1
	v_cmp_ne_u32_e32 vcc, 3, v6
	v_mov_b32_e32 v8, 0
	s_add_i32 s6, s6, 63
	v_addc_co_u32_e32 v1, vcc, 0, v1, vcc
	v_lshlrev_b32_e32 v1, 2, v1
	s_waitcnt lgkmcnt(0)
	ds_bpermute_b32 v4, v1, v2
	ds_bpermute_b32 v9, v1, v3
	v_mov_b32_e32 v5, v8
	s_lshr_b32 s6, s6, 6
	v_add_u32_e32 v1, 1, v6
	s_waitcnt lgkmcnt(1)
	v_lshl_add_u64 v[12:13], v[2:3], 0, v[4:5]
	s_waitcnt lgkmcnt(0)
	v_lshl_add_u64 v[4:5], v[8:9], 0, v[12:13]
	v_cmp_gt_u32_e32 vcc, s6, v1
	v_or_b32_e32 v8, 8, v10
	s_nop 0
	v_cndmask_b32_e32 v7, v3, v5, vcc
	v_cndmask_b32_e32 v1, v2, v12, vcc
	ds_bpermute_b32 v1, v8, v1
	ds_bpermute_b32 v7, v8, v7
	s_and_saveexec_b64 s[4:5], vcc
	s_cbranch_execz .LBB103_143
; %bb.142:
	v_add_u32_e32 v2, 2, v6
	v_cmp_gt_u32_e32 vcc, s6, v2
	s_waitcnt lgkmcnt(0)
	s_nop 0
	v_cndmask_b32_e32 v3, 0, v7, vcc
	v_cndmask_b32_e32 v2, 0, v1, vcc
	v_lshl_add_u64 v[2:3], v[2:3], 0, v[4:5]
.LBB103_143:
	s_or_b64 exec, exec, s[4:5]
.LBB103_144:
	s_or_b64 exec, exec, s[0:1]
.LBB103_145:
	v_cmp_eq_u32_e64 s[0:1], 0, v0
	v_mov_b64_e32 v[4:5], s[2:3]
	s_branch .LBB103_166
.LBB103_146:
	s_cmp_eq_u32 s33, 1
                                        ; implicit-def: $vgpr2_vgpr3
                                        ; implicit-def: $vgpr4_vgpr5
	s_cbranch_scc0 .LBB103_166
; %bb.147:
	s_mov_b32 s1, 0
	s_lshl_b32 s0, s2, 8
	s_mov_b32 s3, s1
	s_lshr_b64 s[4:5], s[38:39], 8
	s_cmp_lg_u64 s[4:5], s[2:3]
	s_waitcnt lgkmcnt(1)
	v_mbcnt_lo_u32_b32 v1, -1, 0
	s_cbranch_scc0 .LBB103_153
; %bb.148:
	s_lshl_b64 s[4:5], s[0:1], 3
	s_add_u32 s4, s36, s4
	s_addc_u32 s5, s37, s5
	v_lshlrev_b32_e32 v2, 3, v0
	global_load_dwordx2 v[2:3], v2, s[4:5]
	v_mov_b32_e32 v6, 0
	v_mov_b32_e32 v9, v6
	v_mov_b32_e32 v11, v6
	v_mov_b32_e32 v13, v6
	v_mov_b32_e32 v15, v6
	v_mov_b32_e32 v17, v6
	v_mbcnt_hi_u32_b32 v4, -1, v1
	v_mov_b32_e32 v19, v6
	v_lshlrev_b32_e32 v5, 2, v4
	v_or_b32_e32 v20, 0xfc, v5
	v_cmp_eq_u32_e32 vcc, 0, v4
	s_waitcnt vmcnt(0)
	v_mov_b32_dpp v8, v2 quad_perm:[1,0,3,2] row_mask:0xf bank_mask:0xf bound_ctrl:1
	s_waitcnt lgkmcnt(0)
	v_mov_b32_dpp v7, v3 quad_perm:[1,0,3,2] row_mask:0xf bank_mask:0xf bound_ctrl:1
	v_lshl_add_u64 v[2:3], v[2:3], 0, v[8:9]
	v_lshl_add_u64 v[8:9], v[6:7], 0, v[2:3]
	s_nop 0
	v_mov_b32_dpp v10, v2 quad_perm:[2,3,0,1] row_mask:0xf bank_mask:0xf bound_ctrl:1
	v_mov_b32_dpp v7, v9 quad_perm:[2,3,0,1] row_mask:0xf bank_mask:0xf bound_ctrl:1
	v_lshl_add_u64 v[2:3], v[8:9], 0, v[10:11]
	v_lshl_add_u64 v[8:9], v[2:3], 0, v[6:7]
	s_nop 0
	v_mov_b32_dpp v12, v2 row_ror:4 row_mask:0xf bank_mask:0xf bound_ctrl:1
	v_mov_b32_dpp v7, v9 row_ror:4 row_mask:0xf bank_mask:0xf bound_ctrl:1
	v_lshl_add_u64 v[2:3], v[8:9], 0, v[12:13]
	v_lshl_add_u64 v[8:9], v[2:3], 0, v[6:7]
	s_nop 0
	v_mov_b32_dpp v14, v2 row_ror:8 row_mask:0xf bank_mask:0xf bound_ctrl:1
	v_mov_b32_dpp v7, v9 row_ror:8 row_mask:0xf bank_mask:0xf bound_ctrl:1
	v_lshl_add_u64 v[2:3], v[8:9], 0, v[14:15]
	v_lshl_add_u64 v[8:9], v[2:3], 0, v[6:7]
	s_nop 0
	v_mov_b32_dpp v16, v2 row_bcast:15 row_mask:0xf bank_mask:0xf bound_ctrl:1
	v_mov_b32_dpp v7, v9 row_bcast:15 row_mask:0xf bank_mask:0xf bound_ctrl:1
	v_lshl_add_u64 v[2:3], v[8:9], 0, v[16:17]
	v_lshl_add_u64 v[6:7], v[2:3], 0, v[6:7]
	s_nop 0
	v_mov_b32_dpp v18, v2 row_bcast:31 row_mask:0xf bank_mask:0xf bound_ctrl:1
	v_lshl_add_u64 v[2:3], v[6:7], 0, v[18:19]
	ds_bpermute_b32 v2, v20, v2
	s_nop 0
	v_add_u32_dpp v3, v7, v3 row_bcast:31 row_mask:0xf bank_mask:0xf bound_ctrl:1
	ds_bpermute_b32 v3, v20, v3
	s_and_saveexec_b64 s[4:5], vcc
	s_cbranch_execz .LBB103_150
; %bb.149:
	v_lshrrev_b32_e32 v6, 3, v0
	v_and_b32_e32 v6, 24, v6
	s_waitcnt lgkmcnt(0)
	ds_write_b64 v6, v[2:3] offset:32
.LBB103_150:
	s_or_b64 exec, exec, s[4:5]
	v_cmp_gt_u32_e32 vcc, 64, v0
	s_waitcnt lgkmcnt(0)
	s_barrier
	s_and_saveexec_b64 s[4:5], vcc
	s_cbranch_execz .LBB103_152
; %bb.151:
	v_and_b32_e32 v6, 3, v4
	v_lshlrev_b32_e32 v2, 3, v6
	ds_read_b64 v[2:3], v2 offset:32
	v_cmp_ne_u32_e32 vcc, 3, v6
	v_or_b32_e32 v8, 8, v5
	s_nop 0
	v_addc_co_u32_e32 v4, vcc, 0, v4, vcc
	v_lshlrev_b32_e32 v6, 2, v4
	s_waitcnt lgkmcnt(0)
	ds_bpermute_b32 v4, v6, v2
	ds_bpermute_b32 v7, v6, v3
	v_mov_b32_e32 v6, 0
	v_mov_b32_e32 v5, v6
	s_waitcnt lgkmcnt(1)
	v_lshl_add_u64 v[2:3], v[2:3], 0, v[4:5]
	s_waitcnt lgkmcnt(0)
	v_lshl_add_u64 v[4:5], v[6:7], 0, v[2:3]
	ds_bpermute_b32 v2, v8, v2
	ds_bpermute_b32 v7, v8, v5
	v_mov_b32_e32 v3, v6
	s_waitcnt lgkmcnt(1)
	v_lshl_add_u64 v[2:3], v[4:5], 0, v[2:3]
	s_waitcnt lgkmcnt(0)
	v_lshl_add_u64 v[2:3], v[2:3], 0, v[6:7]
.LBB103_152:
	s_or_b64 exec, exec, s[4:5]
	s_branch .LBB103_165
.LBB103_153:
                                        ; implicit-def: $vgpr2_vgpr3
	s_cbranch_execz .LBB103_165
; %bb.154:
	s_sub_i32 s6, s38, s0
	v_cmp_gt_u32_e32 vcc, s6, v0
                                        ; implicit-def: $vgpr2_vgpr3
	s_and_saveexec_b64 s[4:5], vcc
	s_cbranch_execz .LBB103_156
; %bb.155:
	s_lshl_b64 s[0:1], s[0:1], 3
	s_add_u32 s0, s36, s0
	s_addc_u32 s1, s37, s1
	v_lshlrev_b32_e32 v2, 3, v0
	global_load_dwordx2 v[2:3], v2, s[0:1]
.LBB103_156:
	s_or_b64 exec, exec, s[4:5]
	v_mbcnt_hi_u32_b32 v1, -1, v1
	v_and_b32_e32 v9, 63, v1
	s_min_u32 s6, s6, 0x100
	v_and_b32_e32 v4, 0xc0, v0
	v_cmp_ne_u32_e32 vcc, 63, v9
	v_sub_u32_e64 v8, s6, v4 clamp
	v_mov_b32_e32 v6, 0
	v_addc_co_u32_e32 v4, vcc, 0, v1, vcc
	v_lshlrev_b32_e32 v5, 2, v4
	s_waitcnt vmcnt(0)
	ds_bpermute_b32 v4, v5, v2
	s_waitcnt lgkmcnt(1)
	ds_bpermute_b32 v7, v5, v3
	v_add_u32_e32 v10, 1, v9
	v_mov_b32_e32 v5, v6
	v_cmp_lt_u32_e64 s[0:1], v10, v8
	s_waitcnt lgkmcnt(1)
	v_lshl_add_u64 v[4:5], v[2:3], 0, v[4:5]
	v_cmp_gt_u32_e32 vcc, 62, v9
	s_waitcnt lgkmcnt(0)
	v_lshl_add_u64 v[6:7], v[6:7], 0, v[4:5]
	v_cndmask_b32_e64 v12, v2, v4, s[0:1]
	v_cndmask_b32_e64 v4, 0, 2, vcc
	v_cndmask_b32_e64 v5, v3, v7, s[0:1]
	v_add_lshl_u32 v4, v4, v1, 2
	ds_bpermute_b32 v10, v4, v12
	ds_bpermute_b32 v11, v4, v5
	v_cndmask_b32_e64 v4, v2, v6, s[0:1]
	v_add_u32_e32 v13, 2, v9
	v_cmp_lt_u32_e32 vcc, v13, v8
	v_cmp_gt_u32_e64 s[4:5], 60, v9
	s_waitcnt lgkmcnt(0)
	v_lshl_add_u64 v[6:7], v[10:11], 0, v[4:5]
	v_cndmask_b32_e32 v5, v5, v7, vcc
	v_cndmask_b32_e64 v7, 0, 4, s[4:5]
	v_cndmask_b32_e32 v12, v12, v6, vcc
	v_add_lshl_u32 v7, v7, v1, 2
	ds_bpermute_b32 v10, v7, v12
	ds_bpermute_b32 v11, v7, v5
	v_cndmask_b32_e32 v4, v4, v6, vcc
	v_add_u32_e32 v13, 4, v9
	v_cmp_lt_u32_e32 vcc, v13, v8
	v_cmp_gt_u32_e64 s[4:5], 56, v9
	s_waitcnt lgkmcnt(0)
	v_lshl_add_u64 v[6:7], v[10:11], 0, v[4:5]
	v_cndmask_b32_e32 v5, v5, v7, vcc
	v_cndmask_b32_e64 v7, 0, 8, s[4:5]
	v_cndmask_b32_e32 v12, v12, v6, vcc
	v_add_lshl_u32 v7, v7, v1, 2
	ds_bpermute_b32 v10, v7, v12
	ds_bpermute_b32 v11, v7, v5
	v_cndmask_b32_e32 v4, v4, v6, vcc
	;; [unrolled: 12-line block ×3, first 2 shown]
	v_add_u32_e32 v13, 16, v9
	v_cmp_lt_u32_e32 vcc, v13, v8
	s_waitcnt lgkmcnt(0)
	v_lshl_add_u64 v[6:7], v[10:11], 0, v[4:5]
	v_lshlrev_b32_e32 v10, 2, v1
	v_cndmask_b32_e32 v13, v5, v7, vcc
	v_cndmask_b32_e32 v11, v12, v6, vcc
	v_or_b32_e32 v12, 0x80, v10
	ds_bpermute_b32 v11, v12, v11
	ds_bpermute_b32 v12, v12, v13
	s_and_saveexec_b64 s[4:5], s[0:1]
	s_cbranch_execz .LBB103_158
; %bb.157:
	v_add_u32_e32 v9, 32, v9
	v_cndmask_b32_e32 v3, v5, v7, vcc
	v_cndmask_b32_e32 v2, v4, v6, vcc
	v_cmp_lt_u32_e32 vcc, v9, v8
	s_waitcnt lgkmcnt(0)
	s_nop 0
	v_cndmask_b32_e32 v5, 0, v12, vcc
	v_cndmask_b32_e32 v4, 0, v11, vcc
	v_lshl_add_u64 v[2:3], v[4:5], 0, v[2:3]
.LBB103_158:
	s_or_b64 exec, exec, s[4:5]
	v_cmp_eq_u32_e32 vcc, 0, v1
	s_and_saveexec_b64 s[0:1], vcc
; %bb.159:
	v_lshrrev_b32_e32 v4, 3, v0
	v_and_b32_e32 v4, 24, v4
	ds_write_b64 v4, v[2:3] offset:160
; %bb.160:
	s_or_b64 exec, exec, s[0:1]
	v_cmp_gt_u32_e32 vcc, 4, v0
	s_waitcnt lgkmcnt(0)
	s_barrier
	s_and_saveexec_b64 s[0:1], vcc
	s_cbranch_execz .LBB103_164
; %bb.161:
	v_lshlrev_b32_e32 v2, 3, v1
	ds_read_b64 v[2:3], v2 offset:160
	v_and_b32_e32 v6, 3, v1
	v_cmp_ne_u32_e32 vcc, 3, v6
	v_mov_b32_e32 v8, 0
	s_add_i32 s6, s6, 63
	v_addc_co_u32_e32 v1, vcc, 0, v1, vcc
	v_lshlrev_b32_e32 v1, 2, v1
	s_waitcnt lgkmcnt(0)
	ds_bpermute_b32 v4, v1, v2
	ds_bpermute_b32 v9, v1, v3
	v_mov_b32_e32 v5, v8
	s_lshr_b32 s6, s6, 6
	v_add_u32_e32 v1, 1, v6
	s_waitcnt lgkmcnt(1)
	v_lshl_add_u64 v[12:13], v[2:3], 0, v[4:5]
	s_waitcnt lgkmcnt(0)
	v_lshl_add_u64 v[4:5], v[8:9], 0, v[12:13]
	v_cmp_gt_u32_e32 vcc, s6, v1
	v_or_b32_e32 v8, 8, v10
	s_nop 0
	v_cndmask_b32_e32 v7, v3, v5, vcc
	v_cndmask_b32_e32 v1, v2, v12, vcc
	ds_bpermute_b32 v1, v8, v1
	ds_bpermute_b32 v7, v8, v7
	s_and_saveexec_b64 s[4:5], vcc
	s_cbranch_execz .LBB103_163
; %bb.162:
	v_add_u32_e32 v2, 2, v6
	v_cmp_gt_u32_e32 vcc, s6, v2
	s_waitcnt lgkmcnt(0)
	s_nop 0
	v_cndmask_b32_e32 v3, 0, v7, vcc
	v_cndmask_b32_e32 v2, 0, v1, vcc
	v_lshl_add_u64 v[2:3], v[2:3], 0, v[4:5]
.LBB103_163:
	s_or_b64 exec, exec, s[4:5]
.LBB103_164:
	s_or_b64 exec, exec, s[0:1]
.LBB103_165:
	v_cmp_eq_u32_e64 s[0:1], 0, v0
	v_mov_b64_e32 v[4:5], s[2:3]
.LBB103_166:
	s_and_saveexec_b64 s[2:3], s[0:1]
	s_cbranch_execz .LBB103_168
; %bb.167:
	s_cmp_lg_u64 s[38:39], 0
	s_cselect_b64 vcc, -1, 0
	s_waitcnt lgkmcnt(1)
	v_lshlrev_b64 v[0:1], 3, v[4:5]
	v_cndmask_b32_e32 v3, 0, v3, vcc
	v_cndmask_b32_e32 v2, 0, v2, vcc
	v_lshl_add_u64 v[0:1], s[40:41], 0, v[0:1]
	v_lshl_add_u64 v[2:3], v[2:3], 0, s[42:43]
	global_store_dwordx2 v[0:1], v[2:3], off
.LBB103_168:
	s_endpgm
	.section	.rodata,"a",@progbits
	.p2align	6, 0x0
	.amdhsa_kernel _ZN7rocprim17ROCPRIM_400000_NS6detail17trampoline_kernelINS0_14default_configENS1_22reduce_config_selectorIyEEZNS1_11reduce_implILb1ES3_N6thrust23THRUST_200600_302600_NS6detail15normal_iteratorINS8_10device_ptrIyEEEEPyyNS8_4plusIyEEEE10hipError_tPvRmT1_T2_T3_mT4_P12ihipStream_tbEUlT_E1_NS1_11comp_targetILNS1_3genE0ELNS1_11target_archE4294967295ELNS1_3gpuE0ELNS1_3repE0EEENS1_30default_config_static_selectorELNS0_4arch9wavefront6targetE1EEEvSK_
		.amdhsa_group_segment_fixed_size 192
		.amdhsa_private_segment_fixed_size 0
		.amdhsa_kernarg_size 48
		.amdhsa_user_sgpr_count 2
		.amdhsa_user_sgpr_dispatch_ptr 0
		.amdhsa_user_sgpr_queue_ptr 0
		.amdhsa_user_sgpr_kernarg_segment_ptr 1
		.amdhsa_user_sgpr_dispatch_id 0
		.amdhsa_user_sgpr_kernarg_preload_length 0
		.amdhsa_user_sgpr_kernarg_preload_offset 0
		.amdhsa_user_sgpr_private_segment_size 0
		.amdhsa_uses_dynamic_stack 0
		.amdhsa_enable_private_segment 0
		.amdhsa_system_sgpr_workgroup_id_x 1
		.amdhsa_system_sgpr_workgroup_id_y 0
		.amdhsa_system_sgpr_workgroup_id_z 0
		.amdhsa_system_sgpr_workgroup_info 0
		.amdhsa_system_vgpr_workitem_id 0
		.amdhsa_next_free_vgpr 48
		.amdhsa_next_free_sgpr 47
		.amdhsa_accum_offset 48
		.amdhsa_reserve_vcc 1
		.amdhsa_float_round_mode_32 0
		.amdhsa_float_round_mode_16_64 0
		.amdhsa_float_denorm_mode_32 3
		.amdhsa_float_denorm_mode_16_64 3
		.amdhsa_dx10_clamp 1
		.amdhsa_ieee_mode 1
		.amdhsa_fp16_overflow 0
		.amdhsa_tg_split 0
		.amdhsa_exception_fp_ieee_invalid_op 0
		.amdhsa_exception_fp_denorm_src 0
		.amdhsa_exception_fp_ieee_div_zero 0
		.amdhsa_exception_fp_ieee_overflow 0
		.amdhsa_exception_fp_ieee_underflow 0
		.amdhsa_exception_fp_ieee_inexact 0
		.amdhsa_exception_int_div_zero 0
	.end_amdhsa_kernel
	.section	.text._ZN7rocprim17ROCPRIM_400000_NS6detail17trampoline_kernelINS0_14default_configENS1_22reduce_config_selectorIyEEZNS1_11reduce_implILb1ES3_N6thrust23THRUST_200600_302600_NS6detail15normal_iteratorINS8_10device_ptrIyEEEEPyyNS8_4plusIyEEEE10hipError_tPvRmT1_T2_T3_mT4_P12ihipStream_tbEUlT_E1_NS1_11comp_targetILNS1_3genE0ELNS1_11target_archE4294967295ELNS1_3gpuE0ELNS1_3repE0EEENS1_30default_config_static_selectorELNS0_4arch9wavefront6targetE1EEEvSK_,"axG",@progbits,_ZN7rocprim17ROCPRIM_400000_NS6detail17trampoline_kernelINS0_14default_configENS1_22reduce_config_selectorIyEEZNS1_11reduce_implILb1ES3_N6thrust23THRUST_200600_302600_NS6detail15normal_iteratorINS8_10device_ptrIyEEEEPyyNS8_4plusIyEEEE10hipError_tPvRmT1_T2_T3_mT4_P12ihipStream_tbEUlT_E1_NS1_11comp_targetILNS1_3genE0ELNS1_11target_archE4294967295ELNS1_3gpuE0ELNS1_3repE0EEENS1_30default_config_static_selectorELNS0_4arch9wavefront6targetE1EEEvSK_,comdat
.Lfunc_end103:
	.size	_ZN7rocprim17ROCPRIM_400000_NS6detail17trampoline_kernelINS0_14default_configENS1_22reduce_config_selectorIyEEZNS1_11reduce_implILb1ES3_N6thrust23THRUST_200600_302600_NS6detail15normal_iteratorINS8_10device_ptrIyEEEEPyyNS8_4plusIyEEEE10hipError_tPvRmT1_T2_T3_mT4_P12ihipStream_tbEUlT_E1_NS1_11comp_targetILNS1_3genE0ELNS1_11target_archE4294967295ELNS1_3gpuE0ELNS1_3repE0EEENS1_30default_config_static_selectorELNS0_4arch9wavefront6targetE1EEEvSK_, .Lfunc_end103-_ZN7rocprim17ROCPRIM_400000_NS6detail17trampoline_kernelINS0_14default_configENS1_22reduce_config_selectorIyEEZNS1_11reduce_implILb1ES3_N6thrust23THRUST_200600_302600_NS6detail15normal_iteratorINS8_10device_ptrIyEEEEPyyNS8_4plusIyEEEE10hipError_tPvRmT1_T2_T3_mT4_P12ihipStream_tbEUlT_E1_NS1_11comp_targetILNS1_3genE0ELNS1_11target_archE4294967295ELNS1_3gpuE0ELNS1_3repE0EEENS1_30default_config_static_selectorELNS0_4arch9wavefront6targetE1EEEvSK_
                                        ; -- End function
	.set _ZN7rocprim17ROCPRIM_400000_NS6detail17trampoline_kernelINS0_14default_configENS1_22reduce_config_selectorIyEEZNS1_11reduce_implILb1ES3_N6thrust23THRUST_200600_302600_NS6detail15normal_iteratorINS8_10device_ptrIyEEEEPyyNS8_4plusIyEEEE10hipError_tPvRmT1_T2_T3_mT4_P12ihipStream_tbEUlT_E1_NS1_11comp_targetILNS1_3genE0ELNS1_11target_archE4294967295ELNS1_3gpuE0ELNS1_3repE0EEENS1_30default_config_static_selectorELNS0_4arch9wavefront6targetE1EEEvSK_.num_vgpr, 48
	.set _ZN7rocprim17ROCPRIM_400000_NS6detail17trampoline_kernelINS0_14default_configENS1_22reduce_config_selectorIyEEZNS1_11reduce_implILb1ES3_N6thrust23THRUST_200600_302600_NS6detail15normal_iteratorINS8_10device_ptrIyEEEEPyyNS8_4plusIyEEEE10hipError_tPvRmT1_T2_T3_mT4_P12ihipStream_tbEUlT_E1_NS1_11comp_targetILNS1_3genE0ELNS1_11target_archE4294967295ELNS1_3gpuE0ELNS1_3repE0EEENS1_30default_config_static_selectorELNS0_4arch9wavefront6targetE1EEEvSK_.num_agpr, 0
	.set _ZN7rocprim17ROCPRIM_400000_NS6detail17trampoline_kernelINS0_14default_configENS1_22reduce_config_selectorIyEEZNS1_11reduce_implILb1ES3_N6thrust23THRUST_200600_302600_NS6detail15normal_iteratorINS8_10device_ptrIyEEEEPyyNS8_4plusIyEEEE10hipError_tPvRmT1_T2_T3_mT4_P12ihipStream_tbEUlT_E1_NS1_11comp_targetILNS1_3genE0ELNS1_11target_archE4294967295ELNS1_3gpuE0ELNS1_3repE0EEENS1_30default_config_static_selectorELNS0_4arch9wavefront6targetE1EEEvSK_.numbered_sgpr, 47
	.set _ZN7rocprim17ROCPRIM_400000_NS6detail17trampoline_kernelINS0_14default_configENS1_22reduce_config_selectorIyEEZNS1_11reduce_implILb1ES3_N6thrust23THRUST_200600_302600_NS6detail15normal_iteratorINS8_10device_ptrIyEEEEPyyNS8_4plusIyEEEE10hipError_tPvRmT1_T2_T3_mT4_P12ihipStream_tbEUlT_E1_NS1_11comp_targetILNS1_3genE0ELNS1_11target_archE4294967295ELNS1_3gpuE0ELNS1_3repE0EEENS1_30default_config_static_selectorELNS0_4arch9wavefront6targetE1EEEvSK_.num_named_barrier, 0
	.set _ZN7rocprim17ROCPRIM_400000_NS6detail17trampoline_kernelINS0_14default_configENS1_22reduce_config_selectorIyEEZNS1_11reduce_implILb1ES3_N6thrust23THRUST_200600_302600_NS6detail15normal_iteratorINS8_10device_ptrIyEEEEPyyNS8_4plusIyEEEE10hipError_tPvRmT1_T2_T3_mT4_P12ihipStream_tbEUlT_E1_NS1_11comp_targetILNS1_3genE0ELNS1_11target_archE4294967295ELNS1_3gpuE0ELNS1_3repE0EEENS1_30default_config_static_selectorELNS0_4arch9wavefront6targetE1EEEvSK_.private_seg_size, 0
	.set _ZN7rocprim17ROCPRIM_400000_NS6detail17trampoline_kernelINS0_14default_configENS1_22reduce_config_selectorIyEEZNS1_11reduce_implILb1ES3_N6thrust23THRUST_200600_302600_NS6detail15normal_iteratorINS8_10device_ptrIyEEEEPyyNS8_4plusIyEEEE10hipError_tPvRmT1_T2_T3_mT4_P12ihipStream_tbEUlT_E1_NS1_11comp_targetILNS1_3genE0ELNS1_11target_archE4294967295ELNS1_3gpuE0ELNS1_3repE0EEENS1_30default_config_static_selectorELNS0_4arch9wavefront6targetE1EEEvSK_.uses_vcc, 1
	.set _ZN7rocprim17ROCPRIM_400000_NS6detail17trampoline_kernelINS0_14default_configENS1_22reduce_config_selectorIyEEZNS1_11reduce_implILb1ES3_N6thrust23THRUST_200600_302600_NS6detail15normal_iteratorINS8_10device_ptrIyEEEEPyyNS8_4plusIyEEEE10hipError_tPvRmT1_T2_T3_mT4_P12ihipStream_tbEUlT_E1_NS1_11comp_targetILNS1_3genE0ELNS1_11target_archE4294967295ELNS1_3gpuE0ELNS1_3repE0EEENS1_30default_config_static_selectorELNS0_4arch9wavefront6targetE1EEEvSK_.uses_flat_scratch, 0
	.set _ZN7rocprim17ROCPRIM_400000_NS6detail17trampoline_kernelINS0_14default_configENS1_22reduce_config_selectorIyEEZNS1_11reduce_implILb1ES3_N6thrust23THRUST_200600_302600_NS6detail15normal_iteratorINS8_10device_ptrIyEEEEPyyNS8_4plusIyEEEE10hipError_tPvRmT1_T2_T3_mT4_P12ihipStream_tbEUlT_E1_NS1_11comp_targetILNS1_3genE0ELNS1_11target_archE4294967295ELNS1_3gpuE0ELNS1_3repE0EEENS1_30default_config_static_selectorELNS0_4arch9wavefront6targetE1EEEvSK_.has_dyn_sized_stack, 0
	.set _ZN7rocprim17ROCPRIM_400000_NS6detail17trampoline_kernelINS0_14default_configENS1_22reduce_config_selectorIyEEZNS1_11reduce_implILb1ES3_N6thrust23THRUST_200600_302600_NS6detail15normal_iteratorINS8_10device_ptrIyEEEEPyyNS8_4plusIyEEEE10hipError_tPvRmT1_T2_T3_mT4_P12ihipStream_tbEUlT_E1_NS1_11comp_targetILNS1_3genE0ELNS1_11target_archE4294967295ELNS1_3gpuE0ELNS1_3repE0EEENS1_30default_config_static_selectorELNS0_4arch9wavefront6targetE1EEEvSK_.has_recursion, 0
	.set _ZN7rocprim17ROCPRIM_400000_NS6detail17trampoline_kernelINS0_14default_configENS1_22reduce_config_selectorIyEEZNS1_11reduce_implILb1ES3_N6thrust23THRUST_200600_302600_NS6detail15normal_iteratorINS8_10device_ptrIyEEEEPyyNS8_4plusIyEEEE10hipError_tPvRmT1_T2_T3_mT4_P12ihipStream_tbEUlT_E1_NS1_11comp_targetILNS1_3genE0ELNS1_11target_archE4294967295ELNS1_3gpuE0ELNS1_3repE0EEENS1_30default_config_static_selectorELNS0_4arch9wavefront6targetE1EEEvSK_.has_indirect_call, 0
	.section	.AMDGPU.csdata,"",@progbits
; Kernel info:
; codeLenInByte = 9732
; TotalNumSgprs: 53
; NumVgprs: 48
; NumAgprs: 0
; TotalNumVgprs: 48
; ScratchSize: 0
; MemoryBound: 0
; FloatMode: 240
; IeeeMode: 1
; LDSByteSize: 192 bytes/workgroup (compile time only)
; SGPRBlocks: 6
; VGPRBlocks: 5
; NumSGPRsForWavesPerEU: 53
; NumVGPRsForWavesPerEU: 48
; AccumOffset: 48
; Occupancy: 8
; WaveLimiterHint : 1
; COMPUTE_PGM_RSRC2:SCRATCH_EN: 0
; COMPUTE_PGM_RSRC2:USER_SGPR: 2
; COMPUTE_PGM_RSRC2:TRAP_HANDLER: 0
; COMPUTE_PGM_RSRC2:TGID_X_EN: 1
; COMPUTE_PGM_RSRC2:TGID_Y_EN: 0
; COMPUTE_PGM_RSRC2:TGID_Z_EN: 0
; COMPUTE_PGM_RSRC2:TIDIG_COMP_CNT: 0
; COMPUTE_PGM_RSRC3_GFX90A:ACCUM_OFFSET: 11
; COMPUTE_PGM_RSRC3_GFX90A:TG_SPLIT: 0
	.section	.text._ZN7rocprim17ROCPRIM_400000_NS6detail17trampoline_kernelINS0_14default_configENS1_22reduce_config_selectorIyEEZNS1_11reduce_implILb1ES3_N6thrust23THRUST_200600_302600_NS6detail15normal_iteratorINS8_10device_ptrIyEEEEPyyNS8_4plusIyEEEE10hipError_tPvRmT1_T2_T3_mT4_P12ihipStream_tbEUlT_E1_NS1_11comp_targetILNS1_3genE5ELNS1_11target_archE942ELNS1_3gpuE9ELNS1_3repE0EEENS1_30default_config_static_selectorELNS0_4arch9wavefront6targetE1EEEvSK_,"axG",@progbits,_ZN7rocprim17ROCPRIM_400000_NS6detail17trampoline_kernelINS0_14default_configENS1_22reduce_config_selectorIyEEZNS1_11reduce_implILb1ES3_N6thrust23THRUST_200600_302600_NS6detail15normal_iteratorINS8_10device_ptrIyEEEEPyyNS8_4plusIyEEEE10hipError_tPvRmT1_T2_T3_mT4_P12ihipStream_tbEUlT_E1_NS1_11comp_targetILNS1_3genE5ELNS1_11target_archE942ELNS1_3gpuE9ELNS1_3repE0EEENS1_30default_config_static_selectorELNS0_4arch9wavefront6targetE1EEEvSK_,comdat
	.protected	_ZN7rocprim17ROCPRIM_400000_NS6detail17trampoline_kernelINS0_14default_configENS1_22reduce_config_selectorIyEEZNS1_11reduce_implILb1ES3_N6thrust23THRUST_200600_302600_NS6detail15normal_iteratorINS8_10device_ptrIyEEEEPyyNS8_4plusIyEEEE10hipError_tPvRmT1_T2_T3_mT4_P12ihipStream_tbEUlT_E1_NS1_11comp_targetILNS1_3genE5ELNS1_11target_archE942ELNS1_3gpuE9ELNS1_3repE0EEENS1_30default_config_static_selectorELNS0_4arch9wavefront6targetE1EEEvSK_ ; -- Begin function _ZN7rocprim17ROCPRIM_400000_NS6detail17trampoline_kernelINS0_14default_configENS1_22reduce_config_selectorIyEEZNS1_11reduce_implILb1ES3_N6thrust23THRUST_200600_302600_NS6detail15normal_iteratorINS8_10device_ptrIyEEEEPyyNS8_4plusIyEEEE10hipError_tPvRmT1_T2_T3_mT4_P12ihipStream_tbEUlT_E1_NS1_11comp_targetILNS1_3genE5ELNS1_11target_archE942ELNS1_3gpuE9ELNS1_3repE0EEENS1_30default_config_static_selectorELNS0_4arch9wavefront6targetE1EEEvSK_
	.globl	_ZN7rocprim17ROCPRIM_400000_NS6detail17trampoline_kernelINS0_14default_configENS1_22reduce_config_selectorIyEEZNS1_11reduce_implILb1ES3_N6thrust23THRUST_200600_302600_NS6detail15normal_iteratorINS8_10device_ptrIyEEEEPyyNS8_4plusIyEEEE10hipError_tPvRmT1_T2_T3_mT4_P12ihipStream_tbEUlT_E1_NS1_11comp_targetILNS1_3genE5ELNS1_11target_archE942ELNS1_3gpuE9ELNS1_3repE0EEENS1_30default_config_static_selectorELNS0_4arch9wavefront6targetE1EEEvSK_
	.p2align	8
	.type	_ZN7rocprim17ROCPRIM_400000_NS6detail17trampoline_kernelINS0_14default_configENS1_22reduce_config_selectorIyEEZNS1_11reduce_implILb1ES3_N6thrust23THRUST_200600_302600_NS6detail15normal_iteratorINS8_10device_ptrIyEEEEPyyNS8_4plusIyEEEE10hipError_tPvRmT1_T2_T3_mT4_P12ihipStream_tbEUlT_E1_NS1_11comp_targetILNS1_3genE5ELNS1_11target_archE942ELNS1_3gpuE9ELNS1_3repE0EEENS1_30default_config_static_selectorELNS0_4arch9wavefront6targetE1EEEvSK_,@function
_ZN7rocprim17ROCPRIM_400000_NS6detail17trampoline_kernelINS0_14default_configENS1_22reduce_config_selectorIyEEZNS1_11reduce_implILb1ES3_N6thrust23THRUST_200600_302600_NS6detail15normal_iteratorINS8_10device_ptrIyEEEEPyyNS8_4plusIyEEEE10hipError_tPvRmT1_T2_T3_mT4_P12ihipStream_tbEUlT_E1_NS1_11comp_targetILNS1_3genE5ELNS1_11target_archE942ELNS1_3gpuE9ELNS1_3repE0EEENS1_30default_config_static_selectorELNS0_4arch9wavefront6targetE1EEEvSK_: ; @_ZN7rocprim17ROCPRIM_400000_NS6detail17trampoline_kernelINS0_14default_configENS1_22reduce_config_selectorIyEEZNS1_11reduce_implILb1ES3_N6thrust23THRUST_200600_302600_NS6detail15normal_iteratorINS8_10device_ptrIyEEEEPyyNS8_4plusIyEEEE10hipError_tPvRmT1_T2_T3_mT4_P12ihipStream_tbEUlT_E1_NS1_11comp_targetILNS1_3genE5ELNS1_11target_archE942ELNS1_3gpuE9ELNS1_3repE0EEENS1_30default_config_static_selectorELNS0_4arch9wavefront6targetE1EEEvSK_
; %bb.0:
	.section	.rodata,"a",@progbits
	.p2align	6, 0x0
	.amdhsa_kernel _ZN7rocprim17ROCPRIM_400000_NS6detail17trampoline_kernelINS0_14default_configENS1_22reduce_config_selectorIyEEZNS1_11reduce_implILb1ES3_N6thrust23THRUST_200600_302600_NS6detail15normal_iteratorINS8_10device_ptrIyEEEEPyyNS8_4plusIyEEEE10hipError_tPvRmT1_T2_T3_mT4_P12ihipStream_tbEUlT_E1_NS1_11comp_targetILNS1_3genE5ELNS1_11target_archE942ELNS1_3gpuE9ELNS1_3repE0EEENS1_30default_config_static_selectorELNS0_4arch9wavefront6targetE1EEEvSK_
		.amdhsa_group_segment_fixed_size 0
		.amdhsa_private_segment_fixed_size 0
		.amdhsa_kernarg_size 48
		.amdhsa_user_sgpr_count 2
		.amdhsa_user_sgpr_dispatch_ptr 0
		.amdhsa_user_sgpr_queue_ptr 0
		.amdhsa_user_sgpr_kernarg_segment_ptr 1
		.amdhsa_user_sgpr_dispatch_id 0
		.amdhsa_user_sgpr_kernarg_preload_length 0
		.amdhsa_user_sgpr_kernarg_preload_offset 0
		.amdhsa_user_sgpr_private_segment_size 0
		.amdhsa_uses_dynamic_stack 0
		.amdhsa_enable_private_segment 0
		.amdhsa_system_sgpr_workgroup_id_x 1
		.amdhsa_system_sgpr_workgroup_id_y 0
		.amdhsa_system_sgpr_workgroup_id_z 0
		.amdhsa_system_sgpr_workgroup_info 0
		.amdhsa_system_vgpr_workitem_id 0
		.amdhsa_next_free_vgpr 1
		.amdhsa_next_free_sgpr 0
		.amdhsa_accum_offset 4
		.amdhsa_reserve_vcc 0
		.amdhsa_float_round_mode_32 0
		.amdhsa_float_round_mode_16_64 0
		.amdhsa_float_denorm_mode_32 3
		.amdhsa_float_denorm_mode_16_64 3
		.amdhsa_dx10_clamp 1
		.amdhsa_ieee_mode 1
		.amdhsa_fp16_overflow 0
		.amdhsa_tg_split 0
		.amdhsa_exception_fp_ieee_invalid_op 0
		.amdhsa_exception_fp_denorm_src 0
		.amdhsa_exception_fp_ieee_div_zero 0
		.amdhsa_exception_fp_ieee_overflow 0
		.amdhsa_exception_fp_ieee_underflow 0
		.amdhsa_exception_fp_ieee_inexact 0
		.amdhsa_exception_int_div_zero 0
	.end_amdhsa_kernel
	.section	.text._ZN7rocprim17ROCPRIM_400000_NS6detail17trampoline_kernelINS0_14default_configENS1_22reduce_config_selectorIyEEZNS1_11reduce_implILb1ES3_N6thrust23THRUST_200600_302600_NS6detail15normal_iteratorINS8_10device_ptrIyEEEEPyyNS8_4plusIyEEEE10hipError_tPvRmT1_T2_T3_mT4_P12ihipStream_tbEUlT_E1_NS1_11comp_targetILNS1_3genE5ELNS1_11target_archE942ELNS1_3gpuE9ELNS1_3repE0EEENS1_30default_config_static_selectorELNS0_4arch9wavefront6targetE1EEEvSK_,"axG",@progbits,_ZN7rocprim17ROCPRIM_400000_NS6detail17trampoline_kernelINS0_14default_configENS1_22reduce_config_selectorIyEEZNS1_11reduce_implILb1ES3_N6thrust23THRUST_200600_302600_NS6detail15normal_iteratorINS8_10device_ptrIyEEEEPyyNS8_4plusIyEEEE10hipError_tPvRmT1_T2_T3_mT4_P12ihipStream_tbEUlT_E1_NS1_11comp_targetILNS1_3genE5ELNS1_11target_archE942ELNS1_3gpuE9ELNS1_3repE0EEENS1_30default_config_static_selectorELNS0_4arch9wavefront6targetE1EEEvSK_,comdat
.Lfunc_end104:
	.size	_ZN7rocprim17ROCPRIM_400000_NS6detail17trampoline_kernelINS0_14default_configENS1_22reduce_config_selectorIyEEZNS1_11reduce_implILb1ES3_N6thrust23THRUST_200600_302600_NS6detail15normal_iteratorINS8_10device_ptrIyEEEEPyyNS8_4plusIyEEEE10hipError_tPvRmT1_T2_T3_mT4_P12ihipStream_tbEUlT_E1_NS1_11comp_targetILNS1_3genE5ELNS1_11target_archE942ELNS1_3gpuE9ELNS1_3repE0EEENS1_30default_config_static_selectorELNS0_4arch9wavefront6targetE1EEEvSK_, .Lfunc_end104-_ZN7rocprim17ROCPRIM_400000_NS6detail17trampoline_kernelINS0_14default_configENS1_22reduce_config_selectorIyEEZNS1_11reduce_implILb1ES3_N6thrust23THRUST_200600_302600_NS6detail15normal_iteratorINS8_10device_ptrIyEEEEPyyNS8_4plusIyEEEE10hipError_tPvRmT1_T2_T3_mT4_P12ihipStream_tbEUlT_E1_NS1_11comp_targetILNS1_3genE5ELNS1_11target_archE942ELNS1_3gpuE9ELNS1_3repE0EEENS1_30default_config_static_selectorELNS0_4arch9wavefront6targetE1EEEvSK_
                                        ; -- End function
	.set _ZN7rocprim17ROCPRIM_400000_NS6detail17trampoline_kernelINS0_14default_configENS1_22reduce_config_selectorIyEEZNS1_11reduce_implILb1ES3_N6thrust23THRUST_200600_302600_NS6detail15normal_iteratorINS8_10device_ptrIyEEEEPyyNS8_4plusIyEEEE10hipError_tPvRmT1_T2_T3_mT4_P12ihipStream_tbEUlT_E1_NS1_11comp_targetILNS1_3genE5ELNS1_11target_archE942ELNS1_3gpuE9ELNS1_3repE0EEENS1_30default_config_static_selectorELNS0_4arch9wavefront6targetE1EEEvSK_.num_vgpr, 0
	.set _ZN7rocprim17ROCPRIM_400000_NS6detail17trampoline_kernelINS0_14default_configENS1_22reduce_config_selectorIyEEZNS1_11reduce_implILb1ES3_N6thrust23THRUST_200600_302600_NS6detail15normal_iteratorINS8_10device_ptrIyEEEEPyyNS8_4plusIyEEEE10hipError_tPvRmT1_T2_T3_mT4_P12ihipStream_tbEUlT_E1_NS1_11comp_targetILNS1_3genE5ELNS1_11target_archE942ELNS1_3gpuE9ELNS1_3repE0EEENS1_30default_config_static_selectorELNS0_4arch9wavefront6targetE1EEEvSK_.num_agpr, 0
	.set _ZN7rocprim17ROCPRIM_400000_NS6detail17trampoline_kernelINS0_14default_configENS1_22reduce_config_selectorIyEEZNS1_11reduce_implILb1ES3_N6thrust23THRUST_200600_302600_NS6detail15normal_iteratorINS8_10device_ptrIyEEEEPyyNS8_4plusIyEEEE10hipError_tPvRmT1_T2_T3_mT4_P12ihipStream_tbEUlT_E1_NS1_11comp_targetILNS1_3genE5ELNS1_11target_archE942ELNS1_3gpuE9ELNS1_3repE0EEENS1_30default_config_static_selectorELNS0_4arch9wavefront6targetE1EEEvSK_.numbered_sgpr, 0
	.set _ZN7rocprim17ROCPRIM_400000_NS6detail17trampoline_kernelINS0_14default_configENS1_22reduce_config_selectorIyEEZNS1_11reduce_implILb1ES3_N6thrust23THRUST_200600_302600_NS6detail15normal_iteratorINS8_10device_ptrIyEEEEPyyNS8_4plusIyEEEE10hipError_tPvRmT1_T2_T3_mT4_P12ihipStream_tbEUlT_E1_NS1_11comp_targetILNS1_3genE5ELNS1_11target_archE942ELNS1_3gpuE9ELNS1_3repE0EEENS1_30default_config_static_selectorELNS0_4arch9wavefront6targetE1EEEvSK_.num_named_barrier, 0
	.set _ZN7rocprim17ROCPRIM_400000_NS6detail17trampoline_kernelINS0_14default_configENS1_22reduce_config_selectorIyEEZNS1_11reduce_implILb1ES3_N6thrust23THRUST_200600_302600_NS6detail15normal_iteratorINS8_10device_ptrIyEEEEPyyNS8_4plusIyEEEE10hipError_tPvRmT1_T2_T3_mT4_P12ihipStream_tbEUlT_E1_NS1_11comp_targetILNS1_3genE5ELNS1_11target_archE942ELNS1_3gpuE9ELNS1_3repE0EEENS1_30default_config_static_selectorELNS0_4arch9wavefront6targetE1EEEvSK_.private_seg_size, 0
	.set _ZN7rocprim17ROCPRIM_400000_NS6detail17trampoline_kernelINS0_14default_configENS1_22reduce_config_selectorIyEEZNS1_11reduce_implILb1ES3_N6thrust23THRUST_200600_302600_NS6detail15normal_iteratorINS8_10device_ptrIyEEEEPyyNS8_4plusIyEEEE10hipError_tPvRmT1_T2_T3_mT4_P12ihipStream_tbEUlT_E1_NS1_11comp_targetILNS1_3genE5ELNS1_11target_archE942ELNS1_3gpuE9ELNS1_3repE0EEENS1_30default_config_static_selectorELNS0_4arch9wavefront6targetE1EEEvSK_.uses_vcc, 0
	.set _ZN7rocprim17ROCPRIM_400000_NS6detail17trampoline_kernelINS0_14default_configENS1_22reduce_config_selectorIyEEZNS1_11reduce_implILb1ES3_N6thrust23THRUST_200600_302600_NS6detail15normal_iteratorINS8_10device_ptrIyEEEEPyyNS8_4plusIyEEEE10hipError_tPvRmT1_T2_T3_mT4_P12ihipStream_tbEUlT_E1_NS1_11comp_targetILNS1_3genE5ELNS1_11target_archE942ELNS1_3gpuE9ELNS1_3repE0EEENS1_30default_config_static_selectorELNS0_4arch9wavefront6targetE1EEEvSK_.uses_flat_scratch, 0
	.set _ZN7rocprim17ROCPRIM_400000_NS6detail17trampoline_kernelINS0_14default_configENS1_22reduce_config_selectorIyEEZNS1_11reduce_implILb1ES3_N6thrust23THRUST_200600_302600_NS6detail15normal_iteratorINS8_10device_ptrIyEEEEPyyNS8_4plusIyEEEE10hipError_tPvRmT1_T2_T3_mT4_P12ihipStream_tbEUlT_E1_NS1_11comp_targetILNS1_3genE5ELNS1_11target_archE942ELNS1_3gpuE9ELNS1_3repE0EEENS1_30default_config_static_selectorELNS0_4arch9wavefront6targetE1EEEvSK_.has_dyn_sized_stack, 0
	.set _ZN7rocprim17ROCPRIM_400000_NS6detail17trampoline_kernelINS0_14default_configENS1_22reduce_config_selectorIyEEZNS1_11reduce_implILb1ES3_N6thrust23THRUST_200600_302600_NS6detail15normal_iteratorINS8_10device_ptrIyEEEEPyyNS8_4plusIyEEEE10hipError_tPvRmT1_T2_T3_mT4_P12ihipStream_tbEUlT_E1_NS1_11comp_targetILNS1_3genE5ELNS1_11target_archE942ELNS1_3gpuE9ELNS1_3repE0EEENS1_30default_config_static_selectorELNS0_4arch9wavefront6targetE1EEEvSK_.has_recursion, 0
	.set _ZN7rocprim17ROCPRIM_400000_NS6detail17trampoline_kernelINS0_14default_configENS1_22reduce_config_selectorIyEEZNS1_11reduce_implILb1ES3_N6thrust23THRUST_200600_302600_NS6detail15normal_iteratorINS8_10device_ptrIyEEEEPyyNS8_4plusIyEEEE10hipError_tPvRmT1_T2_T3_mT4_P12ihipStream_tbEUlT_E1_NS1_11comp_targetILNS1_3genE5ELNS1_11target_archE942ELNS1_3gpuE9ELNS1_3repE0EEENS1_30default_config_static_selectorELNS0_4arch9wavefront6targetE1EEEvSK_.has_indirect_call, 0
	.section	.AMDGPU.csdata,"",@progbits
; Kernel info:
; codeLenInByte = 0
; TotalNumSgprs: 6
; NumVgprs: 0
; NumAgprs: 0
; TotalNumVgprs: 0
; ScratchSize: 0
; MemoryBound: 0
; FloatMode: 240
; IeeeMode: 1
; LDSByteSize: 0 bytes/workgroup (compile time only)
; SGPRBlocks: 0
; VGPRBlocks: 0
; NumSGPRsForWavesPerEU: 6
; NumVGPRsForWavesPerEU: 1
; AccumOffset: 4
; Occupancy: 8
; WaveLimiterHint : 0
; COMPUTE_PGM_RSRC2:SCRATCH_EN: 0
; COMPUTE_PGM_RSRC2:USER_SGPR: 2
; COMPUTE_PGM_RSRC2:TRAP_HANDLER: 0
; COMPUTE_PGM_RSRC2:TGID_X_EN: 1
; COMPUTE_PGM_RSRC2:TGID_Y_EN: 0
; COMPUTE_PGM_RSRC2:TGID_Z_EN: 0
; COMPUTE_PGM_RSRC2:TIDIG_COMP_CNT: 0
; COMPUTE_PGM_RSRC3_GFX90A:ACCUM_OFFSET: 0
; COMPUTE_PGM_RSRC3_GFX90A:TG_SPLIT: 0
	.section	.text._ZN7rocprim17ROCPRIM_400000_NS6detail17trampoline_kernelINS0_14default_configENS1_22reduce_config_selectorIyEEZNS1_11reduce_implILb1ES3_N6thrust23THRUST_200600_302600_NS6detail15normal_iteratorINS8_10device_ptrIyEEEEPyyNS8_4plusIyEEEE10hipError_tPvRmT1_T2_T3_mT4_P12ihipStream_tbEUlT_E1_NS1_11comp_targetILNS1_3genE4ELNS1_11target_archE910ELNS1_3gpuE8ELNS1_3repE0EEENS1_30default_config_static_selectorELNS0_4arch9wavefront6targetE1EEEvSK_,"axG",@progbits,_ZN7rocprim17ROCPRIM_400000_NS6detail17trampoline_kernelINS0_14default_configENS1_22reduce_config_selectorIyEEZNS1_11reduce_implILb1ES3_N6thrust23THRUST_200600_302600_NS6detail15normal_iteratorINS8_10device_ptrIyEEEEPyyNS8_4plusIyEEEE10hipError_tPvRmT1_T2_T3_mT4_P12ihipStream_tbEUlT_E1_NS1_11comp_targetILNS1_3genE4ELNS1_11target_archE910ELNS1_3gpuE8ELNS1_3repE0EEENS1_30default_config_static_selectorELNS0_4arch9wavefront6targetE1EEEvSK_,comdat
	.protected	_ZN7rocprim17ROCPRIM_400000_NS6detail17trampoline_kernelINS0_14default_configENS1_22reduce_config_selectorIyEEZNS1_11reduce_implILb1ES3_N6thrust23THRUST_200600_302600_NS6detail15normal_iteratorINS8_10device_ptrIyEEEEPyyNS8_4plusIyEEEE10hipError_tPvRmT1_T2_T3_mT4_P12ihipStream_tbEUlT_E1_NS1_11comp_targetILNS1_3genE4ELNS1_11target_archE910ELNS1_3gpuE8ELNS1_3repE0EEENS1_30default_config_static_selectorELNS0_4arch9wavefront6targetE1EEEvSK_ ; -- Begin function _ZN7rocprim17ROCPRIM_400000_NS6detail17trampoline_kernelINS0_14default_configENS1_22reduce_config_selectorIyEEZNS1_11reduce_implILb1ES3_N6thrust23THRUST_200600_302600_NS6detail15normal_iteratorINS8_10device_ptrIyEEEEPyyNS8_4plusIyEEEE10hipError_tPvRmT1_T2_T3_mT4_P12ihipStream_tbEUlT_E1_NS1_11comp_targetILNS1_3genE4ELNS1_11target_archE910ELNS1_3gpuE8ELNS1_3repE0EEENS1_30default_config_static_selectorELNS0_4arch9wavefront6targetE1EEEvSK_
	.globl	_ZN7rocprim17ROCPRIM_400000_NS6detail17trampoline_kernelINS0_14default_configENS1_22reduce_config_selectorIyEEZNS1_11reduce_implILb1ES3_N6thrust23THRUST_200600_302600_NS6detail15normal_iteratorINS8_10device_ptrIyEEEEPyyNS8_4plusIyEEEE10hipError_tPvRmT1_T2_T3_mT4_P12ihipStream_tbEUlT_E1_NS1_11comp_targetILNS1_3genE4ELNS1_11target_archE910ELNS1_3gpuE8ELNS1_3repE0EEENS1_30default_config_static_selectorELNS0_4arch9wavefront6targetE1EEEvSK_
	.p2align	8
	.type	_ZN7rocprim17ROCPRIM_400000_NS6detail17trampoline_kernelINS0_14default_configENS1_22reduce_config_selectorIyEEZNS1_11reduce_implILb1ES3_N6thrust23THRUST_200600_302600_NS6detail15normal_iteratorINS8_10device_ptrIyEEEEPyyNS8_4plusIyEEEE10hipError_tPvRmT1_T2_T3_mT4_P12ihipStream_tbEUlT_E1_NS1_11comp_targetILNS1_3genE4ELNS1_11target_archE910ELNS1_3gpuE8ELNS1_3repE0EEENS1_30default_config_static_selectorELNS0_4arch9wavefront6targetE1EEEvSK_,@function
_ZN7rocprim17ROCPRIM_400000_NS6detail17trampoline_kernelINS0_14default_configENS1_22reduce_config_selectorIyEEZNS1_11reduce_implILb1ES3_N6thrust23THRUST_200600_302600_NS6detail15normal_iteratorINS8_10device_ptrIyEEEEPyyNS8_4plusIyEEEE10hipError_tPvRmT1_T2_T3_mT4_P12ihipStream_tbEUlT_E1_NS1_11comp_targetILNS1_3genE4ELNS1_11target_archE910ELNS1_3gpuE8ELNS1_3repE0EEENS1_30default_config_static_selectorELNS0_4arch9wavefront6targetE1EEEvSK_: ; @_ZN7rocprim17ROCPRIM_400000_NS6detail17trampoline_kernelINS0_14default_configENS1_22reduce_config_selectorIyEEZNS1_11reduce_implILb1ES3_N6thrust23THRUST_200600_302600_NS6detail15normal_iteratorINS8_10device_ptrIyEEEEPyyNS8_4plusIyEEEE10hipError_tPvRmT1_T2_T3_mT4_P12ihipStream_tbEUlT_E1_NS1_11comp_targetILNS1_3genE4ELNS1_11target_archE910ELNS1_3gpuE8ELNS1_3repE0EEENS1_30default_config_static_selectorELNS0_4arch9wavefront6targetE1EEEvSK_
; %bb.0:
	.section	.rodata,"a",@progbits
	.p2align	6, 0x0
	.amdhsa_kernel _ZN7rocprim17ROCPRIM_400000_NS6detail17trampoline_kernelINS0_14default_configENS1_22reduce_config_selectorIyEEZNS1_11reduce_implILb1ES3_N6thrust23THRUST_200600_302600_NS6detail15normal_iteratorINS8_10device_ptrIyEEEEPyyNS8_4plusIyEEEE10hipError_tPvRmT1_T2_T3_mT4_P12ihipStream_tbEUlT_E1_NS1_11comp_targetILNS1_3genE4ELNS1_11target_archE910ELNS1_3gpuE8ELNS1_3repE0EEENS1_30default_config_static_selectorELNS0_4arch9wavefront6targetE1EEEvSK_
		.amdhsa_group_segment_fixed_size 0
		.amdhsa_private_segment_fixed_size 0
		.amdhsa_kernarg_size 48
		.amdhsa_user_sgpr_count 2
		.amdhsa_user_sgpr_dispatch_ptr 0
		.amdhsa_user_sgpr_queue_ptr 0
		.amdhsa_user_sgpr_kernarg_segment_ptr 1
		.amdhsa_user_sgpr_dispatch_id 0
		.amdhsa_user_sgpr_kernarg_preload_length 0
		.amdhsa_user_sgpr_kernarg_preload_offset 0
		.amdhsa_user_sgpr_private_segment_size 0
		.amdhsa_uses_dynamic_stack 0
		.amdhsa_enable_private_segment 0
		.amdhsa_system_sgpr_workgroup_id_x 1
		.amdhsa_system_sgpr_workgroup_id_y 0
		.amdhsa_system_sgpr_workgroup_id_z 0
		.amdhsa_system_sgpr_workgroup_info 0
		.amdhsa_system_vgpr_workitem_id 0
		.amdhsa_next_free_vgpr 1
		.amdhsa_next_free_sgpr 0
		.amdhsa_accum_offset 4
		.amdhsa_reserve_vcc 0
		.amdhsa_float_round_mode_32 0
		.amdhsa_float_round_mode_16_64 0
		.amdhsa_float_denorm_mode_32 3
		.amdhsa_float_denorm_mode_16_64 3
		.amdhsa_dx10_clamp 1
		.amdhsa_ieee_mode 1
		.amdhsa_fp16_overflow 0
		.amdhsa_tg_split 0
		.amdhsa_exception_fp_ieee_invalid_op 0
		.amdhsa_exception_fp_denorm_src 0
		.amdhsa_exception_fp_ieee_div_zero 0
		.amdhsa_exception_fp_ieee_overflow 0
		.amdhsa_exception_fp_ieee_underflow 0
		.amdhsa_exception_fp_ieee_inexact 0
		.amdhsa_exception_int_div_zero 0
	.end_amdhsa_kernel
	.section	.text._ZN7rocprim17ROCPRIM_400000_NS6detail17trampoline_kernelINS0_14default_configENS1_22reduce_config_selectorIyEEZNS1_11reduce_implILb1ES3_N6thrust23THRUST_200600_302600_NS6detail15normal_iteratorINS8_10device_ptrIyEEEEPyyNS8_4plusIyEEEE10hipError_tPvRmT1_T2_T3_mT4_P12ihipStream_tbEUlT_E1_NS1_11comp_targetILNS1_3genE4ELNS1_11target_archE910ELNS1_3gpuE8ELNS1_3repE0EEENS1_30default_config_static_selectorELNS0_4arch9wavefront6targetE1EEEvSK_,"axG",@progbits,_ZN7rocprim17ROCPRIM_400000_NS6detail17trampoline_kernelINS0_14default_configENS1_22reduce_config_selectorIyEEZNS1_11reduce_implILb1ES3_N6thrust23THRUST_200600_302600_NS6detail15normal_iteratorINS8_10device_ptrIyEEEEPyyNS8_4plusIyEEEE10hipError_tPvRmT1_T2_T3_mT4_P12ihipStream_tbEUlT_E1_NS1_11comp_targetILNS1_3genE4ELNS1_11target_archE910ELNS1_3gpuE8ELNS1_3repE0EEENS1_30default_config_static_selectorELNS0_4arch9wavefront6targetE1EEEvSK_,comdat
.Lfunc_end105:
	.size	_ZN7rocprim17ROCPRIM_400000_NS6detail17trampoline_kernelINS0_14default_configENS1_22reduce_config_selectorIyEEZNS1_11reduce_implILb1ES3_N6thrust23THRUST_200600_302600_NS6detail15normal_iteratorINS8_10device_ptrIyEEEEPyyNS8_4plusIyEEEE10hipError_tPvRmT1_T2_T3_mT4_P12ihipStream_tbEUlT_E1_NS1_11comp_targetILNS1_3genE4ELNS1_11target_archE910ELNS1_3gpuE8ELNS1_3repE0EEENS1_30default_config_static_selectorELNS0_4arch9wavefront6targetE1EEEvSK_, .Lfunc_end105-_ZN7rocprim17ROCPRIM_400000_NS6detail17trampoline_kernelINS0_14default_configENS1_22reduce_config_selectorIyEEZNS1_11reduce_implILb1ES3_N6thrust23THRUST_200600_302600_NS6detail15normal_iteratorINS8_10device_ptrIyEEEEPyyNS8_4plusIyEEEE10hipError_tPvRmT1_T2_T3_mT4_P12ihipStream_tbEUlT_E1_NS1_11comp_targetILNS1_3genE4ELNS1_11target_archE910ELNS1_3gpuE8ELNS1_3repE0EEENS1_30default_config_static_selectorELNS0_4arch9wavefront6targetE1EEEvSK_
                                        ; -- End function
	.set _ZN7rocprim17ROCPRIM_400000_NS6detail17trampoline_kernelINS0_14default_configENS1_22reduce_config_selectorIyEEZNS1_11reduce_implILb1ES3_N6thrust23THRUST_200600_302600_NS6detail15normal_iteratorINS8_10device_ptrIyEEEEPyyNS8_4plusIyEEEE10hipError_tPvRmT1_T2_T3_mT4_P12ihipStream_tbEUlT_E1_NS1_11comp_targetILNS1_3genE4ELNS1_11target_archE910ELNS1_3gpuE8ELNS1_3repE0EEENS1_30default_config_static_selectorELNS0_4arch9wavefront6targetE1EEEvSK_.num_vgpr, 0
	.set _ZN7rocprim17ROCPRIM_400000_NS6detail17trampoline_kernelINS0_14default_configENS1_22reduce_config_selectorIyEEZNS1_11reduce_implILb1ES3_N6thrust23THRUST_200600_302600_NS6detail15normal_iteratorINS8_10device_ptrIyEEEEPyyNS8_4plusIyEEEE10hipError_tPvRmT1_T2_T3_mT4_P12ihipStream_tbEUlT_E1_NS1_11comp_targetILNS1_3genE4ELNS1_11target_archE910ELNS1_3gpuE8ELNS1_3repE0EEENS1_30default_config_static_selectorELNS0_4arch9wavefront6targetE1EEEvSK_.num_agpr, 0
	.set _ZN7rocprim17ROCPRIM_400000_NS6detail17trampoline_kernelINS0_14default_configENS1_22reduce_config_selectorIyEEZNS1_11reduce_implILb1ES3_N6thrust23THRUST_200600_302600_NS6detail15normal_iteratorINS8_10device_ptrIyEEEEPyyNS8_4plusIyEEEE10hipError_tPvRmT1_T2_T3_mT4_P12ihipStream_tbEUlT_E1_NS1_11comp_targetILNS1_3genE4ELNS1_11target_archE910ELNS1_3gpuE8ELNS1_3repE0EEENS1_30default_config_static_selectorELNS0_4arch9wavefront6targetE1EEEvSK_.numbered_sgpr, 0
	.set _ZN7rocprim17ROCPRIM_400000_NS6detail17trampoline_kernelINS0_14default_configENS1_22reduce_config_selectorIyEEZNS1_11reduce_implILb1ES3_N6thrust23THRUST_200600_302600_NS6detail15normal_iteratorINS8_10device_ptrIyEEEEPyyNS8_4plusIyEEEE10hipError_tPvRmT1_T2_T3_mT4_P12ihipStream_tbEUlT_E1_NS1_11comp_targetILNS1_3genE4ELNS1_11target_archE910ELNS1_3gpuE8ELNS1_3repE0EEENS1_30default_config_static_selectorELNS0_4arch9wavefront6targetE1EEEvSK_.num_named_barrier, 0
	.set _ZN7rocprim17ROCPRIM_400000_NS6detail17trampoline_kernelINS0_14default_configENS1_22reduce_config_selectorIyEEZNS1_11reduce_implILb1ES3_N6thrust23THRUST_200600_302600_NS6detail15normal_iteratorINS8_10device_ptrIyEEEEPyyNS8_4plusIyEEEE10hipError_tPvRmT1_T2_T3_mT4_P12ihipStream_tbEUlT_E1_NS1_11comp_targetILNS1_3genE4ELNS1_11target_archE910ELNS1_3gpuE8ELNS1_3repE0EEENS1_30default_config_static_selectorELNS0_4arch9wavefront6targetE1EEEvSK_.private_seg_size, 0
	.set _ZN7rocprim17ROCPRIM_400000_NS6detail17trampoline_kernelINS0_14default_configENS1_22reduce_config_selectorIyEEZNS1_11reduce_implILb1ES3_N6thrust23THRUST_200600_302600_NS6detail15normal_iteratorINS8_10device_ptrIyEEEEPyyNS8_4plusIyEEEE10hipError_tPvRmT1_T2_T3_mT4_P12ihipStream_tbEUlT_E1_NS1_11comp_targetILNS1_3genE4ELNS1_11target_archE910ELNS1_3gpuE8ELNS1_3repE0EEENS1_30default_config_static_selectorELNS0_4arch9wavefront6targetE1EEEvSK_.uses_vcc, 0
	.set _ZN7rocprim17ROCPRIM_400000_NS6detail17trampoline_kernelINS0_14default_configENS1_22reduce_config_selectorIyEEZNS1_11reduce_implILb1ES3_N6thrust23THRUST_200600_302600_NS6detail15normal_iteratorINS8_10device_ptrIyEEEEPyyNS8_4plusIyEEEE10hipError_tPvRmT1_T2_T3_mT4_P12ihipStream_tbEUlT_E1_NS1_11comp_targetILNS1_3genE4ELNS1_11target_archE910ELNS1_3gpuE8ELNS1_3repE0EEENS1_30default_config_static_selectorELNS0_4arch9wavefront6targetE1EEEvSK_.uses_flat_scratch, 0
	.set _ZN7rocprim17ROCPRIM_400000_NS6detail17trampoline_kernelINS0_14default_configENS1_22reduce_config_selectorIyEEZNS1_11reduce_implILb1ES3_N6thrust23THRUST_200600_302600_NS6detail15normal_iteratorINS8_10device_ptrIyEEEEPyyNS8_4plusIyEEEE10hipError_tPvRmT1_T2_T3_mT4_P12ihipStream_tbEUlT_E1_NS1_11comp_targetILNS1_3genE4ELNS1_11target_archE910ELNS1_3gpuE8ELNS1_3repE0EEENS1_30default_config_static_selectorELNS0_4arch9wavefront6targetE1EEEvSK_.has_dyn_sized_stack, 0
	.set _ZN7rocprim17ROCPRIM_400000_NS6detail17trampoline_kernelINS0_14default_configENS1_22reduce_config_selectorIyEEZNS1_11reduce_implILb1ES3_N6thrust23THRUST_200600_302600_NS6detail15normal_iteratorINS8_10device_ptrIyEEEEPyyNS8_4plusIyEEEE10hipError_tPvRmT1_T2_T3_mT4_P12ihipStream_tbEUlT_E1_NS1_11comp_targetILNS1_3genE4ELNS1_11target_archE910ELNS1_3gpuE8ELNS1_3repE0EEENS1_30default_config_static_selectorELNS0_4arch9wavefront6targetE1EEEvSK_.has_recursion, 0
	.set _ZN7rocprim17ROCPRIM_400000_NS6detail17trampoline_kernelINS0_14default_configENS1_22reduce_config_selectorIyEEZNS1_11reduce_implILb1ES3_N6thrust23THRUST_200600_302600_NS6detail15normal_iteratorINS8_10device_ptrIyEEEEPyyNS8_4plusIyEEEE10hipError_tPvRmT1_T2_T3_mT4_P12ihipStream_tbEUlT_E1_NS1_11comp_targetILNS1_3genE4ELNS1_11target_archE910ELNS1_3gpuE8ELNS1_3repE0EEENS1_30default_config_static_selectorELNS0_4arch9wavefront6targetE1EEEvSK_.has_indirect_call, 0
	.section	.AMDGPU.csdata,"",@progbits
; Kernel info:
; codeLenInByte = 0
; TotalNumSgprs: 6
; NumVgprs: 0
; NumAgprs: 0
; TotalNumVgprs: 0
; ScratchSize: 0
; MemoryBound: 0
; FloatMode: 240
; IeeeMode: 1
; LDSByteSize: 0 bytes/workgroup (compile time only)
; SGPRBlocks: 0
; VGPRBlocks: 0
; NumSGPRsForWavesPerEU: 6
; NumVGPRsForWavesPerEU: 1
; AccumOffset: 4
; Occupancy: 8
; WaveLimiterHint : 0
; COMPUTE_PGM_RSRC2:SCRATCH_EN: 0
; COMPUTE_PGM_RSRC2:USER_SGPR: 2
; COMPUTE_PGM_RSRC2:TRAP_HANDLER: 0
; COMPUTE_PGM_RSRC2:TGID_X_EN: 1
; COMPUTE_PGM_RSRC2:TGID_Y_EN: 0
; COMPUTE_PGM_RSRC2:TGID_Z_EN: 0
; COMPUTE_PGM_RSRC2:TIDIG_COMP_CNT: 0
; COMPUTE_PGM_RSRC3_GFX90A:ACCUM_OFFSET: 0
; COMPUTE_PGM_RSRC3_GFX90A:TG_SPLIT: 0
	.section	.text._ZN7rocprim17ROCPRIM_400000_NS6detail17trampoline_kernelINS0_14default_configENS1_22reduce_config_selectorIyEEZNS1_11reduce_implILb1ES3_N6thrust23THRUST_200600_302600_NS6detail15normal_iteratorINS8_10device_ptrIyEEEEPyyNS8_4plusIyEEEE10hipError_tPvRmT1_T2_T3_mT4_P12ihipStream_tbEUlT_E1_NS1_11comp_targetILNS1_3genE3ELNS1_11target_archE908ELNS1_3gpuE7ELNS1_3repE0EEENS1_30default_config_static_selectorELNS0_4arch9wavefront6targetE1EEEvSK_,"axG",@progbits,_ZN7rocprim17ROCPRIM_400000_NS6detail17trampoline_kernelINS0_14default_configENS1_22reduce_config_selectorIyEEZNS1_11reduce_implILb1ES3_N6thrust23THRUST_200600_302600_NS6detail15normal_iteratorINS8_10device_ptrIyEEEEPyyNS8_4plusIyEEEE10hipError_tPvRmT1_T2_T3_mT4_P12ihipStream_tbEUlT_E1_NS1_11comp_targetILNS1_3genE3ELNS1_11target_archE908ELNS1_3gpuE7ELNS1_3repE0EEENS1_30default_config_static_selectorELNS0_4arch9wavefront6targetE1EEEvSK_,comdat
	.protected	_ZN7rocprim17ROCPRIM_400000_NS6detail17trampoline_kernelINS0_14default_configENS1_22reduce_config_selectorIyEEZNS1_11reduce_implILb1ES3_N6thrust23THRUST_200600_302600_NS6detail15normal_iteratorINS8_10device_ptrIyEEEEPyyNS8_4plusIyEEEE10hipError_tPvRmT1_T2_T3_mT4_P12ihipStream_tbEUlT_E1_NS1_11comp_targetILNS1_3genE3ELNS1_11target_archE908ELNS1_3gpuE7ELNS1_3repE0EEENS1_30default_config_static_selectorELNS0_4arch9wavefront6targetE1EEEvSK_ ; -- Begin function _ZN7rocprim17ROCPRIM_400000_NS6detail17trampoline_kernelINS0_14default_configENS1_22reduce_config_selectorIyEEZNS1_11reduce_implILb1ES3_N6thrust23THRUST_200600_302600_NS6detail15normal_iteratorINS8_10device_ptrIyEEEEPyyNS8_4plusIyEEEE10hipError_tPvRmT1_T2_T3_mT4_P12ihipStream_tbEUlT_E1_NS1_11comp_targetILNS1_3genE3ELNS1_11target_archE908ELNS1_3gpuE7ELNS1_3repE0EEENS1_30default_config_static_selectorELNS0_4arch9wavefront6targetE1EEEvSK_
	.globl	_ZN7rocprim17ROCPRIM_400000_NS6detail17trampoline_kernelINS0_14default_configENS1_22reduce_config_selectorIyEEZNS1_11reduce_implILb1ES3_N6thrust23THRUST_200600_302600_NS6detail15normal_iteratorINS8_10device_ptrIyEEEEPyyNS8_4plusIyEEEE10hipError_tPvRmT1_T2_T3_mT4_P12ihipStream_tbEUlT_E1_NS1_11comp_targetILNS1_3genE3ELNS1_11target_archE908ELNS1_3gpuE7ELNS1_3repE0EEENS1_30default_config_static_selectorELNS0_4arch9wavefront6targetE1EEEvSK_
	.p2align	8
	.type	_ZN7rocprim17ROCPRIM_400000_NS6detail17trampoline_kernelINS0_14default_configENS1_22reduce_config_selectorIyEEZNS1_11reduce_implILb1ES3_N6thrust23THRUST_200600_302600_NS6detail15normal_iteratorINS8_10device_ptrIyEEEEPyyNS8_4plusIyEEEE10hipError_tPvRmT1_T2_T3_mT4_P12ihipStream_tbEUlT_E1_NS1_11comp_targetILNS1_3genE3ELNS1_11target_archE908ELNS1_3gpuE7ELNS1_3repE0EEENS1_30default_config_static_selectorELNS0_4arch9wavefront6targetE1EEEvSK_,@function
_ZN7rocprim17ROCPRIM_400000_NS6detail17trampoline_kernelINS0_14default_configENS1_22reduce_config_selectorIyEEZNS1_11reduce_implILb1ES3_N6thrust23THRUST_200600_302600_NS6detail15normal_iteratorINS8_10device_ptrIyEEEEPyyNS8_4plusIyEEEE10hipError_tPvRmT1_T2_T3_mT4_P12ihipStream_tbEUlT_E1_NS1_11comp_targetILNS1_3genE3ELNS1_11target_archE908ELNS1_3gpuE7ELNS1_3repE0EEENS1_30default_config_static_selectorELNS0_4arch9wavefront6targetE1EEEvSK_: ; @_ZN7rocprim17ROCPRIM_400000_NS6detail17trampoline_kernelINS0_14default_configENS1_22reduce_config_selectorIyEEZNS1_11reduce_implILb1ES3_N6thrust23THRUST_200600_302600_NS6detail15normal_iteratorINS8_10device_ptrIyEEEEPyyNS8_4plusIyEEEE10hipError_tPvRmT1_T2_T3_mT4_P12ihipStream_tbEUlT_E1_NS1_11comp_targetILNS1_3genE3ELNS1_11target_archE908ELNS1_3gpuE7ELNS1_3repE0EEENS1_30default_config_static_selectorELNS0_4arch9wavefront6targetE1EEEvSK_
; %bb.0:
	.section	.rodata,"a",@progbits
	.p2align	6, 0x0
	.amdhsa_kernel _ZN7rocprim17ROCPRIM_400000_NS6detail17trampoline_kernelINS0_14default_configENS1_22reduce_config_selectorIyEEZNS1_11reduce_implILb1ES3_N6thrust23THRUST_200600_302600_NS6detail15normal_iteratorINS8_10device_ptrIyEEEEPyyNS8_4plusIyEEEE10hipError_tPvRmT1_T2_T3_mT4_P12ihipStream_tbEUlT_E1_NS1_11comp_targetILNS1_3genE3ELNS1_11target_archE908ELNS1_3gpuE7ELNS1_3repE0EEENS1_30default_config_static_selectorELNS0_4arch9wavefront6targetE1EEEvSK_
		.amdhsa_group_segment_fixed_size 0
		.amdhsa_private_segment_fixed_size 0
		.amdhsa_kernarg_size 48
		.amdhsa_user_sgpr_count 2
		.amdhsa_user_sgpr_dispatch_ptr 0
		.amdhsa_user_sgpr_queue_ptr 0
		.amdhsa_user_sgpr_kernarg_segment_ptr 1
		.amdhsa_user_sgpr_dispatch_id 0
		.amdhsa_user_sgpr_kernarg_preload_length 0
		.amdhsa_user_sgpr_kernarg_preload_offset 0
		.amdhsa_user_sgpr_private_segment_size 0
		.amdhsa_uses_dynamic_stack 0
		.amdhsa_enable_private_segment 0
		.amdhsa_system_sgpr_workgroup_id_x 1
		.amdhsa_system_sgpr_workgroup_id_y 0
		.amdhsa_system_sgpr_workgroup_id_z 0
		.amdhsa_system_sgpr_workgroup_info 0
		.amdhsa_system_vgpr_workitem_id 0
		.amdhsa_next_free_vgpr 1
		.amdhsa_next_free_sgpr 0
		.amdhsa_accum_offset 4
		.amdhsa_reserve_vcc 0
		.amdhsa_float_round_mode_32 0
		.amdhsa_float_round_mode_16_64 0
		.amdhsa_float_denorm_mode_32 3
		.amdhsa_float_denorm_mode_16_64 3
		.amdhsa_dx10_clamp 1
		.amdhsa_ieee_mode 1
		.amdhsa_fp16_overflow 0
		.amdhsa_tg_split 0
		.amdhsa_exception_fp_ieee_invalid_op 0
		.amdhsa_exception_fp_denorm_src 0
		.amdhsa_exception_fp_ieee_div_zero 0
		.amdhsa_exception_fp_ieee_overflow 0
		.amdhsa_exception_fp_ieee_underflow 0
		.amdhsa_exception_fp_ieee_inexact 0
		.amdhsa_exception_int_div_zero 0
	.end_amdhsa_kernel
	.section	.text._ZN7rocprim17ROCPRIM_400000_NS6detail17trampoline_kernelINS0_14default_configENS1_22reduce_config_selectorIyEEZNS1_11reduce_implILb1ES3_N6thrust23THRUST_200600_302600_NS6detail15normal_iteratorINS8_10device_ptrIyEEEEPyyNS8_4plusIyEEEE10hipError_tPvRmT1_T2_T3_mT4_P12ihipStream_tbEUlT_E1_NS1_11comp_targetILNS1_3genE3ELNS1_11target_archE908ELNS1_3gpuE7ELNS1_3repE0EEENS1_30default_config_static_selectorELNS0_4arch9wavefront6targetE1EEEvSK_,"axG",@progbits,_ZN7rocprim17ROCPRIM_400000_NS6detail17trampoline_kernelINS0_14default_configENS1_22reduce_config_selectorIyEEZNS1_11reduce_implILb1ES3_N6thrust23THRUST_200600_302600_NS6detail15normal_iteratorINS8_10device_ptrIyEEEEPyyNS8_4plusIyEEEE10hipError_tPvRmT1_T2_T3_mT4_P12ihipStream_tbEUlT_E1_NS1_11comp_targetILNS1_3genE3ELNS1_11target_archE908ELNS1_3gpuE7ELNS1_3repE0EEENS1_30default_config_static_selectorELNS0_4arch9wavefront6targetE1EEEvSK_,comdat
.Lfunc_end106:
	.size	_ZN7rocprim17ROCPRIM_400000_NS6detail17trampoline_kernelINS0_14default_configENS1_22reduce_config_selectorIyEEZNS1_11reduce_implILb1ES3_N6thrust23THRUST_200600_302600_NS6detail15normal_iteratorINS8_10device_ptrIyEEEEPyyNS8_4plusIyEEEE10hipError_tPvRmT1_T2_T3_mT4_P12ihipStream_tbEUlT_E1_NS1_11comp_targetILNS1_3genE3ELNS1_11target_archE908ELNS1_3gpuE7ELNS1_3repE0EEENS1_30default_config_static_selectorELNS0_4arch9wavefront6targetE1EEEvSK_, .Lfunc_end106-_ZN7rocprim17ROCPRIM_400000_NS6detail17trampoline_kernelINS0_14default_configENS1_22reduce_config_selectorIyEEZNS1_11reduce_implILb1ES3_N6thrust23THRUST_200600_302600_NS6detail15normal_iteratorINS8_10device_ptrIyEEEEPyyNS8_4plusIyEEEE10hipError_tPvRmT1_T2_T3_mT4_P12ihipStream_tbEUlT_E1_NS1_11comp_targetILNS1_3genE3ELNS1_11target_archE908ELNS1_3gpuE7ELNS1_3repE0EEENS1_30default_config_static_selectorELNS0_4arch9wavefront6targetE1EEEvSK_
                                        ; -- End function
	.set _ZN7rocprim17ROCPRIM_400000_NS6detail17trampoline_kernelINS0_14default_configENS1_22reduce_config_selectorIyEEZNS1_11reduce_implILb1ES3_N6thrust23THRUST_200600_302600_NS6detail15normal_iteratorINS8_10device_ptrIyEEEEPyyNS8_4plusIyEEEE10hipError_tPvRmT1_T2_T3_mT4_P12ihipStream_tbEUlT_E1_NS1_11comp_targetILNS1_3genE3ELNS1_11target_archE908ELNS1_3gpuE7ELNS1_3repE0EEENS1_30default_config_static_selectorELNS0_4arch9wavefront6targetE1EEEvSK_.num_vgpr, 0
	.set _ZN7rocprim17ROCPRIM_400000_NS6detail17trampoline_kernelINS0_14default_configENS1_22reduce_config_selectorIyEEZNS1_11reduce_implILb1ES3_N6thrust23THRUST_200600_302600_NS6detail15normal_iteratorINS8_10device_ptrIyEEEEPyyNS8_4plusIyEEEE10hipError_tPvRmT1_T2_T3_mT4_P12ihipStream_tbEUlT_E1_NS1_11comp_targetILNS1_3genE3ELNS1_11target_archE908ELNS1_3gpuE7ELNS1_3repE0EEENS1_30default_config_static_selectorELNS0_4arch9wavefront6targetE1EEEvSK_.num_agpr, 0
	.set _ZN7rocprim17ROCPRIM_400000_NS6detail17trampoline_kernelINS0_14default_configENS1_22reduce_config_selectorIyEEZNS1_11reduce_implILb1ES3_N6thrust23THRUST_200600_302600_NS6detail15normal_iteratorINS8_10device_ptrIyEEEEPyyNS8_4plusIyEEEE10hipError_tPvRmT1_T2_T3_mT4_P12ihipStream_tbEUlT_E1_NS1_11comp_targetILNS1_3genE3ELNS1_11target_archE908ELNS1_3gpuE7ELNS1_3repE0EEENS1_30default_config_static_selectorELNS0_4arch9wavefront6targetE1EEEvSK_.numbered_sgpr, 0
	.set _ZN7rocprim17ROCPRIM_400000_NS6detail17trampoline_kernelINS0_14default_configENS1_22reduce_config_selectorIyEEZNS1_11reduce_implILb1ES3_N6thrust23THRUST_200600_302600_NS6detail15normal_iteratorINS8_10device_ptrIyEEEEPyyNS8_4plusIyEEEE10hipError_tPvRmT1_T2_T3_mT4_P12ihipStream_tbEUlT_E1_NS1_11comp_targetILNS1_3genE3ELNS1_11target_archE908ELNS1_3gpuE7ELNS1_3repE0EEENS1_30default_config_static_selectorELNS0_4arch9wavefront6targetE1EEEvSK_.num_named_barrier, 0
	.set _ZN7rocprim17ROCPRIM_400000_NS6detail17trampoline_kernelINS0_14default_configENS1_22reduce_config_selectorIyEEZNS1_11reduce_implILb1ES3_N6thrust23THRUST_200600_302600_NS6detail15normal_iteratorINS8_10device_ptrIyEEEEPyyNS8_4plusIyEEEE10hipError_tPvRmT1_T2_T3_mT4_P12ihipStream_tbEUlT_E1_NS1_11comp_targetILNS1_3genE3ELNS1_11target_archE908ELNS1_3gpuE7ELNS1_3repE0EEENS1_30default_config_static_selectorELNS0_4arch9wavefront6targetE1EEEvSK_.private_seg_size, 0
	.set _ZN7rocprim17ROCPRIM_400000_NS6detail17trampoline_kernelINS0_14default_configENS1_22reduce_config_selectorIyEEZNS1_11reduce_implILb1ES3_N6thrust23THRUST_200600_302600_NS6detail15normal_iteratorINS8_10device_ptrIyEEEEPyyNS8_4plusIyEEEE10hipError_tPvRmT1_T2_T3_mT4_P12ihipStream_tbEUlT_E1_NS1_11comp_targetILNS1_3genE3ELNS1_11target_archE908ELNS1_3gpuE7ELNS1_3repE0EEENS1_30default_config_static_selectorELNS0_4arch9wavefront6targetE1EEEvSK_.uses_vcc, 0
	.set _ZN7rocprim17ROCPRIM_400000_NS6detail17trampoline_kernelINS0_14default_configENS1_22reduce_config_selectorIyEEZNS1_11reduce_implILb1ES3_N6thrust23THRUST_200600_302600_NS6detail15normal_iteratorINS8_10device_ptrIyEEEEPyyNS8_4plusIyEEEE10hipError_tPvRmT1_T2_T3_mT4_P12ihipStream_tbEUlT_E1_NS1_11comp_targetILNS1_3genE3ELNS1_11target_archE908ELNS1_3gpuE7ELNS1_3repE0EEENS1_30default_config_static_selectorELNS0_4arch9wavefront6targetE1EEEvSK_.uses_flat_scratch, 0
	.set _ZN7rocprim17ROCPRIM_400000_NS6detail17trampoline_kernelINS0_14default_configENS1_22reduce_config_selectorIyEEZNS1_11reduce_implILb1ES3_N6thrust23THRUST_200600_302600_NS6detail15normal_iteratorINS8_10device_ptrIyEEEEPyyNS8_4plusIyEEEE10hipError_tPvRmT1_T2_T3_mT4_P12ihipStream_tbEUlT_E1_NS1_11comp_targetILNS1_3genE3ELNS1_11target_archE908ELNS1_3gpuE7ELNS1_3repE0EEENS1_30default_config_static_selectorELNS0_4arch9wavefront6targetE1EEEvSK_.has_dyn_sized_stack, 0
	.set _ZN7rocprim17ROCPRIM_400000_NS6detail17trampoline_kernelINS0_14default_configENS1_22reduce_config_selectorIyEEZNS1_11reduce_implILb1ES3_N6thrust23THRUST_200600_302600_NS6detail15normal_iteratorINS8_10device_ptrIyEEEEPyyNS8_4plusIyEEEE10hipError_tPvRmT1_T2_T3_mT4_P12ihipStream_tbEUlT_E1_NS1_11comp_targetILNS1_3genE3ELNS1_11target_archE908ELNS1_3gpuE7ELNS1_3repE0EEENS1_30default_config_static_selectorELNS0_4arch9wavefront6targetE1EEEvSK_.has_recursion, 0
	.set _ZN7rocprim17ROCPRIM_400000_NS6detail17trampoline_kernelINS0_14default_configENS1_22reduce_config_selectorIyEEZNS1_11reduce_implILb1ES3_N6thrust23THRUST_200600_302600_NS6detail15normal_iteratorINS8_10device_ptrIyEEEEPyyNS8_4plusIyEEEE10hipError_tPvRmT1_T2_T3_mT4_P12ihipStream_tbEUlT_E1_NS1_11comp_targetILNS1_3genE3ELNS1_11target_archE908ELNS1_3gpuE7ELNS1_3repE0EEENS1_30default_config_static_selectorELNS0_4arch9wavefront6targetE1EEEvSK_.has_indirect_call, 0
	.section	.AMDGPU.csdata,"",@progbits
; Kernel info:
; codeLenInByte = 0
; TotalNumSgprs: 6
; NumVgprs: 0
; NumAgprs: 0
; TotalNumVgprs: 0
; ScratchSize: 0
; MemoryBound: 0
; FloatMode: 240
; IeeeMode: 1
; LDSByteSize: 0 bytes/workgroup (compile time only)
; SGPRBlocks: 0
; VGPRBlocks: 0
; NumSGPRsForWavesPerEU: 6
; NumVGPRsForWavesPerEU: 1
; AccumOffset: 4
; Occupancy: 8
; WaveLimiterHint : 0
; COMPUTE_PGM_RSRC2:SCRATCH_EN: 0
; COMPUTE_PGM_RSRC2:USER_SGPR: 2
; COMPUTE_PGM_RSRC2:TRAP_HANDLER: 0
; COMPUTE_PGM_RSRC2:TGID_X_EN: 1
; COMPUTE_PGM_RSRC2:TGID_Y_EN: 0
; COMPUTE_PGM_RSRC2:TGID_Z_EN: 0
; COMPUTE_PGM_RSRC2:TIDIG_COMP_CNT: 0
; COMPUTE_PGM_RSRC3_GFX90A:ACCUM_OFFSET: 0
; COMPUTE_PGM_RSRC3_GFX90A:TG_SPLIT: 0
	.section	.text._ZN7rocprim17ROCPRIM_400000_NS6detail17trampoline_kernelINS0_14default_configENS1_22reduce_config_selectorIyEEZNS1_11reduce_implILb1ES3_N6thrust23THRUST_200600_302600_NS6detail15normal_iteratorINS8_10device_ptrIyEEEEPyyNS8_4plusIyEEEE10hipError_tPvRmT1_T2_T3_mT4_P12ihipStream_tbEUlT_E1_NS1_11comp_targetILNS1_3genE2ELNS1_11target_archE906ELNS1_3gpuE6ELNS1_3repE0EEENS1_30default_config_static_selectorELNS0_4arch9wavefront6targetE1EEEvSK_,"axG",@progbits,_ZN7rocprim17ROCPRIM_400000_NS6detail17trampoline_kernelINS0_14default_configENS1_22reduce_config_selectorIyEEZNS1_11reduce_implILb1ES3_N6thrust23THRUST_200600_302600_NS6detail15normal_iteratorINS8_10device_ptrIyEEEEPyyNS8_4plusIyEEEE10hipError_tPvRmT1_T2_T3_mT4_P12ihipStream_tbEUlT_E1_NS1_11comp_targetILNS1_3genE2ELNS1_11target_archE906ELNS1_3gpuE6ELNS1_3repE0EEENS1_30default_config_static_selectorELNS0_4arch9wavefront6targetE1EEEvSK_,comdat
	.protected	_ZN7rocprim17ROCPRIM_400000_NS6detail17trampoline_kernelINS0_14default_configENS1_22reduce_config_selectorIyEEZNS1_11reduce_implILb1ES3_N6thrust23THRUST_200600_302600_NS6detail15normal_iteratorINS8_10device_ptrIyEEEEPyyNS8_4plusIyEEEE10hipError_tPvRmT1_T2_T3_mT4_P12ihipStream_tbEUlT_E1_NS1_11comp_targetILNS1_3genE2ELNS1_11target_archE906ELNS1_3gpuE6ELNS1_3repE0EEENS1_30default_config_static_selectorELNS0_4arch9wavefront6targetE1EEEvSK_ ; -- Begin function _ZN7rocprim17ROCPRIM_400000_NS6detail17trampoline_kernelINS0_14default_configENS1_22reduce_config_selectorIyEEZNS1_11reduce_implILb1ES3_N6thrust23THRUST_200600_302600_NS6detail15normal_iteratorINS8_10device_ptrIyEEEEPyyNS8_4plusIyEEEE10hipError_tPvRmT1_T2_T3_mT4_P12ihipStream_tbEUlT_E1_NS1_11comp_targetILNS1_3genE2ELNS1_11target_archE906ELNS1_3gpuE6ELNS1_3repE0EEENS1_30default_config_static_selectorELNS0_4arch9wavefront6targetE1EEEvSK_
	.globl	_ZN7rocprim17ROCPRIM_400000_NS6detail17trampoline_kernelINS0_14default_configENS1_22reduce_config_selectorIyEEZNS1_11reduce_implILb1ES3_N6thrust23THRUST_200600_302600_NS6detail15normal_iteratorINS8_10device_ptrIyEEEEPyyNS8_4plusIyEEEE10hipError_tPvRmT1_T2_T3_mT4_P12ihipStream_tbEUlT_E1_NS1_11comp_targetILNS1_3genE2ELNS1_11target_archE906ELNS1_3gpuE6ELNS1_3repE0EEENS1_30default_config_static_selectorELNS0_4arch9wavefront6targetE1EEEvSK_
	.p2align	8
	.type	_ZN7rocprim17ROCPRIM_400000_NS6detail17trampoline_kernelINS0_14default_configENS1_22reduce_config_selectorIyEEZNS1_11reduce_implILb1ES3_N6thrust23THRUST_200600_302600_NS6detail15normal_iteratorINS8_10device_ptrIyEEEEPyyNS8_4plusIyEEEE10hipError_tPvRmT1_T2_T3_mT4_P12ihipStream_tbEUlT_E1_NS1_11comp_targetILNS1_3genE2ELNS1_11target_archE906ELNS1_3gpuE6ELNS1_3repE0EEENS1_30default_config_static_selectorELNS0_4arch9wavefront6targetE1EEEvSK_,@function
_ZN7rocprim17ROCPRIM_400000_NS6detail17trampoline_kernelINS0_14default_configENS1_22reduce_config_selectorIyEEZNS1_11reduce_implILb1ES3_N6thrust23THRUST_200600_302600_NS6detail15normal_iteratorINS8_10device_ptrIyEEEEPyyNS8_4plusIyEEEE10hipError_tPvRmT1_T2_T3_mT4_P12ihipStream_tbEUlT_E1_NS1_11comp_targetILNS1_3genE2ELNS1_11target_archE906ELNS1_3gpuE6ELNS1_3repE0EEENS1_30default_config_static_selectorELNS0_4arch9wavefront6targetE1EEEvSK_: ; @_ZN7rocprim17ROCPRIM_400000_NS6detail17trampoline_kernelINS0_14default_configENS1_22reduce_config_selectorIyEEZNS1_11reduce_implILb1ES3_N6thrust23THRUST_200600_302600_NS6detail15normal_iteratorINS8_10device_ptrIyEEEEPyyNS8_4plusIyEEEE10hipError_tPvRmT1_T2_T3_mT4_P12ihipStream_tbEUlT_E1_NS1_11comp_targetILNS1_3genE2ELNS1_11target_archE906ELNS1_3gpuE6ELNS1_3repE0EEENS1_30default_config_static_selectorELNS0_4arch9wavefront6targetE1EEEvSK_
; %bb.0:
	.section	.rodata,"a",@progbits
	.p2align	6, 0x0
	.amdhsa_kernel _ZN7rocprim17ROCPRIM_400000_NS6detail17trampoline_kernelINS0_14default_configENS1_22reduce_config_selectorIyEEZNS1_11reduce_implILb1ES3_N6thrust23THRUST_200600_302600_NS6detail15normal_iteratorINS8_10device_ptrIyEEEEPyyNS8_4plusIyEEEE10hipError_tPvRmT1_T2_T3_mT4_P12ihipStream_tbEUlT_E1_NS1_11comp_targetILNS1_3genE2ELNS1_11target_archE906ELNS1_3gpuE6ELNS1_3repE0EEENS1_30default_config_static_selectorELNS0_4arch9wavefront6targetE1EEEvSK_
		.amdhsa_group_segment_fixed_size 0
		.amdhsa_private_segment_fixed_size 0
		.amdhsa_kernarg_size 48
		.amdhsa_user_sgpr_count 2
		.amdhsa_user_sgpr_dispatch_ptr 0
		.amdhsa_user_sgpr_queue_ptr 0
		.amdhsa_user_sgpr_kernarg_segment_ptr 1
		.amdhsa_user_sgpr_dispatch_id 0
		.amdhsa_user_sgpr_kernarg_preload_length 0
		.amdhsa_user_sgpr_kernarg_preload_offset 0
		.amdhsa_user_sgpr_private_segment_size 0
		.amdhsa_uses_dynamic_stack 0
		.amdhsa_enable_private_segment 0
		.amdhsa_system_sgpr_workgroup_id_x 1
		.amdhsa_system_sgpr_workgroup_id_y 0
		.amdhsa_system_sgpr_workgroup_id_z 0
		.amdhsa_system_sgpr_workgroup_info 0
		.amdhsa_system_vgpr_workitem_id 0
		.amdhsa_next_free_vgpr 1
		.amdhsa_next_free_sgpr 0
		.amdhsa_accum_offset 4
		.amdhsa_reserve_vcc 0
		.amdhsa_float_round_mode_32 0
		.amdhsa_float_round_mode_16_64 0
		.amdhsa_float_denorm_mode_32 3
		.amdhsa_float_denorm_mode_16_64 3
		.amdhsa_dx10_clamp 1
		.amdhsa_ieee_mode 1
		.amdhsa_fp16_overflow 0
		.amdhsa_tg_split 0
		.amdhsa_exception_fp_ieee_invalid_op 0
		.amdhsa_exception_fp_denorm_src 0
		.amdhsa_exception_fp_ieee_div_zero 0
		.amdhsa_exception_fp_ieee_overflow 0
		.amdhsa_exception_fp_ieee_underflow 0
		.amdhsa_exception_fp_ieee_inexact 0
		.amdhsa_exception_int_div_zero 0
	.end_amdhsa_kernel
	.section	.text._ZN7rocprim17ROCPRIM_400000_NS6detail17trampoline_kernelINS0_14default_configENS1_22reduce_config_selectorIyEEZNS1_11reduce_implILb1ES3_N6thrust23THRUST_200600_302600_NS6detail15normal_iteratorINS8_10device_ptrIyEEEEPyyNS8_4plusIyEEEE10hipError_tPvRmT1_T2_T3_mT4_P12ihipStream_tbEUlT_E1_NS1_11comp_targetILNS1_3genE2ELNS1_11target_archE906ELNS1_3gpuE6ELNS1_3repE0EEENS1_30default_config_static_selectorELNS0_4arch9wavefront6targetE1EEEvSK_,"axG",@progbits,_ZN7rocprim17ROCPRIM_400000_NS6detail17trampoline_kernelINS0_14default_configENS1_22reduce_config_selectorIyEEZNS1_11reduce_implILb1ES3_N6thrust23THRUST_200600_302600_NS6detail15normal_iteratorINS8_10device_ptrIyEEEEPyyNS8_4plusIyEEEE10hipError_tPvRmT1_T2_T3_mT4_P12ihipStream_tbEUlT_E1_NS1_11comp_targetILNS1_3genE2ELNS1_11target_archE906ELNS1_3gpuE6ELNS1_3repE0EEENS1_30default_config_static_selectorELNS0_4arch9wavefront6targetE1EEEvSK_,comdat
.Lfunc_end107:
	.size	_ZN7rocprim17ROCPRIM_400000_NS6detail17trampoline_kernelINS0_14default_configENS1_22reduce_config_selectorIyEEZNS1_11reduce_implILb1ES3_N6thrust23THRUST_200600_302600_NS6detail15normal_iteratorINS8_10device_ptrIyEEEEPyyNS8_4plusIyEEEE10hipError_tPvRmT1_T2_T3_mT4_P12ihipStream_tbEUlT_E1_NS1_11comp_targetILNS1_3genE2ELNS1_11target_archE906ELNS1_3gpuE6ELNS1_3repE0EEENS1_30default_config_static_selectorELNS0_4arch9wavefront6targetE1EEEvSK_, .Lfunc_end107-_ZN7rocprim17ROCPRIM_400000_NS6detail17trampoline_kernelINS0_14default_configENS1_22reduce_config_selectorIyEEZNS1_11reduce_implILb1ES3_N6thrust23THRUST_200600_302600_NS6detail15normal_iteratorINS8_10device_ptrIyEEEEPyyNS8_4plusIyEEEE10hipError_tPvRmT1_T2_T3_mT4_P12ihipStream_tbEUlT_E1_NS1_11comp_targetILNS1_3genE2ELNS1_11target_archE906ELNS1_3gpuE6ELNS1_3repE0EEENS1_30default_config_static_selectorELNS0_4arch9wavefront6targetE1EEEvSK_
                                        ; -- End function
	.set _ZN7rocprim17ROCPRIM_400000_NS6detail17trampoline_kernelINS0_14default_configENS1_22reduce_config_selectorIyEEZNS1_11reduce_implILb1ES3_N6thrust23THRUST_200600_302600_NS6detail15normal_iteratorINS8_10device_ptrIyEEEEPyyNS8_4plusIyEEEE10hipError_tPvRmT1_T2_T3_mT4_P12ihipStream_tbEUlT_E1_NS1_11comp_targetILNS1_3genE2ELNS1_11target_archE906ELNS1_3gpuE6ELNS1_3repE0EEENS1_30default_config_static_selectorELNS0_4arch9wavefront6targetE1EEEvSK_.num_vgpr, 0
	.set _ZN7rocprim17ROCPRIM_400000_NS6detail17trampoline_kernelINS0_14default_configENS1_22reduce_config_selectorIyEEZNS1_11reduce_implILb1ES3_N6thrust23THRUST_200600_302600_NS6detail15normal_iteratorINS8_10device_ptrIyEEEEPyyNS8_4plusIyEEEE10hipError_tPvRmT1_T2_T3_mT4_P12ihipStream_tbEUlT_E1_NS1_11comp_targetILNS1_3genE2ELNS1_11target_archE906ELNS1_3gpuE6ELNS1_3repE0EEENS1_30default_config_static_selectorELNS0_4arch9wavefront6targetE1EEEvSK_.num_agpr, 0
	.set _ZN7rocprim17ROCPRIM_400000_NS6detail17trampoline_kernelINS0_14default_configENS1_22reduce_config_selectorIyEEZNS1_11reduce_implILb1ES3_N6thrust23THRUST_200600_302600_NS6detail15normal_iteratorINS8_10device_ptrIyEEEEPyyNS8_4plusIyEEEE10hipError_tPvRmT1_T2_T3_mT4_P12ihipStream_tbEUlT_E1_NS1_11comp_targetILNS1_3genE2ELNS1_11target_archE906ELNS1_3gpuE6ELNS1_3repE0EEENS1_30default_config_static_selectorELNS0_4arch9wavefront6targetE1EEEvSK_.numbered_sgpr, 0
	.set _ZN7rocprim17ROCPRIM_400000_NS6detail17trampoline_kernelINS0_14default_configENS1_22reduce_config_selectorIyEEZNS1_11reduce_implILb1ES3_N6thrust23THRUST_200600_302600_NS6detail15normal_iteratorINS8_10device_ptrIyEEEEPyyNS8_4plusIyEEEE10hipError_tPvRmT1_T2_T3_mT4_P12ihipStream_tbEUlT_E1_NS1_11comp_targetILNS1_3genE2ELNS1_11target_archE906ELNS1_3gpuE6ELNS1_3repE0EEENS1_30default_config_static_selectorELNS0_4arch9wavefront6targetE1EEEvSK_.num_named_barrier, 0
	.set _ZN7rocprim17ROCPRIM_400000_NS6detail17trampoline_kernelINS0_14default_configENS1_22reduce_config_selectorIyEEZNS1_11reduce_implILb1ES3_N6thrust23THRUST_200600_302600_NS6detail15normal_iteratorINS8_10device_ptrIyEEEEPyyNS8_4plusIyEEEE10hipError_tPvRmT1_T2_T3_mT4_P12ihipStream_tbEUlT_E1_NS1_11comp_targetILNS1_3genE2ELNS1_11target_archE906ELNS1_3gpuE6ELNS1_3repE0EEENS1_30default_config_static_selectorELNS0_4arch9wavefront6targetE1EEEvSK_.private_seg_size, 0
	.set _ZN7rocprim17ROCPRIM_400000_NS6detail17trampoline_kernelINS0_14default_configENS1_22reduce_config_selectorIyEEZNS1_11reduce_implILb1ES3_N6thrust23THRUST_200600_302600_NS6detail15normal_iteratorINS8_10device_ptrIyEEEEPyyNS8_4plusIyEEEE10hipError_tPvRmT1_T2_T3_mT4_P12ihipStream_tbEUlT_E1_NS1_11comp_targetILNS1_3genE2ELNS1_11target_archE906ELNS1_3gpuE6ELNS1_3repE0EEENS1_30default_config_static_selectorELNS0_4arch9wavefront6targetE1EEEvSK_.uses_vcc, 0
	.set _ZN7rocprim17ROCPRIM_400000_NS6detail17trampoline_kernelINS0_14default_configENS1_22reduce_config_selectorIyEEZNS1_11reduce_implILb1ES3_N6thrust23THRUST_200600_302600_NS6detail15normal_iteratorINS8_10device_ptrIyEEEEPyyNS8_4plusIyEEEE10hipError_tPvRmT1_T2_T3_mT4_P12ihipStream_tbEUlT_E1_NS1_11comp_targetILNS1_3genE2ELNS1_11target_archE906ELNS1_3gpuE6ELNS1_3repE0EEENS1_30default_config_static_selectorELNS0_4arch9wavefront6targetE1EEEvSK_.uses_flat_scratch, 0
	.set _ZN7rocprim17ROCPRIM_400000_NS6detail17trampoline_kernelINS0_14default_configENS1_22reduce_config_selectorIyEEZNS1_11reduce_implILb1ES3_N6thrust23THRUST_200600_302600_NS6detail15normal_iteratorINS8_10device_ptrIyEEEEPyyNS8_4plusIyEEEE10hipError_tPvRmT1_T2_T3_mT4_P12ihipStream_tbEUlT_E1_NS1_11comp_targetILNS1_3genE2ELNS1_11target_archE906ELNS1_3gpuE6ELNS1_3repE0EEENS1_30default_config_static_selectorELNS0_4arch9wavefront6targetE1EEEvSK_.has_dyn_sized_stack, 0
	.set _ZN7rocprim17ROCPRIM_400000_NS6detail17trampoline_kernelINS0_14default_configENS1_22reduce_config_selectorIyEEZNS1_11reduce_implILb1ES3_N6thrust23THRUST_200600_302600_NS6detail15normal_iteratorINS8_10device_ptrIyEEEEPyyNS8_4plusIyEEEE10hipError_tPvRmT1_T2_T3_mT4_P12ihipStream_tbEUlT_E1_NS1_11comp_targetILNS1_3genE2ELNS1_11target_archE906ELNS1_3gpuE6ELNS1_3repE0EEENS1_30default_config_static_selectorELNS0_4arch9wavefront6targetE1EEEvSK_.has_recursion, 0
	.set _ZN7rocprim17ROCPRIM_400000_NS6detail17trampoline_kernelINS0_14default_configENS1_22reduce_config_selectorIyEEZNS1_11reduce_implILb1ES3_N6thrust23THRUST_200600_302600_NS6detail15normal_iteratorINS8_10device_ptrIyEEEEPyyNS8_4plusIyEEEE10hipError_tPvRmT1_T2_T3_mT4_P12ihipStream_tbEUlT_E1_NS1_11comp_targetILNS1_3genE2ELNS1_11target_archE906ELNS1_3gpuE6ELNS1_3repE0EEENS1_30default_config_static_selectorELNS0_4arch9wavefront6targetE1EEEvSK_.has_indirect_call, 0
	.section	.AMDGPU.csdata,"",@progbits
; Kernel info:
; codeLenInByte = 0
; TotalNumSgprs: 6
; NumVgprs: 0
; NumAgprs: 0
; TotalNumVgprs: 0
; ScratchSize: 0
; MemoryBound: 0
; FloatMode: 240
; IeeeMode: 1
; LDSByteSize: 0 bytes/workgroup (compile time only)
; SGPRBlocks: 0
; VGPRBlocks: 0
; NumSGPRsForWavesPerEU: 6
; NumVGPRsForWavesPerEU: 1
; AccumOffset: 4
; Occupancy: 8
; WaveLimiterHint : 0
; COMPUTE_PGM_RSRC2:SCRATCH_EN: 0
; COMPUTE_PGM_RSRC2:USER_SGPR: 2
; COMPUTE_PGM_RSRC2:TRAP_HANDLER: 0
; COMPUTE_PGM_RSRC2:TGID_X_EN: 1
; COMPUTE_PGM_RSRC2:TGID_Y_EN: 0
; COMPUTE_PGM_RSRC2:TGID_Z_EN: 0
; COMPUTE_PGM_RSRC2:TIDIG_COMP_CNT: 0
; COMPUTE_PGM_RSRC3_GFX90A:ACCUM_OFFSET: 0
; COMPUTE_PGM_RSRC3_GFX90A:TG_SPLIT: 0
	.section	.text._ZN7rocprim17ROCPRIM_400000_NS6detail17trampoline_kernelINS0_14default_configENS1_22reduce_config_selectorIyEEZNS1_11reduce_implILb1ES3_N6thrust23THRUST_200600_302600_NS6detail15normal_iteratorINS8_10device_ptrIyEEEEPyyNS8_4plusIyEEEE10hipError_tPvRmT1_T2_T3_mT4_P12ihipStream_tbEUlT_E1_NS1_11comp_targetILNS1_3genE10ELNS1_11target_archE1201ELNS1_3gpuE5ELNS1_3repE0EEENS1_30default_config_static_selectorELNS0_4arch9wavefront6targetE1EEEvSK_,"axG",@progbits,_ZN7rocprim17ROCPRIM_400000_NS6detail17trampoline_kernelINS0_14default_configENS1_22reduce_config_selectorIyEEZNS1_11reduce_implILb1ES3_N6thrust23THRUST_200600_302600_NS6detail15normal_iteratorINS8_10device_ptrIyEEEEPyyNS8_4plusIyEEEE10hipError_tPvRmT1_T2_T3_mT4_P12ihipStream_tbEUlT_E1_NS1_11comp_targetILNS1_3genE10ELNS1_11target_archE1201ELNS1_3gpuE5ELNS1_3repE0EEENS1_30default_config_static_selectorELNS0_4arch9wavefront6targetE1EEEvSK_,comdat
	.protected	_ZN7rocprim17ROCPRIM_400000_NS6detail17trampoline_kernelINS0_14default_configENS1_22reduce_config_selectorIyEEZNS1_11reduce_implILb1ES3_N6thrust23THRUST_200600_302600_NS6detail15normal_iteratorINS8_10device_ptrIyEEEEPyyNS8_4plusIyEEEE10hipError_tPvRmT1_T2_T3_mT4_P12ihipStream_tbEUlT_E1_NS1_11comp_targetILNS1_3genE10ELNS1_11target_archE1201ELNS1_3gpuE5ELNS1_3repE0EEENS1_30default_config_static_selectorELNS0_4arch9wavefront6targetE1EEEvSK_ ; -- Begin function _ZN7rocprim17ROCPRIM_400000_NS6detail17trampoline_kernelINS0_14default_configENS1_22reduce_config_selectorIyEEZNS1_11reduce_implILb1ES3_N6thrust23THRUST_200600_302600_NS6detail15normal_iteratorINS8_10device_ptrIyEEEEPyyNS8_4plusIyEEEE10hipError_tPvRmT1_T2_T3_mT4_P12ihipStream_tbEUlT_E1_NS1_11comp_targetILNS1_3genE10ELNS1_11target_archE1201ELNS1_3gpuE5ELNS1_3repE0EEENS1_30default_config_static_selectorELNS0_4arch9wavefront6targetE1EEEvSK_
	.globl	_ZN7rocprim17ROCPRIM_400000_NS6detail17trampoline_kernelINS0_14default_configENS1_22reduce_config_selectorIyEEZNS1_11reduce_implILb1ES3_N6thrust23THRUST_200600_302600_NS6detail15normal_iteratorINS8_10device_ptrIyEEEEPyyNS8_4plusIyEEEE10hipError_tPvRmT1_T2_T3_mT4_P12ihipStream_tbEUlT_E1_NS1_11comp_targetILNS1_3genE10ELNS1_11target_archE1201ELNS1_3gpuE5ELNS1_3repE0EEENS1_30default_config_static_selectorELNS0_4arch9wavefront6targetE1EEEvSK_
	.p2align	8
	.type	_ZN7rocprim17ROCPRIM_400000_NS6detail17trampoline_kernelINS0_14default_configENS1_22reduce_config_selectorIyEEZNS1_11reduce_implILb1ES3_N6thrust23THRUST_200600_302600_NS6detail15normal_iteratorINS8_10device_ptrIyEEEEPyyNS8_4plusIyEEEE10hipError_tPvRmT1_T2_T3_mT4_P12ihipStream_tbEUlT_E1_NS1_11comp_targetILNS1_3genE10ELNS1_11target_archE1201ELNS1_3gpuE5ELNS1_3repE0EEENS1_30default_config_static_selectorELNS0_4arch9wavefront6targetE1EEEvSK_,@function
_ZN7rocprim17ROCPRIM_400000_NS6detail17trampoline_kernelINS0_14default_configENS1_22reduce_config_selectorIyEEZNS1_11reduce_implILb1ES3_N6thrust23THRUST_200600_302600_NS6detail15normal_iteratorINS8_10device_ptrIyEEEEPyyNS8_4plusIyEEEE10hipError_tPvRmT1_T2_T3_mT4_P12ihipStream_tbEUlT_E1_NS1_11comp_targetILNS1_3genE10ELNS1_11target_archE1201ELNS1_3gpuE5ELNS1_3repE0EEENS1_30default_config_static_selectorELNS0_4arch9wavefront6targetE1EEEvSK_: ; @_ZN7rocprim17ROCPRIM_400000_NS6detail17trampoline_kernelINS0_14default_configENS1_22reduce_config_selectorIyEEZNS1_11reduce_implILb1ES3_N6thrust23THRUST_200600_302600_NS6detail15normal_iteratorINS8_10device_ptrIyEEEEPyyNS8_4plusIyEEEE10hipError_tPvRmT1_T2_T3_mT4_P12ihipStream_tbEUlT_E1_NS1_11comp_targetILNS1_3genE10ELNS1_11target_archE1201ELNS1_3gpuE5ELNS1_3repE0EEENS1_30default_config_static_selectorELNS0_4arch9wavefront6targetE1EEEvSK_
; %bb.0:
	.section	.rodata,"a",@progbits
	.p2align	6, 0x0
	.amdhsa_kernel _ZN7rocprim17ROCPRIM_400000_NS6detail17trampoline_kernelINS0_14default_configENS1_22reduce_config_selectorIyEEZNS1_11reduce_implILb1ES3_N6thrust23THRUST_200600_302600_NS6detail15normal_iteratorINS8_10device_ptrIyEEEEPyyNS8_4plusIyEEEE10hipError_tPvRmT1_T2_T3_mT4_P12ihipStream_tbEUlT_E1_NS1_11comp_targetILNS1_3genE10ELNS1_11target_archE1201ELNS1_3gpuE5ELNS1_3repE0EEENS1_30default_config_static_selectorELNS0_4arch9wavefront6targetE1EEEvSK_
		.amdhsa_group_segment_fixed_size 0
		.amdhsa_private_segment_fixed_size 0
		.amdhsa_kernarg_size 48
		.amdhsa_user_sgpr_count 2
		.amdhsa_user_sgpr_dispatch_ptr 0
		.amdhsa_user_sgpr_queue_ptr 0
		.amdhsa_user_sgpr_kernarg_segment_ptr 1
		.amdhsa_user_sgpr_dispatch_id 0
		.amdhsa_user_sgpr_kernarg_preload_length 0
		.amdhsa_user_sgpr_kernarg_preload_offset 0
		.amdhsa_user_sgpr_private_segment_size 0
		.amdhsa_uses_dynamic_stack 0
		.amdhsa_enable_private_segment 0
		.amdhsa_system_sgpr_workgroup_id_x 1
		.amdhsa_system_sgpr_workgroup_id_y 0
		.amdhsa_system_sgpr_workgroup_id_z 0
		.amdhsa_system_sgpr_workgroup_info 0
		.amdhsa_system_vgpr_workitem_id 0
		.amdhsa_next_free_vgpr 1
		.amdhsa_next_free_sgpr 0
		.amdhsa_accum_offset 4
		.amdhsa_reserve_vcc 0
		.amdhsa_float_round_mode_32 0
		.amdhsa_float_round_mode_16_64 0
		.amdhsa_float_denorm_mode_32 3
		.amdhsa_float_denorm_mode_16_64 3
		.amdhsa_dx10_clamp 1
		.amdhsa_ieee_mode 1
		.amdhsa_fp16_overflow 0
		.amdhsa_tg_split 0
		.amdhsa_exception_fp_ieee_invalid_op 0
		.amdhsa_exception_fp_denorm_src 0
		.amdhsa_exception_fp_ieee_div_zero 0
		.amdhsa_exception_fp_ieee_overflow 0
		.amdhsa_exception_fp_ieee_underflow 0
		.amdhsa_exception_fp_ieee_inexact 0
		.amdhsa_exception_int_div_zero 0
	.end_amdhsa_kernel
	.section	.text._ZN7rocprim17ROCPRIM_400000_NS6detail17trampoline_kernelINS0_14default_configENS1_22reduce_config_selectorIyEEZNS1_11reduce_implILb1ES3_N6thrust23THRUST_200600_302600_NS6detail15normal_iteratorINS8_10device_ptrIyEEEEPyyNS8_4plusIyEEEE10hipError_tPvRmT1_T2_T3_mT4_P12ihipStream_tbEUlT_E1_NS1_11comp_targetILNS1_3genE10ELNS1_11target_archE1201ELNS1_3gpuE5ELNS1_3repE0EEENS1_30default_config_static_selectorELNS0_4arch9wavefront6targetE1EEEvSK_,"axG",@progbits,_ZN7rocprim17ROCPRIM_400000_NS6detail17trampoline_kernelINS0_14default_configENS1_22reduce_config_selectorIyEEZNS1_11reduce_implILb1ES3_N6thrust23THRUST_200600_302600_NS6detail15normal_iteratorINS8_10device_ptrIyEEEEPyyNS8_4plusIyEEEE10hipError_tPvRmT1_T2_T3_mT4_P12ihipStream_tbEUlT_E1_NS1_11comp_targetILNS1_3genE10ELNS1_11target_archE1201ELNS1_3gpuE5ELNS1_3repE0EEENS1_30default_config_static_selectorELNS0_4arch9wavefront6targetE1EEEvSK_,comdat
.Lfunc_end108:
	.size	_ZN7rocprim17ROCPRIM_400000_NS6detail17trampoline_kernelINS0_14default_configENS1_22reduce_config_selectorIyEEZNS1_11reduce_implILb1ES3_N6thrust23THRUST_200600_302600_NS6detail15normal_iteratorINS8_10device_ptrIyEEEEPyyNS8_4plusIyEEEE10hipError_tPvRmT1_T2_T3_mT4_P12ihipStream_tbEUlT_E1_NS1_11comp_targetILNS1_3genE10ELNS1_11target_archE1201ELNS1_3gpuE5ELNS1_3repE0EEENS1_30default_config_static_selectorELNS0_4arch9wavefront6targetE1EEEvSK_, .Lfunc_end108-_ZN7rocprim17ROCPRIM_400000_NS6detail17trampoline_kernelINS0_14default_configENS1_22reduce_config_selectorIyEEZNS1_11reduce_implILb1ES3_N6thrust23THRUST_200600_302600_NS6detail15normal_iteratorINS8_10device_ptrIyEEEEPyyNS8_4plusIyEEEE10hipError_tPvRmT1_T2_T3_mT4_P12ihipStream_tbEUlT_E1_NS1_11comp_targetILNS1_3genE10ELNS1_11target_archE1201ELNS1_3gpuE5ELNS1_3repE0EEENS1_30default_config_static_selectorELNS0_4arch9wavefront6targetE1EEEvSK_
                                        ; -- End function
	.set _ZN7rocprim17ROCPRIM_400000_NS6detail17trampoline_kernelINS0_14default_configENS1_22reduce_config_selectorIyEEZNS1_11reduce_implILb1ES3_N6thrust23THRUST_200600_302600_NS6detail15normal_iteratorINS8_10device_ptrIyEEEEPyyNS8_4plusIyEEEE10hipError_tPvRmT1_T2_T3_mT4_P12ihipStream_tbEUlT_E1_NS1_11comp_targetILNS1_3genE10ELNS1_11target_archE1201ELNS1_3gpuE5ELNS1_3repE0EEENS1_30default_config_static_selectorELNS0_4arch9wavefront6targetE1EEEvSK_.num_vgpr, 0
	.set _ZN7rocprim17ROCPRIM_400000_NS6detail17trampoline_kernelINS0_14default_configENS1_22reduce_config_selectorIyEEZNS1_11reduce_implILb1ES3_N6thrust23THRUST_200600_302600_NS6detail15normal_iteratorINS8_10device_ptrIyEEEEPyyNS8_4plusIyEEEE10hipError_tPvRmT1_T2_T3_mT4_P12ihipStream_tbEUlT_E1_NS1_11comp_targetILNS1_3genE10ELNS1_11target_archE1201ELNS1_3gpuE5ELNS1_3repE0EEENS1_30default_config_static_selectorELNS0_4arch9wavefront6targetE1EEEvSK_.num_agpr, 0
	.set _ZN7rocprim17ROCPRIM_400000_NS6detail17trampoline_kernelINS0_14default_configENS1_22reduce_config_selectorIyEEZNS1_11reduce_implILb1ES3_N6thrust23THRUST_200600_302600_NS6detail15normal_iteratorINS8_10device_ptrIyEEEEPyyNS8_4plusIyEEEE10hipError_tPvRmT1_T2_T3_mT4_P12ihipStream_tbEUlT_E1_NS1_11comp_targetILNS1_3genE10ELNS1_11target_archE1201ELNS1_3gpuE5ELNS1_3repE0EEENS1_30default_config_static_selectorELNS0_4arch9wavefront6targetE1EEEvSK_.numbered_sgpr, 0
	.set _ZN7rocprim17ROCPRIM_400000_NS6detail17trampoline_kernelINS0_14default_configENS1_22reduce_config_selectorIyEEZNS1_11reduce_implILb1ES3_N6thrust23THRUST_200600_302600_NS6detail15normal_iteratorINS8_10device_ptrIyEEEEPyyNS8_4plusIyEEEE10hipError_tPvRmT1_T2_T3_mT4_P12ihipStream_tbEUlT_E1_NS1_11comp_targetILNS1_3genE10ELNS1_11target_archE1201ELNS1_3gpuE5ELNS1_3repE0EEENS1_30default_config_static_selectorELNS0_4arch9wavefront6targetE1EEEvSK_.num_named_barrier, 0
	.set _ZN7rocprim17ROCPRIM_400000_NS6detail17trampoline_kernelINS0_14default_configENS1_22reduce_config_selectorIyEEZNS1_11reduce_implILb1ES3_N6thrust23THRUST_200600_302600_NS6detail15normal_iteratorINS8_10device_ptrIyEEEEPyyNS8_4plusIyEEEE10hipError_tPvRmT1_T2_T3_mT4_P12ihipStream_tbEUlT_E1_NS1_11comp_targetILNS1_3genE10ELNS1_11target_archE1201ELNS1_3gpuE5ELNS1_3repE0EEENS1_30default_config_static_selectorELNS0_4arch9wavefront6targetE1EEEvSK_.private_seg_size, 0
	.set _ZN7rocprim17ROCPRIM_400000_NS6detail17trampoline_kernelINS0_14default_configENS1_22reduce_config_selectorIyEEZNS1_11reduce_implILb1ES3_N6thrust23THRUST_200600_302600_NS6detail15normal_iteratorINS8_10device_ptrIyEEEEPyyNS8_4plusIyEEEE10hipError_tPvRmT1_T2_T3_mT4_P12ihipStream_tbEUlT_E1_NS1_11comp_targetILNS1_3genE10ELNS1_11target_archE1201ELNS1_3gpuE5ELNS1_3repE0EEENS1_30default_config_static_selectorELNS0_4arch9wavefront6targetE1EEEvSK_.uses_vcc, 0
	.set _ZN7rocprim17ROCPRIM_400000_NS6detail17trampoline_kernelINS0_14default_configENS1_22reduce_config_selectorIyEEZNS1_11reduce_implILb1ES3_N6thrust23THRUST_200600_302600_NS6detail15normal_iteratorINS8_10device_ptrIyEEEEPyyNS8_4plusIyEEEE10hipError_tPvRmT1_T2_T3_mT4_P12ihipStream_tbEUlT_E1_NS1_11comp_targetILNS1_3genE10ELNS1_11target_archE1201ELNS1_3gpuE5ELNS1_3repE0EEENS1_30default_config_static_selectorELNS0_4arch9wavefront6targetE1EEEvSK_.uses_flat_scratch, 0
	.set _ZN7rocprim17ROCPRIM_400000_NS6detail17trampoline_kernelINS0_14default_configENS1_22reduce_config_selectorIyEEZNS1_11reduce_implILb1ES3_N6thrust23THRUST_200600_302600_NS6detail15normal_iteratorINS8_10device_ptrIyEEEEPyyNS8_4plusIyEEEE10hipError_tPvRmT1_T2_T3_mT4_P12ihipStream_tbEUlT_E1_NS1_11comp_targetILNS1_3genE10ELNS1_11target_archE1201ELNS1_3gpuE5ELNS1_3repE0EEENS1_30default_config_static_selectorELNS0_4arch9wavefront6targetE1EEEvSK_.has_dyn_sized_stack, 0
	.set _ZN7rocprim17ROCPRIM_400000_NS6detail17trampoline_kernelINS0_14default_configENS1_22reduce_config_selectorIyEEZNS1_11reduce_implILb1ES3_N6thrust23THRUST_200600_302600_NS6detail15normal_iteratorINS8_10device_ptrIyEEEEPyyNS8_4plusIyEEEE10hipError_tPvRmT1_T2_T3_mT4_P12ihipStream_tbEUlT_E1_NS1_11comp_targetILNS1_3genE10ELNS1_11target_archE1201ELNS1_3gpuE5ELNS1_3repE0EEENS1_30default_config_static_selectorELNS0_4arch9wavefront6targetE1EEEvSK_.has_recursion, 0
	.set _ZN7rocprim17ROCPRIM_400000_NS6detail17trampoline_kernelINS0_14default_configENS1_22reduce_config_selectorIyEEZNS1_11reduce_implILb1ES3_N6thrust23THRUST_200600_302600_NS6detail15normal_iteratorINS8_10device_ptrIyEEEEPyyNS8_4plusIyEEEE10hipError_tPvRmT1_T2_T3_mT4_P12ihipStream_tbEUlT_E1_NS1_11comp_targetILNS1_3genE10ELNS1_11target_archE1201ELNS1_3gpuE5ELNS1_3repE0EEENS1_30default_config_static_selectorELNS0_4arch9wavefront6targetE1EEEvSK_.has_indirect_call, 0
	.section	.AMDGPU.csdata,"",@progbits
; Kernel info:
; codeLenInByte = 0
; TotalNumSgprs: 6
; NumVgprs: 0
; NumAgprs: 0
; TotalNumVgprs: 0
; ScratchSize: 0
; MemoryBound: 0
; FloatMode: 240
; IeeeMode: 1
; LDSByteSize: 0 bytes/workgroup (compile time only)
; SGPRBlocks: 0
; VGPRBlocks: 0
; NumSGPRsForWavesPerEU: 6
; NumVGPRsForWavesPerEU: 1
; AccumOffset: 4
; Occupancy: 8
; WaveLimiterHint : 0
; COMPUTE_PGM_RSRC2:SCRATCH_EN: 0
; COMPUTE_PGM_RSRC2:USER_SGPR: 2
; COMPUTE_PGM_RSRC2:TRAP_HANDLER: 0
; COMPUTE_PGM_RSRC2:TGID_X_EN: 1
; COMPUTE_PGM_RSRC2:TGID_Y_EN: 0
; COMPUTE_PGM_RSRC2:TGID_Z_EN: 0
; COMPUTE_PGM_RSRC2:TIDIG_COMP_CNT: 0
; COMPUTE_PGM_RSRC3_GFX90A:ACCUM_OFFSET: 0
; COMPUTE_PGM_RSRC3_GFX90A:TG_SPLIT: 0
	.section	.text._ZN7rocprim17ROCPRIM_400000_NS6detail17trampoline_kernelINS0_14default_configENS1_22reduce_config_selectorIyEEZNS1_11reduce_implILb1ES3_N6thrust23THRUST_200600_302600_NS6detail15normal_iteratorINS8_10device_ptrIyEEEEPyyNS8_4plusIyEEEE10hipError_tPvRmT1_T2_T3_mT4_P12ihipStream_tbEUlT_E1_NS1_11comp_targetILNS1_3genE10ELNS1_11target_archE1200ELNS1_3gpuE4ELNS1_3repE0EEENS1_30default_config_static_selectorELNS0_4arch9wavefront6targetE1EEEvSK_,"axG",@progbits,_ZN7rocprim17ROCPRIM_400000_NS6detail17trampoline_kernelINS0_14default_configENS1_22reduce_config_selectorIyEEZNS1_11reduce_implILb1ES3_N6thrust23THRUST_200600_302600_NS6detail15normal_iteratorINS8_10device_ptrIyEEEEPyyNS8_4plusIyEEEE10hipError_tPvRmT1_T2_T3_mT4_P12ihipStream_tbEUlT_E1_NS1_11comp_targetILNS1_3genE10ELNS1_11target_archE1200ELNS1_3gpuE4ELNS1_3repE0EEENS1_30default_config_static_selectorELNS0_4arch9wavefront6targetE1EEEvSK_,comdat
	.protected	_ZN7rocprim17ROCPRIM_400000_NS6detail17trampoline_kernelINS0_14default_configENS1_22reduce_config_selectorIyEEZNS1_11reduce_implILb1ES3_N6thrust23THRUST_200600_302600_NS6detail15normal_iteratorINS8_10device_ptrIyEEEEPyyNS8_4plusIyEEEE10hipError_tPvRmT1_T2_T3_mT4_P12ihipStream_tbEUlT_E1_NS1_11comp_targetILNS1_3genE10ELNS1_11target_archE1200ELNS1_3gpuE4ELNS1_3repE0EEENS1_30default_config_static_selectorELNS0_4arch9wavefront6targetE1EEEvSK_ ; -- Begin function _ZN7rocprim17ROCPRIM_400000_NS6detail17trampoline_kernelINS0_14default_configENS1_22reduce_config_selectorIyEEZNS1_11reduce_implILb1ES3_N6thrust23THRUST_200600_302600_NS6detail15normal_iteratorINS8_10device_ptrIyEEEEPyyNS8_4plusIyEEEE10hipError_tPvRmT1_T2_T3_mT4_P12ihipStream_tbEUlT_E1_NS1_11comp_targetILNS1_3genE10ELNS1_11target_archE1200ELNS1_3gpuE4ELNS1_3repE0EEENS1_30default_config_static_selectorELNS0_4arch9wavefront6targetE1EEEvSK_
	.globl	_ZN7rocprim17ROCPRIM_400000_NS6detail17trampoline_kernelINS0_14default_configENS1_22reduce_config_selectorIyEEZNS1_11reduce_implILb1ES3_N6thrust23THRUST_200600_302600_NS6detail15normal_iteratorINS8_10device_ptrIyEEEEPyyNS8_4plusIyEEEE10hipError_tPvRmT1_T2_T3_mT4_P12ihipStream_tbEUlT_E1_NS1_11comp_targetILNS1_3genE10ELNS1_11target_archE1200ELNS1_3gpuE4ELNS1_3repE0EEENS1_30default_config_static_selectorELNS0_4arch9wavefront6targetE1EEEvSK_
	.p2align	8
	.type	_ZN7rocprim17ROCPRIM_400000_NS6detail17trampoline_kernelINS0_14default_configENS1_22reduce_config_selectorIyEEZNS1_11reduce_implILb1ES3_N6thrust23THRUST_200600_302600_NS6detail15normal_iteratorINS8_10device_ptrIyEEEEPyyNS8_4plusIyEEEE10hipError_tPvRmT1_T2_T3_mT4_P12ihipStream_tbEUlT_E1_NS1_11comp_targetILNS1_3genE10ELNS1_11target_archE1200ELNS1_3gpuE4ELNS1_3repE0EEENS1_30default_config_static_selectorELNS0_4arch9wavefront6targetE1EEEvSK_,@function
_ZN7rocprim17ROCPRIM_400000_NS6detail17trampoline_kernelINS0_14default_configENS1_22reduce_config_selectorIyEEZNS1_11reduce_implILb1ES3_N6thrust23THRUST_200600_302600_NS6detail15normal_iteratorINS8_10device_ptrIyEEEEPyyNS8_4plusIyEEEE10hipError_tPvRmT1_T2_T3_mT4_P12ihipStream_tbEUlT_E1_NS1_11comp_targetILNS1_3genE10ELNS1_11target_archE1200ELNS1_3gpuE4ELNS1_3repE0EEENS1_30default_config_static_selectorELNS0_4arch9wavefront6targetE1EEEvSK_: ; @_ZN7rocprim17ROCPRIM_400000_NS6detail17trampoline_kernelINS0_14default_configENS1_22reduce_config_selectorIyEEZNS1_11reduce_implILb1ES3_N6thrust23THRUST_200600_302600_NS6detail15normal_iteratorINS8_10device_ptrIyEEEEPyyNS8_4plusIyEEEE10hipError_tPvRmT1_T2_T3_mT4_P12ihipStream_tbEUlT_E1_NS1_11comp_targetILNS1_3genE10ELNS1_11target_archE1200ELNS1_3gpuE4ELNS1_3repE0EEENS1_30default_config_static_selectorELNS0_4arch9wavefront6targetE1EEEvSK_
; %bb.0:
	.section	.rodata,"a",@progbits
	.p2align	6, 0x0
	.amdhsa_kernel _ZN7rocprim17ROCPRIM_400000_NS6detail17trampoline_kernelINS0_14default_configENS1_22reduce_config_selectorIyEEZNS1_11reduce_implILb1ES3_N6thrust23THRUST_200600_302600_NS6detail15normal_iteratorINS8_10device_ptrIyEEEEPyyNS8_4plusIyEEEE10hipError_tPvRmT1_T2_T3_mT4_P12ihipStream_tbEUlT_E1_NS1_11comp_targetILNS1_3genE10ELNS1_11target_archE1200ELNS1_3gpuE4ELNS1_3repE0EEENS1_30default_config_static_selectorELNS0_4arch9wavefront6targetE1EEEvSK_
		.amdhsa_group_segment_fixed_size 0
		.amdhsa_private_segment_fixed_size 0
		.amdhsa_kernarg_size 48
		.amdhsa_user_sgpr_count 2
		.amdhsa_user_sgpr_dispatch_ptr 0
		.amdhsa_user_sgpr_queue_ptr 0
		.amdhsa_user_sgpr_kernarg_segment_ptr 1
		.amdhsa_user_sgpr_dispatch_id 0
		.amdhsa_user_sgpr_kernarg_preload_length 0
		.amdhsa_user_sgpr_kernarg_preload_offset 0
		.amdhsa_user_sgpr_private_segment_size 0
		.amdhsa_uses_dynamic_stack 0
		.amdhsa_enable_private_segment 0
		.amdhsa_system_sgpr_workgroup_id_x 1
		.amdhsa_system_sgpr_workgroup_id_y 0
		.amdhsa_system_sgpr_workgroup_id_z 0
		.amdhsa_system_sgpr_workgroup_info 0
		.amdhsa_system_vgpr_workitem_id 0
		.amdhsa_next_free_vgpr 1
		.amdhsa_next_free_sgpr 0
		.amdhsa_accum_offset 4
		.amdhsa_reserve_vcc 0
		.amdhsa_float_round_mode_32 0
		.amdhsa_float_round_mode_16_64 0
		.amdhsa_float_denorm_mode_32 3
		.amdhsa_float_denorm_mode_16_64 3
		.amdhsa_dx10_clamp 1
		.amdhsa_ieee_mode 1
		.amdhsa_fp16_overflow 0
		.amdhsa_tg_split 0
		.amdhsa_exception_fp_ieee_invalid_op 0
		.amdhsa_exception_fp_denorm_src 0
		.amdhsa_exception_fp_ieee_div_zero 0
		.amdhsa_exception_fp_ieee_overflow 0
		.amdhsa_exception_fp_ieee_underflow 0
		.amdhsa_exception_fp_ieee_inexact 0
		.amdhsa_exception_int_div_zero 0
	.end_amdhsa_kernel
	.section	.text._ZN7rocprim17ROCPRIM_400000_NS6detail17trampoline_kernelINS0_14default_configENS1_22reduce_config_selectorIyEEZNS1_11reduce_implILb1ES3_N6thrust23THRUST_200600_302600_NS6detail15normal_iteratorINS8_10device_ptrIyEEEEPyyNS8_4plusIyEEEE10hipError_tPvRmT1_T2_T3_mT4_P12ihipStream_tbEUlT_E1_NS1_11comp_targetILNS1_3genE10ELNS1_11target_archE1200ELNS1_3gpuE4ELNS1_3repE0EEENS1_30default_config_static_selectorELNS0_4arch9wavefront6targetE1EEEvSK_,"axG",@progbits,_ZN7rocprim17ROCPRIM_400000_NS6detail17trampoline_kernelINS0_14default_configENS1_22reduce_config_selectorIyEEZNS1_11reduce_implILb1ES3_N6thrust23THRUST_200600_302600_NS6detail15normal_iteratorINS8_10device_ptrIyEEEEPyyNS8_4plusIyEEEE10hipError_tPvRmT1_T2_T3_mT4_P12ihipStream_tbEUlT_E1_NS1_11comp_targetILNS1_3genE10ELNS1_11target_archE1200ELNS1_3gpuE4ELNS1_3repE0EEENS1_30default_config_static_selectorELNS0_4arch9wavefront6targetE1EEEvSK_,comdat
.Lfunc_end109:
	.size	_ZN7rocprim17ROCPRIM_400000_NS6detail17trampoline_kernelINS0_14default_configENS1_22reduce_config_selectorIyEEZNS1_11reduce_implILb1ES3_N6thrust23THRUST_200600_302600_NS6detail15normal_iteratorINS8_10device_ptrIyEEEEPyyNS8_4plusIyEEEE10hipError_tPvRmT1_T2_T3_mT4_P12ihipStream_tbEUlT_E1_NS1_11comp_targetILNS1_3genE10ELNS1_11target_archE1200ELNS1_3gpuE4ELNS1_3repE0EEENS1_30default_config_static_selectorELNS0_4arch9wavefront6targetE1EEEvSK_, .Lfunc_end109-_ZN7rocprim17ROCPRIM_400000_NS6detail17trampoline_kernelINS0_14default_configENS1_22reduce_config_selectorIyEEZNS1_11reduce_implILb1ES3_N6thrust23THRUST_200600_302600_NS6detail15normal_iteratorINS8_10device_ptrIyEEEEPyyNS8_4plusIyEEEE10hipError_tPvRmT1_T2_T3_mT4_P12ihipStream_tbEUlT_E1_NS1_11comp_targetILNS1_3genE10ELNS1_11target_archE1200ELNS1_3gpuE4ELNS1_3repE0EEENS1_30default_config_static_selectorELNS0_4arch9wavefront6targetE1EEEvSK_
                                        ; -- End function
	.set _ZN7rocprim17ROCPRIM_400000_NS6detail17trampoline_kernelINS0_14default_configENS1_22reduce_config_selectorIyEEZNS1_11reduce_implILb1ES3_N6thrust23THRUST_200600_302600_NS6detail15normal_iteratorINS8_10device_ptrIyEEEEPyyNS8_4plusIyEEEE10hipError_tPvRmT1_T2_T3_mT4_P12ihipStream_tbEUlT_E1_NS1_11comp_targetILNS1_3genE10ELNS1_11target_archE1200ELNS1_3gpuE4ELNS1_3repE0EEENS1_30default_config_static_selectorELNS0_4arch9wavefront6targetE1EEEvSK_.num_vgpr, 0
	.set _ZN7rocprim17ROCPRIM_400000_NS6detail17trampoline_kernelINS0_14default_configENS1_22reduce_config_selectorIyEEZNS1_11reduce_implILb1ES3_N6thrust23THRUST_200600_302600_NS6detail15normal_iteratorINS8_10device_ptrIyEEEEPyyNS8_4plusIyEEEE10hipError_tPvRmT1_T2_T3_mT4_P12ihipStream_tbEUlT_E1_NS1_11comp_targetILNS1_3genE10ELNS1_11target_archE1200ELNS1_3gpuE4ELNS1_3repE0EEENS1_30default_config_static_selectorELNS0_4arch9wavefront6targetE1EEEvSK_.num_agpr, 0
	.set _ZN7rocprim17ROCPRIM_400000_NS6detail17trampoline_kernelINS0_14default_configENS1_22reduce_config_selectorIyEEZNS1_11reduce_implILb1ES3_N6thrust23THRUST_200600_302600_NS6detail15normal_iteratorINS8_10device_ptrIyEEEEPyyNS8_4plusIyEEEE10hipError_tPvRmT1_T2_T3_mT4_P12ihipStream_tbEUlT_E1_NS1_11comp_targetILNS1_3genE10ELNS1_11target_archE1200ELNS1_3gpuE4ELNS1_3repE0EEENS1_30default_config_static_selectorELNS0_4arch9wavefront6targetE1EEEvSK_.numbered_sgpr, 0
	.set _ZN7rocprim17ROCPRIM_400000_NS6detail17trampoline_kernelINS0_14default_configENS1_22reduce_config_selectorIyEEZNS1_11reduce_implILb1ES3_N6thrust23THRUST_200600_302600_NS6detail15normal_iteratorINS8_10device_ptrIyEEEEPyyNS8_4plusIyEEEE10hipError_tPvRmT1_T2_T3_mT4_P12ihipStream_tbEUlT_E1_NS1_11comp_targetILNS1_3genE10ELNS1_11target_archE1200ELNS1_3gpuE4ELNS1_3repE0EEENS1_30default_config_static_selectorELNS0_4arch9wavefront6targetE1EEEvSK_.num_named_barrier, 0
	.set _ZN7rocprim17ROCPRIM_400000_NS6detail17trampoline_kernelINS0_14default_configENS1_22reduce_config_selectorIyEEZNS1_11reduce_implILb1ES3_N6thrust23THRUST_200600_302600_NS6detail15normal_iteratorINS8_10device_ptrIyEEEEPyyNS8_4plusIyEEEE10hipError_tPvRmT1_T2_T3_mT4_P12ihipStream_tbEUlT_E1_NS1_11comp_targetILNS1_3genE10ELNS1_11target_archE1200ELNS1_3gpuE4ELNS1_3repE0EEENS1_30default_config_static_selectorELNS0_4arch9wavefront6targetE1EEEvSK_.private_seg_size, 0
	.set _ZN7rocprim17ROCPRIM_400000_NS6detail17trampoline_kernelINS0_14default_configENS1_22reduce_config_selectorIyEEZNS1_11reduce_implILb1ES3_N6thrust23THRUST_200600_302600_NS6detail15normal_iteratorINS8_10device_ptrIyEEEEPyyNS8_4plusIyEEEE10hipError_tPvRmT1_T2_T3_mT4_P12ihipStream_tbEUlT_E1_NS1_11comp_targetILNS1_3genE10ELNS1_11target_archE1200ELNS1_3gpuE4ELNS1_3repE0EEENS1_30default_config_static_selectorELNS0_4arch9wavefront6targetE1EEEvSK_.uses_vcc, 0
	.set _ZN7rocprim17ROCPRIM_400000_NS6detail17trampoline_kernelINS0_14default_configENS1_22reduce_config_selectorIyEEZNS1_11reduce_implILb1ES3_N6thrust23THRUST_200600_302600_NS6detail15normal_iteratorINS8_10device_ptrIyEEEEPyyNS8_4plusIyEEEE10hipError_tPvRmT1_T2_T3_mT4_P12ihipStream_tbEUlT_E1_NS1_11comp_targetILNS1_3genE10ELNS1_11target_archE1200ELNS1_3gpuE4ELNS1_3repE0EEENS1_30default_config_static_selectorELNS0_4arch9wavefront6targetE1EEEvSK_.uses_flat_scratch, 0
	.set _ZN7rocprim17ROCPRIM_400000_NS6detail17trampoline_kernelINS0_14default_configENS1_22reduce_config_selectorIyEEZNS1_11reduce_implILb1ES3_N6thrust23THRUST_200600_302600_NS6detail15normal_iteratorINS8_10device_ptrIyEEEEPyyNS8_4plusIyEEEE10hipError_tPvRmT1_T2_T3_mT4_P12ihipStream_tbEUlT_E1_NS1_11comp_targetILNS1_3genE10ELNS1_11target_archE1200ELNS1_3gpuE4ELNS1_3repE0EEENS1_30default_config_static_selectorELNS0_4arch9wavefront6targetE1EEEvSK_.has_dyn_sized_stack, 0
	.set _ZN7rocprim17ROCPRIM_400000_NS6detail17trampoline_kernelINS0_14default_configENS1_22reduce_config_selectorIyEEZNS1_11reduce_implILb1ES3_N6thrust23THRUST_200600_302600_NS6detail15normal_iteratorINS8_10device_ptrIyEEEEPyyNS8_4plusIyEEEE10hipError_tPvRmT1_T2_T3_mT4_P12ihipStream_tbEUlT_E1_NS1_11comp_targetILNS1_3genE10ELNS1_11target_archE1200ELNS1_3gpuE4ELNS1_3repE0EEENS1_30default_config_static_selectorELNS0_4arch9wavefront6targetE1EEEvSK_.has_recursion, 0
	.set _ZN7rocprim17ROCPRIM_400000_NS6detail17trampoline_kernelINS0_14default_configENS1_22reduce_config_selectorIyEEZNS1_11reduce_implILb1ES3_N6thrust23THRUST_200600_302600_NS6detail15normal_iteratorINS8_10device_ptrIyEEEEPyyNS8_4plusIyEEEE10hipError_tPvRmT1_T2_T3_mT4_P12ihipStream_tbEUlT_E1_NS1_11comp_targetILNS1_3genE10ELNS1_11target_archE1200ELNS1_3gpuE4ELNS1_3repE0EEENS1_30default_config_static_selectorELNS0_4arch9wavefront6targetE1EEEvSK_.has_indirect_call, 0
	.section	.AMDGPU.csdata,"",@progbits
; Kernel info:
; codeLenInByte = 0
; TotalNumSgprs: 6
; NumVgprs: 0
; NumAgprs: 0
; TotalNumVgprs: 0
; ScratchSize: 0
; MemoryBound: 0
; FloatMode: 240
; IeeeMode: 1
; LDSByteSize: 0 bytes/workgroup (compile time only)
; SGPRBlocks: 0
; VGPRBlocks: 0
; NumSGPRsForWavesPerEU: 6
; NumVGPRsForWavesPerEU: 1
; AccumOffset: 4
; Occupancy: 8
; WaveLimiterHint : 0
; COMPUTE_PGM_RSRC2:SCRATCH_EN: 0
; COMPUTE_PGM_RSRC2:USER_SGPR: 2
; COMPUTE_PGM_RSRC2:TRAP_HANDLER: 0
; COMPUTE_PGM_RSRC2:TGID_X_EN: 1
; COMPUTE_PGM_RSRC2:TGID_Y_EN: 0
; COMPUTE_PGM_RSRC2:TGID_Z_EN: 0
; COMPUTE_PGM_RSRC2:TIDIG_COMP_CNT: 0
; COMPUTE_PGM_RSRC3_GFX90A:ACCUM_OFFSET: 0
; COMPUTE_PGM_RSRC3_GFX90A:TG_SPLIT: 0
	.section	.text._ZN7rocprim17ROCPRIM_400000_NS6detail17trampoline_kernelINS0_14default_configENS1_22reduce_config_selectorIyEEZNS1_11reduce_implILb1ES3_N6thrust23THRUST_200600_302600_NS6detail15normal_iteratorINS8_10device_ptrIyEEEEPyyNS8_4plusIyEEEE10hipError_tPvRmT1_T2_T3_mT4_P12ihipStream_tbEUlT_E1_NS1_11comp_targetILNS1_3genE9ELNS1_11target_archE1100ELNS1_3gpuE3ELNS1_3repE0EEENS1_30default_config_static_selectorELNS0_4arch9wavefront6targetE1EEEvSK_,"axG",@progbits,_ZN7rocprim17ROCPRIM_400000_NS6detail17trampoline_kernelINS0_14default_configENS1_22reduce_config_selectorIyEEZNS1_11reduce_implILb1ES3_N6thrust23THRUST_200600_302600_NS6detail15normal_iteratorINS8_10device_ptrIyEEEEPyyNS8_4plusIyEEEE10hipError_tPvRmT1_T2_T3_mT4_P12ihipStream_tbEUlT_E1_NS1_11comp_targetILNS1_3genE9ELNS1_11target_archE1100ELNS1_3gpuE3ELNS1_3repE0EEENS1_30default_config_static_selectorELNS0_4arch9wavefront6targetE1EEEvSK_,comdat
	.protected	_ZN7rocprim17ROCPRIM_400000_NS6detail17trampoline_kernelINS0_14default_configENS1_22reduce_config_selectorIyEEZNS1_11reduce_implILb1ES3_N6thrust23THRUST_200600_302600_NS6detail15normal_iteratorINS8_10device_ptrIyEEEEPyyNS8_4plusIyEEEE10hipError_tPvRmT1_T2_T3_mT4_P12ihipStream_tbEUlT_E1_NS1_11comp_targetILNS1_3genE9ELNS1_11target_archE1100ELNS1_3gpuE3ELNS1_3repE0EEENS1_30default_config_static_selectorELNS0_4arch9wavefront6targetE1EEEvSK_ ; -- Begin function _ZN7rocprim17ROCPRIM_400000_NS6detail17trampoline_kernelINS0_14default_configENS1_22reduce_config_selectorIyEEZNS1_11reduce_implILb1ES3_N6thrust23THRUST_200600_302600_NS6detail15normal_iteratorINS8_10device_ptrIyEEEEPyyNS8_4plusIyEEEE10hipError_tPvRmT1_T2_T3_mT4_P12ihipStream_tbEUlT_E1_NS1_11comp_targetILNS1_3genE9ELNS1_11target_archE1100ELNS1_3gpuE3ELNS1_3repE0EEENS1_30default_config_static_selectorELNS0_4arch9wavefront6targetE1EEEvSK_
	.globl	_ZN7rocprim17ROCPRIM_400000_NS6detail17trampoline_kernelINS0_14default_configENS1_22reduce_config_selectorIyEEZNS1_11reduce_implILb1ES3_N6thrust23THRUST_200600_302600_NS6detail15normal_iteratorINS8_10device_ptrIyEEEEPyyNS8_4plusIyEEEE10hipError_tPvRmT1_T2_T3_mT4_P12ihipStream_tbEUlT_E1_NS1_11comp_targetILNS1_3genE9ELNS1_11target_archE1100ELNS1_3gpuE3ELNS1_3repE0EEENS1_30default_config_static_selectorELNS0_4arch9wavefront6targetE1EEEvSK_
	.p2align	8
	.type	_ZN7rocprim17ROCPRIM_400000_NS6detail17trampoline_kernelINS0_14default_configENS1_22reduce_config_selectorIyEEZNS1_11reduce_implILb1ES3_N6thrust23THRUST_200600_302600_NS6detail15normal_iteratorINS8_10device_ptrIyEEEEPyyNS8_4plusIyEEEE10hipError_tPvRmT1_T2_T3_mT4_P12ihipStream_tbEUlT_E1_NS1_11comp_targetILNS1_3genE9ELNS1_11target_archE1100ELNS1_3gpuE3ELNS1_3repE0EEENS1_30default_config_static_selectorELNS0_4arch9wavefront6targetE1EEEvSK_,@function
_ZN7rocprim17ROCPRIM_400000_NS6detail17trampoline_kernelINS0_14default_configENS1_22reduce_config_selectorIyEEZNS1_11reduce_implILb1ES3_N6thrust23THRUST_200600_302600_NS6detail15normal_iteratorINS8_10device_ptrIyEEEEPyyNS8_4plusIyEEEE10hipError_tPvRmT1_T2_T3_mT4_P12ihipStream_tbEUlT_E1_NS1_11comp_targetILNS1_3genE9ELNS1_11target_archE1100ELNS1_3gpuE3ELNS1_3repE0EEENS1_30default_config_static_selectorELNS0_4arch9wavefront6targetE1EEEvSK_: ; @_ZN7rocprim17ROCPRIM_400000_NS6detail17trampoline_kernelINS0_14default_configENS1_22reduce_config_selectorIyEEZNS1_11reduce_implILb1ES3_N6thrust23THRUST_200600_302600_NS6detail15normal_iteratorINS8_10device_ptrIyEEEEPyyNS8_4plusIyEEEE10hipError_tPvRmT1_T2_T3_mT4_P12ihipStream_tbEUlT_E1_NS1_11comp_targetILNS1_3genE9ELNS1_11target_archE1100ELNS1_3gpuE3ELNS1_3repE0EEENS1_30default_config_static_selectorELNS0_4arch9wavefront6targetE1EEEvSK_
; %bb.0:
	.section	.rodata,"a",@progbits
	.p2align	6, 0x0
	.amdhsa_kernel _ZN7rocprim17ROCPRIM_400000_NS6detail17trampoline_kernelINS0_14default_configENS1_22reduce_config_selectorIyEEZNS1_11reduce_implILb1ES3_N6thrust23THRUST_200600_302600_NS6detail15normal_iteratorINS8_10device_ptrIyEEEEPyyNS8_4plusIyEEEE10hipError_tPvRmT1_T2_T3_mT4_P12ihipStream_tbEUlT_E1_NS1_11comp_targetILNS1_3genE9ELNS1_11target_archE1100ELNS1_3gpuE3ELNS1_3repE0EEENS1_30default_config_static_selectorELNS0_4arch9wavefront6targetE1EEEvSK_
		.amdhsa_group_segment_fixed_size 0
		.amdhsa_private_segment_fixed_size 0
		.amdhsa_kernarg_size 48
		.amdhsa_user_sgpr_count 2
		.amdhsa_user_sgpr_dispatch_ptr 0
		.amdhsa_user_sgpr_queue_ptr 0
		.amdhsa_user_sgpr_kernarg_segment_ptr 1
		.amdhsa_user_sgpr_dispatch_id 0
		.amdhsa_user_sgpr_kernarg_preload_length 0
		.amdhsa_user_sgpr_kernarg_preload_offset 0
		.amdhsa_user_sgpr_private_segment_size 0
		.amdhsa_uses_dynamic_stack 0
		.amdhsa_enable_private_segment 0
		.amdhsa_system_sgpr_workgroup_id_x 1
		.amdhsa_system_sgpr_workgroup_id_y 0
		.amdhsa_system_sgpr_workgroup_id_z 0
		.amdhsa_system_sgpr_workgroup_info 0
		.amdhsa_system_vgpr_workitem_id 0
		.amdhsa_next_free_vgpr 1
		.amdhsa_next_free_sgpr 0
		.amdhsa_accum_offset 4
		.amdhsa_reserve_vcc 0
		.amdhsa_float_round_mode_32 0
		.amdhsa_float_round_mode_16_64 0
		.amdhsa_float_denorm_mode_32 3
		.amdhsa_float_denorm_mode_16_64 3
		.amdhsa_dx10_clamp 1
		.amdhsa_ieee_mode 1
		.amdhsa_fp16_overflow 0
		.amdhsa_tg_split 0
		.amdhsa_exception_fp_ieee_invalid_op 0
		.amdhsa_exception_fp_denorm_src 0
		.amdhsa_exception_fp_ieee_div_zero 0
		.amdhsa_exception_fp_ieee_overflow 0
		.amdhsa_exception_fp_ieee_underflow 0
		.amdhsa_exception_fp_ieee_inexact 0
		.amdhsa_exception_int_div_zero 0
	.end_amdhsa_kernel
	.section	.text._ZN7rocprim17ROCPRIM_400000_NS6detail17trampoline_kernelINS0_14default_configENS1_22reduce_config_selectorIyEEZNS1_11reduce_implILb1ES3_N6thrust23THRUST_200600_302600_NS6detail15normal_iteratorINS8_10device_ptrIyEEEEPyyNS8_4plusIyEEEE10hipError_tPvRmT1_T2_T3_mT4_P12ihipStream_tbEUlT_E1_NS1_11comp_targetILNS1_3genE9ELNS1_11target_archE1100ELNS1_3gpuE3ELNS1_3repE0EEENS1_30default_config_static_selectorELNS0_4arch9wavefront6targetE1EEEvSK_,"axG",@progbits,_ZN7rocprim17ROCPRIM_400000_NS6detail17trampoline_kernelINS0_14default_configENS1_22reduce_config_selectorIyEEZNS1_11reduce_implILb1ES3_N6thrust23THRUST_200600_302600_NS6detail15normal_iteratorINS8_10device_ptrIyEEEEPyyNS8_4plusIyEEEE10hipError_tPvRmT1_T2_T3_mT4_P12ihipStream_tbEUlT_E1_NS1_11comp_targetILNS1_3genE9ELNS1_11target_archE1100ELNS1_3gpuE3ELNS1_3repE0EEENS1_30default_config_static_selectorELNS0_4arch9wavefront6targetE1EEEvSK_,comdat
.Lfunc_end110:
	.size	_ZN7rocprim17ROCPRIM_400000_NS6detail17trampoline_kernelINS0_14default_configENS1_22reduce_config_selectorIyEEZNS1_11reduce_implILb1ES3_N6thrust23THRUST_200600_302600_NS6detail15normal_iteratorINS8_10device_ptrIyEEEEPyyNS8_4plusIyEEEE10hipError_tPvRmT1_T2_T3_mT4_P12ihipStream_tbEUlT_E1_NS1_11comp_targetILNS1_3genE9ELNS1_11target_archE1100ELNS1_3gpuE3ELNS1_3repE0EEENS1_30default_config_static_selectorELNS0_4arch9wavefront6targetE1EEEvSK_, .Lfunc_end110-_ZN7rocprim17ROCPRIM_400000_NS6detail17trampoline_kernelINS0_14default_configENS1_22reduce_config_selectorIyEEZNS1_11reduce_implILb1ES3_N6thrust23THRUST_200600_302600_NS6detail15normal_iteratorINS8_10device_ptrIyEEEEPyyNS8_4plusIyEEEE10hipError_tPvRmT1_T2_T3_mT4_P12ihipStream_tbEUlT_E1_NS1_11comp_targetILNS1_3genE9ELNS1_11target_archE1100ELNS1_3gpuE3ELNS1_3repE0EEENS1_30default_config_static_selectorELNS0_4arch9wavefront6targetE1EEEvSK_
                                        ; -- End function
	.set _ZN7rocprim17ROCPRIM_400000_NS6detail17trampoline_kernelINS0_14default_configENS1_22reduce_config_selectorIyEEZNS1_11reduce_implILb1ES3_N6thrust23THRUST_200600_302600_NS6detail15normal_iteratorINS8_10device_ptrIyEEEEPyyNS8_4plusIyEEEE10hipError_tPvRmT1_T2_T3_mT4_P12ihipStream_tbEUlT_E1_NS1_11comp_targetILNS1_3genE9ELNS1_11target_archE1100ELNS1_3gpuE3ELNS1_3repE0EEENS1_30default_config_static_selectorELNS0_4arch9wavefront6targetE1EEEvSK_.num_vgpr, 0
	.set _ZN7rocprim17ROCPRIM_400000_NS6detail17trampoline_kernelINS0_14default_configENS1_22reduce_config_selectorIyEEZNS1_11reduce_implILb1ES3_N6thrust23THRUST_200600_302600_NS6detail15normal_iteratorINS8_10device_ptrIyEEEEPyyNS8_4plusIyEEEE10hipError_tPvRmT1_T2_T3_mT4_P12ihipStream_tbEUlT_E1_NS1_11comp_targetILNS1_3genE9ELNS1_11target_archE1100ELNS1_3gpuE3ELNS1_3repE0EEENS1_30default_config_static_selectorELNS0_4arch9wavefront6targetE1EEEvSK_.num_agpr, 0
	.set _ZN7rocprim17ROCPRIM_400000_NS6detail17trampoline_kernelINS0_14default_configENS1_22reduce_config_selectorIyEEZNS1_11reduce_implILb1ES3_N6thrust23THRUST_200600_302600_NS6detail15normal_iteratorINS8_10device_ptrIyEEEEPyyNS8_4plusIyEEEE10hipError_tPvRmT1_T2_T3_mT4_P12ihipStream_tbEUlT_E1_NS1_11comp_targetILNS1_3genE9ELNS1_11target_archE1100ELNS1_3gpuE3ELNS1_3repE0EEENS1_30default_config_static_selectorELNS0_4arch9wavefront6targetE1EEEvSK_.numbered_sgpr, 0
	.set _ZN7rocprim17ROCPRIM_400000_NS6detail17trampoline_kernelINS0_14default_configENS1_22reduce_config_selectorIyEEZNS1_11reduce_implILb1ES3_N6thrust23THRUST_200600_302600_NS6detail15normal_iteratorINS8_10device_ptrIyEEEEPyyNS8_4plusIyEEEE10hipError_tPvRmT1_T2_T3_mT4_P12ihipStream_tbEUlT_E1_NS1_11comp_targetILNS1_3genE9ELNS1_11target_archE1100ELNS1_3gpuE3ELNS1_3repE0EEENS1_30default_config_static_selectorELNS0_4arch9wavefront6targetE1EEEvSK_.num_named_barrier, 0
	.set _ZN7rocprim17ROCPRIM_400000_NS6detail17trampoline_kernelINS0_14default_configENS1_22reduce_config_selectorIyEEZNS1_11reduce_implILb1ES3_N6thrust23THRUST_200600_302600_NS6detail15normal_iteratorINS8_10device_ptrIyEEEEPyyNS8_4plusIyEEEE10hipError_tPvRmT1_T2_T3_mT4_P12ihipStream_tbEUlT_E1_NS1_11comp_targetILNS1_3genE9ELNS1_11target_archE1100ELNS1_3gpuE3ELNS1_3repE0EEENS1_30default_config_static_selectorELNS0_4arch9wavefront6targetE1EEEvSK_.private_seg_size, 0
	.set _ZN7rocprim17ROCPRIM_400000_NS6detail17trampoline_kernelINS0_14default_configENS1_22reduce_config_selectorIyEEZNS1_11reduce_implILb1ES3_N6thrust23THRUST_200600_302600_NS6detail15normal_iteratorINS8_10device_ptrIyEEEEPyyNS8_4plusIyEEEE10hipError_tPvRmT1_T2_T3_mT4_P12ihipStream_tbEUlT_E1_NS1_11comp_targetILNS1_3genE9ELNS1_11target_archE1100ELNS1_3gpuE3ELNS1_3repE0EEENS1_30default_config_static_selectorELNS0_4arch9wavefront6targetE1EEEvSK_.uses_vcc, 0
	.set _ZN7rocprim17ROCPRIM_400000_NS6detail17trampoline_kernelINS0_14default_configENS1_22reduce_config_selectorIyEEZNS1_11reduce_implILb1ES3_N6thrust23THRUST_200600_302600_NS6detail15normal_iteratorINS8_10device_ptrIyEEEEPyyNS8_4plusIyEEEE10hipError_tPvRmT1_T2_T3_mT4_P12ihipStream_tbEUlT_E1_NS1_11comp_targetILNS1_3genE9ELNS1_11target_archE1100ELNS1_3gpuE3ELNS1_3repE0EEENS1_30default_config_static_selectorELNS0_4arch9wavefront6targetE1EEEvSK_.uses_flat_scratch, 0
	.set _ZN7rocprim17ROCPRIM_400000_NS6detail17trampoline_kernelINS0_14default_configENS1_22reduce_config_selectorIyEEZNS1_11reduce_implILb1ES3_N6thrust23THRUST_200600_302600_NS6detail15normal_iteratorINS8_10device_ptrIyEEEEPyyNS8_4plusIyEEEE10hipError_tPvRmT1_T2_T3_mT4_P12ihipStream_tbEUlT_E1_NS1_11comp_targetILNS1_3genE9ELNS1_11target_archE1100ELNS1_3gpuE3ELNS1_3repE0EEENS1_30default_config_static_selectorELNS0_4arch9wavefront6targetE1EEEvSK_.has_dyn_sized_stack, 0
	.set _ZN7rocprim17ROCPRIM_400000_NS6detail17trampoline_kernelINS0_14default_configENS1_22reduce_config_selectorIyEEZNS1_11reduce_implILb1ES3_N6thrust23THRUST_200600_302600_NS6detail15normal_iteratorINS8_10device_ptrIyEEEEPyyNS8_4plusIyEEEE10hipError_tPvRmT1_T2_T3_mT4_P12ihipStream_tbEUlT_E1_NS1_11comp_targetILNS1_3genE9ELNS1_11target_archE1100ELNS1_3gpuE3ELNS1_3repE0EEENS1_30default_config_static_selectorELNS0_4arch9wavefront6targetE1EEEvSK_.has_recursion, 0
	.set _ZN7rocprim17ROCPRIM_400000_NS6detail17trampoline_kernelINS0_14default_configENS1_22reduce_config_selectorIyEEZNS1_11reduce_implILb1ES3_N6thrust23THRUST_200600_302600_NS6detail15normal_iteratorINS8_10device_ptrIyEEEEPyyNS8_4plusIyEEEE10hipError_tPvRmT1_T2_T3_mT4_P12ihipStream_tbEUlT_E1_NS1_11comp_targetILNS1_3genE9ELNS1_11target_archE1100ELNS1_3gpuE3ELNS1_3repE0EEENS1_30default_config_static_selectorELNS0_4arch9wavefront6targetE1EEEvSK_.has_indirect_call, 0
	.section	.AMDGPU.csdata,"",@progbits
; Kernel info:
; codeLenInByte = 0
; TotalNumSgprs: 6
; NumVgprs: 0
; NumAgprs: 0
; TotalNumVgprs: 0
; ScratchSize: 0
; MemoryBound: 0
; FloatMode: 240
; IeeeMode: 1
; LDSByteSize: 0 bytes/workgroup (compile time only)
; SGPRBlocks: 0
; VGPRBlocks: 0
; NumSGPRsForWavesPerEU: 6
; NumVGPRsForWavesPerEU: 1
; AccumOffset: 4
; Occupancy: 8
; WaveLimiterHint : 0
; COMPUTE_PGM_RSRC2:SCRATCH_EN: 0
; COMPUTE_PGM_RSRC2:USER_SGPR: 2
; COMPUTE_PGM_RSRC2:TRAP_HANDLER: 0
; COMPUTE_PGM_RSRC2:TGID_X_EN: 1
; COMPUTE_PGM_RSRC2:TGID_Y_EN: 0
; COMPUTE_PGM_RSRC2:TGID_Z_EN: 0
; COMPUTE_PGM_RSRC2:TIDIG_COMP_CNT: 0
; COMPUTE_PGM_RSRC3_GFX90A:ACCUM_OFFSET: 0
; COMPUTE_PGM_RSRC3_GFX90A:TG_SPLIT: 0
	.section	.text._ZN7rocprim17ROCPRIM_400000_NS6detail17trampoline_kernelINS0_14default_configENS1_22reduce_config_selectorIyEEZNS1_11reduce_implILb1ES3_N6thrust23THRUST_200600_302600_NS6detail15normal_iteratorINS8_10device_ptrIyEEEEPyyNS8_4plusIyEEEE10hipError_tPvRmT1_T2_T3_mT4_P12ihipStream_tbEUlT_E1_NS1_11comp_targetILNS1_3genE8ELNS1_11target_archE1030ELNS1_3gpuE2ELNS1_3repE0EEENS1_30default_config_static_selectorELNS0_4arch9wavefront6targetE1EEEvSK_,"axG",@progbits,_ZN7rocprim17ROCPRIM_400000_NS6detail17trampoline_kernelINS0_14default_configENS1_22reduce_config_selectorIyEEZNS1_11reduce_implILb1ES3_N6thrust23THRUST_200600_302600_NS6detail15normal_iteratorINS8_10device_ptrIyEEEEPyyNS8_4plusIyEEEE10hipError_tPvRmT1_T2_T3_mT4_P12ihipStream_tbEUlT_E1_NS1_11comp_targetILNS1_3genE8ELNS1_11target_archE1030ELNS1_3gpuE2ELNS1_3repE0EEENS1_30default_config_static_selectorELNS0_4arch9wavefront6targetE1EEEvSK_,comdat
	.protected	_ZN7rocprim17ROCPRIM_400000_NS6detail17trampoline_kernelINS0_14default_configENS1_22reduce_config_selectorIyEEZNS1_11reduce_implILb1ES3_N6thrust23THRUST_200600_302600_NS6detail15normal_iteratorINS8_10device_ptrIyEEEEPyyNS8_4plusIyEEEE10hipError_tPvRmT1_T2_T3_mT4_P12ihipStream_tbEUlT_E1_NS1_11comp_targetILNS1_3genE8ELNS1_11target_archE1030ELNS1_3gpuE2ELNS1_3repE0EEENS1_30default_config_static_selectorELNS0_4arch9wavefront6targetE1EEEvSK_ ; -- Begin function _ZN7rocprim17ROCPRIM_400000_NS6detail17trampoline_kernelINS0_14default_configENS1_22reduce_config_selectorIyEEZNS1_11reduce_implILb1ES3_N6thrust23THRUST_200600_302600_NS6detail15normal_iteratorINS8_10device_ptrIyEEEEPyyNS8_4plusIyEEEE10hipError_tPvRmT1_T2_T3_mT4_P12ihipStream_tbEUlT_E1_NS1_11comp_targetILNS1_3genE8ELNS1_11target_archE1030ELNS1_3gpuE2ELNS1_3repE0EEENS1_30default_config_static_selectorELNS0_4arch9wavefront6targetE1EEEvSK_
	.globl	_ZN7rocprim17ROCPRIM_400000_NS6detail17trampoline_kernelINS0_14default_configENS1_22reduce_config_selectorIyEEZNS1_11reduce_implILb1ES3_N6thrust23THRUST_200600_302600_NS6detail15normal_iteratorINS8_10device_ptrIyEEEEPyyNS8_4plusIyEEEE10hipError_tPvRmT1_T2_T3_mT4_P12ihipStream_tbEUlT_E1_NS1_11comp_targetILNS1_3genE8ELNS1_11target_archE1030ELNS1_3gpuE2ELNS1_3repE0EEENS1_30default_config_static_selectorELNS0_4arch9wavefront6targetE1EEEvSK_
	.p2align	8
	.type	_ZN7rocprim17ROCPRIM_400000_NS6detail17trampoline_kernelINS0_14default_configENS1_22reduce_config_selectorIyEEZNS1_11reduce_implILb1ES3_N6thrust23THRUST_200600_302600_NS6detail15normal_iteratorINS8_10device_ptrIyEEEEPyyNS8_4plusIyEEEE10hipError_tPvRmT1_T2_T3_mT4_P12ihipStream_tbEUlT_E1_NS1_11comp_targetILNS1_3genE8ELNS1_11target_archE1030ELNS1_3gpuE2ELNS1_3repE0EEENS1_30default_config_static_selectorELNS0_4arch9wavefront6targetE1EEEvSK_,@function
_ZN7rocprim17ROCPRIM_400000_NS6detail17trampoline_kernelINS0_14default_configENS1_22reduce_config_selectorIyEEZNS1_11reduce_implILb1ES3_N6thrust23THRUST_200600_302600_NS6detail15normal_iteratorINS8_10device_ptrIyEEEEPyyNS8_4plusIyEEEE10hipError_tPvRmT1_T2_T3_mT4_P12ihipStream_tbEUlT_E1_NS1_11comp_targetILNS1_3genE8ELNS1_11target_archE1030ELNS1_3gpuE2ELNS1_3repE0EEENS1_30default_config_static_selectorELNS0_4arch9wavefront6targetE1EEEvSK_: ; @_ZN7rocprim17ROCPRIM_400000_NS6detail17trampoline_kernelINS0_14default_configENS1_22reduce_config_selectorIyEEZNS1_11reduce_implILb1ES3_N6thrust23THRUST_200600_302600_NS6detail15normal_iteratorINS8_10device_ptrIyEEEEPyyNS8_4plusIyEEEE10hipError_tPvRmT1_T2_T3_mT4_P12ihipStream_tbEUlT_E1_NS1_11comp_targetILNS1_3genE8ELNS1_11target_archE1030ELNS1_3gpuE2ELNS1_3repE0EEENS1_30default_config_static_selectorELNS0_4arch9wavefront6targetE1EEEvSK_
; %bb.0:
	.section	.rodata,"a",@progbits
	.p2align	6, 0x0
	.amdhsa_kernel _ZN7rocprim17ROCPRIM_400000_NS6detail17trampoline_kernelINS0_14default_configENS1_22reduce_config_selectorIyEEZNS1_11reduce_implILb1ES3_N6thrust23THRUST_200600_302600_NS6detail15normal_iteratorINS8_10device_ptrIyEEEEPyyNS8_4plusIyEEEE10hipError_tPvRmT1_T2_T3_mT4_P12ihipStream_tbEUlT_E1_NS1_11comp_targetILNS1_3genE8ELNS1_11target_archE1030ELNS1_3gpuE2ELNS1_3repE0EEENS1_30default_config_static_selectorELNS0_4arch9wavefront6targetE1EEEvSK_
		.amdhsa_group_segment_fixed_size 0
		.amdhsa_private_segment_fixed_size 0
		.amdhsa_kernarg_size 48
		.amdhsa_user_sgpr_count 2
		.amdhsa_user_sgpr_dispatch_ptr 0
		.amdhsa_user_sgpr_queue_ptr 0
		.amdhsa_user_sgpr_kernarg_segment_ptr 1
		.amdhsa_user_sgpr_dispatch_id 0
		.amdhsa_user_sgpr_kernarg_preload_length 0
		.amdhsa_user_sgpr_kernarg_preload_offset 0
		.amdhsa_user_sgpr_private_segment_size 0
		.amdhsa_uses_dynamic_stack 0
		.amdhsa_enable_private_segment 0
		.amdhsa_system_sgpr_workgroup_id_x 1
		.amdhsa_system_sgpr_workgroup_id_y 0
		.amdhsa_system_sgpr_workgroup_id_z 0
		.amdhsa_system_sgpr_workgroup_info 0
		.amdhsa_system_vgpr_workitem_id 0
		.amdhsa_next_free_vgpr 1
		.amdhsa_next_free_sgpr 0
		.amdhsa_accum_offset 4
		.amdhsa_reserve_vcc 0
		.amdhsa_float_round_mode_32 0
		.amdhsa_float_round_mode_16_64 0
		.amdhsa_float_denorm_mode_32 3
		.amdhsa_float_denorm_mode_16_64 3
		.amdhsa_dx10_clamp 1
		.amdhsa_ieee_mode 1
		.amdhsa_fp16_overflow 0
		.amdhsa_tg_split 0
		.amdhsa_exception_fp_ieee_invalid_op 0
		.amdhsa_exception_fp_denorm_src 0
		.amdhsa_exception_fp_ieee_div_zero 0
		.amdhsa_exception_fp_ieee_overflow 0
		.amdhsa_exception_fp_ieee_underflow 0
		.amdhsa_exception_fp_ieee_inexact 0
		.amdhsa_exception_int_div_zero 0
	.end_amdhsa_kernel
	.section	.text._ZN7rocprim17ROCPRIM_400000_NS6detail17trampoline_kernelINS0_14default_configENS1_22reduce_config_selectorIyEEZNS1_11reduce_implILb1ES3_N6thrust23THRUST_200600_302600_NS6detail15normal_iteratorINS8_10device_ptrIyEEEEPyyNS8_4plusIyEEEE10hipError_tPvRmT1_T2_T3_mT4_P12ihipStream_tbEUlT_E1_NS1_11comp_targetILNS1_3genE8ELNS1_11target_archE1030ELNS1_3gpuE2ELNS1_3repE0EEENS1_30default_config_static_selectorELNS0_4arch9wavefront6targetE1EEEvSK_,"axG",@progbits,_ZN7rocprim17ROCPRIM_400000_NS6detail17trampoline_kernelINS0_14default_configENS1_22reduce_config_selectorIyEEZNS1_11reduce_implILb1ES3_N6thrust23THRUST_200600_302600_NS6detail15normal_iteratorINS8_10device_ptrIyEEEEPyyNS8_4plusIyEEEE10hipError_tPvRmT1_T2_T3_mT4_P12ihipStream_tbEUlT_E1_NS1_11comp_targetILNS1_3genE8ELNS1_11target_archE1030ELNS1_3gpuE2ELNS1_3repE0EEENS1_30default_config_static_selectorELNS0_4arch9wavefront6targetE1EEEvSK_,comdat
.Lfunc_end111:
	.size	_ZN7rocprim17ROCPRIM_400000_NS6detail17trampoline_kernelINS0_14default_configENS1_22reduce_config_selectorIyEEZNS1_11reduce_implILb1ES3_N6thrust23THRUST_200600_302600_NS6detail15normal_iteratorINS8_10device_ptrIyEEEEPyyNS8_4plusIyEEEE10hipError_tPvRmT1_T2_T3_mT4_P12ihipStream_tbEUlT_E1_NS1_11comp_targetILNS1_3genE8ELNS1_11target_archE1030ELNS1_3gpuE2ELNS1_3repE0EEENS1_30default_config_static_selectorELNS0_4arch9wavefront6targetE1EEEvSK_, .Lfunc_end111-_ZN7rocprim17ROCPRIM_400000_NS6detail17trampoline_kernelINS0_14default_configENS1_22reduce_config_selectorIyEEZNS1_11reduce_implILb1ES3_N6thrust23THRUST_200600_302600_NS6detail15normal_iteratorINS8_10device_ptrIyEEEEPyyNS8_4plusIyEEEE10hipError_tPvRmT1_T2_T3_mT4_P12ihipStream_tbEUlT_E1_NS1_11comp_targetILNS1_3genE8ELNS1_11target_archE1030ELNS1_3gpuE2ELNS1_3repE0EEENS1_30default_config_static_selectorELNS0_4arch9wavefront6targetE1EEEvSK_
                                        ; -- End function
	.set _ZN7rocprim17ROCPRIM_400000_NS6detail17trampoline_kernelINS0_14default_configENS1_22reduce_config_selectorIyEEZNS1_11reduce_implILb1ES3_N6thrust23THRUST_200600_302600_NS6detail15normal_iteratorINS8_10device_ptrIyEEEEPyyNS8_4plusIyEEEE10hipError_tPvRmT1_T2_T3_mT4_P12ihipStream_tbEUlT_E1_NS1_11comp_targetILNS1_3genE8ELNS1_11target_archE1030ELNS1_3gpuE2ELNS1_3repE0EEENS1_30default_config_static_selectorELNS0_4arch9wavefront6targetE1EEEvSK_.num_vgpr, 0
	.set _ZN7rocprim17ROCPRIM_400000_NS6detail17trampoline_kernelINS0_14default_configENS1_22reduce_config_selectorIyEEZNS1_11reduce_implILb1ES3_N6thrust23THRUST_200600_302600_NS6detail15normal_iteratorINS8_10device_ptrIyEEEEPyyNS8_4plusIyEEEE10hipError_tPvRmT1_T2_T3_mT4_P12ihipStream_tbEUlT_E1_NS1_11comp_targetILNS1_3genE8ELNS1_11target_archE1030ELNS1_3gpuE2ELNS1_3repE0EEENS1_30default_config_static_selectorELNS0_4arch9wavefront6targetE1EEEvSK_.num_agpr, 0
	.set _ZN7rocprim17ROCPRIM_400000_NS6detail17trampoline_kernelINS0_14default_configENS1_22reduce_config_selectorIyEEZNS1_11reduce_implILb1ES3_N6thrust23THRUST_200600_302600_NS6detail15normal_iteratorINS8_10device_ptrIyEEEEPyyNS8_4plusIyEEEE10hipError_tPvRmT1_T2_T3_mT4_P12ihipStream_tbEUlT_E1_NS1_11comp_targetILNS1_3genE8ELNS1_11target_archE1030ELNS1_3gpuE2ELNS1_3repE0EEENS1_30default_config_static_selectorELNS0_4arch9wavefront6targetE1EEEvSK_.numbered_sgpr, 0
	.set _ZN7rocprim17ROCPRIM_400000_NS6detail17trampoline_kernelINS0_14default_configENS1_22reduce_config_selectorIyEEZNS1_11reduce_implILb1ES3_N6thrust23THRUST_200600_302600_NS6detail15normal_iteratorINS8_10device_ptrIyEEEEPyyNS8_4plusIyEEEE10hipError_tPvRmT1_T2_T3_mT4_P12ihipStream_tbEUlT_E1_NS1_11comp_targetILNS1_3genE8ELNS1_11target_archE1030ELNS1_3gpuE2ELNS1_3repE0EEENS1_30default_config_static_selectorELNS0_4arch9wavefront6targetE1EEEvSK_.num_named_barrier, 0
	.set _ZN7rocprim17ROCPRIM_400000_NS6detail17trampoline_kernelINS0_14default_configENS1_22reduce_config_selectorIyEEZNS1_11reduce_implILb1ES3_N6thrust23THRUST_200600_302600_NS6detail15normal_iteratorINS8_10device_ptrIyEEEEPyyNS8_4plusIyEEEE10hipError_tPvRmT1_T2_T3_mT4_P12ihipStream_tbEUlT_E1_NS1_11comp_targetILNS1_3genE8ELNS1_11target_archE1030ELNS1_3gpuE2ELNS1_3repE0EEENS1_30default_config_static_selectorELNS0_4arch9wavefront6targetE1EEEvSK_.private_seg_size, 0
	.set _ZN7rocprim17ROCPRIM_400000_NS6detail17trampoline_kernelINS0_14default_configENS1_22reduce_config_selectorIyEEZNS1_11reduce_implILb1ES3_N6thrust23THRUST_200600_302600_NS6detail15normal_iteratorINS8_10device_ptrIyEEEEPyyNS8_4plusIyEEEE10hipError_tPvRmT1_T2_T3_mT4_P12ihipStream_tbEUlT_E1_NS1_11comp_targetILNS1_3genE8ELNS1_11target_archE1030ELNS1_3gpuE2ELNS1_3repE0EEENS1_30default_config_static_selectorELNS0_4arch9wavefront6targetE1EEEvSK_.uses_vcc, 0
	.set _ZN7rocprim17ROCPRIM_400000_NS6detail17trampoline_kernelINS0_14default_configENS1_22reduce_config_selectorIyEEZNS1_11reduce_implILb1ES3_N6thrust23THRUST_200600_302600_NS6detail15normal_iteratorINS8_10device_ptrIyEEEEPyyNS8_4plusIyEEEE10hipError_tPvRmT1_T2_T3_mT4_P12ihipStream_tbEUlT_E1_NS1_11comp_targetILNS1_3genE8ELNS1_11target_archE1030ELNS1_3gpuE2ELNS1_3repE0EEENS1_30default_config_static_selectorELNS0_4arch9wavefront6targetE1EEEvSK_.uses_flat_scratch, 0
	.set _ZN7rocprim17ROCPRIM_400000_NS6detail17trampoline_kernelINS0_14default_configENS1_22reduce_config_selectorIyEEZNS1_11reduce_implILb1ES3_N6thrust23THRUST_200600_302600_NS6detail15normal_iteratorINS8_10device_ptrIyEEEEPyyNS8_4plusIyEEEE10hipError_tPvRmT1_T2_T3_mT4_P12ihipStream_tbEUlT_E1_NS1_11comp_targetILNS1_3genE8ELNS1_11target_archE1030ELNS1_3gpuE2ELNS1_3repE0EEENS1_30default_config_static_selectorELNS0_4arch9wavefront6targetE1EEEvSK_.has_dyn_sized_stack, 0
	.set _ZN7rocprim17ROCPRIM_400000_NS6detail17trampoline_kernelINS0_14default_configENS1_22reduce_config_selectorIyEEZNS1_11reduce_implILb1ES3_N6thrust23THRUST_200600_302600_NS6detail15normal_iteratorINS8_10device_ptrIyEEEEPyyNS8_4plusIyEEEE10hipError_tPvRmT1_T2_T3_mT4_P12ihipStream_tbEUlT_E1_NS1_11comp_targetILNS1_3genE8ELNS1_11target_archE1030ELNS1_3gpuE2ELNS1_3repE0EEENS1_30default_config_static_selectorELNS0_4arch9wavefront6targetE1EEEvSK_.has_recursion, 0
	.set _ZN7rocprim17ROCPRIM_400000_NS6detail17trampoline_kernelINS0_14default_configENS1_22reduce_config_selectorIyEEZNS1_11reduce_implILb1ES3_N6thrust23THRUST_200600_302600_NS6detail15normal_iteratorINS8_10device_ptrIyEEEEPyyNS8_4plusIyEEEE10hipError_tPvRmT1_T2_T3_mT4_P12ihipStream_tbEUlT_E1_NS1_11comp_targetILNS1_3genE8ELNS1_11target_archE1030ELNS1_3gpuE2ELNS1_3repE0EEENS1_30default_config_static_selectorELNS0_4arch9wavefront6targetE1EEEvSK_.has_indirect_call, 0
	.section	.AMDGPU.csdata,"",@progbits
; Kernel info:
; codeLenInByte = 0
; TotalNumSgprs: 6
; NumVgprs: 0
; NumAgprs: 0
; TotalNumVgprs: 0
; ScratchSize: 0
; MemoryBound: 0
; FloatMode: 240
; IeeeMode: 1
; LDSByteSize: 0 bytes/workgroup (compile time only)
; SGPRBlocks: 0
; VGPRBlocks: 0
; NumSGPRsForWavesPerEU: 6
; NumVGPRsForWavesPerEU: 1
; AccumOffset: 4
; Occupancy: 8
; WaveLimiterHint : 0
; COMPUTE_PGM_RSRC2:SCRATCH_EN: 0
; COMPUTE_PGM_RSRC2:USER_SGPR: 2
; COMPUTE_PGM_RSRC2:TRAP_HANDLER: 0
; COMPUTE_PGM_RSRC2:TGID_X_EN: 1
; COMPUTE_PGM_RSRC2:TGID_Y_EN: 0
; COMPUTE_PGM_RSRC2:TGID_Z_EN: 0
; COMPUTE_PGM_RSRC2:TIDIG_COMP_CNT: 0
; COMPUTE_PGM_RSRC3_GFX90A:ACCUM_OFFSET: 0
; COMPUTE_PGM_RSRC3_GFX90A:TG_SPLIT: 0
	.section	.text._ZN6thrust23THRUST_200600_302600_NS11hip_rocprim14__parallel_for6kernelILj256ENS1_20__uninitialized_fill7functorINS0_10device_ptrIjEEjEEmLj1EEEvT0_T1_SA_,"axG",@progbits,_ZN6thrust23THRUST_200600_302600_NS11hip_rocprim14__parallel_for6kernelILj256ENS1_20__uninitialized_fill7functorINS0_10device_ptrIjEEjEEmLj1EEEvT0_T1_SA_,comdat
	.protected	_ZN6thrust23THRUST_200600_302600_NS11hip_rocprim14__parallel_for6kernelILj256ENS1_20__uninitialized_fill7functorINS0_10device_ptrIjEEjEEmLj1EEEvT0_T1_SA_ ; -- Begin function _ZN6thrust23THRUST_200600_302600_NS11hip_rocprim14__parallel_for6kernelILj256ENS1_20__uninitialized_fill7functorINS0_10device_ptrIjEEjEEmLj1EEEvT0_T1_SA_
	.globl	_ZN6thrust23THRUST_200600_302600_NS11hip_rocprim14__parallel_for6kernelILj256ENS1_20__uninitialized_fill7functorINS0_10device_ptrIjEEjEEmLj1EEEvT0_T1_SA_
	.p2align	8
	.type	_ZN6thrust23THRUST_200600_302600_NS11hip_rocprim14__parallel_for6kernelILj256ENS1_20__uninitialized_fill7functorINS0_10device_ptrIjEEjEEmLj1EEEvT0_T1_SA_,@function
_ZN6thrust23THRUST_200600_302600_NS11hip_rocprim14__parallel_for6kernelILj256ENS1_20__uninitialized_fill7functorINS0_10device_ptrIjEEjEEmLj1EEEvT0_T1_SA_: ; @_ZN6thrust23THRUST_200600_302600_NS11hip_rocprim14__parallel_for6kernelILj256ENS1_20__uninitialized_fill7functorINS0_10device_ptrIjEEjEEmLj1EEEvT0_T1_SA_
; %bb.0:
	s_load_dwordx4 s[12:15], s[0:1], 0x10
	s_load_dwordx2 s[4:5], s[0:1], 0x0
	s_load_dword s8, s[0:1], 0x8
	s_lshl_b32 s0, s2, 8
	v_mov_b64_e32 v[2:3], 0xff
	s_waitcnt lgkmcnt(0)
	s_add_u32 s0, s14, s0
	s_addc_u32 s1, s15, 0
	s_sub_u32 s2, s12, s0
	s_subb_u32 s3, s13, s1
	v_cmp_gt_u64_e32 vcc, s[2:3], v[2:3]
	s_mov_b64 s[6:7], -1
	s_cbranch_vccz .LBB112_3
; %bb.1:
	s_andn2_b64 vcc, exec, s[6:7]
	s_cbranch_vccz .LBB112_6
.LBB112_2:
	s_endpgm
.LBB112_3:
	v_cmp_gt_u32_e32 vcc, s2, v0
	s_and_saveexec_b64 s[2:3], vcc
	s_cbranch_execz .LBB112_5
; %bb.4:
	s_lshl_b64 s[6:7], s[0:1], 2
	s_add_u32 s6, s4, s6
	s_addc_u32 s7, s5, s7
	v_lshlrev_b32_e32 v2, 2, v0
	v_mov_b32_e32 v3, 0
	v_lshl_add_u64 v[2:3], s[6:7], 0, v[2:3]
	v_mov_b32_e32 v1, s8
	flat_store_dword v[2:3], v1
.LBB112_5:
	s_or_b64 exec, exec, s[2:3]
	s_cbranch_execnz .LBB112_2
.LBB112_6:
	s_lshl_b64 s[0:1], s[0:1], 2
	s_add_u32 s0, s4, s0
	s_addc_u32 s1, s5, s1
	v_lshlrev_b32_e32 v0, 2, v0
	v_mov_b32_e32 v1, 0
	v_lshl_add_u64 v[0:1], s[0:1], 0, v[0:1]
	v_mov_b32_e32 v2, s8
	flat_store_dword v[0:1], v2
	s_endpgm
	.section	.rodata,"a",@progbits
	.p2align	6, 0x0
	.amdhsa_kernel _ZN6thrust23THRUST_200600_302600_NS11hip_rocprim14__parallel_for6kernelILj256ENS1_20__uninitialized_fill7functorINS0_10device_ptrIjEEjEEmLj1EEEvT0_T1_SA_
		.amdhsa_group_segment_fixed_size 0
		.amdhsa_private_segment_fixed_size 0
		.amdhsa_kernarg_size 32
		.amdhsa_user_sgpr_count 2
		.amdhsa_user_sgpr_dispatch_ptr 0
		.amdhsa_user_sgpr_queue_ptr 0
		.amdhsa_user_sgpr_kernarg_segment_ptr 1
		.amdhsa_user_sgpr_dispatch_id 0
		.amdhsa_user_sgpr_kernarg_preload_length 0
		.amdhsa_user_sgpr_kernarg_preload_offset 0
		.amdhsa_user_sgpr_private_segment_size 0
		.amdhsa_uses_dynamic_stack 0
		.amdhsa_enable_private_segment 0
		.amdhsa_system_sgpr_workgroup_id_x 1
		.amdhsa_system_sgpr_workgroup_id_y 0
		.amdhsa_system_sgpr_workgroup_id_z 0
		.amdhsa_system_sgpr_workgroup_info 0
		.amdhsa_system_vgpr_workitem_id 0
		.amdhsa_next_free_vgpr 4
		.amdhsa_next_free_sgpr 16
		.amdhsa_accum_offset 4
		.amdhsa_reserve_vcc 1
		.amdhsa_float_round_mode_32 0
		.amdhsa_float_round_mode_16_64 0
		.amdhsa_float_denorm_mode_32 3
		.amdhsa_float_denorm_mode_16_64 3
		.amdhsa_dx10_clamp 1
		.amdhsa_ieee_mode 1
		.amdhsa_fp16_overflow 0
		.amdhsa_tg_split 0
		.amdhsa_exception_fp_ieee_invalid_op 0
		.amdhsa_exception_fp_denorm_src 0
		.amdhsa_exception_fp_ieee_div_zero 0
		.amdhsa_exception_fp_ieee_overflow 0
		.amdhsa_exception_fp_ieee_underflow 0
		.amdhsa_exception_fp_ieee_inexact 0
		.amdhsa_exception_int_div_zero 0
	.end_amdhsa_kernel
	.section	.text._ZN6thrust23THRUST_200600_302600_NS11hip_rocprim14__parallel_for6kernelILj256ENS1_20__uninitialized_fill7functorINS0_10device_ptrIjEEjEEmLj1EEEvT0_T1_SA_,"axG",@progbits,_ZN6thrust23THRUST_200600_302600_NS11hip_rocprim14__parallel_for6kernelILj256ENS1_20__uninitialized_fill7functorINS0_10device_ptrIjEEjEEmLj1EEEvT0_T1_SA_,comdat
.Lfunc_end112:
	.size	_ZN6thrust23THRUST_200600_302600_NS11hip_rocprim14__parallel_for6kernelILj256ENS1_20__uninitialized_fill7functorINS0_10device_ptrIjEEjEEmLj1EEEvT0_T1_SA_, .Lfunc_end112-_ZN6thrust23THRUST_200600_302600_NS11hip_rocprim14__parallel_for6kernelILj256ENS1_20__uninitialized_fill7functorINS0_10device_ptrIjEEjEEmLj1EEEvT0_T1_SA_
                                        ; -- End function
	.set _ZN6thrust23THRUST_200600_302600_NS11hip_rocprim14__parallel_for6kernelILj256ENS1_20__uninitialized_fill7functorINS0_10device_ptrIjEEjEEmLj1EEEvT0_T1_SA_.num_vgpr, 4
	.set _ZN6thrust23THRUST_200600_302600_NS11hip_rocprim14__parallel_for6kernelILj256ENS1_20__uninitialized_fill7functorINS0_10device_ptrIjEEjEEmLj1EEEvT0_T1_SA_.num_agpr, 0
	.set _ZN6thrust23THRUST_200600_302600_NS11hip_rocprim14__parallel_for6kernelILj256ENS1_20__uninitialized_fill7functorINS0_10device_ptrIjEEjEEmLj1EEEvT0_T1_SA_.numbered_sgpr, 16
	.set _ZN6thrust23THRUST_200600_302600_NS11hip_rocprim14__parallel_for6kernelILj256ENS1_20__uninitialized_fill7functorINS0_10device_ptrIjEEjEEmLj1EEEvT0_T1_SA_.num_named_barrier, 0
	.set _ZN6thrust23THRUST_200600_302600_NS11hip_rocprim14__parallel_for6kernelILj256ENS1_20__uninitialized_fill7functorINS0_10device_ptrIjEEjEEmLj1EEEvT0_T1_SA_.private_seg_size, 0
	.set _ZN6thrust23THRUST_200600_302600_NS11hip_rocprim14__parallel_for6kernelILj256ENS1_20__uninitialized_fill7functorINS0_10device_ptrIjEEjEEmLj1EEEvT0_T1_SA_.uses_vcc, 1
	.set _ZN6thrust23THRUST_200600_302600_NS11hip_rocprim14__parallel_for6kernelILj256ENS1_20__uninitialized_fill7functorINS0_10device_ptrIjEEjEEmLj1EEEvT0_T1_SA_.uses_flat_scratch, 0
	.set _ZN6thrust23THRUST_200600_302600_NS11hip_rocprim14__parallel_for6kernelILj256ENS1_20__uninitialized_fill7functorINS0_10device_ptrIjEEjEEmLj1EEEvT0_T1_SA_.has_dyn_sized_stack, 0
	.set _ZN6thrust23THRUST_200600_302600_NS11hip_rocprim14__parallel_for6kernelILj256ENS1_20__uninitialized_fill7functorINS0_10device_ptrIjEEjEEmLj1EEEvT0_T1_SA_.has_recursion, 0
	.set _ZN6thrust23THRUST_200600_302600_NS11hip_rocprim14__parallel_for6kernelILj256ENS1_20__uninitialized_fill7functorINS0_10device_ptrIjEEjEEmLj1EEEvT0_T1_SA_.has_indirect_call, 0
	.section	.AMDGPU.csdata,"",@progbits
; Kernel info:
; codeLenInByte = 184
; TotalNumSgprs: 22
; NumVgprs: 4
; NumAgprs: 0
; TotalNumVgprs: 4
; ScratchSize: 0
; MemoryBound: 0
; FloatMode: 240
; IeeeMode: 1
; LDSByteSize: 0 bytes/workgroup (compile time only)
; SGPRBlocks: 2
; VGPRBlocks: 0
; NumSGPRsForWavesPerEU: 22
; NumVGPRsForWavesPerEU: 4
; AccumOffset: 4
; Occupancy: 8
; WaveLimiterHint : 0
; COMPUTE_PGM_RSRC2:SCRATCH_EN: 0
; COMPUTE_PGM_RSRC2:USER_SGPR: 2
; COMPUTE_PGM_RSRC2:TRAP_HANDLER: 0
; COMPUTE_PGM_RSRC2:TGID_X_EN: 1
; COMPUTE_PGM_RSRC2:TGID_Y_EN: 0
; COMPUTE_PGM_RSRC2:TGID_Z_EN: 0
; COMPUTE_PGM_RSRC2:TIDIG_COMP_CNT: 0
; COMPUTE_PGM_RSRC3_GFX90A:ACCUM_OFFSET: 0
; COMPUTE_PGM_RSRC3_GFX90A:TG_SPLIT: 0
	.section	.text._ZN7rocprim17ROCPRIM_400000_NS6detail17trampoline_kernelINS0_14default_configENS1_22reduce_config_selectorIjEEZNS1_11reduce_implILb1ES3_PjS7_jN6thrust23THRUST_200600_302600_NS4plusIjEEEE10hipError_tPvRmT1_T2_T3_mT4_P12ihipStream_tbEUlT_E0_NS1_11comp_targetILNS1_3genE0ELNS1_11target_archE4294967295ELNS1_3gpuE0ELNS1_3repE0EEENS1_30default_config_static_selectorELNS0_4arch9wavefront6targetE1EEEvSF_,"axG",@progbits,_ZN7rocprim17ROCPRIM_400000_NS6detail17trampoline_kernelINS0_14default_configENS1_22reduce_config_selectorIjEEZNS1_11reduce_implILb1ES3_PjS7_jN6thrust23THRUST_200600_302600_NS4plusIjEEEE10hipError_tPvRmT1_T2_T3_mT4_P12ihipStream_tbEUlT_E0_NS1_11comp_targetILNS1_3genE0ELNS1_11target_archE4294967295ELNS1_3gpuE0ELNS1_3repE0EEENS1_30default_config_static_selectorELNS0_4arch9wavefront6targetE1EEEvSF_,comdat
	.protected	_ZN7rocprim17ROCPRIM_400000_NS6detail17trampoline_kernelINS0_14default_configENS1_22reduce_config_selectorIjEEZNS1_11reduce_implILb1ES3_PjS7_jN6thrust23THRUST_200600_302600_NS4plusIjEEEE10hipError_tPvRmT1_T2_T3_mT4_P12ihipStream_tbEUlT_E0_NS1_11comp_targetILNS1_3genE0ELNS1_11target_archE4294967295ELNS1_3gpuE0ELNS1_3repE0EEENS1_30default_config_static_selectorELNS0_4arch9wavefront6targetE1EEEvSF_ ; -- Begin function _ZN7rocprim17ROCPRIM_400000_NS6detail17trampoline_kernelINS0_14default_configENS1_22reduce_config_selectorIjEEZNS1_11reduce_implILb1ES3_PjS7_jN6thrust23THRUST_200600_302600_NS4plusIjEEEE10hipError_tPvRmT1_T2_T3_mT4_P12ihipStream_tbEUlT_E0_NS1_11comp_targetILNS1_3genE0ELNS1_11target_archE4294967295ELNS1_3gpuE0ELNS1_3repE0EEENS1_30default_config_static_selectorELNS0_4arch9wavefront6targetE1EEEvSF_
	.globl	_ZN7rocprim17ROCPRIM_400000_NS6detail17trampoline_kernelINS0_14default_configENS1_22reduce_config_selectorIjEEZNS1_11reduce_implILb1ES3_PjS7_jN6thrust23THRUST_200600_302600_NS4plusIjEEEE10hipError_tPvRmT1_T2_T3_mT4_P12ihipStream_tbEUlT_E0_NS1_11comp_targetILNS1_3genE0ELNS1_11target_archE4294967295ELNS1_3gpuE0ELNS1_3repE0EEENS1_30default_config_static_selectorELNS0_4arch9wavefront6targetE1EEEvSF_
	.p2align	8
	.type	_ZN7rocprim17ROCPRIM_400000_NS6detail17trampoline_kernelINS0_14default_configENS1_22reduce_config_selectorIjEEZNS1_11reduce_implILb1ES3_PjS7_jN6thrust23THRUST_200600_302600_NS4plusIjEEEE10hipError_tPvRmT1_T2_T3_mT4_P12ihipStream_tbEUlT_E0_NS1_11comp_targetILNS1_3genE0ELNS1_11target_archE4294967295ELNS1_3gpuE0ELNS1_3repE0EEENS1_30default_config_static_selectorELNS0_4arch9wavefront6targetE1EEEvSF_,@function
_ZN7rocprim17ROCPRIM_400000_NS6detail17trampoline_kernelINS0_14default_configENS1_22reduce_config_selectorIjEEZNS1_11reduce_implILb1ES3_PjS7_jN6thrust23THRUST_200600_302600_NS4plusIjEEEE10hipError_tPvRmT1_T2_T3_mT4_P12ihipStream_tbEUlT_E0_NS1_11comp_targetILNS1_3genE0ELNS1_11target_archE4294967295ELNS1_3gpuE0ELNS1_3repE0EEENS1_30default_config_static_selectorELNS0_4arch9wavefront6targetE1EEEvSF_: ; @_ZN7rocprim17ROCPRIM_400000_NS6detail17trampoline_kernelINS0_14default_configENS1_22reduce_config_selectorIjEEZNS1_11reduce_implILb1ES3_PjS7_jN6thrust23THRUST_200600_302600_NS4plusIjEEEE10hipError_tPvRmT1_T2_T3_mT4_P12ihipStream_tbEUlT_E0_NS1_11comp_targetILNS1_3genE0ELNS1_11target_archE4294967295ELNS1_3gpuE0ELNS1_3repE0EEENS1_30default_config_static_selectorELNS0_4arch9wavefront6targetE1EEEvSF_
; %bb.0:
	s_load_dwordx8 s[4:11], s[0:1], 0x0
	s_load_dwordx4 s[12:15], s[0:1], 0x20
	v_lshlrev_b32_e32 v6, 2, v0
	v_mbcnt_lo_u32_b32 v1, -1, 0
	s_waitcnt lgkmcnt(0)
	s_lshl_b64 s[6:7], s[6:7], 2
	s_add_u32 s18, s4, s6
	s_addc_u32 s19, s5, s7
	s_lshl_b32 s4, s2, 10
	s_mov_b32 s5, 0
	s_lshr_b64 s[16:17], s[8:9], 10
	s_lshl_b64 s[6:7], s[4:5], 2
	s_add_u32 s6, s18, s6
	s_mov_b32 s3, s5
	s_addc_u32 s7, s19, s7
	s_cmp_lg_u64 s[16:17], s[2:3]
	s_cbranch_scc0 .LBB113_6
; %bb.1:
	global_load_dword v2, v6, s[6:7]
	global_load_dword v5, v6, s[6:7] offset:1024
	global_load_dword v7, v6, s[6:7] offset:2048
	;; [unrolled: 1-line block ×3, first 2 shown]
	v_mbcnt_hi_u32_b32 v3, -1, v1
	v_lshlrev_b32_e32 v4, 2, v3
	v_cmp_eq_u32_e32 vcc, 0, v3
	s_waitcnt vmcnt(2)
	v_add_u32_e32 v2, v5, v2
	v_or_b32_e32 v5, 0xfc, v4
	s_waitcnt vmcnt(0)
	v_add3_u32 v2, v2, v7, v8
	s_nop 1
	v_add_u32_dpp v2, v2, v2 quad_perm:[1,0,3,2] row_mask:0xf bank_mask:0xf bound_ctrl:1
	s_nop 1
	v_add_u32_dpp v2, v2, v2 quad_perm:[2,3,0,1] row_mask:0xf bank_mask:0xf bound_ctrl:1
	s_nop 1
	v_add_u32_dpp v2, v2, v2 row_ror:4 row_mask:0xf bank_mask:0xf bound_ctrl:1
	s_nop 1
	v_add_u32_dpp v2, v2, v2 row_ror:8 row_mask:0xf bank_mask:0xf bound_ctrl:1
	s_nop 1
	v_add_u32_dpp v2, v2, v2 row_bcast:15 row_mask:0xf bank_mask:0xf bound_ctrl:1
	s_nop 1
	v_add_u32_dpp v2, v2, v2 row_bcast:31 row_mask:0xf bank_mask:0xf bound_ctrl:1
	ds_bpermute_b32 v2, v5, v2
	s_and_saveexec_b64 s[16:17], vcc
	s_cbranch_execz .LBB113_3
; %bb.2:
	v_lshrrev_b32_e32 v5, 4, v0
	v_and_b32_e32 v5, 12, v5
	s_waitcnt lgkmcnt(0)
	ds_write_b32 v5, v2
.LBB113_3:
	s_or_b64 exec, exec, s[16:17]
	v_cmp_gt_u32_e32 vcc, 64, v0
	s_waitcnt lgkmcnt(0)
	s_barrier
	s_and_saveexec_b64 s[16:17], vcc
	s_cbranch_execz .LBB113_5
; %bb.4:
	v_and_b32_e32 v2, 3, v3
	v_lshlrev_b32_e32 v5, 2, v2
	ds_read_b32 v5, v5
	v_cmp_ne_u32_e32 vcc, 3, v2
	s_nop 1
	v_addc_co_u32_e32 v2, vcc, 0, v3, vcc
	v_lshlrev_b32_e32 v2, 2, v2
	s_waitcnt lgkmcnt(0)
	ds_bpermute_b32 v2, v2, v5
	v_or_b32_e32 v3, 8, v4
	s_waitcnt lgkmcnt(0)
	v_add_u32_e32 v2, v2, v5
	ds_bpermute_b32 v3, v3, v2
	s_waitcnt lgkmcnt(0)
	v_add_u32_e32 v2, v3, v2
.LBB113_5:
	s_or_b64 exec, exec, s[16:17]
	s_load_dword s18, s[0:1], 0x30
	s_branch .LBB113_20
.LBB113_6:
                                        ; implicit-def: $vgpr2
	s_load_dword s18, s[0:1], 0x30
	s_cbranch_execz .LBB113_20
; %bb.7:
	s_sub_i32 s19, s8, s4
	v_mov_b32_e32 v2, 0
	v_cmp_gt_u32_e32 vcc, s19, v0
	v_mov_b32_e32 v3, v2
	v_mov_b32_e32 v4, v2
	;; [unrolled: 1-line block ×3, first 2 shown]
	s_and_saveexec_b64 s[0:1], vcc
	s_cbranch_execz .LBB113_9
; %bb.8:
	global_load_dword v8, v6, s[6:7]
	v_mov_b32_e32 v9, v2
	v_mov_b32_e32 v10, v2
	;; [unrolled: 1-line block ×3, first 2 shown]
	s_waitcnt vmcnt(0)
	v_mov_b64_e32 v[2:3], v[8:9]
	v_mov_b64_e32 v[4:5], v[10:11]
.LBB113_9:
	s_or_b64 exec, exec, s[0:1]
	v_or_b32_e32 v7, 0x100, v0
	v_cmp_gt_u32_e32 vcc, s19, v7
	s_and_saveexec_b64 s[0:1], vcc
	s_cbranch_execz .LBB113_11
; %bb.10:
	global_load_dword v3, v6, s[6:7] offset:1024
.LBB113_11:
	s_or_b64 exec, exec, s[0:1]
	v_or_b32_e32 v7, 0x200, v0
	v_cmp_gt_u32_e64 s[0:1], s19, v7
	s_and_saveexec_b64 s[4:5], s[0:1]
	s_cbranch_execz .LBB113_13
; %bb.12:
	global_load_dword v4, v6, s[6:7] offset:2048
.LBB113_13:
	s_or_b64 exec, exec, s[4:5]
	v_or_b32_e32 v7, 0x300, v0
	v_cmp_gt_u32_e64 s[4:5], s19, v7
	s_and_saveexec_b64 s[16:17], s[4:5]
	s_cbranch_execz .LBB113_15
; %bb.14:
	global_load_dword v5, v6, s[6:7] offset:3072
.LBB113_15:
	s_or_b64 exec, exec, s[16:17]
	s_waitcnt vmcnt(0)
	v_cndmask_b32_e32 v3, 0, v3, vcc
	v_add_u32_e32 v2, v3, v2
	v_cndmask_b32_e64 v3, 0, v4, s[0:1]
	v_cndmask_b32_e64 v4, 0, v5, s[4:5]
	v_mbcnt_hi_u32_b32 v1, -1, v1
	v_add3_u32 v2, v2, v3, v4
	v_and_b32_e32 v4, 63, v1
	v_cmp_ne_u32_e32 vcc, 63, v4
	s_min_u32 s4, s19, 0x100
	v_and_b32_e32 v5, 0xc0, v0
	v_addc_co_u32_e32 v3, vcc, 0, v1, vcc
	v_lshlrev_b32_e32 v3, 2, v3
	ds_bpermute_b32 v3, v3, v2
	v_sub_u32_e64 v5, s4, v5 clamp
	v_add_u32_e32 v6, 1, v4
	v_cmp_lt_u32_e32 vcc, v6, v5
	v_add_u32_e32 v6, 2, v4
	s_waitcnt lgkmcnt(0)
	v_cndmask_b32_e32 v3, 0, v3, vcc
	v_cmp_gt_u32_e32 vcc, 62, v4
	v_add_u32_e32 v2, v3, v2
	s_nop 0
	v_cndmask_b32_e64 v3, 0, 2, vcc
	v_add_lshl_u32 v3, v3, v1, 2
	ds_bpermute_b32 v3, v3, v2
	v_cmp_lt_u32_e32 vcc, v6, v5
	v_add_u32_e32 v6, 4, v4
	s_waitcnt lgkmcnt(0)
	v_cndmask_b32_e32 v3, 0, v3, vcc
	v_cmp_gt_u32_e32 vcc, 60, v4
	v_add_u32_e32 v2, v2, v3
	s_nop 0
	v_cndmask_b32_e64 v3, 0, 4, vcc
	v_add_lshl_u32 v3, v3, v1, 2
	ds_bpermute_b32 v3, v3, v2
	v_cmp_lt_u32_e32 vcc, v6, v5
	v_add_u32_e32 v6, 8, v4
	s_waitcnt lgkmcnt(0)
	v_cndmask_b32_e32 v3, 0, v3, vcc
	v_cmp_gt_u32_e32 vcc, 56, v4
	v_add_u32_e32 v2, v2, v3
	s_nop 0
	v_cndmask_b32_e64 v3, 0, 8, vcc
	v_add_lshl_u32 v3, v3, v1, 2
	ds_bpermute_b32 v3, v3, v2
	v_cmp_lt_u32_e32 vcc, v6, v5
	v_add_u32_e32 v6, 16, v4
	s_waitcnt lgkmcnt(0)
	v_cndmask_b32_e32 v3, 0, v3, vcc
	v_cmp_gt_u32_e32 vcc, 48, v4
	v_add_u32_e32 v2, v2, v3
	v_add_u32_e32 v4, 32, v4
	v_cndmask_b32_e64 v3, 0, 16, vcc
	v_add_lshl_u32 v3, v3, v1, 2
	ds_bpermute_b32 v3, v3, v2
	v_cmp_lt_u32_e32 vcc, v6, v5
	s_waitcnt lgkmcnt(0)
	s_nop 0
	v_cndmask_b32_e32 v3, 0, v3, vcc
	v_add_u32_e32 v2, v2, v3
	v_lshlrev_b32_e32 v3, 2, v1
	v_or_b32_e32 v6, 0x80, v3
	ds_bpermute_b32 v6, v6, v2
	v_cmp_lt_u32_e32 vcc, v4, v5
	s_waitcnt lgkmcnt(0)
	s_nop 0
	v_cndmask_b32_e32 v4, 0, v6, vcc
	v_add_u32_e32 v2, v2, v4
	v_cmp_eq_u32_e32 vcc, 0, v1
	s_and_saveexec_b64 s[0:1], vcc
; %bb.16:
	v_lshrrev_b32_e32 v4, 4, v0
	v_and_b32_e32 v4, 12, v4
	ds_write_b32 v4, v2 offset:16
; %bb.17:
	s_or_b64 exec, exec, s[0:1]
	v_cmp_gt_u32_e32 vcc, 4, v0
	s_waitcnt lgkmcnt(0)
	s_barrier
	s_and_saveexec_b64 s[0:1], vcc
	s_cbranch_execz .LBB113_19
; %bb.18:
	ds_read_b32 v2, v3 offset:16
	v_and_b32_e32 v4, 3, v1
	v_cmp_ne_u32_e32 vcc, 3, v4
	s_add_i32 s4, s4, 63
	s_lshr_b32 s4, s4, 6
	v_addc_co_u32_e32 v1, vcc, 0, v1, vcc
	v_lshlrev_b32_e32 v1, 2, v1
	s_waitcnt lgkmcnt(0)
	ds_bpermute_b32 v1, v1, v2
	v_add_u32_e32 v5, 1, v4
	v_cmp_gt_u32_e32 vcc, s4, v5
	s_waitcnt lgkmcnt(0)
	s_nop 0
	v_cndmask_b32_e32 v1, 0, v1, vcc
	v_add_u32_e32 v1, v1, v2
	v_or_b32_e32 v2, 8, v3
	ds_bpermute_b32 v2, v2, v1
	v_add_u32_e32 v3, 2, v4
	v_cmp_gt_u32_e32 vcc, s4, v3
	s_waitcnt lgkmcnt(0)
	s_nop 0
	v_cndmask_b32_e32 v2, 0, v2, vcc
	v_add_u32_e32 v2, v1, v2
.LBB113_19:
	s_or_b64 exec, exec, s[0:1]
.LBB113_20:
	v_cmp_eq_u32_e32 vcc, 0, v0
	s_and_saveexec_b64 s[0:1], vcc
	s_cbranch_execnz .LBB113_22
; %bb.21:
	s_endpgm
.LBB113_22:
	s_mul_i32 s0, s14, s13
	s_mul_hi_u32 s1, s14, s12
	s_add_i32 s0, s1, s0
	s_mul_i32 s1, s15, s12
	s_add_i32 s1, s0, s1
	s_mul_i32 s0, s14, s12
	s_lshl_b64 s[0:1], s[0:1], 2
	s_add_u32 s4, s10, s0
	s_addc_u32 s5, s11, s1
	s_cmp_eq_u64 s[8:9], 0
	s_cselect_b64 vcc, -1, 0
	s_lshl_b64 s[0:1], s[2:3], 2
	s_waitcnt lgkmcnt(0)
	v_mov_b32_e32 v0, s18
	s_add_u32 s0, s4, s0
	v_cndmask_b32_e32 v0, v2, v0, vcc
	s_addc_u32 s1, s5, s1
	v_mov_b32_e32 v1, 0
	global_store_dword v1, v0, s[0:1]
	s_endpgm
	.section	.rodata,"a",@progbits
	.p2align	6, 0x0
	.amdhsa_kernel _ZN7rocprim17ROCPRIM_400000_NS6detail17trampoline_kernelINS0_14default_configENS1_22reduce_config_selectorIjEEZNS1_11reduce_implILb1ES3_PjS7_jN6thrust23THRUST_200600_302600_NS4plusIjEEEE10hipError_tPvRmT1_T2_T3_mT4_P12ihipStream_tbEUlT_E0_NS1_11comp_targetILNS1_3genE0ELNS1_11target_archE4294967295ELNS1_3gpuE0ELNS1_3repE0EEENS1_30default_config_static_selectorELNS0_4arch9wavefront6targetE1EEEvSF_
		.amdhsa_group_segment_fixed_size 32
		.amdhsa_private_segment_fixed_size 0
		.amdhsa_kernarg_size 56
		.amdhsa_user_sgpr_count 2
		.amdhsa_user_sgpr_dispatch_ptr 0
		.amdhsa_user_sgpr_queue_ptr 0
		.amdhsa_user_sgpr_kernarg_segment_ptr 1
		.amdhsa_user_sgpr_dispatch_id 0
		.amdhsa_user_sgpr_kernarg_preload_length 0
		.amdhsa_user_sgpr_kernarg_preload_offset 0
		.amdhsa_user_sgpr_private_segment_size 0
		.amdhsa_uses_dynamic_stack 0
		.amdhsa_enable_private_segment 0
		.amdhsa_system_sgpr_workgroup_id_x 1
		.amdhsa_system_sgpr_workgroup_id_y 0
		.amdhsa_system_sgpr_workgroup_id_z 0
		.amdhsa_system_sgpr_workgroup_info 0
		.amdhsa_system_vgpr_workitem_id 0
		.amdhsa_next_free_vgpr 12
		.amdhsa_next_free_sgpr 20
		.amdhsa_accum_offset 12
		.amdhsa_reserve_vcc 1
		.amdhsa_float_round_mode_32 0
		.amdhsa_float_round_mode_16_64 0
		.amdhsa_float_denorm_mode_32 3
		.amdhsa_float_denorm_mode_16_64 3
		.amdhsa_dx10_clamp 1
		.amdhsa_ieee_mode 1
		.amdhsa_fp16_overflow 0
		.amdhsa_tg_split 0
		.amdhsa_exception_fp_ieee_invalid_op 0
		.amdhsa_exception_fp_denorm_src 0
		.amdhsa_exception_fp_ieee_div_zero 0
		.amdhsa_exception_fp_ieee_overflow 0
		.amdhsa_exception_fp_ieee_underflow 0
		.amdhsa_exception_fp_ieee_inexact 0
		.amdhsa_exception_int_div_zero 0
	.end_amdhsa_kernel
	.section	.text._ZN7rocprim17ROCPRIM_400000_NS6detail17trampoline_kernelINS0_14default_configENS1_22reduce_config_selectorIjEEZNS1_11reduce_implILb1ES3_PjS7_jN6thrust23THRUST_200600_302600_NS4plusIjEEEE10hipError_tPvRmT1_T2_T3_mT4_P12ihipStream_tbEUlT_E0_NS1_11comp_targetILNS1_3genE0ELNS1_11target_archE4294967295ELNS1_3gpuE0ELNS1_3repE0EEENS1_30default_config_static_selectorELNS0_4arch9wavefront6targetE1EEEvSF_,"axG",@progbits,_ZN7rocprim17ROCPRIM_400000_NS6detail17trampoline_kernelINS0_14default_configENS1_22reduce_config_selectorIjEEZNS1_11reduce_implILb1ES3_PjS7_jN6thrust23THRUST_200600_302600_NS4plusIjEEEE10hipError_tPvRmT1_T2_T3_mT4_P12ihipStream_tbEUlT_E0_NS1_11comp_targetILNS1_3genE0ELNS1_11target_archE4294967295ELNS1_3gpuE0ELNS1_3repE0EEENS1_30default_config_static_selectorELNS0_4arch9wavefront6targetE1EEEvSF_,comdat
.Lfunc_end113:
	.size	_ZN7rocprim17ROCPRIM_400000_NS6detail17trampoline_kernelINS0_14default_configENS1_22reduce_config_selectorIjEEZNS1_11reduce_implILb1ES3_PjS7_jN6thrust23THRUST_200600_302600_NS4plusIjEEEE10hipError_tPvRmT1_T2_T3_mT4_P12ihipStream_tbEUlT_E0_NS1_11comp_targetILNS1_3genE0ELNS1_11target_archE4294967295ELNS1_3gpuE0ELNS1_3repE0EEENS1_30default_config_static_selectorELNS0_4arch9wavefront6targetE1EEEvSF_, .Lfunc_end113-_ZN7rocprim17ROCPRIM_400000_NS6detail17trampoline_kernelINS0_14default_configENS1_22reduce_config_selectorIjEEZNS1_11reduce_implILb1ES3_PjS7_jN6thrust23THRUST_200600_302600_NS4plusIjEEEE10hipError_tPvRmT1_T2_T3_mT4_P12ihipStream_tbEUlT_E0_NS1_11comp_targetILNS1_3genE0ELNS1_11target_archE4294967295ELNS1_3gpuE0ELNS1_3repE0EEENS1_30default_config_static_selectorELNS0_4arch9wavefront6targetE1EEEvSF_
                                        ; -- End function
	.set _ZN7rocprim17ROCPRIM_400000_NS6detail17trampoline_kernelINS0_14default_configENS1_22reduce_config_selectorIjEEZNS1_11reduce_implILb1ES3_PjS7_jN6thrust23THRUST_200600_302600_NS4plusIjEEEE10hipError_tPvRmT1_T2_T3_mT4_P12ihipStream_tbEUlT_E0_NS1_11comp_targetILNS1_3genE0ELNS1_11target_archE4294967295ELNS1_3gpuE0ELNS1_3repE0EEENS1_30default_config_static_selectorELNS0_4arch9wavefront6targetE1EEEvSF_.num_vgpr, 12
	.set _ZN7rocprim17ROCPRIM_400000_NS6detail17trampoline_kernelINS0_14default_configENS1_22reduce_config_selectorIjEEZNS1_11reduce_implILb1ES3_PjS7_jN6thrust23THRUST_200600_302600_NS4plusIjEEEE10hipError_tPvRmT1_T2_T3_mT4_P12ihipStream_tbEUlT_E0_NS1_11comp_targetILNS1_3genE0ELNS1_11target_archE4294967295ELNS1_3gpuE0ELNS1_3repE0EEENS1_30default_config_static_selectorELNS0_4arch9wavefront6targetE1EEEvSF_.num_agpr, 0
	.set _ZN7rocprim17ROCPRIM_400000_NS6detail17trampoline_kernelINS0_14default_configENS1_22reduce_config_selectorIjEEZNS1_11reduce_implILb1ES3_PjS7_jN6thrust23THRUST_200600_302600_NS4plusIjEEEE10hipError_tPvRmT1_T2_T3_mT4_P12ihipStream_tbEUlT_E0_NS1_11comp_targetILNS1_3genE0ELNS1_11target_archE4294967295ELNS1_3gpuE0ELNS1_3repE0EEENS1_30default_config_static_selectorELNS0_4arch9wavefront6targetE1EEEvSF_.numbered_sgpr, 20
	.set _ZN7rocprim17ROCPRIM_400000_NS6detail17trampoline_kernelINS0_14default_configENS1_22reduce_config_selectorIjEEZNS1_11reduce_implILb1ES3_PjS7_jN6thrust23THRUST_200600_302600_NS4plusIjEEEE10hipError_tPvRmT1_T2_T3_mT4_P12ihipStream_tbEUlT_E0_NS1_11comp_targetILNS1_3genE0ELNS1_11target_archE4294967295ELNS1_3gpuE0ELNS1_3repE0EEENS1_30default_config_static_selectorELNS0_4arch9wavefront6targetE1EEEvSF_.num_named_barrier, 0
	.set _ZN7rocprim17ROCPRIM_400000_NS6detail17trampoline_kernelINS0_14default_configENS1_22reduce_config_selectorIjEEZNS1_11reduce_implILb1ES3_PjS7_jN6thrust23THRUST_200600_302600_NS4plusIjEEEE10hipError_tPvRmT1_T2_T3_mT4_P12ihipStream_tbEUlT_E0_NS1_11comp_targetILNS1_3genE0ELNS1_11target_archE4294967295ELNS1_3gpuE0ELNS1_3repE0EEENS1_30default_config_static_selectorELNS0_4arch9wavefront6targetE1EEEvSF_.private_seg_size, 0
	.set _ZN7rocprim17ROCPRIM_400000_NS6detail17trampoline_kernelINS0_14default_configENS1_22reduce_config_selectorIjEEZNS1_11reduce_implILb1ES3_PjS7_jN6thrust23THRUST_200600_302600_NS4plusIjEEEE10hipError_tPvRmT1_T2_T3_mT4_P12ihipStream_tbEUlT_E0_NS1_11comp_targetILNS1_3genE0ELNS1_11target_archE4294967295ELNS1_3gpuE0ELNS1_3repE0EEENS1_30default_config_static_selectorELNS0_4arch9wavefront6targetE1EEEvSF_.uses_vcc, 1
	.set _ZN7rocprim17ROCPRIM_400000_NS6detail17trampoline_kernelINS0_14default_configENS1_22reduce_config_selectorIjEEZNS1_11reduce_implILb1ES3_PjS7_jN6thrust23THRUST_200600_302600_NS4plusIjEEEE10hipError_tPvRmT1_T2_T3_mT4_P12ihipStream_tbEUlT_E0_NS1_11comp_targetILNS1_3genE0ELNS1_11target_archE4294967295ELNS1_3gpuE0ELNS1_3repE0EEENS1_30default_config_static_selectorELNS0_4arch9wavefront6targetE1EEEvSF_.uses_flat_scratch, 0
	.set _ZN7rocprim17ROCPRIM_400000_NS6detail17trampoline_kernelINS0_14default_configENS1_22reduce_config_selectorIjEEZNS1_11reduce_implILb1ES3_PjS7_jN6thrust23THRUST_200600_302600_NS4plusIjEEEE10hipError_tPvRmT1_T2_T3_mT4_P12ihipStream_tbEUlT_E0_NS1_11comp_targetILNS1_3genE0ELNS1_11target_archE4294967295ELNS1_3gpuE0ELNS1_3repE0EEENS1_30default_config_static_selectorELNS0_4arch9wavefront6targetE1EEEvSF_.has_dyn_sized_stack, 0
	.set _ZN7rocprim17ROCPRIM_400000_NS6detail17trampoline_kernelINS0_14default_configENS1_22reduce_config_selectorIjEEZNS1_11reduce_implILb1ES3_PjS7_jN6thrust23THRUST_200600_302600_NS4plusIjEEEE10hipError_tPvRmT1_T2_T3_mT4_P12ihipStream_tbEUlT_E0_NS1_11comp_targetILNS1_3genE0ELNS1_11target_archE4294967295ELNS1_3gpuE0ELNS1_3repE0EEENS1_30default_config_static_selectorELNS0_4arch9wavefront6targetE1EEEvSF_.has_recursion, 0
	.set _ZN7rocprim17ROCPRIM_400000_NS6detail17trampoline_kernelINS0_14default_configENS1_22reduce_config_selectorIjEEZNS1_11reduce_implILb1ES3_PjS7_jN6thrust23THRUST_200600_302600_NS4plusIjEEEE10hipError_tPvRmT1_T2_T3_mT4_P12ihipStream_tbEUlT_E0_NS1_11comp_targetILNS1_3genE0ELNS1_11target_archE4294967295ELNS1_3gpuE0ELNS1_3repE0EEENS1_30default_config_static_selectorELNS0_4arch9wavefront6targetE1EEEvSF_.has_indirect_call, 0
	.section	.AMDGPU.csdata,"",@progbits
; Kernel info:
; codeLenInByte = 1180
; TotalNumSgprs: 26
; NumVgprs: 12
; NumAgprs: 0
; TotalNumVgprs: 12
; ScratchSize: 0
; MemoryBound: 0
; FloatMode: 240
; IeeeMode: 1
; LDSByteSize: 32 bytes/workgroup (compile time only)
; SGPRBlocks: 3
; VGPRBlocks: 1
; NumSGPRsForWavesPerEU: 26
; NumVGPRsForWavesPerEU: 12
; AccumOffset: 12
; Occupancy: 8
; WaveLimiterHint : 1
; COMPUTE_PGM_RSRC2:SCRATCH_EN: 0
; COMPUTE_PGM_RSRC2:USER_SGPR: 2
; COMPUTE_PGM_RSRC2:TRAP_HANDLER: 0
; COMPUTE_PGM_RSRC2:TGID_X_EN: 1
; COMPUTE_PGM_RSRC2:TGID_Y_EN: 0
; COMPUTE_PGM_RSRC2:TGID_Z_EN: 0
; COMPUTE_PGM_RSRC2:TIDIG_COMP_CNT: 0
; COMPUTE_PGM_RSRC3_GFX90A:ACCUM_OFFSET: 2
; COMPUTE_PGM_RSRC3_GFX90A:TG_SPLIT: 0
	.section	.text._ZN7rocprim17ROCPRIM_400000_NS6detail17trampoline_kernelINS0_14default_configENS1_22reduce_config_selectorIjEEZNS1_11reduce_implILb1ES3_PjS7_jN6thrust23THRUST_200600_302600_NS4plusIjEEEE10hipError_tPvRmT1_T2_T3_mT4_P12ihipStream_tbEUlT_E0_NS1_11comp_targetILNS1_3genE5ELNS1_11target_archE942ELNS1_3gpuE9ELNS1_3repE0EEENS1_30default_config_static_selectorELNS0_4arch9wavefront6targetE1EEEvSF_,"axG",@progbits,_ZN7rocprim17ROCPRIM_400000_NS6detail17trampoline_kernelINS0_14default_configENS1_22reduce_config_selectorIjEEZNS1_11reduce_implILb1ES3_PjS7_jN6thrust23THRUST_200600_302600_NS4plusIjEEEE10hipError_tPvRmT1_T2_T3_mT4_P12ihipStream_tbEUlT_E0_NS1_11comp_targetILNS1_3genE5ELNS1_11target_archE942ELNS1_3gpuE9ELNS1_3repE0EEENS1_30default_config_static_selectorELNS0_4arch9wavefront6targetE1EEEvSF_,comdat
	.protected	_ZN7rocprim17ROCPRIM_400000_NS6detail17trampoline_kernelINS0_14default_configENS1_22reduce_config_selectorIjEEZNS1_11reduce_implILb1ES3_PjS7_jN6thrust23THRUST_200600_302600_NS4plusIjEEEE10hipError_tPvRmT1_T2_T3_mT4_P12ihipStream_tbEUlT_E0_NS1_11comp_targetILNS1_3genE5ELNS1_11target_archE942ELNS1_3gpuE9ELNS1_3repE0EEENS1_30default_config_static_selectorELNS0_4arch9wavefront6targetE1EEEvSF_ ; -- Begin function _ZN7rocprim17ROCPRIM_400000_NS6detail17trampoline_kernelINS0_14default_configENS1_22reduce_config_selectorIjEEZNS1_11reduce_implILb1ES3_PjS7_jN6thrust23THRUST_200600_302600_NS4plusIjEEEE10hipError_tPvRmT1_T2_T3_mT4_P12ihipStream_tbEUlT_E0_NS1_11comp_targetILNS1_3genE5ELNS1_11target_archE942ELNS1_3gpuE9ELNS1_3repE0EEENS1_30default_config_static_selectorELNS0_4arch9wavefront6targetE1EEEvSF_
	.globl	_ZN7rocprim17ROCPRIM_400000_NS6detail17trampoline_kernelINS0_14default_configENS1_22reduce_config_selectorIjEEZNS1_11reduce_implILb1ES3_PjS7_jN6thrust23THRUST_200600_302600_NS4plusIjEEEE10hipError_tPvRmT1_T2_T3_mT4_P12ihipStream_tbEUlT_E0_NS1_11comp_targetILNS1_3genE5ELNS1_11target_archE942ELNS1_3gpuE9ELNS1_3repE0EEENS1_30default_config_static_selectorELNS0_4arch9wavefront6targetE1EEEvSF_
	.p2align	8
	.type	_ZN7rocprim17ROCPRIM_400000_NS6detail17trampoline_kernelINS0_14default_configENS1_22reduce_config_selectorIjEEZNS1_11reduce_implILb1ES3_PjS7_jN6thrust23THRUST_200600_302600_NS4plusIjEEEE10hipError_tPvRmT1_T2_T3_mT4_P12ihipStream_tbEUlT_E0_NS1_11comp_targetILNS1_3genE5ELNS1_11target_archE942ELNS1_3gpuE9ELNS1_3repE0EEENS1_30default_config_static_selectorELNS0_4arch9wavefront6targetE1EEEvSF_,@function
_ZN7rocprim17ROCPRIM_400000_NS6detail17trampoline_kernelINS0_14default_configENS1_22reduce_config_selectorIjEEZNS1_11reduce_implILb1ES3_PjS7_jN6thrust23THRUST_200600_302600_NS4plusIjEEEE10hipError_tPvRmT1_T2_T3_mT4_P12ihipStream_tbEUlT_E0_NS1_11comp_targetILNS1_3genE5ELNS1_11target_archE942ELNS1_3gpuE9ELNS1_3repE0EEENS1_30default_config_static_selectorELNS0_4arch9wavefront6targetE1EEEvSF_: ; @_ZN7rocprim17ROCPRIM_400000_NS6detail17trampoline_kernelINS0_14default_configENS1_22reduce_config_selectorIjEEZNS1_11reduce_implILb1ES3_PjS7_jN6thrust23THRUST_200600_302600_NS4plusIjEEEE10hipError_tPvRmT1_T2_T3_mT4_P12ihipStream_tbEUlT_E0_NS1_11comp_targetILNS1_3genE5ELNS1_11target_archE942ELNS1_3gpuE9ELNS1_3repE0EEENS1_30default_config_static_selectorELNS0_4arch9wavefront6targetE1EEEvSF_
; %bb.0:
	.section	.rodata,"a",@progbits
	.p2align	6, 0x0
	.amdhsa_kernel _ZN7rocprim17ROCPRIM_400000_NS6detail17trampoline_kernelINS0_14default_configENS1_22reduce_config_selectorIjEEZNS1_11reduce_implILb1ES3_PjS7_jN6thrust23THRUST_200600_302600_NS4plusIjEEEE10hipError_tPvRmT1_T2_T3_mT4_P12ihipStream_tbEUlT_E0_NS1_11comp_targetILNS1_3genE5ELNS1_11target_archE942ELNS1_3gpuE9ELNS1_3repE0EEENS1_30default_config_static_selectorELNS0_4arch9wavefront6targetE1EEEvSF_
		.amdhsa_group_segment_fixed_size 0
		.amdhsa_private_segment_fixed_size 0
		.amdhsa_kernarg_size 56
		.amdhsa_user_sgpr_count 2
		.amdhsa_user_sgpr_dispatch_ptr 0
		.amdhsa_user_sgpr_queue_ptr 0
		.amdhsa_user_sgpr_kernarg_segment_ptr 1
		.amdhsa_user_sgpr_dispatch_id 0
		.amdhsa_user_sgpr_kernarg_preload_length 0
		.amdhsa_user_sgpr_kernarg_preload_offset 0
		.amdhsa_user_sgpr_private_segment_size 0
		.amdhsa_uses_dynamic_stack 0
		.amdhsa_enable_private_segment 0
		.amdhsa_system_sgpr_workgroup_id_x 1
		.amdhsa_system_sgpr_workgroup_id_y 0
		.amdhsa_system_sgpr_workgroup_id_z 0
		.amdhsa_system_sgpr_workgroup_info 0
		.amdhsa_system_vgpr_workitem_id 0
		.amdhsa_next_free_vgpr 1
		.amdhsa_next_free_sgpr 0
		.amdhsa_accum_offset 4
		.amdhsa_reserve_vcc 0
		.amdhsa_float_round_mode_32 0
		.amdhsa_float_round_mode_16_64 0
		.amdhsa_float_denorm_mode_32 3
		.amdhsa_float_denorm_mode_16_64 3
		.amdhsa_dx10_clamp 1
		.amdhsa_ieee_mode 1
		.amdhsa_fp16_overflow 0
		.amdhsa_tg_split 0
		.amdhsa_exception_fp_ieee_invalid_op 0
		.amdhsa_exception_fp_denorm_src 0
		.amdhsa_exception_fp_ieee_div_zero 0
		.amdhsa_exception_fp_ieee_overflow 0
		.amdhsa_exception_fp_ieee_underflow 0
		.amdhsa_exception_fp_ieee_inexact 0
		.amdhsa_exception_int_div_zero 0
	.end_amdhsa_kernel
	.section	.text._ZN7rocprim17ROCPRIM_400000_NS6detail17trampoline_kernelINS0_14default_configENS1_22reduce_config_selectorIjEEZNS1_11reduce_implILb1ES3_PjS7_jN6thrust23THRUST_200600_302600_NS4plusIjEEEE10hipError_tPvRmT1_T2_T3_mT4_P12ihipStream_tbEUlT_E0_NS1_11comp_targetILNS1_3genE5ELNS1_11target_archE942ELNS1_3gpuE9ELNS1_3repE0EEENS1_30default_config_static_selectorELNS0_4arch9wavefront6targetE1EEEvSF_,"axG",@progbits,_ZN7rocprim17ROCPRIM_400000_NS6detail17trampoline_kernelINS0_14default_configENS1_22reduce_config_selectorIjEEZNS1_11reduce_implILb1ES3_PjS7_jN6thrust23THRUST_200600_302600_NS4plusIjEEEE10hipError_tPvRmT1_T2_T3_mT4_P12ihipStream_tbEUlT_E0_NS1_11comp_targetILNS1_3genE5ELNS1_11target_archE942ELNS1_3gpuE9ELNS1_3repE0EEENS1_30default_config_static_selectorELNS0_4arch9wavefront6targetE1EEEvSF_,comdat
.Lfunc_end114:
	.size	_ZN7rocprim17ROCPRIM_400000_NS6detail17trampoline_kernelINS0_14default_configENS1_22reduce_config_selectorIjEEZNS1_11reduce_implILb1ES3_PjS7_jN6thrust23THRUST_200600_302600_NS4plusIjEEEE10hipError_tPvRmT1_T2_T3_mT4_P12ihipStream_tbEUlT_E0_NS1_11comp_targetILNS1_3genE5ELNS1_11target_archE942ELNS1_3gpuE9ELNS1_3repE0EEENS1_30default_config_static_selectorELNS0_4arch9wavefront6targetE1EEEvSF_, .Lfunc_end114-_ZN7rocprim17ROCPRIM_400000_NS6detail17trampoline_kernelINS0_14default_configENS1_22reduce_config_selectorIjEEZNS1_11reduce_implILb1ES3_PjS7_jN6thrust23THRUST_200600_302600_NS4plusIjEEEE10hipError_tPvRmT1_T2_T3_mT4_P12ihipStream_tbEUlT_E0_NS1_11comp_targetILNS1_3genE5ELNS1_11target_archE942ELNS1_3gpuE9ELNS1_3repE0EEENS1_30default_config_static_selectorELNS0_4arch9wavefront6targetE1EEEvSF_
                                        ; -- End function
	.set _ZN7rocprim17ROCPRIM_400000_NS6detail17trampoline_kernelINS0_14default_configENS1_22reduce_config_selectorIjEEZNS1_11reduce_implILb1ES3_PjS7_jN6thrust23THRUST_200600_302600_NS4plusIjEEEE10hipError_tPvRmT1_T2_T3_mT4_P12ihipStream_tbEUlT_E0_NS1_11comp_targetILNS1_3genE5ELNS1_11target_archE942ELNS1_3gpuE9ELNS1_3repE0EEENS1_30default_config_static_selectorELNS0_4arch9wavefront6targetE1EEEvSF_.num_vgpr, 0
	.set _ZN7rocprim17ROCPRIM_400000_NS6detail17trampoline_kernelINS0_14default_configENS1_22reduce_config_selectorIjEEZNS1_11reduce_implILb1ES3_PjS7_jN6thrust23THRUST_200600_302600_NS4plusIjEEEE10hipError_tPvRmT1_T2_T3_mT4_P12ihipStream_tbEUlT_E0_NS1_11comp_targetILNS1_3genE5ELNS1_11target_archE942ELNS1_3gpuE9ELNS1_3repE0EEENS1_30default_config_static_selectorELNS0_4arch9wavefront6targetE1EEEvSF_.num_agpr, 0
	.set _ZN7rocprim17ROCPRIM_400000_NS6detail17trampoline_kernelINS0_14default_configENS1_22reduce_config_selectorIjEEZNS1_11reduce_implILb1ES3_PjS7_jN6thrust23THRUST_200600_302600_NS4plusIjEEEE10hipError_tPvRmT1_T2_T3_mT4_P12ihipStream_tbEUlT_E0_NS1_11comp_targetILNS1_3genE5ELNS1_11target_archE942ELNS1_3gpuE9ELNS1_3repE0EEENS1_30default_config_static_selectorELNS0_4arch9wavefront6targetE1EEEvSF_.numbered_sgpr, 0
	.set _ZN7rocprim17ROCPRIM_400000_NS6detail17trampoline_kernelINS0_14default_configENS1_22reduce_config_selectorIjEEZNS1_11reduce_implILb1ES3_PjS7_jN6thrust23THRUST_200600_302600_NS4plusIjEEEE10hipError_tPvRmT1_T2_T3_mT4_P12ihipStream_tbEUlT_E0_NS1_11comp_targetILNS1_3genE5ELNS1_11target_archE942ELNS1_3gpuE9ELNS1_3repE0EEENS1_30default_config_static_selectorELNS0_4arch9wavefront6targetE1EEEvSF_.num_named_barrier, 0
	.set _ZN7rocprim17ROCPRIM_400000_NS6detail17trampoline_kernelINS0_14default_configENS1_22reduce_config_selectorIjEEZNS1_11reduce_implILb1ES3_PjS7_jN6thrust23THRUST_200600_302600_NS4plusIjEEEE10hipError_tPvRmT1_T2_T3_mT4_P12ihipStream_tbEUlT_E0_NS1_11comp_targetILNS1_3genE5ELNS1_11target_archE942ELNS1_3gpuE9ELNS1_3repE0EEENS1_30default_config_static_selectorELNS0_4arch9wavefront6targetE1EEEvSF_.private_seg_size, 0
	.set _ZN7rocprim17ROCPRIM_400000_NS6detail17trampoline_kernelINS0_14default_configENS1_22reduce_config_selectorIjEEZNS1_11reduce_implILb1ES3_PjS7_jN6thrust23THRUST_200600_302600_NS4plusIjEEEE10hipError_tPvRmT1_T2_T3_mT4_P12ihipStream_tbEUlT_E0_NS1_11comp_targetILNS1_3genE5ELNS1_11target_archE942ELNS1_3gpuE9ELNS1_3repE0EEENS1_30default_config_static_selectorELNS0_4arch9wavefront6targetE1EEEvSF_.uses_vcc, 0
	.set _ZN7rocprim17ROCPRIM_400000_NS6detail17trampoline_kernelINS0_14default_configENS1_22reduce_config_selectorIjEEZNS1_11reduce_implILb1ES3_PjS7_jN6thrust23THRUST_200600_302600_NS4plusIjEEEE10hipError_tPvRmT1_T2_T3_mT4_P12ihipStream_tbEUlT_E0_NS1_11comp_targetILNS1_3genE5ELNS1_11target_archE942ELNS1_3gpuE9ELNS1_3repE0EEENS1_30default_config_static_selectorELNS0_4arch9wavefront6targetE1EEEvSF_.uses_flat_scratch, 0
	.set _ZN7rocprim17ROCPRIM_400000_NS6detail17trampoline_kernelINS0_14default_configENS1_22reduce_config_selectorIjEEZNS1_11reduce_implILb1ES3_PjS7_jN6thrust23THRUST_200600_302600_NS4plusIjEEEE10hipError_tPvRmT1_T2_T3_mT4_P12ihipStream_tbEUlT_E0_NS1_11comp_targetILNS1_3genE5ELNS1_11target_archE942ELNS1_3gpuE9ELNS1_3repE0EEENS1_30default_config_static_selectorELNS0_4arch9wavefront6targetE1EEEvSF_.has_dyn_sized_stack, 0
	.set _ZN7rocprim17ROCPRIM_400000_NS6detail17trampoline_kernelINS0_14default_configENS1_22reduce_config_selectorIjEEZNS1_11reduce_implILb1ES3_PjS7_jN6thrust23THRUST_200600_302600_NS4plusIjEEEE10hipError_tPvRmT1_T2_T3_mT4_P12ihipStream_tbEUlT_E0_NS1_11comp_targetILNS1_3genE5ELNS1_11target_archE942ELNS1_3gpuE9ELNS1_3repE0EEENS1_30default_config_static_selectorELNS0_4arch9wavefront6targetE1EEEvSF_.has_recursion, 0
	.set _ZN7rocprim17ROCPRIM_400000_NS6detail17trampoline_kernelINS0_14default_configENS1_22reduce_config_selectorIjEEZNS1_11reduce_implILb1ES3_PjS7_jN6thrust23THRUST_200600_302600_NS4plusIjEEEE10hipError_tPvRmT1_T2_T3_mT4_P12ihipStream_tbEUlT_E0_NS1_11comp_targetILNS1_3genE5ELNS1_11target_archE942ELNS1_3gpuE9ELNS1_3repE0EEENS1_30default_config_static_selectorELNS0_4arch9wavefront6targetE1EEEvSF_.has_indirect_call, 0
	.section	.AMDGPU.csdata,"",@progbits
; Kernel info:
; codeLenInByte = 0
; TotalNumSgprs: 6
; NumVgprs: 0
; NumAgprs: 0
; TotalNumVgprs: 0
; ScratchSize: 0
; MemoryBound: 0
; FloatMode: 240
; IeeeMode: 1
; LDSByteSize: 0 bytes/workgroup (compile time only)
; SGPRBlocks: 0
; VGPRBlocks: 0
; NumSGPRsForWavesPerEU: 6
; NumVGPRsForWavesPerEU: 1
; AccumOffset: 4
; Occupancy: 8
; WaveLimiterHint : 0
; COMPUTE_PGM_RSRC2:SCRATCH_EN: 0
; COMPUTE_PGM_RSRC2:USER_SGPR: 2
; COMPUTE_PGM_RSRC2:TRAP_HANDLER: 0
; COMPUTE_PGM_RSRC2:TGID_X_EN: 1
; COMPUTE_PGM_RSRC2:TGID_Y_EN: 0
; COMPUTE_PGM_RSRC2:TGID_Z_EN: 0
; COMPUTE_PGM_RSRC2:TIDIG_COMP_CNT: 0
; COMPUTE_PGM_RSRC3_GFX90A:ACCUM_OFFSET: 0
; COMPUTE_PGM_RSRC3_GFX90A:TG_SPLIT: 0
	.section	.text._ZN7rocprim17ROCPRIM_400000_NS6detail17trampoline_kernelINS0_14default_configENS1_22reduce_config_selectorIjEEZNS1_11reduce_implILb1ES3_PjS7_jN6thrust23THRUST_200600_302600_NS4plusIjEEEE10hipError_tPvRmT1_T2_T3_mT4_P12ihipStream_tbEUlT_E0_NS1_11comp_targetILNS1_3genE4ELNS1_11target_archE910ELNS1_3gpuE8ELNS1_3repE0EEENS1_30default_config_static_selectorELNS0_4arch9wavefront6targetE1EEEvSF_,"axG",@progbits,_ZN7rocprim17ROCPRIM_400000_NS6detail17trampoline_kernelINS0_14default_configENS1_22reduce_config_selectorIjEEZNS1_11reduce_implILb1ES3_PjS7_jN6thrust23THRUST_200600_302600_NS4plusIjEEEE10hipError_tPvRmT1_T2_T3_mT4_P12ihipStream_tbEUlT_E0_NS1_11comp_targetILNS1_3genE4ELNS1_11target_archE910ELNS1_3gpuE8ELNS1_3repE0EEENS1_30default_config_static_selectorELNS0_4arch9wavefront6targetE1EEEvSF_,comdat
	.protected	_ZN7rocprim17ROCPRIM_400000_NS6detail17trampoline_kernelINS0_14default_configENS1_22reduce_config_selectorIjEEZNS1_11reduce_implILb1ES3_PjS7_jN6thrust23THRUST_200600_302600_NS4plusIjEEEE10hipError_tPvRmT1_T2_T3_mT4_P12ihipStream_tbEUlT_E0_NS1_11comp_targetILNS1_3genE4ELNS1_11target_archE910ELNS1_3gpuE8ELNS1_3repE0EEENS1_30default_config_static_selectorELNS0_4arch9wavefront6targetE1EEEvSF_ ; -- Begin function _ZN7rocprim17ROCPRIM_400000_NS6detail17trampoline_kernelINS0_14default_configENS1_22reduce_config_selectorIjEEZNS1_11reduce_implILb1ES3_PjS7_jN6thrust23THRUST_200600_302600_NS4plusIjEEEE10hipError_tPvRmT1_T2_T3_mT4_P12ihipStream_tbEUlT_E0_NS1_11comp_targetILNS1_3genE4ELNS1_11target_archE910ELNS1_3gpuE8ELNS1_3repE0EEENS1_30default_config_static_selectorELNS0_4arch9wavefront6targetE1EEEvSF_
	.globl	_ZN7rocprim17ROCPRIM_400000_NS6detail17trampoline_kernelINS0_14default_configENS1_22reduce_config_selectorIjEEZNS1_11reduce_implILb1ES3_PjS7_jN6thrust23THRUST_200600_302600_NS4plusIjEEEE10hipError_tPvRmT1_T2_T3_mT4_P12ihipStream_tbEUlT_E0_NS1_11comp_targetILNS1_3genE4ELNS1_11target_archE910ELNS1_3gpuE8ELNS1_3repE0EEENS1_30default_config_static_selectorELNS0_4arch9wavefront6targetE1EEEvSF_
	.p2align	8
	.type	_ZN7rocprim17ROCPRIM_400000_NS6detail17trampoline_kernelINS0_14default_configENS1_22reduce_config_selectorIjEEZNS1_11reduce_implILb1ES3_PjS7_jN6thrust23THRUST_200600_302600_NS4plusIjEEEE10hipError_tPvRmT1_T2_T3_mT4_P12ihipStream_tbEUlT_E0_NS1_11comp_targetILNS1_3genE4ELNS1_11target_archE910ELNS1_3gpuE8ELNS1_3repE0EEENS1_30default_config_static_selectorELNS0_4arch9wavefront6targetE1EEEvSF_,@function
_ZN7rocprim17ROCPRIM_400000_NS6detail17trampoline_kernelINS0_14default_configENS1_22reduce_config_selectorIjEEZNS1_11reduce_implILb1ES3_PjS7_jN6thrust23THRUST_200600_302600_NS4plusIjEEEE10hipError_tPvRmT1_T2_T3_mT4_P12ihipStream_tbEUlT_E0_NS1_11comp_targetILNS1_3genE4ELNS1_11target_archE910ELNS1_3gpuE8ELNS1_3repE0EEENS1_30default_config_static_selectorELNS0_4arch9wavefront6targetE1EEEvSF_: ; @_ZN7rocprim17ROCPRIM_400000_NS6detail17trampoline_kernelINS0_14default_configENS1_22reduce_config_selectorIjEEZNS1_11reduce_implILb1ES3_PjS7_jN6thrust23THRUST_200600_302600_NS4plusIjEEEE10hipError_tPvRmT1_T2_T3_mT4_P12ihipStream_tbEUlT_E0_NS1_11comp_targetILNS1_3genE4ELNS1_11target_archE910ELNS1_3gpuE8ELNS1_3repE0EEENS1_30default_config_static_selectorELNS0_4arch9wavefront6targetE1EEEvSF_
; %bb.0:
	.section	.rodata,"a",@progbits
	.p2align	6, 0x0
	.amdhsa_kernel _ZN7rocprim17ROCPRIM_400000_NS6detail17trampoline_kernelINS0_14default_configENS1_22reduce_config_selectorIjEEZNS1_11reduce_implILb1ES3_PjS7_jN6thrust23THRUST_200600_302600_NS4plusIjEEEE10hipError_tPvRmT1_T2_T3_mT4_P12ihipStream_tbEUlT_E0_NS1_11comp_targetILNS1_3genE4ELNS1_11target_archE910ELNS1_3gpuE8ELNS1_3repE0EEENS1_30default_config_static_selectorELNS0_4arch9wavefront6targetE1EEEvSF_
		.amdhsa_group_segment_fixed_size 0
		.amdhsa_private_segment_fixed_size 0
		.amdhsa_kernarg_size 56
		.amdhsa_user_sgpr_count 2
		.amdhsa_user_sgpr_dispatch_ptr 0
		.amdhsa_user_sgpr_queue_ptr 0
		.amdhsa_user_sgpr_kernarg_segment_ptr 1
		.amdhsa_user_sgpr_dispatch_id 0
		.amdhsa_user_sgpr_kernarg_preload_length 0
		.amdhsa_user_sgpr_kernarg_preload_offset 0
		.amdhsa_user_sgpr_private_segment_size 0
		.amdhsa_uses_dynamic_stack 0
		.amdhsa_enable_private_segment 0
		.amdhsa_system_sgpr_workgroup_id_x 1
		.amdhsa_system_sgpr_workgroup_id_y 0
		.amdhsa_system_sgpr_workgroup_id_z 0
		.amdhsa_system_sgpr_workgroup_info 0
		.amdhsa_system_vgpr_workitem_id 0
		.amdhsa_next_free_vgpr 1
		.amdhsa_next_free_sgpr 0
		.amdhsa_accum_offset 4
		.amdhsa_reserve_vcc 0
		.amdhsa_float_round_mode_32 0
		.amdhsa_float_round_mode_16_64 0
		.amdhsa_float_denorm_mode_32 3
		.amdhsa_float_denorm_mode_16_64 3
		.amdhsa_dx10_clamp 1
		.amdhsa_ieee_mode 1
		.amdhsa_fp16_overflow 0
		.amdhsa_tg_split 0
		.amdhsa_exception_fp_ieee_invalid_op 0
		.amdhsa_exception_fp_denorm_src 0
		.amdhsa_exception_fp_ieee_div_zero 0
		.amdhsa_exception_fp_ieee_overflow 0
		.amdhsa_exception_fp_ieee_underflow 0
		.amdhsa_exception_fp_ieee_inexact 0
		.amdhsa_exception_int_div_zero 0
	.end_amdhsa_kernel
	.section	.text._ZN7rocprim17ROCPRIM_400000_NS6detail17trampoline_kernelINS0_14default_configENS1_22reduce_config_selectorIjEEZNS1_11reduce_implILb1ES3_PjS7_jN6thrust23THRUST_200600_302600_NS4plusIjEEEE10hipError_tPvRmT1_T2_T3_mT4_P12ihipStream_tbEUlT_E0_NS1_11comp_targetILNS1_3genE4ELNS1_11target_archE910ELNS1_3gpuE8ELNS1_3repE0EEENS1_30default_config_static_selectorELNS0_4arch9wavefront6targetE1EEEvSF_,"axG",@progbits,_ZN7rocprim17ROCPRIM_400000_NS6detail17trampoline_kernelINS0_14default_configENS1_22reduce_config_selectorIjEEZNS1_11reduce_implILb1ES3_PjS7_jN6thrust23THRUST_200600_302600_NS4plusIjEEEE10hipError_tPvRmT1_T2_T3_mT4_P12ihipStream_tbEUlT_E0_NS1_11comp_targetILNS1_3genE4ELNS1_11target_archE910ELNS1_3gpuE8ELNS1_3repE0EEENS1_30default_config_static_selectorELNS0_4arch9wavefront6targetE1EEEvSF_,comdat
.Lfunc_end115:
	.size	_ZN7rocprim17ROCPRIM_400000_NS6detail17trampoline_kernelINS0_14default_configENS1_22reduce_config_selectorIjEEZNS1_11reduce_implILb1ES3_PjS7_jN6thrust23THRUST_200600_302600_NS4plusIjEEEE10hipError_tPvRmT1_T2_T3_mT4_P12ihipStream_tbEUlT_E0_NS1_11comp_targetILNS1_3genE4ELNS1_11target_archE910ELNS1_3gpuE8ELNS1_3repE0EEENS1_30default_config_static_selectorELNS0_4arch9wavefront6targetE1EEEvSF_, .Lfunc_end115-_ZN7rocprim17ROCPRIM_400000_NS6detail17trampoline_kernelINS0_14default_configENS1_22reduce_config_selectorIjEEZNS1_11reduce_implILb1ES3_PjS7_jN6thrust23THRUST_200600_302600_NS4plusIjEEEE10hipError_tPvRmT1_T2_T3_mT4_P12ihipStream_tbEUlT_E0_NS1_11comp_targetILNS1_3genE4ELNS1_11target_archE910ELNS1_3gpuE8ELNS1_3repE0EEENS1_30default_config_static_selectorELNS0_4arch9wavefront6targetE1EEEvSF_
                                        ; -- End function
	.set _ZN7rocprim17ROCPRIM_400000_NS6detail17trampoline_kernelINS0_14default_configENS1_22reduce_config_selectorIjEEZNS1_11reduce_implILb1ES3_PjS7_jN6thrust23THRUST_200600_302600_NS4plusIjEEEE10hipError_tPvRmT1_T2_T3_mT4_P12ihipStream_tbEUlT_E0_NS1_11comp_targetILNS1_3genE4ELNS1_11target_archE910ELNS1_3gpuE8ELNS1_3repE0EEENS1_30default_config_static_selectorELNS0_4arch9wavefront6targetE1EEEvSF_.num_vgpr, 0
	.set _ZN7rocprim17ROCPRIM_400000_NS6detail17trampoline_kernelINS0_14default_configENS1_22reduce_config_selectorIjEEZNS1_11reduce_implILb1ES3_PjS7_jN6thrust23THRUST_200600_302600_NS4plusIjEEEE10hipError_tPvRmT1_T2_T3_mT4_P12ihipStream_tbEUlT_E0_NS1_11comp_targetILNS1_3genE4ELNS1_11target_archE910ELNS1_3gpuE8ELNS1_3repE0EEENS1_30default_config_static_selectorELNS0_4arch9wavefront6targetE1EEEvSF_.num_agpr, 0
	.set _ZN7rocprim17ROCPRIM_400000_NS6detail17trampoline_kernelINS0_14default_configENS1_22reduce_config_selectorIjEEZNS1_11reduce_implILb1ES3_PjS7_jN6thrust23THRUST_200600_302600_NS4plusIjEEEE10hipError_tPvRmT1_T2_T3_mT4_P12ihipStream_tbEUlT_E0_NS1_11comp_targetILNS1_3genE4ELNS1_11target_archE910ELNS1_3gpuE8ELNS1_3repE0EEENS1_30default_config_static_selectorELNS0_4arch9wavefront6targetE1EEEvSF_.numbered_sgpr, 0
	.set _ZN7rocprim17ROCPRIM_400000_NS6detail17trampoline_kernelINS0_14default_configENS1_22reduce_config_selectorIjEEZNS1_11reduce_implILb1ES3_PjS7_jN6thrust23THRUST_200600_302600_NS4plusIjEEEE10hipError_tPvRmT1_T2_T3_mT4_P12ihipStream_tbEUlT_E0_NS1_11comp_targetILNS1_3genE4ELNS1_11target_archE910ELNS1_3gpuE8ELNS1_3repE0EEENS1_30default_config_static_selectorELNS0_4arch9wavefront6targetE1EEEvSF_.num_named_barrier, 0
	.set _ZN7rocprim17ROCPRIM_400000_NS6detail17trampoline_kernelINS0_14default_configENS1_22reduce_config_selectorIjEEZNS1_11reduce_implILb1ES3_PjS7_jN6thrust23THRUST_200600_302600_NS4plusIjEEEE10hipError_tPvRmT1_T2_T3_mT4_P12ihipStream_tbEUlT_E0_NS1_11comp_targetILNS1_3genE4ELNS1_11target_archE910ELNS1_3gpuE8ELNS1_3repE0EEENS1_30default_config_static_selectorELNS0_4arch9wavefront6targetE1EEEvSF_.private_seg_size, 0
	.set _ZN7rocprim17ROCPRIM_400000_NS6detail17trampoline_kernelINS0_14default_configENS1_22reduce_config_selectorIjEEZNS1_11reduce_implILb1ES3_PjS7_jN6thrust23THRUST_200600_302600_NS4plusIjEEEE10hipError_tPvRmT1_T2_T3_mT4_P12ihipStream_tbEUlT_E0_NS1_11comp_targetILNS1_3genE4ELNS1_11target_archE910ELNS1_3gpuE8ELNS1_3repE0EEENS1_30default_config_static_selectorELNS0_4arch9wavefront6targetE1EEEvSF_.uses_vcc, 0
	.set _ZN7rocprim17ROCPRIM_400000_NS6detail17trampoline_kernelINS0_14default_configENS1_22reduce_config_selectorIjEEZNS1_11reduce_implILb1ES3_PjS7_jN6thrust23THRUST_200600_302600_NS4plusIjEEEE10hipError_tPvRmT1_T2_T3_mT4_P12ihipStream_tbEUlT_E0_NS1_11comp_targetILNS1_3genE4ELNS1_11target_archE910ELNS1_3gpuE8ELNS1_3repE0EEENS1_30default_config_static_selectorELNS0_4arch9wavefront6targetE1EEEvSF_.uses_flat_scratch, 0
	.set _ZN7rocprim17ROCPRIM_400000_NS6detail17trampoline_kernelINS0_14default_configENS1_22reduce_config_selectorIjEEZNS1_11reduce_implILb1ES3_PjS7_jN6thrust23THRUST_200600_302600_NS4plusIjEEEE10hipError_tPvRmT1_T2_T3_mT4_P12ihipStream_tbEUlT_E0_NS1_11comp_targetILNS1_3genE4ELNS1_11target_archE910ELNS1_3gpuE8ELNS1_3repE0EEENS1_30default_config_static_selectorELNS0_4arch9wavefront6targetE1EEEvSF_.has_dyn_sized_stack, 0
	.set _ZN7rocprim17ROCPRIM_400000_NS6detail17trampoline_kernelINS0_14default_configENS1_22reduce_config_selectorIjEEZNS1_11reduce_implILb1ES3_PjS7_jN6thrust23THRUST_200600_302600_NS4plusIjEEEE10hipError_tPvRmT1_T2_T3_mT4_P12ihipStream_tbEUlT_E0_NS1_11comp_targetILNS1_3genE4ELNS1_11target_archE910ELNS1_3gpuE8ELNS1_3repE0EEENS1_30default_config_static_selectorELNS0_4arch9wavefront6targetE1EEEvSF_.has_recursion, 0
	.set _ZN7rocprim17ROCPRIM_400000_NS6detail17trampoline_kernelINS0_14default_configENS1_22reduce_config_selectorIjEEZNS1_11reduce_implILb1ES3_PjS7_jN6thrust23THRUST_200600_302600_NS4plusIjEEEE10hipError_tPvRmT1_T2_T3_mT4_P12ihipStream_tbEUlT_E0_NS1_11comp_targetILNS1_3genE4ELNS1_11target_archE910ELNS1_3gpuE8ELNS1_3repE0EEENS1_30default_config_static_selectorELNS0_4arch9wavefront6targetE1EEEvSF_.has_indirect_call, 0
	.section	.AMDGPU.csdata,"",@progbits
; Kernel info:
; codeLenInByte = 0
; TotalNumSgprs: 6
; NumVgprs: 0
; NumAgprs: 0
; TotalNumVgprs: 0
; ScratchSize: 0
; MemoryBound: 0
; FloatMode: 240
; IeeeMode: 1
; LDSByteSize: 0 bytes/workgroup (compile time only)
; SGPRBlocks: 0
; VGPRBlocks: 0
; NumSGPRsForWavesPerEU: 6
; NumVGPRsForWavesPerEU: 1
; AccumOffset: 4
; Occupancy: 8
; WaveLimiterHint : 0
; COMPUTE_PGM_RSRC2:SCRATCH_EN: 0
; COMPUTE_PGM_RSRC2:USER_SGPR: 2
; COMPUTE_PGM_RSRC2:TRAP_HANDLER: 0
; COMPUTE_PGM_RSRC2:TGID_X_EN: 1
; COMPUTE_PGM_RSRC2:TGID_Y_EN: 0
; COMPUTE_PGM_RSRC2:TGID_Z_EN: 0
; COMPUTE_PGM_RSRC2:TIDIG_COMP_CNT: 0
; COMPUTE_PGM_RSRC3_GFX90A:ACCUM_OFFSET: 0
; COMPUTE_PGM_RSRC3_GFX90A:TG_SPLIT: 0
	.section	.text._ZN7rocprim17ROCPRIM_400000_NS6detail17trampoline_kernelINS0_14default_configENS1_22reduce_config_selectorIjEEZNS1_11reduce_implILb1ES3_PjS7_jN6thrust23THRUST_200600_302600_NS4plusIjEEEE10hipError_tPvRmT1_T2_T3_mT4_P12ihipStream_tbEUlT_E0_NS1_11comp_targetILNS1_3genE3ELNS1_11target_archE908ELNS1_3gpuE7ELNS1_3repE0EEENS1_30default_config_static_selectorELNS0_4arch9wavefront6targetE1EEEvSF_,"axG",@progbits,_ZN7rocprim17ROCPRIM_400000_NS6detail17trampoline_kernelINS0_14default_configENS1_22reduce_config_selectorIjEEZNS1_11reduce_implILb1ES3_PjS7_jN6thrust23THRUST_200600_302600_NS4plusIjEEEE10hipError_tPvRmT1_T2_T3_mT4_P12ihipStream_tbEUlT_E0_NS1_11comp_targetILNS1_3genE3ELNS1_11target_archE908ELNS1_3gpuE7ELNS1_3repE0EEENS1_30default_config_static_selectorELNS0_4arch9wavefront6targetE1EEEvSF_,comdat
	.protected	_ZN7rocprim17ROCPRIM_400000_NS6detail17trampoline_kernelINS0_14default_configENS1_22reduce_config_selectorIjEEZNS1_11reduce_implILb1ES3_PjS7_jN6thrust23THRUST_200600_302600_NS4plusIjEEEE10hipError_tPvRmT1_T2_T3_mT4_P12ihipStream_tbEUlT_E0_NS1_11comp_targetILNS1_3genE3ELNS1_11target_archE908ELNS1_3gpuE7ELNS1_3repE0EEENS1_30default_config_static_selectorELNS0_4arch9wavefront6targetE1EEEvSF_ ; -- Begin function _ZN7rocprim17ROCPRIM_400000_NS6detail17trampoline_kernelINS0_14default_configENS1_22reduce_config_selectorIjEEZNS1_11reduce_implILb1ES3_PjS7_jN6thrust23THRUST_200600_302600_NS4plusIjEEEE10hipError_tPvRmT1_T2_T3_mT4_P12ihipStream_tbEUlT_E0_NS1_11comp_targetILNS1_3genE3ELNS1_11target_archE908ELNS1_3gpuE7ELNS1_3repE0EEENS1_30default_config_static_selectorELNS0_4arch9wavefront6targetE1EEEvSF_
	.globl	_ZN7rocprim17ROCPRIM_400000_NS6detail17trampoline_kernelINS0_14default_configENS1_22reduce_config_selectorIjEEZNS1_11reduce_implILb1ES3_PjS7_jN6thrust23THRUST_200600_302600_NS4plusIjEEEE10hipError_tPvRmT1_T2_T3_mT4_P12ihipStream_tbEUlT_E0_NS1_11comp_targetILNS1_3genE3ELNS1_11target_archE908ELNS1_3gpuE7ELNS1_3repE0EEENS1_30default_config_static_selectorELNS0_4arch9wavefront6targetE1EEEvSF_
	.p2align	8
	.type	_ZN7rocprim17ROCPRIM_400000_NS6detail17trampoline_kernelINS0_14default_configENS1_22reduce_config_selectorIjEEZNS1_11reduce_implILb1ES3_PjS7_jN6thrust23THRUST_200600_302600_NS4plusIjEEEE10hipError_tPvRmT1_T2_T3_mT4_P12ihipStream_tbEUlT_E0_NS1_11comp_targetILNS1_3genE3ELNS1_11target_archE908ELNS1_3gpuE7ELNS1_3repE0EEENS1_30default_config_static_selectorELNS0_4arch9wavefront6targetE1EEEvSF_,@function
_ZN7rocprim17ROCPRIM_400000_NS6detail17trampoline_kernelINS0_14default_configENS1_22reduce_config_selectorIjEEZNS1_11reduce_implILb1ES3_PjS7_jN6thrust23THRUST_200600_302600_NS4plusIjEEEE10hipError_tPvRmT1_T2_T3_mT4_P12ihipStream_tbEUlT_E0_NS1_11comp_targetILNS1_3genE3ELNS1_11target_archE908ELNS1_3gpuE7ELNS1_3repE0EEENS1_30default_config_static_selectorELNS0_4arch9wavefront6targetE1EEEvSF_: ; @_ZN7rocprim17ROCPRIM_400000_NS6detail17trampoline_kernelINS0_14default_configENS1_22reduce_config_selectorIjEEZNS1_11reduce_implILb1ES3_PjS7_jN6thrust23THRUST_200600_302600_NS4plusIjEEEE10hipError_tPvRmT1_T2_T3_mT4_P12ihipStream_tbEUlT_E0_NS1_11comp_targetILNS1_3genE3ELNS1_11target_archE908ELNS1_3gpuE7ELNS1_3repE0EEENS1_30default_config_static_selectorELNS0_4arch9wavefront6targetE1EEEvSF_
; %bb.0:
	.section	.rodata,"a",@progbits
	.p2align	6, 0x0
	.amdhsa_kernel _ZN7rocprim17ROCPRIM_400000_NS6detail17trampoline_kernelINS0_14default_configENS1_22reduce_config_selectorIjEEZNS1_11reduce_implILb1ES3_PjS7_jN6thrust23THRUST_200600_302600_NS4plusIjEEEE10hipError_tPvRmT1_T2_T3_mT4_P12ihipStream_tbEUlT_E0_NS1_11comp_targetILNS1_3genE3ELNS1_11target_archE908ELNS1_3gpuE7ELNS1_3repE0EEENS1_30default_config_static_selectorELNS0_4arch9wavefront6targetE1EEEvSF_
		.amdhsa_group_segment_fixed_size 0
		.amdhsa_private_segment_fixed_size 0
		.amdhsa_kernarg_size 56
		.amdhsa_user_sgpr_count 2
		.amdhsa_user_sgpr_dispatch_ptr 0
		.amdhsa_user_sgpr_queue_ptr 0
		.amdhsa_user_sgpr_kernarg_segment_ptr 1
		.amdhsa_user_sgpr_dispatch_id 0
		.amdhsa_user_sgpr_kernarg_preload_length 0
		.amdhsa_user_sgpr_kernarg_preload_offset 0
		.amdhsa_user_sgpr_private_segment_size 0
		.amdhsa_uses_dynamic_stack 0
		.amdhsa_enable_private_segment 0
		.amdhsa_system_sgpr_workgroup_id_x 1
		.amdhsa_system_sgpr_workgroup_id_y 0
		.amdhsa_system_sgpr_workgroup_id_z 0
		.amdhsa_system_sgpr_workgroup_info 0
		.amdhsa_system_vgpr_workitem_id 0
		.amdhsa_next_free_vgpr 1
		.amdhsa_next_free_sgpr 0
		.amdhsa_accum_offset 4
		.amdhsa_reserve_vcc 0
		.amdhsa_float_round_mode_32 0
		.amdhsa_float_round_mode_16_64 0
		.amdhsa_float_denorm_mode_32 3
		.amdhsa_float_denorm_mode_16_64 3
		.amdhsa_dx10_clamp 1
		.amdhsa_ieee_mode 1
		.amdhsa_fp16_overflow 0
		.amdhsa_tg_split 0
		.amdhsa_exception_fp_ieee_invalid_op 0
		.amdhsa_exception_fp_denorm_src 0
		.amdhsa_exception_fp_ieee_div_zero 0
		.amdhsa_exception_fp_ieee_overflow 0
		.amdhsa_exception_fp_ieee_underflow 0
		.amdhsa_exception_fp_ieee_inexact 0
		.amdhsa_exception_int_div_zero 0
	.end_amdhsa_kernel
	.section	.text._ZN7rocprim17ROCPRIM_400000_NS6detail17trampoline_kernelINS0_14default_configENS1_22reduce_config_selectorIjEEZNS1_11reduce_implILb1ES3_PjS7_jN6thrust23THRUST_200600_302600_NS4plusIjEEEE10hipError_tPvRmT1_T2_T3_mT4_P12ihipStream_tbEUlT_E0_NS1_11comp_targetILNS1_3genE3ELNS1_11target_archE908ELNS1_3gpuE7ELNS1_3repE0EEENS1_30default_config_static_selectorELNS0_4arch9wavefront6targetE1EEEvSF_,"axG",@progbits,_ZN7rocprim17ROCPRIM_400000_NS6detail17trampoline_kernelINS0_14default_configENS1_22reduce_config_selectorIjEEZNS1_11reduce_implILb1ES3_PjS7_jN6thrust23THRUST_200600_302600_NS4plusIjEEEE10hipError_tPvRmT1_T2_T3_mT4_P12ihipStream_tbEUlT_E0_NS1_11comp_targetILNS1_3genE3ELNS1_11target_archE908ELNS1_3gpuE7ELNS1_3repE0EEENS1_30default_config_static_selectorELNS0_4arch9wavefront6targetE1EEEvSF_,comdat
.Lfunc_end116:
	.size	_ZN7rocprim17ROCPRIM_400000_NS6detail17trampoline_kernelINS0_14default_configENS1_22reduce_config_selectorIjEEZNS1_11reduce_implILb1ES3_PjS7_jN6thrust23THRUST_200600_302600_NS4plusIjEEEE10hipError_tPvRmT1_T2_T3_mT4_P12ihipStream_tbEUlT_E0_NS1_11comp_targetILNS1_3genE3ELNS1_11target_archE908ELNS1_3gpuE7ELNS1_3repE0EEENS1_30default_config_static_selectorELNS0_4arch9wavefront6targetE1EEEvSF_, .Lfunc_end116-_ZN7rocprim17ROCPRIM_400000_NS6detail17trampoline_kernelINS0_14default_configENS1_22reduce_config_selectorIjEEZNS1_11reduce_implILb1ES3_PjS7_jN6thrust23THRUST_200600_302600_NS4plusIjEEEE10hipError_tPvRmT1_T2_T3_mT4_P12ihipStream_tbEUlT_E0_NS1_11comp_targetILNS1_3genE3ELNS1_11target_archE908ELNS1_3gpuE7ELNS1_3repE0EEENS1_30default_config_static_selectorELNS0_4arch9wavefront6targetE1EEEvSF_
                                        ; -- End function
	.set _ZN7rocprim17ROCPRIM_400000_NS6detail17trampoline_kernelINS0_14default_configENS1_22reduce_config_selectorIjEEZNS1_11reduce_implILb1ES3_PjS7_jN6thrust23THRUST_200600_302600_NS4plusIjEEEE10hipError_tPvRmT1_T2_T3_mT4_P12ihipStream_tbEUlT_E0_NS1_11comp_targetILNS1_3genE3ELNS1_11target_archE908ELNS1_3gpuE7ELNS1_3repE0EEENS1_30default_config_static_selectorELNS0_4arch9wavefront6targetE1EEEvSF_.num_vgpr, 0
	.set _ZN7rocprim17ROCPRIM_400000_NS6detail17trampoline_kernelINS0_14default_configENS1_22reduce_config_selectorIjEEZNS1_11reduce_implILb1ES3_PjS7_jN6thrust23THRUST_200600_302600_NS4plusIjEEEE10hipError_tPvRmT1_T2_T3_mT4_P12ihipStream_tbEUlT_E0_NS1_11comp_targetILNS1_3genE3ELNS1_11target_archE908ELNS1_3gpuE7ELNS1_3repE0EEENS1_30default_config_static_selectorELNS0_4arch9wavefront6targetE1EEEvSF_.num_agpr, 0
	.set _ZN7rocprim17ROCPRIM_400000_NS6detail17trampoline_kernelINS0_14default_configENS1_22reduce_config_selectorIjEEZNS1_11reduce_implILb1ES3_PjS7_jN6thrust23THRUST_200600_302600_NS4plusIjEEEE10hipError_tPvRmT1_T2_T3_mT4_P12ihipStream_tbEUlT_E0_NS1_11comp_targetILNS1_3genE3ELNS1_11target_archE908ELNS1_3gpuE7ELNS1_3repE0EEENS1_30default_config_static_selectorELNS0_4arch9wavefront6targetE1EEEvSF_.numbered_sgpr, 0
	.set _ZN7rocprim17ROCPRIM_400000_NS6detail17trampoline_kernelINS0_14default_configENS1_22reduce_config_selectorIjEEZNS1_11reduce_implILb1ES3_PjS7_jN6thrust23THRUST_200600_302600_NS4plusIjEEEE10hipError_tPvRmT1_T2_T3_mT4_P12ihipStream_tbEUlT_E0_NS1_11comp_targetILNS1_3genE3ELNS1_11target_archE908ELNS1_3gpuE7ELNS1_3repE0EEENS1_30default_config_static_selectorELNS0_4arch9wavefront6targetE1EEEvSF_.num_named_barrier, 0
	.set _ZN7rocprim17ROCPRIM_400000_NS6detail17trampoline_kernelINS0_14default_configENS1_22reduce_config_selectorIjEEZNS1_11reduce_implILb1ES3_PjS7_jN6thrust23THRUST_200600_302600_NS4plusIjEEEE10hipError_tPvRmT1_T2_T3_mT4_P12ihipStream_tbEUlT_E0_NS1_11comp_targetILNS1_3genE3ELNS1_11target_archE908ELNS1_3gpuE7ELNS1_3repE0EEENS1_30default_config_static_selectorELNS0_4arch9wavefront6targetE1EEEvSF_.private_seg_size, 0
	.set _ZN7rocprim17ROCPRIM_400000_NS6detail17trampoline_kernelINS0_14default_configENS1_22reduce_config_selectorIjEEZNS1_11reduce_implILb1ES3_PjS7_jN6thrust23THRUST_200600_302600_NS4plusIjEEEE10hipError_tPvRmT1_T2_T3_mT4_P12ihipStream_tbEUlT_E0_NS1_11comp_targetILNS1_3genE3ELNS1_11target_archE908ELNS1_3gpuE7ELNS1_3repE0EEENS1_30default_config_static_selectorELNS0_4arch9wavefront6targetE1EEEvSF_.uses_vcc, 0
	.set _ZN7rocprim17ROCPRIM_400000_NS6detail17trampoline_kernelINS0_14default_configENS1_22reduce_config_selectorIjEEZNS1_11reduce_implILb1ES3_PjS7_jN6thrust23THRUST_200600_302600_NS4plusIjEEEE10hipError_tPvRmT1_T2_T3_mT4_P12ihipStream_tbEUlT_E0_NS1_11comp_targetILNS1_3genE3ELNS1_11target_archE908ELNS1_3gpuE7ELNS1_3repE0EEENS1_30default_config_static_selectorELNS0_4arch9wavefront6targetE1EEEvSF_.uses_flat_scratch, 0
	.set _ZN7rocprim17ROCPRIM_400000_NS6detail17trampoline_kernelINS0_14default_configENS1_22reduce_config_selectorIjEEZNS1_11reduce_implILb1ES3_PjS7_jN6thrust23THRUST_200600_302600_NS4plusIjEEEE10hipError_tPvRmT1_T2_T3_mT4_P12ihipStream_tbEUlT_E0_NS1_11comp_targetILNS1_3genE3ELNS1_11target_archE908ELNS1_3gpuE7ELNS1_3repE0EEENS1_30default_config_static_selectorELNS0_4arch9wavefront6targetE1EEEvSF_.has_dyn_sized_stack, 0
	.set _ZN7rocprim17ROCPRIM_400000_NS6detail17trampoline_kernelINS0_14default_configENS1_22reduce_config_selectorIjEEZNS1_11reduce_implILb1ES3_PjS7_jN6thrust23THRUST_200600_302600_NS4plusIjEEEE10hipError_tPvRmT1_T2_T3_mT4_P12ihipStream_tbEUlT_E0_NS1_11comp_targetILNS1_3genE3ELNS1_11target_archE908ELNS1_3gpuE7ELNS1_3repE0EEENS1_30default_config_static_selectorELNS0_4arch9wavefront6targetE1EEEvSF_.has_recursion, 0
	.set _ZN7rocprim17ROCPRIM_400000_NS6detail17trampoline_kernelINS0_14default_configENS1_22reduce_config_selectorIjEEZNS1_11reduce_implILb1ES3_PjS7_jN6thrust23THRUST_200600_302600_NS4plusIjEEEE10hipError_tPvRmT1_T2_T3_mT4_P12ihipStream_tbEUlT_E0_NS1_11comp_targetILNS1_3genE3ELNS1_11target_archE908ELNS1_3gpuE7ELNS1_3repE0EEENS1_30default_config_static_selectorELNS0_4arch9wavefront6targetE1EEEvSF_.has_indirect_call, 0
	.section	.AMDGPU.csdata,"",@progbits
; Kernel info:
; codeLenInByte = 0
; TotalNumSgprs: 6
; NumVgprs: 0
; NumAgprs: 0
; TotalNumVgprs: 0
; ScratchSize: 0
; MemoryBound: 0
; FloatMode: 240
; IeeeMode: 1
; LDSByteSize: 0 bytes/workgroup (compile time only)
; SGPRBlocks: 0
; VGPRBlocks: 0
; NumSGPRsForWavesPerEU: 6
; NumVGPRsForWavesPerEU: 1
; AccumOffset: 4
; Occupancy: 8
; WaveLimiterHint : 0
; COMPUTE_PGM_RSRC2:SCRATCH_EN: 0
; COMPUTE_PGM_RSRC2:USER_SGPR: 2
; COMPUTE_PGM_RSRC2:TRAP_HANDLER: 0
; COMPUTE_PGM_RSRC2:TGID_X_EN: 1
; COMPUTE_PGM_RSRC2:TGID_Y_EN: 0
; COMPUTE_PGM_RSRC2:TGID_Z_EN: 0
; COMPUTE_PGM_RSRC2:TIDIG_COMP_CNT: 0
; COMPUTE_PGM_RSRC3_GFX90A:ACCUM_OFFSET: 0
; COMPUTE_PGM_RSRC3_GFX90A:TG_SPLIT: 0
	.section	.text._ZN7rocprim17ROCPRIM_400000_NS6detail17trampoline_kernelINS0_14default_configENS1_22reduce_config_selectorIjEEZNS1_11reduce_implILb1ES3_PjS7_jN6thrust23THRUST_200600_302600_NS4plusIjEEEE10hipError_tPvRmT1_T2_T3_mT4_P12ihipStream_tbEUlT_E0_NS1_11comp_targetILNS1_3genE2ELNS1_11target_archE906ELNS1_3gpuE6ELNS1_3repE0EEENS1_30default_config_static_selectorELNS0_4arch9wavefront6targetE1EEEvSF_,"axG",@progbits,_ZN7rocprim17ROCPRIM_400000_NS6detail17trampoline_kernelINS0_14default_configENS1_22reduce_config_selectorIjEEZNS1_11reduce_implILb1ES3_PjS7_jN6thrust23THRUST_200600_302600_NS4plusIjEEEE10hipError_tPvRmT1_T2_T3_mT4_P12ihipStream_tbEUlT_E0_NS1_11comp_targetILNS1_3genE2ELNS1_11target_archE906ELNS1_3gpuE6ELNS1_3repE0EEENS1_30default_config_static_selectorELNS0_4arch9wavefront6targetE1EEEvSF_,comdat
	.protected	_ZN7rocprim17ROCPRIM_400000_NS6detail17trampoline_kernelINS0_14default_configENS1_22reduce_config_selectorIjEEZNS1_11reduce_implILb1ES3_PjS7_jN6thrust23THRUST_200600_302600_NS4plusIjEEEE10hipError_tPvRmT1_T2_T3_mT4_P12ihipStream_tbEUlT_E0_NS1_11comp_targetILNS1_3genE2ELNS1_11target_archE906ELNS1_3gpuE6ELNS1_3repE0EEENS1_30default_config_static_selectorELNS0_4arch9wavefront6targetE1EEEvSF_ ; -- Begin function _ZN7rocprim17ROCPRIM_400000_NS6detail17trampoline_kernelINS0_14default_configENS1_22reduce_config_selectorIjEEZNS1_11reduce_implILb1ES3_PjS7_jN6thrust23THRUST_200600_302600_NS4plusIjEEEE10hipError_tPvRmT1_T2_T3_mT4_P12ihipStream_tbEUlT_E0_NS1_11comp_targetILNS1_3genE2ELNS1_11target_archE906ELNS1_3gpuE6ELNS1_3repE0EEENS1_30default_config_static_selectorELNS0_4arch9wavefront6targetE1EEEvSF_
	.globl	_ZN7rocprim17ROCPRIM_400000_NS6detail17trampoline_kernelINS0_14default_configENS1_22reduce_config_selectorIjEEZNS1_11reduce_implILb1ES3_PjS7_jN6thrust23THRUST_200600_302600_NS4plusIjEEEE10hipError_tPvRmT1_T2_T3_mT4_P12ihipStream_tbEUlT_E0_NS1_11comp_targetILNS1_3genE2ELNS1_11target_archE906ELNS1_3gpuE6ELNS1_3repE0EEENS1_30default_config_static_selectorELNS0_4arch9wavefront6targetE1EEEvSF_
	.p2align	8
	.type	_ZN7rocprim17ROCPRIM_400000_NS6detail17trampoline_kernelINS0_14default_configENS1_22reduce_config_selectorIjEEZNS1_11reduce_implILb1ES3_PjS7_jN6thrust23THRUST_200600_302600_NS4plusIjEEEE10hipError_tPvRmT1_T2_T3_mT4_P12ihipStream_tbEUlT_E0_NS1_11comp_targetILNS1_3genE2ELNS1_11target_archE906ELNS1_3gpuE6ELNS1_3repE0EEENS1_30default_config_static_selectorELNS0_4arch9wavefront6targetE1EEEvSF_,@function
_ZN7rocprim17ROCPRIM_400000_NS6detail17trampoline_kernelINS0_14default_configENS1_22reduce_config_selectorIjEEZNS1_11reduce_implILb1ES3_PjS7_jN6thrust23THRUST_200600_302600_NS4plusIjEEEE10hipError_tPvRmT1_T2_T3_mT4_P12ihipStream_tbEUlT_E0_NS1_11comp_targetILNS1_3genE2ELNS1_11target_archE906ELNS1_3gpuE6ELNS1_3repE0EEENS1_30default_config_static_selectorELNS0_4arch9wavefront6targetE1EEEvSF_: ; @_ZN7rocprim17ROCPRIM_400000_NS6detail17trampoline_kernelINS0_14default_configENS1_22reduce_config_selectorIjEEZNS1_11reduce_implILb1ES3_PjS7_jN6thrust23THRUST_200600_302600_NS4plusIjEEEE10hipError_tPvRmT1_T2_T3_mT4_P12ihipStream_tbEUlT_E0_NS1_11comp_targetILNS1_3genE2ELNS1_11target_archE906ELNS1_3gpuE6ELNS1_3repE0EEENS1_30default_config_static_selectorELNS0_4arch9wavefront6targetE1EEEvSF_
; %bb.0:
	.section	.rodata,"a",@progbits
	.p2align	6, 0x0
	.amdhsa_kernel _ZN7rocprim17ROCPRIM_400000_NS6detail17trampoline_kernelINS0_14default_configENS1_22reduce_config_selectorIjEEZNS1_11reduce_implILb1ES3_PjS7_jN6thrust23THRUST_200600_302600_NS4plusIjEEEE10hipError_tPvRmT1_T2_T3_mT4_P12ihipStream_tbEUlT_E0_NS1_11comp_targetILNS1_3genE2ELNS1_11target_archE906ELNS1_3gpuE6ELNS1_3repE0EEENS1_30default_config_static_selectorELNS0_4arch9wavefront6targetE1EEEvSF_
		.amdhsa_group_segment_fixed_size 0
		.amdhsa_private_segment_fixed_size 0
		.amdhsa_kernarg_size 56
		.amdhsa_user_sgpr_count 2
		.amdhsa_user_sgpr_dispatch_ptr 0
		.amdhsa_user_sgpr_queue_ptr 0
		.amdhsa_user_sgpr_kernarg_segment_ptr 1
		.amdhsa_user_sgpr_dispatch_id 0
		.amdhsa_user_sgpr_kernarg_preload_length 0
		.amdhsa_user_sgpr_kernarg_preload_offset 0
		.amdhsa_user_sgpr_private_segment_size 0
		.amdhsa_uses_dynamic_stack 0
		.amdhsa_enable_private_segment 0
		.amdhsa_system_sgpr_workgroup_id_x 1
		.amdhsa_system_sgpr_workgroup_id_y 0
		.amdhsa_system_sgpr_workgroup_id_z 0
		.amdhsa_system_sgpr_workgroup_info 0
		.amdhsa_system_vgpr_workitem_id 0
		.amdhsa_next_free_vgpr 1
		.amdhsa_next_free_sgpr 0
		.amdhsa_accum_offset 4
		.amdhsa_reserve_vcc 0
		.amdhsa_float_round_mode_32 0
		.amdhsa_float_round_mode_16_64 0
		.amdhsa_float_denorm_mode_32 3
		.amdhsa_float_denorm_mode_16_64 3
		.amdhsa_dx10_clamp 1
		.amdhsa_ieee_mode 1
		.amdhsa_fp16_overflow 0
		.amdhsa_tg_split 0
		.amdhsa_exception_fp_ieee_invalid_op 0
		.amdhsa_exception_fp_denorm_src 0
		.amdhsa_exception_fp_ieee_div_zero 0
		.amdhsa_exception_fp_ieee_overflow 0
		.amdhsa_exception_fp_ieee_underflow 0
		.amdhsa_exception_fp_ieee_inexact 0
		.amdhsa_exception_int_div_zero 0
	.end_amdhsa_kernel
	.section	.text._ZN7rocprim17ROCPRIM_400000_NS6detail17trampoline_kernelINS0_14default_configENS1_22reduce_config_selectorIjEEZNS1_11reduce_implILb1ES3_PjS7_jN6thrust23THRUST_200600_302600_NS4plusIjEEEE10hipError_tPvRmT1_T2_T3_mT4_P12ihipStream_tbEUlT_E0_NS1_11comp_targetILNS1_3genE2ELNS1_11target_archE906ELNS1_3gpuE6ELNS1_3repE0EEENS1_30default_config_static_selectorELNS0_4arch9wavefront6targetE1EEEvSF_,"axG",@progbits,_ZN7rocprim17ROCPRIM_400000_NS6detail17trampoline_kernelINS0_14default_configENS1_22reduce_config_selectorIjEEZNS1_11reduce_implILb1ES3_PjS7_jN6thrust23THRUST_200600_302600_NS4plusIjEEEE10hipError_tPvRmT1_T2_T3_mT4_P12ihipStream_tbEUlT_E0_NS1_11comp_targetILNS1_3genE2ELNS1_11target_archE906ELNS1_3gpuE6ELNS1_3repE0EEENS1_30default_config_static_selectorELNS0_4arch9wavefront6targetE1EEEvSF_,comdat
.Lfunc_end117:
	.size	_ZN7rocprim17ROCPRIM_400000_NS6detail17trampoline_kernelINS0_14default_configENS1_22reduce_config_selectorIjEEZNS1_11reduce_implILb1ES3_PjS7_jN6thrust23THRUST_200600_302600_NS4plusIjEEEE10hipError_tPvRmT1_T2_T3_mT4_P12ihipStream_tbEUlT_E0_NS1_11comp_targetILNS1_3genE2ELNS1_11target_archE906ELNS1_3gpuE6ELNS1_3repE0EEENS1_30default_config_static_selectorELNS0_4arch9wavefront6targetE1EEEvSF_, .Lfunc_end117-_ZN7rocprim17ROCPRIM_400000_NS6detail17trampoline_kernelINS0_14default_configENS1_22reduce_config_selectorIjEEZNS1_11reduce_implILb1ES3_PjS7_jN6thrust23THRUST_200600_302600_NS4plusIjEEEE10hipError_tPvRmT1_T2_T3_mT4_P12ihipStream_tbEUlT_E0_NS1_11comp_targetILNS1_3genE2ELNS1_11target_archE906ELNS1_3gpuE6ELNS1_3repE0EEENS1_30default_config_static_selectorELNS0_4arch9wavefront6targetE1EEEvSF_
                                        ; -- End function
	.set _ZN7rocprim17ROCPRIM_400000_NS6detail17trampoline_kernelINS0_14default_configENS1_22reduce_config_selectorIjEEZNS1_11reduce_implILb1ES3_PjS7_jN6thrust23THRUST_200600_302600_NS4plusIjEEEE10hipError_tPvRmT1_T2_T3_mT4_P12ihipStream_tbEUlT_E0_NS1_11comp_targetILNS1_3genE2ELNS1_11target_archE906ELNS1_3gpuE6ELNS1_3repE0EEENS1_30default_config_static_selectorELNS0_4arch9wavefront6targetE1EEEvSF_.num_vgpr, 0
	.set _ZN7rocprim17ROCPRIM_400000_NS6detail17trampoline_kernelINS0_14default_configENS1_22reduce_config_selectorIjEEZNS1_11reduce_implILb1ES3_PjS7_jN6thrust23THRUST_200600_302600_NS4plusIjEEEE10hipError_tPvRmT1_T2_T3_mT4_P12ihipStream_tbEUlT_E0_NS1_11comp_targetILNS1_3genE2ELNS1_11target_archE906ELNS1_3gpuE6ELNS1_3repE0EEENS1_30default_config_static_selectorELNS0_4arch9wavefront6targetE1EEEvSF_.num_agpr, 0
	.set _ZN7rocprim17ROCPRIM_400000_NS6detail17trampoline_kernelINS0_14default_configENS1_22reduce_config_selectorIjEEZNS1_11reduce_implILb1ES3_PjS7_jN6thrust23THRUST_200600_302600_NS4plusIjEEEE10hipError_tPvRmT1_T2_T3_mT4_P12ihipStream_tbEUlT_E0_NS1_11comp_targetILNS1_3genE2ELNS1_11target_archE906ELNS1_3gpuE6ELNS1_3repE0EEENS1_30default_config_static_selectorELNS0_4arch9wavefront6targetE1EEEvSF_.numbered_sgpr, 0
	.set _ZN7rocprim17ROCPRIM_400000_NS6detail17trampoline_kernelINS0_14default_configENS1_22reduce_config_selectorIjEEZNS1_11reduce_implILb1ES3_PjS7_jN6thrust23THRUST_200600_302600_NS4plusIjEEEE10hipError_tPvRmT1_T2_T3_mT4_P12ihipStream_tbEUlT_E0_NS1_11comp_targetILNS1_3genE2ELNS1_11target_archE906ELNS1_3gpuE6ELNS1_3repE0EEENS1_30default_config_static_selectorELNS0_4arch9wavefront6targetE1EEEvSF_.num_named_barrier, 0
	.set _ZN7rocprim17ROCPRIM_400000_NS6detail17trampoline_kernelINS0_14default_configENS1_22reduce_config_selectorIjEEZNS1_11reduce_implILb1ES3_PjS7_jN6thrust23THRUST_200600_302600_NS4plusIjEEEE10hipError_tPvRmT1_T2_T3_mT4_P12ihipStream_tbEUlT_E0_NS1_11comp_targetILNS1_3genE2ELNS1_11target_archE906ELNS1_3gpuE6ELNS1_3repE0EEENS1_30default_config_static_selectorELNS0_4arch9wavefront6targetE1EEEvSF_.private_seg_size, 0
	.set _ZN7rocprim17ROCPRIM_400000_NS6detail17trampoline_kernelINS0_14default_configENS1_22reduce_config_selectorIjEEZNS1_11reduce_implILb1ES3_PjS7_jN6thrust23THRUST_200600_302600_NS4plusIjEEEE10hipError_tPvRmT1_T2_T3_mT4_P12ihipStream_tbEUlT_E0_NS1_11comp_targetILNS1_3genE2ELNS1_11target_archE906ELNS1_3gpuE6ELNS1_3repE0EEENS1_30default_config_static_selectorELNS0_4arch9wavefront6targetE1EEEvSF_.uses_vcc, 0
	.set _ZN7rocprim17ROCPRIM_400000_NS6detail17trampoline_kernelINS0_14default_configENS1_22reduce_config_selectorIjEEZNS1_11reduce_implILb1ES3_PjS7_jN6thrust23THRUST_200600_302600_NS4plusIjEEEE10hipError_tPvRmT1_T2_T3_mT4_P12ihipStream_tbEUlT_E0_NS1_11comp_targetILNS1_3genE2ELNS1_11target_archE906ELNS1_3gpuE6ELNS1_3repE0EEENS1_30default_config_static_selectorELNS0_4arch9wavefront6targetE1EEEvSF_.uses_flat_scratch, 0
	.set _ZN7rocprim17ROCPRIM_400000_NS6detail17trampoline_kernelINS0_14default_configENS1_22reduce_config_selectorIjEEZNS1_11reduce_implILb1ES3_PjS7_jN6thrust23THRUST_200600_302600_NS4plusIjEEEE10hipError_tPvRmT1_T2_T3_mT4_P12ihipStream_tbEUlT_E0_NS1_11comp_targetILNS1_3genE2ELNS1_11target_archE906ELNS1_3gpuE6ELNS1_3repE0EEENS1_30default_config_static_selectorELNS0_4arch9wavefront6targetE1EEEvSF_.has_dyn_sized_stack, 0
	.set _ZN7rocprim17ROCPRIM_400000_NS6detail17trampoline_kernelINS0_14default_configENS1_22reduce_config_selectorIjEEZNS1_11reduce_implILb1ES3_PjS7_jN6thrust23THRUST_200600_302600_NS4plusIjEEEE10hipError_tPvRmT1_T2_T3_mT4_P12ihipStream_tbEUlT_E0_NS1_11comp_targetILNS1_3genE2ELNS1_11target_archE906ELNS1_3gpuE6ELNS1_3repE0EEENS1_30default_config_static_selectorELNS0_4arch9wavefront6targetE1EEEvSF_.has_recursion, 0
	.set _ZN7rocprim17ROCPRIM_400000_NS6detail17trampoline_kernelINS0_14default_configENS1_22reduce_config_selectorIjEEZNS1_11reduce_implILb1ES3_PjS7_jN6thrust23THRUST_200600_302600_NS4plusIjEEEE10hipError_tPvRmT1_T2_T3_mT4_P12ihipStream_tbEUlT_E0_NS1_11comp_targetILNS1_3genE2ELNS1_11target_archE906ELNS1_3gpuE6ELNS1_3repE0EEENS1_30default_config_static_selectorELNS0_4arch9wavefront6targetE1EEEvSF_.has_indirect_call, 0
	.section	.AMDGPU.csdata,"",@progbits
; Kernel info:
; codeLenInByte = 0
; TotalNumSgprs: 6
; NumVgprs: 0
; NumAgprs: 0
; TotalNumVgprs: 0
; ScratchSize: 0
; MemoryBound: 0
; FloatMode: 240
; IeeeMode: 1
; LDSByteSize: 0 bytes/workgroup (compile time only)
; SGPRBlocks: 0
; VGPRBlocks: 0
; NumSGPRsForWavesPerEU: 6
; NumVGPRsForWavesPerEU: 1
; AccumOffset: 4
; Occupancy: 8
; WaveLimiterHint : 0
; COMPUTE_PGM_RSRC2:SCRATCH_EN: 0
; COMPUTE_PGM_RSRC2:USER_SGPR: 2
; COMPUTE_PGM_RSRC2:TRAP_HANDLER: 0
; COMPUTE_PGM_RSRC2:TGID_X_EN: 1
; COMPUTE_PGM_RSRC2:TGID_Y_EN: 0
; COMPUTE_PGM_RSRC2:TGID_Z_EN: 0
; COMPUTE_PGM_RSRC2:TIDIG_COMP_CNT: 0
; COMPUTE_PGM_RSRC3_GFX90A:ACCUM_OFFSET: 0
; COMPUTE_PGM_RSRC3_GFX90A:TG_SPLIT: 0
	.section	.text._ZN7rocprim17ROCPRIM_400000_NS6detail17trampoline_kernelINS0_14default_configENS1_22reduce_config_selectorIjEEZNS1_11reduce_implILb1ES3_PjS7_jN6thrust23THRUST_200600_302600_NS4plusIjEEEE10hipError_tPvRmT1_T2_T3_mT4_P12ihipStream_tbEUlT_E0_NS1_11comp_targetILNS1_3genE10ELNS1_11target_archE1201ELNS1_3gpuE5ELNS1_3repE0EEENS1_30default_config_static_selectorELNS0_4arch9wavefront6targetE1EEEvSF_,"axG",@progbits,_ZN7rocprim17ROCPRIM_400000_NS6detail17trampoline_kernelINS0_14default_configENS1_22reduce_config_selectorIjEEZNS1_11reduce_implILb1ES3_PjS7_jN6thrust23THRUST_200600_302600_NS4plusIjEEEE10hipError_tPvRmT1_T2_T3_mT4_P12ihipStream_tbEUlT_E0_NS1_11comp_targetILNS1_3genE10ELNS1_11target_archE1201ELNS1_3gpuE5ELNS1_3repE0EEENS1_30default_config_static_selectorELNS0_4arch9wavefront6targetE1EEEvSF_,comdat
	.protected	_ZN7rocprim17ROCPRIM_400000_NS6detail17trampoline_kernelINS0_14default_configENS1_22reduce_config_selectorIjEEZNS1_11reduce_implILb1ES3_PjS7_jN6thrust23THRUST_200600_302600_NS4plusIjEEEE10hipError_tPvRmT1_T2_T3_mT4_P12ihipStream_tbEUlT_E0_NS1_11comp_targetILNS1_3genE10ELNS1_11target_archE1201ELNS1_3gpuE5ELNS1_3repE0EEENS1_30default_config_static_selectorELNS0_4arch9wavefront6targetE1EEEvSF_ ; -- Begin function _ZN7rocprim17ROCPRIM_400000_NS6detail17trampoline_kernelINS0_14default_configENS1_22reduce_config_selectorIjEEZNS1_11reduce_implILb1ES3_PjS7_jN6thrust23THRUST_200600_302600_NS4plusIjEEEE10hipError_tPvRmT1_T2_T3_mT4_P12ihipStream_tbEUlT_E0_NS1_11comp_targetILNS1_3genE10ELNS1_11target_archE1201ELNS1_3gpuE5ELNS1_3repE0EEENS1_30default_config_static_selectorELNS0_4arch9wavefront6targetE1EEEvSF_
	.globl	_ZN7rocprim17ROCPRIM_400000_NS6detail17trampoline_kernelINS0_14default_configENS1_22reduce_config_selectorIjEEZNS1_11reduce_implILb1ES3_PjS7_jN6thrust23THRUST_200600_302600_NS4plusIjEEEE10hipError_tPvRmT1_T2_T3_mT4_P12ihipStream_tbEUlT_E0_NS1_11comp_targetILNS1_3genE10ELNS1_11target_archE1201ELNS1_3gpuE5ELNS1_3repE0EEENS1_30default_config_static_selectorELNS0_4arch9wavefront6targetE1EEEvSF_
	.p2align	8
	.type	_ZN7rocprim17ROCPRIM_400000_NS6detail17trampoline_kernelINS0_14default_configENS1_22reduce_config_selectorIjEEZNS1_11reduce_implILb1ES3_PjS7_jN6thrust23THRUST_200600_302600_NS4plusIjEEEE10hipError_tPvRmT1_T2_T3_mT4_P12ihipStream_tbEUlT_E0_NS1_11comp_targetILNS1_3genE10ELNS1_11target_archE1201ELNS1_3gpuE5ELNS1_3repE0EEENS1_30default_config_static_selectorELNS0_4arch9wavefront6targetE1EEEvSF_,@function
_ZN7rocprim17ROCPRIM_400000_NS6detail17trampoline_kernelINS0_14default_configENS1_22reduce_config_selectorIjEEZNS1_11reduce_implILb1ES3_PjS7_jN6thrust23THRUST_200600_302600_NS4plusIjEEEE10hipError_tPvRmT1_T2_T3_mT4_P12ihipStream_tbEUlT_E0_NS1_11comp_targetILNS1_3genE10ELNS1_11target_archE1201ELNS1_3gpuE5ELNS1_3repE0EEENS1_30default_config_static_selectorELNS0_4arch9wavefront6targetE1EEEvSF_: ; @_ZN7rocprim17ROCPRIM_400000_NS6detail17trampoline_kernelINS0_14default_configENS1_22reduce_config_selectorIjEEZNS1_11reduce_implILb1ES3_PjS7_jN6thrust23THRUST_200600_302600_NS4plusIjEEEE10hipError_tPvRmT1_T2_T3_mT4_P12ihipStream_tbEUlT_E0_NS1_11comp_targetILNS1_3genE10ELNS1_11target_archE1201ELNS1_3gpuE5ELNS1_3repE0EEENS1_30default_config_static_selectorELNS0_4arch9wavefront6targetE1EEEvSF_
; %bb.0:
	.section	.rodata,"a",@progbits
	.p2align	6, 0x0
	.amdhsa_kernel _ZN7rocprim17ROCPRIM_400000_NS6detail17trampoline_kernelINS0_14default_configENS1_22reduce_config_selectorIjEEZNS1_11reduce_implILb1ES3_PjS7_jN6thrust23THRUST_200600_302600_NS4plusIjEEEE10hipError_tPvRmT1_T2_T3_mT4_P12ihipStream_tbEUlT_E0_NS1_11comp_targetILNS1_3genE10ELNS1_11target_archE1201ELNS1_3gpuE5ELNS1_3repE0EEENS1_30default_config_static_selectorELNS0_4arch9wavefront6targetE1EEEvSF_
		.amdhsa_group_segment_fixed_size 0
		.amdhsa_private_segment_fixed_size 0
		.amdhsa_kernarg_size 56
		.amdhsa_user_sgpr_count 2
		.amdhsa_user_sgpr_dispatch_ptr 0
		.amdhsa_user_sgpr_queue_ptr 0
		.amdhsa_user_sgpr_kernarg_segment_ptr 1
		.amdhsa_user_sgpr_dispatch_id 0
		.amdhsa_user_sgpr_kernarg_preload_length 0
		.amdhsa_user_sgpr_kernarg_preload_offset 0
		.amdhsa_user_sgpr_private_segment_size 0
		.amdhsa_uses_dynamic_stack 0
		.amdhsa_enable_private_segment 0
		.amdhsa_system_sgpr_workgroup_id_x 1
		.amdhsa_system_sgpr_workgroup_id_y 0
		.amdhsa_system_sgpr_workgroup_id_z 0
		.amdhsa_system_sgpr_workgroup_info 0
		.amdhsa_system_vgpr_workitem_id 0
		.amdhsa_next_free_vgpr 1
		.amdhsa_next_free_sgpr 0
		.amdhsa_accum_offset 4
		.amdhsa_reserve_vcc 0
		.amdhsa_float_round_mode_32 0
		.amdhsa_float_round_mode_16_64 0
		.amdhsa_float_denorm_mode_32 3
		.amdhsa_float_denorm_mode_16_64 3
		.amdhsa_dx10_clamp 1
		.amdhsa_ieee_mode 1
		.amdhsa_fp16_overflow 0
		.amdhsa_tg_split 0
		.amdhsa_exception_fp_ieee_invalid_op 0
		.amdhsa_exception_fp_denorm_src 0
		.amdhsa_exception_fp_ieee_div_zero 0
		.amdhsa_exception_fp_ieee_overflow 0
		.amdhsa_exception_fp_ieee_underflow 0
		.amdhsa_exception_fp_ieee_inexact 0
		.amdhsa_exception_int_div_zero 0
	.end_amdhsa_kernel
	.section	.text._ZN7rocprim17ROCPRIM_400000_NS6detail17trampoline_kernelINS0_14default_configENS1_22reduce_config_selectorIjEEZNS1_11reduce_implILb1ES3_PjS7_jN6thrust23THRUST_200600_302600_NS4plusIjEEEE10hipError_tPvRmT1_T2_T3_mT4_P12ihipStream_tbEUlT_E0_NS1_11comp_targetILNS1_3genE10ELNS1_11target_archE1201ELNS1_3gpuE5ELNS1_3repE0EEENS1_30default_config_static_selectorELNS0_4arch9wavefront6targetE1EEEvSF_,"axG",@progbits,_ZN7rocprim17ROCPRIM_400000_NS6detail17trampoline_kernelINS0_14default_configENS1_22reduce_config_selectorIjEEZNS1_11reduce_implILb1ES3_PjS7_jN6thrust23THRUST_200600_302600_NS4plusIjEEEE10hipError_tPvRmT1_T2_T3_mT4_P12ihipStream_tbEUlT_E0_NS1_11comp_targetILNS1_3genE10ELNS1_11target_archE1201ELNS1_3gpuE5ELNS1_3repE0EEENS1_30default_config_static_selectorELNS0_4arch9wavefront6targetE1EEEvSF_,comdat
.Lfunc_end118:
	.size	_ZN7rocprim17ROCPRIM_400000_NS6detail17trampoline_kernelINS0_14default_configENS1_22reduce_config_selectorIjEEZNS1_11reduce_implILb1ES3_PjS7_jN6thrust23THRUST_200600_302600_NS4plusIjEEEE10hipError_tPvRmT1_T2_T3_mT4_P12ihipStream_tbEUlT_E0_NS1_11comp_targetILNS1_3genE10ELNS1_11target_archE1201ELNS1_3gpuE5ELNS1_3repE0EEENS1_30default_config_static_selectorELNS0_4arch9wavefront6targetE1EEEvSF_, .Lfunc_end118-_ZN7rocprim17ROCPRIM_400000_NS6detail17trampoline_kernelINS0_14default_configENS1_22reduce_config_selectorIjEEZNS1_11reduce_implILb1ES3_PjS7_jN6thrust23THRUST_200600_302600_NS4plusIjEEEE10hipError_tPvRmT1_T2_T3_mT4_P12ihipStream_tbEUlT_E0_NS1_11comp_targetILNS1_3genE10ELNS1_11target_archE1201ELNS1_3gpuE5ELNS1_3repE0EEENS1_30default_config_static_selectorELNS0_4arch9wavefront6targetE1EEEvSF_
                                        ; -- End function
	.set _ZN7rocprim17ROCPRIM_400000_NS6detail17trampoline_kernelINS0_14default_configENS1_22reduce_config_selectorIjEEZNS1_11reduce_implILb1ES3_PjS7_jN6thrust23THRUST_200600_302600_NS4plusIjEEEE10hipError_tPvRmT1_T2_T3_mT4_P12ihipStream_tbEUlT_E0_NS1_11comp_targetILNS1_3genE10ELNS1_11target_archE1201ELNS1_3gpuE5ELNS1_3repE0EEENS1_30default_config_static_selectorELNS0_4arch9wavefront6targetE1EEEvSF_.num_vgpr, 0
	.set _ZN7rocprim17ROCPRIM_400000_NS6detail17trampoline_kernelINS0_14default_configENS1_22reduce_config_selectorIjEEZNS1_11reduce_implILb1ES3_PjS7_jN6thrust23THRUST_200600_302600_NS4plusIjEEEE10hipError_tPvRmT1_T2_T3_mT4_P12ihipStream_tbEUlT_E0_NS1_11comp_targetILNS1_3genE10ELNS1_11target_archE1201ELNS1_3gpuE5ELNS1_3repE0EEENS1_30default_config_static_selectorELNS0_4arch9wavefront6targetE1EEEvSF_.num_agpr, 0
	.set _ZN7rocprim17ROCPRIM_400000_NS6detail17trampoline_kernelINS0_14default_configENS1_22reduce_config_selectorIjEEZNS1_11reduce_implILb1ES3_PjS7_jN6thrust23THRUST_200600_302600_NS4plusIjEEEE10hipError_tPvRmT1_T2_T3_mT4_P12ihipStream_tbEUlT_E0_NS1_11comp_targetILNS1_3genE10ELNS1_11target_archE1201ELNS1_3gpuE5ELNS1_3repE0EEENS1_30default_config_static_selectorELNS0_4arch9wavefront6targetE1EEEvSF_.numbered_sgpr, 0
	.set _ZN7rocprim17ROCPRIM_400000_NS6detail17trampoline_kernelINS0_14default_configENS1_22reduce_config_selectorIjEEZNS1_11reduce_implILb1ES3_PjS7_jN6thrust23THRUST_200600_302600_NS4plusIjEEEE10hipError_tPvRmT1_T2_T3_mT4_P12ihipStream_tbEUlT_E0_NS1_11comp_targetILNS1_3genE10ELNS1_11target_archE1201ELNS1_3gpuE5ELNS1_3repE0EEENS1_30default_config_static_selectorELNS0_4arch9wavefront6targetE1EEEvSF_.num_named_barrier, 0
	.set _ZN7rocprim17ROCPRIM_400000_NS6detail17trampoline_kernelINS0_14default_configENS1_22reduce_config_selectorIjEEZNS1_11reduce_implILb1ES3_PjS7_jN6thrust23THRUST_200600_302600_NS4plusIjEEEE10hipError_tPvRmT1_T2_T3_mT4_P12ihipStream_tbEUlT_E0_NS1_11comp_targetILNS1_3genE10ELNS1_11target_archE1201ELNS1_3gpuE5ELNS1_3repE0EEENS1_30default_config_static_selectorELNS0_4arch9wavefront6targetE1EEEvSF_.private_seg_size, 0
	.set _ZN7rocprim17ROCPRIM_400000_NS6detail17trampoline_kernelINS0_14default_configENS1_22reduce_config_selectorIjEEZNS1_11reduce_implILb1ES3_PjS7_jN6thrust23THRUST_200600_302600_NS4plusIjEEEE10hipError_tPvRmT1_T2_T3_mT4_P12ihipStream_tbEUlT_E0_NS1_11comp_targetILNS1_3genE10ELNS1_11target_archE1201ELNS1_3gpuE5ELNS1_3repE0EEENS1_30default_config_static_selectorELNS0_4arch9wavefront6targetE1EEEvSF_.uses_vcc, 0
	.set _ZN7rocprim17ROCPRIM_400000_NS6detail17trampoline_kernelINS0_14default_configENS1_22reduce_config_selectorIjEEZNS1_11reduce_implILb1ES3_PjS7_jN6thrust23THRUST_200600_302600_NS4plusIjEEEE10hipError_tPvRmT1_T2_T3_mT4_P12ihipStream_tbEUlT_E0_NS1_11comp_targetILNS1_3genE10ELNS1_11target_archE1201ELNS1_3gpuE5ELNS1_3repE0EEENS1_30default_config_static_selectorELNS0_4arch9wavefront6targetE1EEEvSF_.uses_flat_scratch, 0
	.set _ZN7rocprim17ROCPRIM_400000_NS6detail17trampoline_kernelINS0_14default_configENS1_22reduce_config_selectorIjEEZNS1_11reduce_implILb1ES3_PjS7_jN6thrust23THRUST_200600_302600_NS4plusIjEEEE10hipError_tPvRmT1_T2_T3_mT4_P12ihipStream_tbEUlT_E0_NS1_11comp_targetILNS1_3genE10ELNS1_11target_archE1201ELNS1_3gpuE5ELNS1_3repE0EEENS1_30default_config_static_selectorELNS0_4arch9wavefront6targetE1EEEvSF_.has_dyn_sized_stack, 0
	.set _ZN7rocprim17ROCPRIM_400000_NS6detail17trampoline_kernelINS0_14default_configENS1_22reduce_config_selectorIjEEZNS1_11reduce_implILb1ES3_PjS7_jN6thrust23THRUST_200600_302600_NS4plusIjEEEE10hipError_tPvRmT1_T2_T3_mT4_P12ihipStream_tbEUlT_E0_NS1_11comp_targetILNS1_3genE10ELNS1_11target_archE1201ELNS1_3gpuE5ELNS1_3repE0EEENS1_30default_config_static_selectorELNS0_4arch9wavefront6targetE1EEEvSF_.has_recursion, 0
	.set _ZN7rocprim17ROCPRIM_400000_NS6detail17trampoline_kernelINS0_14default_configENS1_22reduce_config_selectorIjEEZNS1_11reduce_implILb1ES3_PjS7_jN6thrust23THRUST_200600_302600_NS4plusIjEEEE10hipError_tPvRmT1_T2_T3_mT4_P12ihipStream_tbEUlT_E0_NS1_11comp_targetILNS1_3genE10ELNS1_11target_archE1201ELNS1_3gpuE5ELNS1_3repE0EEENS1_30default_config_static_selectorELNS0_4arch9wavefront6targetE1EEEvSF_.has_indirect_call, 0
	.section	.AMDGPU.csdata,"",@progbits
; Kernel info:
; codeLenInByte = 0
; TotalNumSgprs: 6
; NumVgprs: 0
; NumAgprs: 0
; TotalNumVgprs: 0
; ScratchSize: 0
; MemoryBound: 0
; FloatMode: 240
; IeeeMode: 1
; LDSByteSize: 0 bytes/workgroup (compile time only)
; SGPRBlocks: 0
; VGPRBlocks: 0
; NumSGPRsForWavesPerEU: 6
; NumVGPRsForWavesPerEU: 1
; AccumOffset: 4
; Occupancy: 8
; WaveLimiterHint : 0
; COMPUTE_PGM_RSRC2:SCRATCH_EN: 0
; COMPUTE_PGM_RSRC2:USER_SGPR: 2
; COMPUTE_PGM_RSRC2:TRAP_HANDLER: 0
; COMPUTE_PGM_RSRC2:TGID_X_EN: 1
; COMPUTE_PGM_RSRC2:TGID_Y_EN: 0
; COMPUTE_PGM_RSRC2:TGID_Z_EN: 0
; COMPUTE_PGM_RSRC2:TIDIG_COMP_CNT: 0
; COMPUTE_PGM_RSRC3_GFX90A:ACCUM_OFFSET: 0
; COMPUTE_PGM_RSRC3_GFX90A:TG_SPLIT: 0
	.section	.text._ZN7rocprim17ROCPRIM_400000_NS6detail17trampoline_kernelINS0_14default_configENS1_22reduce_config_selectorIjEEZNS1_11reduce_implILb1ES3_PjS7_jN6thrust23THRUST_200600_302600_NS4plusIjEEEE10hipError_tPvRmT1_T2_T3_mT4_P12ihipStream_tbEUlT_E0_NS1_11comp_targetILNS1_3genE10ELNS1_11target_archE1200ELNS1_3gpuE4ELNS1_3repE0EEENS1_30default_config_static_selectorELNS0_4arch9wavefront6targetE1EEEvSF_,"axG",@progbits,_ZN7rocprim17ROCPRIM_400000_NS6detail17trampoline_kernelINS0_14default_configENS1_22reduce_config_selectorIjEEZNS1_11reduce_implILb1ES3_PjS7_jN6thrust23THRUST_200600_302600_NS4plusIjEEEE10hipError_tPvRmT1_T2_T3_mT4_P12ihipStream_tbEUlT_E0_NS1_11comp_targetILNS1_3genE10ELNS1_11target_archE1200ELNS1_3gpuE4ELNS1_3repE0EEENS1_30default_config_static_selectorELNS0_4arch9wavefront6targetE1EEEvSF_,comdat
	.protected	_ZN7rocprim17ROCPRIM_400000_NS6detail17trampoline_kernelINS0_14default_configENS1_22reduce_config_selectorIjEEZNS1_11reduce_implILb1ES3_PjS7_jN6thrust23THRUST_200600_302600_NS4plusIjEEEE10hipError_tPvRmT1_T2_T3_mT4_P12ihipStream_tbEUlT_E0_NS1_11comp_targetILNS1_3genE10ELNS1_11target_archE1200ELNS1_3gpuE4ELNS1_3repE0EEENS1_30default_config_static_selectorELNS0_4arch9wavefront6targetE1EEEvSF_ ; -- Begin function _ZN7rocprim17ROCPRIM_400000_NS6detail17trampoline_kernelINS0_14default_configENS1_22reduce_config_selectorIjEEZNS1_11reduce_implILb1ES3_PjS7_jN6thrust23THRUST_200600_302600_NS4plusIjEEEE10hipError_tPvRmT1_T2_T3_mT4_P12ihipStream_tbEUlT_E0_NS1_11comp_targetILNS1_3genE10ELNS1_11target_archE1200ELNS1_3gpuE4ELNS1_3repE0EEENS1_30default_config_static_selectorELNS0_4arch9wavefront6targetE1EEEvSF_
	.globl	_ZN7rocprim17ROCPRIM_400000_NS6detail17trampoline_kernelINS0_14default_configENS1_22reduce_config_selectorIjEEZNS1_11reduce_implILb1ES3_PjS7_jN6thrust23THRUST_200600_302600_NS4plusIjEEEE10hipError_tPvRmT1_T2_T3_mT4_P12ihipStream_tbEUlT_E0_NS1_11comp_targetILNS1_3genE10ELNS1_11target_archE1200ELNS1_3gpuE4ELNS1_3repE0EEENS1_30default_config_static_selectorELNS0_4arch9wavefront6targetE1EEEvSF_
	.p2align	8
	.type	_ZN7rocprim17ROCPRIM_400000_NS6detail17trampoline_kernelINS0_14default_configENS1_22reduce_config_selectorIjEEZNS1_11reduce_implILb1ES3_PjS7_jN6thrust23THRUST_200600_302600_NS4plusIjEEEE10hipError_tPvRmT1_T2_T3_mT4_P12ihipStream_tbEUlT_E0_NS1_11comp_targetILNS1_3genE10ELNS1_11target_archE1200ELNS1_3gpuE4ELNS1_3repE0EEENS1_30default_config_static_selectorELNS0_4arch9wavefront6targetE1EEEvSF_,@function
_ZN7rocprim17ROCPRIM_400000_NS6detail17trampoline_kernelINS0_14default_configENS1_22reduce_config_selectorIjEEZNS1_11reduce_implILb1ES3_PjS7_jN6thrust23THRUST_200600_302600_NS4plusIjEEEE10hipError_tPvRmT1_T2_T3_mT4_P12ihipStream_tbEUlT_E0_NS1_11comp_targetILNS1_3genE10ELNS1_11target_archE1200ELNS1_3gpuE4ELNS1_3repE0EEENS1_30default_config_static_selectorELNS0_4arch9wavefront6targetE1EEEvSF_: ; @_ZN7rocprim17ROCPRIM_400000_NS6detail17trampoline_kernelINS0_14default_configENS1_22reduce_config_selectorIjEEZNS1_11reduce_implILb1ES3_PjS7_jN6thrust23THRUST_200600_302600_NS4plusIjEEEE10hipError_tPvRmT1_T2_T3_mT4_P12ihipStream_tbEUlT_E0_NS1_11comp_targetILNS1_3genE10ELNS1_11target_archE1200ELNS1_3gpuE4ELNS1_3repE0EEENS1_30default_config_static_selectorELNS0_4arch9wavefront6targetE1EEEvSF_
; %bb.0:
	.section	.rodata,"a",@progbits
	.p2align	6, 0x0
	.amdhsa_kernel _ZN7rocprim17ROCPRIM_400000_NS6detail17trampoline_kernelINS0_14default_configENS1_22reduce_config_selectorIjEEZNS1_11reduce_implILb1ES3_PjS7_jN6thrust23THRUST_200600_302600_NS4plusIjEEEE10hipError_tPvRmT1_T2_T3_mT4_P12ihipStream_tbEUlT_E0_NS1_11comp_targetILNS1_3genE10ELNS1_11target_archE1200ELNS1_3gpuE4ELNS1_3repE0EEENS1_30default_config_static_selectorELNS0_4arch9wavefront6targetE1EEEvSF_
		.amdhsa_group_segment_fixed_size 0
		.amdhsa_private_segment_fixed_size 0
		.amdhsa_kernarg_size 56
		.amdhsa_user_sgpr_count 2
		.amdhsa_user_sgpr_dispatch_ptr 0
		.amdhsa_user_sgpr_queue_ptr 0
		.amdhsa_user_sgpr_kernarg_segment_ptr 1
		.amdhsa_user_sgpr_dispatch_id 0
		.amdhsa_user_sgpr_kernarg_preload_length 0
		.amdhsa_user_sgpr_kernarg_preload_offset 0
		.amdhsa_user_sgpr_private_segment_size 0
		.amdhsa_uses_dynamic_stack 0
		.amdhsa_enable_private_segment 0
		.amdhsa_system_sgpr_workgroup_id_x 1
		.amdhsa_system_sgpr_workgroup_id_y 0
		.amdhsa_system_sgpr_workgroup_id_z 0
		.amdhsa_system_sgpr_workgroup_info 0
		.amdhsa_system_vgpr_workitem_id 0
		.amdhsa_next_free_vgpr 1
		.amdhsa_next_free_sgpr 0
		.amdhsa_accum_offset 4
		.amdhsa_reserve_vcc 0
		.amdhsa_float_round_mode_32 0
		.amdhsa_float_round_mode_16_64 0
		.amdhsa_float_denorm_mode_32 3
		.amdhsa_float_denorm_mode_16_64 3
		.amdhsa_dx10_clamp 1
		.amdhsa_ieee_mode 1
		.amdhsa_fp16_overflow 0
		.amdhsa_tg_split 0
		.amdhsa_exception_fp_ieee_invalid_op 0
		.amdhsa_exception_fp_denorm_src 0
		.amdhsa_exception_fp_ieee_div_zero 0
		.amdhsa_exception_fp_ieee_overflow 0
		.amdhsa_exception_fp_ieee_underflow 0
		.amdhsa_exception_fp_ieee_inexact 0
		.amdhsa_exception_int_div_zero 0
	.end_amdhsa_kernel
	.section	.text._ZN7rocprim17ROCPRIM_400000_NS6detail17trampoline_kernelINS0_14default_configENS1_22reduce_config_selectorIjEEZNS1_11reduce_implILb1ES3_PjS7_jN6thrust23THRUST_200600_302600_NS4plusIjEEEE10hipError_tPvRmT1_T2_T3_mT4_P12ihipStream_tbEUlT_E0_NS1_11comp_targetILNS1_3genE10ELNS1_11target_archE1200ELNS1_3gpuE4ELNS1_3repE0EEENS1_30default_config_static_selectorELNS0_4arch9wavefront6targetE1EEEvSF_,"axG",@progbits,_ZN7rocprim17ROCPRIM_400000_NS6detail17trampoline_kernelINS0_14default_configENS1_22reduce_config_selectorIjEEZNS1_11reduce_implILb1ES3_PjS7_jN6thrust23THRUST_200600_302600_NS4plusIjEEEE10hipError_tPvRmT1_T2_T3_mT4_P12ihipStream_tbEUlT_E0_NS1_11comp_targetILNS1_3genE10ELNS1_11target_archE1200ELNS1_3gpuE4ELNS1_3repE0EEENS1_30default_config_static_selectorELNS0_4arch9wavefront6targetE1EEEvSF_,comdat
.Lfunc_end119:
	.size	_ZN7rocprim17ROCPRIM_400000_NS6detail17trampoline_kernelINS0_14default_configENS1_22reduce_config_selectorIjEEZNS1_11reduce_implILb1ES3_PjS7_jN6thrust23THRUST_200600_302600_NS4plusIjEEEE10hipError_tPvRmT1_T2_T3_mT4_P12ihipStream_tbEUlT_E0_NS1_11comp_targetILNS1_3genE10ELNS1_11target_archE1200ELNS1_3gpuE4ELNS1_3repE0EEENS1_30default_config_static_selectorELNS0_4arch9wavefront6targetE1EEEvSF_, .Lfunc_end119-_ZN7rocprim17ROCPRIM_400000_NS6detail17trampoline_kernelINS0_14default_configENS1_22reduce_config_selectorIjEEZNS1_11reduce_implILb1ES3_PjS7_jN6thrust23THRUST_200600_302600_NS4plusIjEEEE10hipError_tPvRmT1_T2_T3_mT4_P12ihipStream_tbEUlT_E0_NS1_11comp_targetILNS1_3genE10ELNS1_11target_archE1200ELNS1_3gpuE4ELNS1_3repE0EEENS1_30default_config_static_selectorELNS0_4arch9wavefront6targetE1EEEvSF_
                                        ; -- End function
	.set _ZN7rocprim17ROCPRIM_400000_NS6detail17trampoline_kernelINS0_14default_configENS1_22reduce_config_selectorIjEEZNS1_11reduce_implILb1ES3_PjS7_jN6thrust23THRUST_200600_302600_NS4plusIjEEEE10hipError_tPvRmT1_T2_T3_mT4_P12ihipStream_tbEUlT_E0_NS1_11comp_targetILNS1_3genE10ELNS1_11target_archE1200ELNS1_3gpuE4ELNS1_3repE0EEENS1_30default_config_static_selectorELNS0_4arch9wavefront6targetE1EEEvSF_.num_vgpr, 0
	.set _ZN7rocprim17ROCPRIM_400000_NS6detail17trampoline_kernelINS0_14default_configENS1_22reduce_config_selectorIjEEZNS1_11reduce_implILb1ES3_PjS7_jN6thrust23THRUST_200600_302600_NS4plusIjEEEE10hipError_tPvRmT1_T2_T3_mT4_P12ihipStream_tbEUlT_E0_NS1_11comp_targetILNS1_3genE10ELNS1_11target_archE1200ELNS1_3gpuE4ELNS1_3repE0EEENS1_30default_config_static_selectorELNS0_4arch9wavefront6targetE1EEEvSF_.num_agpr, 0
	.set _ZN7rocprim17ROCPRIM_400000_NS6detail17trampoline_kernelINS0_14default_configENS1_22reduce_config_selectorIjEEZNS1_11reduce_implILb1ES3_PjS7_jN6thrust23THRUST_200600_302600_NS4plusIjEEEE10hipError_tPvRmT1_T2_T3_mT4_P12ihipStream_tbEUlT_E0_NS1_11comp_targetILNS1_3genE10ELNS1_11target_archE1200ELNS1_3gpuE4ELNS1_3repE0EEENS1_30default_config_static_selectorELNS0_4arch9wavefront6targetE1EEEvSF_.numbered_sgpr, 0
	.set _ZN7rocprim17ROCPRIM_400000_NS6detail17trampoline_kernelINS0_14default_configENS1_22reduce_config_selectorIjEEZNS1_11reduce_implILb1ES3_PjS7_jN6thrust23THRUST_200600_302600_NS4plusIjEEEE10hipError_tPvRmT1_T2_T3_mT4_P12ihipStream_tbEUlT_E0_NS1_11comp_targetILNS1_3genE10ELNS1_11target_archE1200ELNS1_3gpuE4ELNS1_3repE0EEENS1_30default_config_static_selectorELNS0_4arch9wavefront6targetE1EEEvSF_.num_named_barrier, 0
	.set _ZN7rocprim17ROCPRIM_400000_NS6detail17trampoline_kernelINS0_14default_configENS1_22reduce_config_selectorIjEEZNS1_11reduce_implILb1ES3_PjS7_jN6thrust23THRUST_200600_302600_NS4plusIjEEEE10hipError_tPvRmT1_T2_T3_mT4_P12ihipStream_tbEUlT_E0_NS1_11comp_targetILNS1_3genE10ELNS1_11target_archE1200ELNS1_3gpuE4ELNS1_3repE0EEENS1_30default_config_static_selectorELNS0_4arch9wavefront6targetE1EEEvSF_.private_seg_size, 0
	.set _ZN7rocprim17ROCPRIM_400000_NS6detail17trampoline_kernelINS0_14default_configENS1_22reduce_config_selectorIjEEZNS1_11reduce_implILb1ES3_PjS7_jN6thrust23THRUST_200600_302600_NS4plusIjEEEE10hipError_tPvRmT1_T2_T3_mT4_P12ihipStream_tbEUlT_E0_NS1_11comp_targetILNS1_3genE10ELNS1_11target_archE1200ELNS1_3gpuE4ELNS1_3repE0EEENS1_30default_config_static_selectorELNS0_4arch9wavefront6targetE1EEEvSF_.uses_vcc, 0
	.set _ZN7rocprim17ROCPRIM_400000_NS6detail17trampoline_kernelINS0_14default_configENS1_22reduce_config_selectorIjEEZNS1_11reduce_implILb1ES3_PjS7_jN6thrust23THRUST_200600_302600_NS4plusIjEEEE10hipError_tPvRmT1_T2_T3_mT4_P12ihipStream_tbEUlT_E0_NS1_11comp_targetILNS1_3genE10ELNS1_11target_archE1200ELNS1_3gpuE4ELNS1_3repE0EEENS1_30default_config_static_selectorELNS0_4arch9wavefront6targetE1EEEvSF_.uses_flat_scratch, 0
	.set _ZN7rocprim17ROCPRIM_400000_NS6detail17trampoline_kernelINS0_14default_configENS1_22reduce_config_selectorIjEEZNS1_11reduce_implILb1ES3_PjS7_jN6thrust23THRUST_200600_302600_NS4plusIjEEEE10hipError_tPvRmT1_T2_T3_mT4_P12ihipStream_tbEUlT_E0_NS1_11comp_targetILNS1_3genE10ELNS1_11target_archE1200ELNS1_3gpuE4ELNS1_3repE0EEENS1_30default_config_static_selectorELNS0_4arch9wavefront6targetE1EEEvSF_.has_dyn_sized_stack, 0
	.set _ZN7rocprim17ROCPRIM_400000_NS6detail17trampoline_kernelINS0_14default_configENS1_22reduce_config_selectorIjEEZNS1_11reduce_implILb1ES3_PjS7_jN6thrust23THRUST_200600_302600_NS4plusIjEEEE10hipError_tPvRmT1_T2_T3_mT4_P12ihipStream_tbEUlT_E0_NS1_11comp_targetILNS1_3genE10ELNS1_11target_archE1200ELNS1_3gpuE4ELNS1_3repE0EEENS1_30default_config_static_selectorELNS0_4arch9wavefront6targetE1EEEvSF_.has_recursion, 0
	.set _ZN7rocprim17ROCPRIM_400000_NS6detail17trampoline_kernelINS0_14default_configENS1_22reduce_config_selectorIjEEZNS1_11reduce_implILb1ES3_PjS7_jN6thrust23THRUST_200600_302600_NS4plusIjEEEE10hipError_tPvRmT1_T2_T3_mT4_P12ihipStream_tbEUlT_E0_NS1_11comp_targetILNS1_3genE10ELNS1_11target_archE1200ELNS1_3gpuE4ELNS1_3repE0EEENS1_30default_config_static_selectorELNS0_4arch9wavefront6targetE1EEEvSF_.has_indirect_call, 0
	.section	.AMDGPU.csdata,"",@progbits
; Kernel info:
; codeLenInByte = 0
; TotalNumSgprs: 6
; NumVgprs: 0
; NumAgprs: 0
; TotalNumVgprs: 0
; ScratchSize: 0
; MemoryBound: 0
; FloatMode: 240
; IeeeMode: 1
; LDSByteSize: 0 bytes/workgroup (compile time only)
; SGPRBlocks: 0
; VGPRBlocks: 0
; NumSGPRsForWavesPerEU: 6
; NumVGPRsForWavesPerEU: 1
; AccumOffset: 4
; Occupancy: 8
; WaveLimiterHint : 0
; COMPUTE_PGM_RSRC2:SCRATCH_EN: 0
; COMPUTE_PGM_RSRC2:USER_SGPR: 2
; COMPUTE_PGM_RSRC2:TRAP_HANDLER: 0
; COMPUTE_PGM_RSRC2:TGID_X_EN: 1
; COMPUTE_PGM_RSRC2:TGID_Y_EN: 0
; COMPUTE_PGM_RSRC2:TGID_Z_EN: 0
; COMPUTE_PGM_RSRC2:TIDIG_COMP_CNT: 0
; COMPUTE_PGM_RSRC3_GFX90A:ACCUM_OFFSET: 0
; COMPUTE_PGM_RSRC3_GFX90A:TG_SPLIT: 0
	.section	.text._ZN7rocprim17ROCPRIM_400000_NS6detail17trampoline_kernelINS0_14default_configENS1_22reduce_config_selectorIjEEZNS1_11reduce_implILb1ES3_PjS7_jN6thrust23THRUST_200600_302600_NS4plusIjEEEE10hipError_tPvRmT1_T2_T3_mT4_P12ihipStream_tbEUlT_E0_NS1_11comp_targetILNS1_3genE9ELNS1_11target_archE1100ELNS1_3gpuE3ELNS1_3repE0EEENS1_30default_config_static_selectorELNS0_4arch9wavefront6targetE1EEEvSF_,"axG",@progbits,_ZN7rocprim17ROCPRIM_400000_NS6detail17trampoline_kernelINS0_14default_configENS1_22reduce_config_selectorIjEEZNS1_11reduce_implILb1ES3_PjS7_jN6thrust23THRUST_200600_302600_NS4plusIjEEEE10hipError_tPvRmT1_T2_T3_mT4_P12ihipStream_tbEUlT_E0_NS1_11comp_targetILNS1_3genE9ELNS1_11target_archE1100ELNS1_3gpuE3ELNS1_3repE0EEENS1_30default_config_static_selectorELNS0_4arch9wavefront6targetE1EEEvSF_,comdat
	.protected	_ZN7rocprim17ROCPRIM_400000_NS6detail17trampoline_kernelINS0_14default_configENS1_22reduce_config_selectorIjEEZNS1_11reduce_implILb1ES3_PjS7_jN6thrust23THRUST_200600_302600_NS4plusIjEEEE10hipError_tPvRmT1_T2_T3_mT4_P12ihipStream_tbEUlT_E0_NS1_11comp_targetILNS1_3genE9ELNS1_11target_archE1100ELNS1_3gpuE3ELNS1_3repE0EEENS1_30default_config_static_selectorELNS0_4arch9wavefront6targetE1EEEvSF_ ; -- Begin function _ZN7rocprim17ROCPRIM_400000_NS6detail17trampoline_kernelINS0_14default_configENS1_22reduce_config_selectorIjEEZNS1_11reduce_implILb1ES3_PjS7_jN6thrust23THRUST_200600_302600_NS4plusIjEEEE10hipError_tPvRmT1_T2_T3_mT4_P12ihipStream_tbEUlT_E0_NS1_11comp_targetILNS1_3genE9ELNS1_11target_archE1100ELNS1_3gpuE3ELNS1_3repE0EEENS1_30default_config_static_selectorELNS0_4arch9wavefront6targetE1EEEvSF_
	.globl	_ZN7rocprim17ROCPRIM_400000_NS6detail17trampoline_kernelINS0_14default_configENS1_22reduce_config_selectorIjEEZNS1_11reduce_implILb1ES3_PjS7_jN6thrust23THRUST_200600_302600_NS4plusIjEEEE10hipError_tPvRmT1_T2_T3_mT4_P12ihipStream_tbEUlT_E0_NS1_11comp_targetILNS1_3genE9ELNS1_11target_archE1100ELNS1_3gpuE3ELNS1_3repE0EEENS1_30default_config_static_selectorELNS0_4arch9wavefront6targetE1EEEvSF_
	.p2align	8
	.type	_ZN7rocprim17ROCPRIM_400000_NS6detail17trampoline_kernelINS0_14default_configENS1_22reduce_config_selectorIjEEZNS1_11reduce_implILb1ES3_PjS7_jN6thrust23THRUST_200600_302600_NS4plusIjEEEE10hipError_tPvRmT1_T2_T3_mT4_P12ihipStream_tbEUlT_E0_NS1_11comp_targetILNS1_3genE9ELNS1_11target_archE1100ELNS1_3gpuE3ELNS1_3repE0EEENS1_30default_config_static_selectorELNS0_4arch9wavefront6targetE1EEEvSF_,@function
_ZN7rocprim17ROCPRIM_400000_NS6detail17trampoline_kernelINS0_14default_configENS1_22reduce_config_selectorIjEEZNS1_11reduce_implILb1ES3_PjS7_jN6thrust23THRUST_200600_302600_NS4plusIjEEEE10hipError_tPvRmT1_T2_T3_mT4_P12ihipStream_tbEUlT_E0_NS1_11comp_targetILNS1_3genE9ELNS1_11target_archE1100ELNS1_3gpuE3ELNS1_3repE0EEENS1_30default_config_static_selectorELNS0_4arch9wavefront6targetE1EEEvSF_: ; @_ZN7rocprim17ROCPRIM_400000_NS6detail17trampoline_kernelINS0_14default_configENS1_22reduce_config_selectorIjEEZNS1_11reduce_implILb1ES3_PjS7_jN6thrust23THRUST_200600_302600_NS4plusIjEEEE10hipError_tPvRmT1_T2_T3_mT4_P12ihipStream_tbEUlT_E0_NS1_11comp_targetILNS1_3genE9ELNS1_11target_archE1100ELNS1_3gpuE3ELNS1_3repE0EEENS1_30default_config_static_selectorELNS0_4arch9wavefront6targetE1EEEvSF_
; %bb.0:
	.section	.rodata,"a",@progbits
	.p2align	6, 0x0
	.amdhsa_kernel _ZN7rocprim17ROCPRIM_400000_NS6detail17trampoline_kernelINS0_14default_configENS1_22reduce_config_selectorIjEEZNS1_11reduce_implILb1ES3_PjS7_jN6thrust23THRUST_200600_302600_NS4plusIjEEEE10hipError_tPvRmT1_T2_T3_mT4_P12ihipStream_tbEUlT_E0_NS1_11comp_targetILNS1_3genE9ELNS1_11target_archE1100ELNS1_3gpuE3ELNS1_3repE0EEENS1_30default_config_static_selectorELNS0_4arch9wavefront6targetE1EEEvSF_
		.amdhsa_group_segment_fixed_size 0
		.amdhsa_private_segment_fixed_size 0
		.amdhsa_kernarg_size 56
		.amdhsa_user_sgpr_count 2
		.amdhsa_user_sgpr_dispatch_ptr 0
		.amdhsa_user_sgpr_queue_ptr 0
		.amdhsa_user_sgpr_kernarg_segment_ptr 1
		.amdhsa_user_sgpr_dispatch_id 0
		.amdhsa_user_sgpr_kernarg_preload_length 0
		.amdhsa_user_sgpr_kernarg_preload_offset 0
		.amdhsa_user_sgpr_private_segment_size 0
		.amdhsa_uses_dynamic_stack 0
		.amdhsa_enable_private_segment 0
		.amdhsa_system_sgpr_workgroup_id_x 1
		.amdhsa_system_sgpr_workgroup_id_y 0
		.amdhsa_system_sgpr_workgroup_id_z 0
		.amdhsa_system_sgpr_workgroup_info 0
		.amdhsa_system_vgpr_workitem_id 0
		.amdhsa_next_free_vgpr 1
		.amdhsa_next_free_sgpr 0
		.amdhsa_accum_offset 4
		.amdhsa_reserve_vcc 0
		.amdhsa_float_round_mode_32 0
		.amdhsa_float_round_mode_16_64 0
		.amdhsa_float_denorm_mode_32 3
		.amdhsa_float_denorm_mode_16_64 3
		.amdhsa_dx10_clamp 1
		.amdhsa_ieee_mode 1
		.amdhsa_fp16_overflow 0
		.amdhsa_tg_split 0
		.amdhsa_exception_fp_ieee_invalid_op 0
		.amdhsa_exception_fp_denorm_src 0
		.amdhsa_exception_fp_ieee_div_zero 0
		.amdhsa_exception_fp_ieee_overflow 0
		.amdhsa_exception_fp_ieee_underflow 0
		.amdhsa_exception_fp_ieee_inexact 0
		.amdhsa_exception_int_div_zero 0
	.end_amdhsa_kernel
	.section	.text._ZN7rocprim17ROCPRIM_400000_NS6detail17trampoline_kernelINS0_14default_configENS1_22reduce_config_selectorIjEEZNS1_11reduce_implILb1ES3_PjS7_jN6thrust23THRUST_200600_302600_NS4plusIjEEEE10hipError_tPvRmT1_T2_T3_mT4_P12ihipStream_tbEUlT_E0_NS1_11comp_targetILNS1_3genE9ELNS1_11target_archE1100ELNS1_3gpuE3ELNS1_3repE0EEENS1_30default_config_static_selectorELNS0_4arch9wavefront6targetE1EEEvSF_,"axG",@progbits,_ZN7rocprim17ROCPRIM_400000_NS6detail17trampoline_kernelINS0_14default_configENS1_22reduce_config_selectorIjEEZNS1_11reduce_implILb1ES3_PjS7_jN6thrust23THRUST_200600_302600_NS4plusIjEEEE10hipError_tPvRmT1_T2_T3_mT4_P12ihipStream_tbEUlT_E0_NS1_11comp_targetILNS1_3genE9ELNS1_11target_archE1100ELNS1_3gpuE3ELNS1_3repE0EEENS1_30default_config_static_selectorELNS0_4arch9wavefront6targetE1EEEvSF_,comdat
.Lfunc_end120:
	.size	_ZN7rocprim17ROCPRIM_400000_NS6detail17trampoline_kernelINS0_14default_configENS1_22reduce_config_selectorIjEEZNS1_11reduce_implILb1ES3_PjS7_jN6thrust23THRUST_200600_302600_NS4plusIjEEEE10hipError_tPvRmT1_T2_T3_mT4_P12ihipStream_tbEUlT_E0_NS1_11comp_targetILNS1_3genE9ELNS1_11target_archE1100ELNS1_3gpuE3ELNS1_3repE0EEENS1_30default_config_static_selectorELNS0_4arch9wavefront6targetE1EEEvSF_, .Lfunc_end120-_ZN7rocprim17ROCPRIM_400000_NS6detail17trampoline_kernelINS0_14default_configENS1_22reduce_config_selectorIjEEZNS1_11reduce_implILb1ES3_PjS7_jN6thrust23THRUST_200600_302600_NS4plusIjEEEE10hipError_tPvRmT1_T2_T3_mT4_P12ihipStream_tbEUlT_E0_NS1_11comp_targetILNS1_3genE9ELNS1_11target_archE1100ELNS1_3gpuE3ELNS1_3repE0EEENS1_30default_config_static_selectorELNS0_4arch9wavefront6targetE1EEEvSF_
                                        ; -- End function
	.set _ZN7rocprim17ROCPRIM_400000_NS6detail17trampoline_kernelINS0_14default_configENS1_22reduce_config_selectorIjEEZNS1_11reduce_implILb1ES3_PjS7_jN6thrust23THRUST_200600_302600_NS4plusIjEEEE10hipError_tPvRmT1_T2_T3_mT4_P12ihipStream_tbEUlT_E0_NS1_11comp_targetILNS1_3genE9ELNS1_11target_archE1100ELNS1_3gpuE3ELNS1_3repE0EEENS1_30default_config_static_selectorELNS0_4arch9wavefront6targetE1EEEvSF_.num_vgpr, 0
	.set _ZN7rocprim17ROCPRIM_400000_NS6detail17trampoline_kernelINS0_14default_configENS1_22reduce_config_selectorIjEEZNS1_11reduce_implILb1ES3_PjS7_jN6thrust23THRUST_200600_302600_NS4plusIjEEEE10hipError_tPvRmT1_T2_T3_mT4_P12ihipStream_tbEUlT_E0_NS1_11comp_targetILNS1_3genE9ELNS1_11target_archE1100ELNS1_3gpuE3ELNS1_3repE0EEENS1_30default_config_static_selectorELNS0_4arch9wavefront6targetE1EEEvSF_.num_agpr, 0
	.set _ZN7rocprim17ROCPRIM_400000_NS6detail17trampoline_kernelINS0_14default_configENS1_22reduce_config_selectorIjEEZNS1_11reduce_implILb1ES3_PjS7_jN6thrust23THRUST_200600_302600_NS4plusIjEEEE10hipError_tPvRmT1_T2_T3_mT4_P12ihipStream_tbEUlT_E0_NS1_11comp_targetILNS1_3genE9ELNS1_11target_archE1100ELNS1_3gpuE3ELNS1_3repE0EEENS1_30default_config_static_selectorELNS0_4arch9wavefront6targetE1EEEvSF_.numbered_sgpr, 0
	.set _ZN7rocprim17ROCPRIM_400000_NS6detail17trampoline_kernelINS0_14default_configENS1_22reduce_config_selectorIjEEZNS1_11reduce_implILb1ES3_PjS7_jN6thrust23THRUST_200600_302600_NS4plusIjEEEE10hipError_tPvRmT1_T2_T3_mT4_P12ihipStream_tbEUlT_E0_NS1_11comp_targetILNS1_3genE9ELNS1_11target_archE1100ELNS1_3gpuE3ELNS1_3repE0EEENS1_30default_config_static_selectorELNS0_4arch9wavefront6targetE1EEEvSF_.num_named_barrier, 0
	.set _ZN7rocprim17ROCPRIM_400000_NS6detail17trampoline_kernelINS0_14default_configENS1_22reduce_config_selectorIjEEZNS1_11reduce_implILb1ES3_PjS7_jN6thrust23THRUST_200600_302600_NS4plusIjEEEE10hipError_tPvRmT1_T2_T3_mT4_P12ihipStream_tbEUlT_E0_NS1_11comp_targetILNS1_3genE9ELNS1_11target_archE1100ELNS1_3gpuE3ELNS1_3repE0EEENS1_30default_config_static_selectorELNS0_4arch9wavefront6targetE1EEEvSF_.private_seg_size, 0
	.set _ZN7rocprim17ROCPRIM_400000_NS6detail17trampoline_kernelINS0_14default_configENS1_22reduce_config_selectorIjEEZNS1_11reduce_implILb1ES3_PjS7_jN6thrust23THRUST_200600_302600_NS4plusIjEEEE10hipError_tPvRmT1_T2_T3_mT4_P12ihipStream_tbEUlT_E0_NS1_11comp_targetILNS1_3genE9ELNS1_11target_archE1100ELNS1_3gpuE3ELNS1_3repE0EEENS1_30default_config_static_selectorELNS0_4arch9wavefront6targetE1EEEvSF_.uses_vcc, 0
	.set _ZN7rocprim17ROCPRIM_400000_NS6detail17trampoline_kernelINS0_14default_configENS1_22reduce_config_selectorIjEEZNS1_11reduce_implILb1ES3_PjS7_jN6thrust23THRUST_200600_302600_NS4plusIjEEEE10hipError_tPvRmT1_T2_T3_mT4_P12ihipStream_tbEUlT_E0_NS1_11comp_targetILNS1_3genE9ELNS1_11target_archE1100ELNS1_3gpuE3ELNS1_3repE0EEENS1_30default_config_static_selectorELNS0_4arch9wavefront6targetE1EEEvSF_.uses_flat_scratch, 0
	.set _ZN7rocprim17ROCPRIM_400000_NS6detail17trampoline_kernelINS0_14default_configENS1_22reduce_config_selectorIjEEZNS1_11reduce_implILb1ES3_PjS7_jN6thrust23THRUST_200600_302600_NS4plusIjEEEE10hipError_tPvRmT1_T2_T3_mT4_P12ihipStream_tbEUlT_E0_NS1_11comp_targetILNS1_3genE9ELNS1_11target_archE1100ELNS1_3gpuE3ELNS1_3repE0EEENS1_30default_config_static_selectorELNS0_4arch9wavefront6targetE1EEEvSF_.has_dyn_sized_stack, 0
	.set _ZN7rocprim17ROCPRIM_400000_NS6detail17trampoline_kernelINS0_14default_configENS1_22reduce_config_selectorIjEEZNS1_11reduce_implILb1ES3_PjS7_jN6thrust23THRUST_200600_302600_NS4plusIjEEEE10hipError_tPvRmT1_T2_T3_mT4_P12ihipStream_tbEUlT_E0_NS1_11comp_targetILNS1_3genE9ELNS1_11target_archE1100ELNS1_3gpuE3ELNS1_3repE0EEENS1_30default_config_static_selectorELNS0_4arch9wavefront6targetE1EEEvSF_.has_recursion, 0
	.set _ZN7rocprim17ROCPRIM_400000_NS6detail17trampoline_kernelINS0_14default_configENS1_22reduce_config_selectorIjEEZNS1_11reduce_implILb1ES3_PjS7_jN6thrust23THRUST_200600_302600_NS4plusIjEEEE10hipError_tPvRmT1_T2_T3_mT4_P12ihipStream_tbEUlT_E0_NS1_11comp_targetILNS1_3genE9ELNS1_11target_archE1100ELNS1_3gpuE3ELNS1_3repE0EEENS1_30default_config_static_selectorELNS0_4arch9wavefront6targetE1EEEvSF_.has_indirect_call, 0
	.section	.AMDGPU.csdata,"",@progbits
; Kernel info:
; codeLenInByte = 0
; TotalNumSgprs: 6
; NumVgprs: 0
; NumAgprs: 0
; TotalNumVgprs: 0
; ScratchSize: 0
; MemoryBound: 0
; FloatMode: 240
; IeeeMode: 1
; LDSByteSize: 0 bytes/workgroup (compile time only)
; SGPRBlocks: 0
; VGPRBlocks: 0
; NumSGPRsForWavesPerEU: 6
; NumVGPRsForWavesPerEU: 1
; AccumOffset: 4
; Occupancy: 8
; WaveLimiterHint : 0
; COMPUTE_PGM_RSRC2:SCRATCH_EN: 0
; COMPUTE_PGM_RSRC2:USER_SGPR: 2
; COMPUTE_PGM_RSRC2:TRAP_HANDLER: 0
; COMPUTE_PGM_RSRC2:TGID_X_EN: 1
; COMPUTE_PGM_RSRC2:TGID_Y_EN: 0
; COMPUTE_PGM_RSRC2:TGID_Z_EN: 0
; COMPUTE_PGM_RSRC2:TIDIG_COMP_CNT: 0
; COMPUTE_PGM_RSRC3_GFX90A:ACCUM_OFFSET: 0
; COMPUTE_PGM_RSRC3_GFX90A:TG_SPLIT: 0
	.section	.text._ZN7rocprim17ROCPRIM_400000_NS6detail17trampoline_kernelINS0_14default_configENS1_22reduce_config_selectorIjEEZNS1_11reduce_implILb1ES3_PjS7_jN6thrust23THRUST_200600_302600_NS4plusIjEEEE10hipError_tPvRmT1_T2_T3_mT4_P12ihipStream_tbEUlT_E0_NS1_11comp_targetILNS1_3genE8ELNS1_11target_archE1030ELNS1_3gpuE2ELNS1_3repE0EEENS1_30default_config_static_selectorELNS0_4arch9wavefront6targetE1EEEvSF_,"axG",@progbits,_ZN7rocprim17ROCPRIM_400000_NS6detail17trampoline_kernelINS0_14default_configENS1_22reduce_config_selectorIjEEZNS1_11reduce_implILb1ES3_PjS7_jN6thrust23THRUST_200600_302600_NS4plusIjEEEE10hipError_tPvRmT1_T2_T3_mT4_P12ihipStream_tbEUlT_E0_NS1_11comp_targetILNS1_3genE8ELNS1_11target_archE1030ELNS1_3gpuE2ELNS1_3repE0EEENS1_30default_config_static_selectorELNS0_4arch9wavefront6targetE1EEEvSF_,comdat
	.protected	_ZN7rocprim17ROCPRIM_400000_NS6detail17trampoline_kernelINS0_14default_configENS1_22reduce_config_selectorIjEEZNS1_11reduce_implILb1ES3_PjS7_jN6thrust23THRUST_200600_302600_NS4plusIjEEEE10hipError_tPvRmT1_T2_T3_mT4_P12ihipStream_tbEUlT_E0_NS1_11comp_targetILNS1_3genE8ELNS1_11target_archE1030ELNS1_3gpuE2ELNS1_3repE0EEENS1_30default_config_static_selectorELNS0_4arch9wavefront6targetE1EEEvSF_ ; -- Begin function _ZN7rocprim17ROCPRIM_400000_NS6detail17trampoline_kernelINS0_14default_configENS1_22reduce_config_selectorIjEEZNS1_11reduce_implILb1ES3_PjS7_jN6thrust23THRUST_200600_302600_NS4plusIjEEEE10hipError_tPvRmT1_T2_T3_mT4_P12ihipStream_tbEUlT_E0_NS1_11comp_targetILNS1_3genE8ELNS1_11target_archE1030ELNS1_3gpuE2ELNS1_3repE0EEENS1_30default_config_static_selectorELNS0_4arch9wavefront6targetE1EEEvSF_
	.globl	_ZN7rocprim17ROCPRIM_400000_NS6detail17trampoline_kernelINS0_14default_configENS1_22reduce_config_selectorIjEEZNS1_11reduce_implILb1ES3_PjS7_jN6thrust23THRUST_200600_302600_NS4plusIjEEEE10hipError_tPvRmT1_T2_T3_mT4_P12ihipStream_tbEUlT_E0_NS1_11comp_targetILNS1_3genE8ELNS1_11target_archE1030ELNS1_3gpuE2ELNS1_3repE0EEENS1_30default_config_static_selectorELNS0_4arch9wavefront6targetE1EEEvSF_
	.p2align	8
	.type	_ZN7rocprim17ROCPRIM_400000_NS6detail17trampoline_kernelINS0_14default_configENS1_22reduce_config_selectorIjEEZNS1_11reduce_implILb1ES3_PjS7_jN6thrust23THRUST_200600_302600_NS4plusIjEEEE10hipError_tPvRmT1_T2_T3_mT4_P12ihipStream_tbEUlT_E0_NS1_11comp_targetILNS1_3genE8ELNS1_11target_archE1030ELNS1_3gpuE2ELNS1_3repE0EEENS1_30default_config_static_selectorELNS0_4arch9wavefront6targetE1EEEvSF_,@function
_ZN7rocprim17ROCPRIM_400000_NS6detail17trampoline_kernelINS0_14default_configENS1_22reduce_config_selectorIjEEZNS1_11reduce_implILb1ES3_PjS7_jN6thrust23THRUST_200600_302600_NS4plusIjEEEE10hipError_tPvRmT1_T2_T3_mT4_P12ihipStream_tbEUlT_E0_NS1_11comp_targetILNS1_3genE8ELNS1_11target_archE1030ELNS1_3gpuE2ELNS1_3repE0EEENS1_30default_config_static_selectorELNS0_4arch9wavefront6targetE1EEEvSF_: ; @_ZN7rocprim17ROCPRIM_400000_NS6detail17trampoline_kernelINS0_14default_configENS1_22reduce_config_selectorIjEEZNS1_11reduce_implILb1ES3_PjS7_jN6thrust23THRUST_200600_302600_NS4plusIjEEEE10hipError_tPvRmT1_T2_T3_mT4_P12ihipStream_tbEUlT_E0_NS1_11comp_targetILNS1_3genE8ELNS1_11target_archE1030ELNS1_3gpuE2ELNS1_3repE0EEENS1_30default_config_static_selectorELNS0_4arch9wavefront6targetE1EEEvSF_
; %bb.0:
	.section	.rodata,"a",@progbits
	.p2align	6, 0x0
	.amdhsa_kernel _ZN7rocprim17ROCPRIM_400000_NS6detail17trampoline_kernelINS0_14default_configENS1_22reduce_config_selectorIjEEZNS1_11reduce_implILb1ES3_PjS7_jN6thrust23THRUST_200600_302600_NS4plusIjEEEE10hipError_tPvRmT1_T2_T3_mT4_P12ihipStream_tbEUlT_E0_NS1_11comp_targetILNS1_3genE8ELNS1_11target_archE1030ELNS1_3gpuE2ELNS1_3repE0EEENS1_30default_config_static_selectorELNS0_4arch9wavefront6targetE1EEEvSF_
		.amdhsa_group_segment_fixed_size 0
		.amdhsa_private_segment_fixed_size 0
		.amdhsa_kernarg_size 56
		.amdhsa_user_sgpr_count 2
		.amdhsa_user_sgpr_dispatch_ptr 0
		.amdhsa_user_sgpr_queue_ptr 0
		.amdhsa_user_sgpr_kernarg_segment_ptr 1
		.amdhsa_user_sgpr_dispatch_id 0
		.amdhsa_user_sgpr_kernarg_preload_length 0
		.amdhsa_user_sgpr_kernarg_preload_offset 0
		.amdhsa_user_sgpr_private_segment_size 0
		.amdhsa_uses_dynamic_stack 0
		.amdhsa_enable_private_segment 0
		.amdhsa_system_sgpr_workgroup_id_x 1
		.amdhsa_system_sgpr_workgroup_id_y 0
		.amdhsa_system_sgpr_workgroup_id_z 0
		.amdhsa_system_sgpr_workgroup_info 0
		.amdhsa_system_vgpr_workitem_id 0
		.amdhsa_next_free_vgpr 1
		.amdhsa_next_free_sgpr 0
		.amdhsa_accum_offset 4
		.amdhsa_reserve_vcc 0
		.amdhsa_float_round_mode_32 0
		.amdhsa_float_round_mode_16_64 0
		.amdhsa_float_denorm_mode_32 3
		.amdhsa_float_denorm_mode_16_64 3
		.amdhsa_dx10_clamp 1
		.amdhsa_ieee_mode 1
		.amdhsa_fp16_overflow 0
		.amdhsa_tg_split 0
		.amdhsa_exception_fp_ieee_invalid_op 0
		.amdhsa_exception_fp_denorm_src 0
		.amdhsa_exception_fp_ieee_div_zero 0
		.amdhsa_exception_fp_ieee_overflow 0
		.amdhsa_exception_fp_ieee_underflow 0
		.amdhsa_exception_fp_ieee_inexact 0
		.amdhsa_exception_int_div_zero 0
	.end_amdhsa_kernel
	.section	.text._ZN7rocprim17ROCPRIM_400000_NS6detail17trampoline_kernelINS0_14default_configENS1_22reduce_config_selectorIjEEZNS1_11reduce_implILb1ES3_PjS7_jN6thrust23THRUST_200600_302600_NS4plusIjEEEE10hipError_tPvRmT1_T2_T3_mT4_P12ihipStream_tbEUlT_E0_NS1_11comp_targetILNS1_3genE8ELNS1_11target_archE1030ELNS1_3gpuE2ELNS1_3repE0EEENS1_30default_config_static_selectorELNS0_4arch9wavefront6targetE1EEEvSF_,"axG",@progbits,_ZN7rocprim17ROCPRIM_400000_NS6detail17trampoline_kernelINS0_14default_configENS1_22reduce_config_selectorIjEEZNS1_11reduce_implILb1ES3_PjS7_jN6thrust23THRUST_200600_302600_NS4plusIjEEEE10hipError_tPvRmT1_T2_T3_mT4_P12ihipStream_tbEUlT_E0_NS1_11comp_targetILNS1_3genE8ELNS1_11target_archE1030ELNS1_3gpuE2ELNS1_3repE0EEENS1_30default_config_static_selectorELNS0_4arch9wavefront6targetE1EEEvSF_,comdat
.Lfunc_end121:
	.size	_ZN7rocprim17ROCPRIM_400000_NS6detail17trampoline_kernelINS0_14default_configENS1_22reduce_config_selectorIjEEZNS1_11reduce_implILb1ES3_PjS7_jN6thrust23THRUST_200600_302600_NS4plusIjEEEE10hipError_tPvRmT1_T2_T3_mT4_P12ihipStream_tbEUlT_E0_NS1_11comp_targetILNS1_3genE8ELNS1_11target_archE1030ELNS1_3gpuE2ELNS1_3repE0EEENS1_30default_config_static_selectorELNS0_4arch9wavefront6targetE1EEEvSF_, .Lfunc_end121-_ZN7rocprim17ROCPRIM_400000_NS6detail17trampoline_kernelINS0_14default_configENS1_22reduce_config_selectorIjEEZNS1_11reduce_implILb1ES3_PjS7_jN6thrust23THRUST_200600_302600_NS4plusIjEEEE10hipError_tPvRmT1_T2_T3_mT4_P12ihipStream_tbEUlT_E0_NS1_11comp_targetILNS1_3genE8ELNS1_11target_archE1030ELNS1_3gpuE2ELNS1_3repE0EEENS1_30default_config_static_selectorELNS0_4arch9wavefront6targetE1EEEvSF_
                                        ; -- End function
	.set _ZN7rocprim17ROCPRIM_400000_NS6detail17trampoline_kernelINS0_14default_configENS1_22reduce_config_selectorIjEEZNS1_11reduce_implILb1ES3_PjS7_jN6thrust23THRUST_200600_302600_NS4plusIjEEEE10hipError_tPvRmT1_T2_T3_mT4_P12ihipStream_tbEUlT_E0_NS1_11comp_targetILNS1_3genE8ELNS1_11target_archE1030ELNS1_3gpuE2ELNS1_3repE0EEENS1_30default_config_static_selectorELNS0_4arch9wavefront6targetE1EEEvSF_.num_vgpr, 0
	.set _ZN7rocprim17ROCPRIM_400000_NS6detail17trampoline_kernelINS0_14default_configENS1_22reduce_config_selectorIjEEZNS1_11reduce_implILb1ES3_PjS7_jN6thrust23THRUST_200600_302600_NS4plusIjEEEE10hipError_tPvRmT1_T2_T3_mT4_P12ihipStream_tbEUlT_E0_NS1_11comp_targetILNS1_3genE8ELNS1_11target_archE1030ELNS1_3gpuE2ELNS1_3repE0EEENS1_30default_config_static_selectorELNS0_4arch9wavefront6targetE1EEEvSF_.num_agpr, 0
	.set _ZN7rocprim17ROCPRIM_400000_NS6detail17trampoline_kernelINS0_14default_configENS1_22reduce_config_selectorIjEEZNS1_11reduce_implILb1ES3_PjS7_jN6thrust23THRUST_200600_302600_NS4plusIjEEEE10hipError_tPvRmT1_T2_T3_mT4_P12ihipStream_tbEUlT_E0_NS1_11comp_targetILNS1_3genE8ELNS1_11target_archE1030ELNS1_3gpuE2ELNS1_3repE0EEENS1_30default_config_static_selectorELNS0_4arch9wavefront6targetE1EEEvSF_.numbered_sgpr, 0
	.set _ZN7rocprim17ROCPRIM_400000_NS6detail17trampoline_kernelINS0_14default_configENS1_22reduce_config_selectorIjEEZNS1_11reduce_implILb1ES3_PjS7_jN6thrust23THRUST_200600_302600_NS4plusIjEEEE10hipError_tPvRmT1_T2_T3_mT4_P12ihipStream_tbEUlT_E0_NS1_11comp_targetILNS1_3genE8ELNS1_11target_archE1030ELNS1_3gpuE2ELNS1_3repE0EEENS1_30default_config_static_selectorELNS0_4arch9wavefront6targetE1EEEvSF_.num_named_barrier, 0
	.set _ZN7rocprim17ROCPRIM_400000_NS6detail17trampoline_kernelINS0_14default_configENS1_22reduce_config_selectorIjEEZNS1_11reduce_implILb1ES3_PjS7_jN6thrust23THRUST_200600_302600_NS4plusIjEEEE10hipError_tPvRmT1_T2_T3_mT4_P12ihipStream_tbEUlT_E0_NS1_11comp_targetILNS1_3genE8ELNS1_11target_archE1030ELNS1_3gpuE2ELNS1_3repE0EEENS1_30default_config_static_selectorELNS0_4arch9wavefront6targetE1EEEvSF_.private_seg_size, 0
	.set _ZN7rocprim17ROCPRIM_400000_NS6detail17trampoline_kernelINS0_14default_configENS1_22reduce_config_selectorIjEEZNS1_11reduce_implILb1ES3_PjS7_jN6thrust23THRUST_200600_302600_NS4plusIjEEEE10hipError_tPvRmT1_T2_T3_mT4_P12ihipStream_tbEUlT_E0_NS1_11comp_targetILNS1_3genE8ELNS1_11target_archE1030ELNS1_3gpuE2ELNS1_3repE0EEENS1_30default_config_static_selectorELNS0_4arch9wavefront6targetE1EEEvSF_.uses_vcc, 0
	.set _ZN7rocprim17ROCPRIM_400000_NS6detail17trampoline_kernelINS0_14default_configENS1_22reduce_config_selectorIjEEZNS1_11reduce_implILb1ES3_PjS7_jN6thrust23THRUST_200600_302600_NS4plusIjEEEE10hipError_tPvRmT1_T2_T3_mT4_P12ihipStream_tbEUlT_E0_NS1_11comp_targetILNS1_3genE8ELNS1_11target_archE1030ELNS1_3gpuE2ELNS1_3repE0EEENS1_30default_config_static_selectorELNS0_4arch9wavefront6targetE1EEEvSF_.uses_flat_scratch, 0
	.set _ZN7rocprim17ROCPRIM_400000_NS6detail17trampoline_kernelINS0_14default_configENS1_22reduce_config_selectorIjEEZNS1_11reduce_implILb1ES3_PjS7_jN6thrust23THRUST_200600_302600_NS4plusIjEEEE10hipError_tPvRmT1_T2_T3_mT4_P12ihipStream_tbEUlT_E0_NS1_11comp_targetILNS1_3genE8ELNS1_11target_archE1030ELNS1_3gpuE2ELNS1_3repE0EEENS1_30default_config_static_selectorELNS0_4arch9wavefront6targetE1EEEvSF_.has_dyn_sized_stack, 0
	.set _ZN7rocprim17ROCPRIM_400000_NS6detail17trampoline_kernelINS0_14default_configENS1_22reduce_config_selectorIjEEZNS1_11reduce_implILb1ES3_PjS7_jN6thrust23THRUST_200600_302600_NS4plusIjEEEE10hipError_tPvRmT1_T2_T3_mT4_P12ihipStream_tbEUlT_E0_NS1_11comp_targetILNS1_3genE8ELNS1_11target_archE1030ELNS1_3gpuE2ELNS1_3repE0EEENS1_30default_config_static_selectorELNS0_4arch9wavefront6targetE1EEEvSF_.has_recursion, 0
	.set _ZN7rocprim17ROCPRIM_400000_NS6detail17trampoline_kernelINS0_14default_configENS1_22reduce_config_selectorIjEEZNS1_11reduce_implILb1ES3_PjS7_jN6thrust23THRUST_200600_302600_NS4plusIjEEEE10hipError_tPvRmT1_T2_T3_mT4_P12ihipStream_tbEUlT_E0_NS1_11comp_targetILNS1_3genE8ELNS1_11target_archE1030ELNS1_3gpuE2ELNS1_3repE0EEENS1_30default_config_static_selectorELNS0_4arch9wavefront6targetE1EEEvSF_.has_indirect_call, 0
	.section	.AMDGPU.csdata,"",@progbits
; Kernel info:
; codeLenInByte = 0
; TotalNumSgprs: 6
; NumVgprs: 0
; NumAgprs: 0
; TotalNumVgprs: 0
; ScratchSize: 0
; MemoryBound: 0
; FloatMode: 240
; IeeeMode: 1
; LDSByteSize: 0 bytes/workgroup (compile time only)
; SGPRBlocks: 0
; VGPRBlocks: 0
; NumSGPRsForWavesPerEU: 6
; NumVGPRsForWavesPerEU: 1
; AccumOffset: 4
; Occupancy: 8
; WaveLimiterHint : 0
; COMPUTE_PGM_RSRC2:SCRATCH_EN: 0
; COMPUTE_PGM_RSRC2:USER_SGPR: 2
; COMPUTE_PGM_RSRC2:TRAP_HANDLER: 0
; COMPUTE_PGM_RSRC2:TGID_X_EN: 1
; COMPUTE_PGM_RSRC2:TGID_Y_EN: 0
; COMPUTE_PGM_RSRC2:TGID_Z_EN: 0
; COMPUTE_PGM_RSRC2:TIDIG_COMP_CNT: 0
; COMPUTE_PGM_RSRC3_GFX90A:ACCUM_OFFSET: 0
; COMPUTE_PGM_RSRC3_GFX90A:TG_SPLIT: 0
	.section	.text._ZN7rocprim17ROCPRIM_400000_NS6detail17trampoline_kernelINS0_14default_configENS1_22reduce_config_selectorIjEEZNS1_11reduce_implILb1ES3_PjS7_jN6thrust23THRUST_200600_302600_NS4plusIjEEEE10hipError_tPvRmT1_T2_T3_mT4_P12ihipStream_tbEUlT_E1_NS1_11comp_targetILNS1_3genE0ELNS1_11target_archE4294967295ELNS1_3gpuE0ELNS1_3repE0EEENS1_30default_config_static_selectorELNS0_4arch9wavefront6targetE1EEEvSF_,"axG",@progbits,_ZN7rocprim17ROCPRIM_400000_NS6detail17trampoline_kernelINS0_14default_configENS1_22reduce_config_selectorIjEEZNS1_11reduce_implILb1ES3_PjS7_jN6thrust23THRUST_200600_302600_NS4plusIjEEEE10hipError_tPvRmT1_T2_T3_mT4_P12ihipStream_tbEUlT_E1_NS1_11comp_targetILNS1_3genE0ELNS1_11target_archE4294967295ELNS1_3gpuE0ELNS1_3repE0EEENS1_30default_config_static_selectorELNS0_4arch9wavefront6targetE1EEEvSF_,comdat
	.protected	_ZN7rocprim17ROCPRIM_400000_NS6detail17trampoline_kernelINS0_14default_configENS1_22reduce_config_selectorIjEEZNS1_11reduce_implILb1ES3_PjS7_jN6thrust23THRUST_200600_302600_NS4plusIjEEEE10hipError_tPvRmT1_T2_T3_mT4_P12ihipStream_tbEUlT_E1_NS1_11comp_targetILNS1_3genE0ELNS1_11target_archE4294967295ELNS1_3gpuE0ELNS1_3repE0EEENS1_30default_config_static_selectorELNS0_4arch9wavefront6targetE1EEEvSF_ ; -- Begin function _ZN7rocprim17ROCPRIM_400000_NS6detail17trampoline_kernelINS0_14default_configENS1_22reduce_config_selectorIjEEZNS1_11reduce_implILb1ES3_PjS7_jN6thrust23THRUST_200600_302600_NS4plusIjEEEE10hipError_tPvRmT1_T2_T3_mT4_P12ihipStream_tbEUlT_E1_NS1_11comp_targetILNS1_3genE0ELNS1_11target_archE4294967295ELNS1_3gpuE0ELNS1_3repE0EEENS1_30default_config_static_selectorELNS0_4arch9wavefront6targetE1EEEvSF_
	.globl	_ZN7rocprim17ROCPRIM_400000_NS6detail17trampoline_kernelINS0_14default_configENS1_22reduce_config_selectorIjEEZNS1_11reduce_implILb1ES3_PjS7_jN6thrust23THRUST_200600_302600_NS4plusIjEEEE10hipError_tPvRmT1_T2_T3_mT4_P12ihipStream_tbEUlT_E1_NS1_11comp_targetILNS1_3genE0ELNS1_11target_archE4294967295ELNS1_3gpuE0ELNS1_3repE0EEENS1_30default_config_static_selectorELNS0_4arch9wavefront6targetE1EEEvSF_
	.p2align	8
	.type	_ZN7rocprim17ROCPRIM_400000_NS6detail17trampoline_kernelINS0_14default_configENS1_22reduce_config_selectorIjEEZNS1_11reduce_implILb1ES3_PjS7_jN6thrust23THRUST_200600_302600_NS4plusIjEEEE10hipError_tPvRmT1_T2_T3_mT4_P12ihipStream_tbEUlT_E1_NS1_11comp_targetILNS1_3genE0ELNS1_11target_archE4294967295ELNS1_3gpuE0ELNS1_3repE0EEENS1_30default_config_static_selectorELNS0_4arch9wavefront6targetE1EEEvSF_,@function
_ZN7rocprim17ROCPRIM_400000_NS6detail17trampoline_kernelINS0_14default_configENS1_22reduce_config_selectorIjEEZNS1_11reduce_implILb1ES3_PjS7_jN6thrust23THRUST_200600_302600_NS4plusIjEEEE10hipError_tPvRmT1_T2_T3_mT4_P12ihipStream_tbEUlT_E1_NS1_11comp_targetILNS1_3genE0ELNS1_11target_archE4294967295ELNS1_3gpuE0ELNS1_3repE0EEENS1_30default_config_static_selectorELNS0_4arch9wavefront6targetE1EEEvSF_: ; @_ZN7rocprim17ROCPRIM_400000_NS6detail17trampoline_kernelINS0_14default_configENS1_22reduce_config_selectorIjEEZNS1_11reduce_implILb1ES3_PjS7_jN6thrust23THRUST_200600_302600_NS4plusIjEEEE10hipError_tPvRmT1_T2_T3_mT4_P12ihipStream_tbEUlT_E1_NS1_11comp_targetILNS1_3genE0ELNS1_11target_archE4294967295ELNS1_3gpuE0ELNS1_3repE0EEENS1_30default_config_static_selectorELNS0_4arch9wavefront6targetE1EEEvSF_
; %bb.0:
	s_load_dword s33, s[0:1], 0x4
	s_load_dwordx4 s[68:71], s[0:1], 0x8
	s_waitcnt lgkmcnt(0)
	s_cmp_lt_i32 s33, 8
	s_cbranch_scc1 .LBB122_11
; %bb.1:
	s_cmp_gt_i32 s33, 15
	s_cbranch_scc0 .LBB122_12
; %bb.2:
	s_cmp_gt_i32 s33, 31
	s_cbranch_scc0 .LBB122_13
; %bb.3:
	s_cmp_eq_u32 s33, 32
	s_mov_b64 s[66:67], 0
	s_cbranch_scc0 .LBB122_14
; %bb.4:
	s_mov_b32 s3, 0
	s_lshl_b32 s4, s2, 13
	s_mov_b32 s5, s3
	s_lshr_b64 s[6:7], s[70:71], 13
	s_lshl_b64 s[8:9], s[4:5], 2
	s_add_u32 s72, s68, s8
	s_addc_u32 s73, s69, s9
	s_cmp_lg_u64 s[6:7], s[2:3]
	s_cbranch_scc0 .LBB122_23
; %bb.5:
	v_lshlrev_b32_e32 v2, 2, v0
	v_mov_b32_e32 v3, 0
	v_lshl_add_u64 v[4:5], s[72:73], 0, v[2:3]
	global_load_dword v1, v2, s[72:73]
	global_load_dword v8, v2, s[72:73] offset:1024
	global_load_dword v9, v2, s[72:73] offset:2048
	;; [unrolled: 1-line block ×3, first 2 shown]
	v_add_co_u32_e32 v2, vcc, 0x1000, v4
	s_waitcnt vmcnt(2)
	v_add_u32_e32 v1, v8, v1
	v_addc_co_u32_e32 v3, vcc, 0, v5, vcc
	v_add_co_u32_e32 v6, vcc, 0x2000, v4
	s_waitcnt vmcnt(0)
	v_add3_u32 v1, v1, v9, v10
	v_addc_co_u32_e32 v7, vcc, 0, v5, vcc
	global_load_dword v11, v[2:3], off
	global_load_dword v12, v[2:3], off offset:1024
	global_load_dword v13, v[2:3], off offset:2048
	global_load_dword v14, v[2:3], off offset:3072
	global_load_dword v15, v[6:7], off
	global_load_dword v16, v[6:7], off offset:1024
	global_load_dword v17, v[6:7], off offset:2048
	global_load_dword v18, v[6:7], off offset:3072
	v_add_co_u32_e32 v2, vcc, 0x3000, v4
	s_waitcnt vmcnt(6)
	v_add3_u32 v1, v1, v11, v12
	v_addc_co_u32_e32 v3, vcc, 0, v5, vcc
	v_add_co_u32_e32 v6, vcc, 0x4000, v4
	s_waitcnt vmcnt(4)
	v_add3_u32 v1, v1, v13, v14
	v_addc_co_u32_e32 v7, vcc, 0, v5, vcc
	global_load_dword v19, v[2:3], off
	global_load_dword v20, v[2:3], off offset:1024
	global_load_dword v21, v[2:3], off offset:2048
	global_load_dword v22, v[2:3], off offset:3072
	global_load_dword v23, v[6:7], off
	global_load_dword v24, v[6:7], off offset:1024
	global_load_dword v25, v[6:7], off offset:2048
	global_load_dword v26, v[6:7], off offset:3072
	v_add_co_u32_e32 v2, vcc, 0x5000, v4
	s_waitcnt vmcnt(10)
	v_add3_u32 v1, v1, v15, v16
	;; [unrolled: 16-line block ×3, first 2 shown]
	v_addc_co_u32_e32 v3, vcc, 0, v5, vcc
	global_load_dword v4, v[2:3], off
	global_load_dword v5, v[2:3], off offset:1024
	global_load_dword v6, v[2:3], off offset:2048
	;; [unrolled: 1-line block ×3, first 2 shown]
	s_waitcnt vmcnt(16)
	v_add3_u32 v1, v1, v21, v22
	s_waitcnt vmcnt(14)
	v_add3_u32 v1, v1, v23, v24
	;; [unrolled: 2-line block ×3, first 2 shown]
	v_mbcnt_lo_u32_b32 v2, -1, 0
	v_mbcnt_hi_u32_b32 v2, -1, v2
	v_lshlrev_b32_e32 v3, 2, v2
	v_cmp_eq_u32_e32 vcc, 0, v2
	s_waitcnt vmcnt(10)
	v_add3_u32 v1, v1, v27, v28
	s_waitcnt vmcnt(8)
	v_add3_u32 v1, v1, v29, v30
	;; [unrolled: 2-line block ×5, first 2 shown]
	v_or_b32_e32 v4, 0xfc, v3
	s_waitcnt vmcnt(0)
	v_add3_u32 v1, v1, v6, v7
	s_nop 1
	v_add_u32_dpp v1, v1, v1 quad_perm:[1,0,3,2] row_mask:0xf bank_mask:0xf bound_ctrl:1
	s_nop 1
	v_add_u32_dpp v1, v1, v1 quad_perm:[2,3,0,1] row_mask:0xf bank_mask:0xf bound_ctrl:1
	s_nop 1
	v_add_u32_dpp v1, v1, v1 row_ror:4 row_mask:0xf bank_mask:0xf bound_ctrl:1
	s_nop 1
	v_add_u32_dpp v1, v1, v1 row_ror:8 row_mask:0xf bank_mask:0xf bound_ctrl:1
	s_nop 1
	v_add_u32_dpp v1, v1, v1 row_bcast:15 row_mask:0xf bank_mask:0xf bound_ctrl:1
	s_nop 1
	v_add_u32_dpp v1, v1, v1 row_bcast:31 row_mask:0xf bank_mask:0xf bound_ctrl:1
	ds_bpermute_b32 v1, v4, v1
	s_and_saveexec_b64 s[6:7], vcc
	s_cbranch_execz .LBB122_7
; %bb.6:
	v_lshrrev_b32_e32 v4, 4, v0
	v_and_b32_e32 v4, 12, v4
	s_waitcnt lgkmcnt(0)
	ds_write_b32 v4, v1 offset:48
.LBB122_7:
	s_or_b64 exec, exec, s[6:7]
	v_cmp_gt_u32_e32 vcc, 64, v0
	s_waitcnt lgkmcnt(0)
	s_barrier
	s_and_saveexec_b64 s[6:7], vcc
	s_cbranch_execz .LBB122_9
; %bb.8:
	v_and_b32_e32 v1, 3, v2
	v_lshlrev_b32_e32 v4, 2, v1
	ds_read_b32 v4, v4 offset:48
	v_cmp_ne_u32_e32 vcc, 3, v1
	s_nop 1
	v_addc_co_u32_e32 v1, vcc, 0, v2, vcc
	v_lshlrev_b32_e32 v1, 2, v1
	s_waitcnt lgkmcnt(0)
	ds_bpermute_b32 v1, v1, v4
	v_or_b32_e32 v2, 8, v3
	s_waitcnt lgkmcnt(0)
	v_add_u32_e32 v1, v1, v4
	ds_bpermute_b32 v2, v2, v1
	s_waitcnt lgkmcnt(0)
	v_add_u32_e32 v1, v2, v1
.LBB122_9:
	s_or_b64 exec, exec, s[6:7]
.LBB122_10:
	v_cmp_eq_u32_e64 s[4:5], 0, v0
	s_and_b64 vcc, exec, s[66:67]
	s_cbranch_vccnz .LBB122_15
	s_branch .LBB122_93
.LBB122_11:
	s_mov_b64 s[4:5], 0
                                        ; implicit-def: $vgpr1
	s_cbranch_execnz .LBB122_166
	s_branch .LBB122_224
.LBB122_12:
	s_mov_b64 s[4:5], 0
                                        ; implicit-def: $vgpr1
	s_cbranch_execnz .LBB122_134
	s_branch .LBB122_142
.LBB122_13:
	s_mov_b64 s[66:67], -1
.LBB122_14:
	s_mov_b64 s[4:5], 0
                                        ; implicit-def: $vgpr1
	s_and_b64 vcc, exec, s[66:67]
	s_cbranch_vccz .LBB122_93
.LBB122_15:
	s_cmp_eq_u32 s33, 16
	s_cbranch_scc0 .LBB122_22
; %bb.16:
	s_mov_b32 s3, 0
	s_lshl_b32 s4, s2, 12
	s_mov_b32 s5, s3
	s_lshr_b64 s[6:7], s[70:71], 12
	s_lshl_b64 s[8:9], s[4:5], 2
	s_add_u32 s34, s68, s8
	s_addc_u32 s35, s69, s9
	s_cmp_lg_u64 s[6:7], s[2:3]
	s_cbranch_scc0 .LBB122_94
; %bb.17:
	v_lshlrev_b32_e32 v2, 2, v0
	v_mov_b32_e32 v3, 0
	v_lshl_add_u64 v[4:5], s[34:35], 0, v[2:3]
	global_load_dword v1, v2, s[34:35]
	global_load_dword v8, v2, s[34:35] offset:1024
	global_load_dword v9, v2, s[34:35] offset:2048
	;; [unrolled: 1-line block ×3, first 2 shown]
	v_add_co_u32_e32 v2, vcc, 0x1000, v4
	s_waitcnt vmcnt(2)
	v_add_u32_e32 v1, v8, v1
	v_addc_co_u32_e32 v3, vcc, 0, v5, vcc
	v_add_co_u32_e32 v6, vcc, 0x2000, v4
	s_waitcnt vmcnt(0)
	v_add3_u32 v1, v1, v9, v10
	v_addc_co_u32_e32 v7, vcc, 0, v5, vcc
	global_load_dword v11, v[2:3], off
	global_load_dword v12, v[2:3], off offset:1024
	global_load_dword v13, v[2:3], off offset:2048
	;; [unrolled: 1-line block ×3, first 2 shown]
	global_load_dword v15, v[6:7], off
	global_load_dword v16, v[6:7], off offset:1024
	global_load_dword v17, v[6:7], off offset:2048
	;; [unrolled: 1-line block ×3, first 2 shown]
	v_add_co_u32_e32 v2, vcc, 0x3000, v4
	s_waitcnt vmcnt(6)
	v_add3_u32 v1, v1, v11, v12
	v_addc_co_u32_e32 v3, vcc, 0, v5, vcc
	global_load_dword v4, v[2:3], off
	global_load_dword v5, v[2:3], off offset:1024
	global_load_dword v6, v[2:3], off offset:2048
	;; [unrolled: 1-line block ×3, first 2 shown]
	s_waitcnt vmcnt(8)
	v_add3_u32 v1, v1, v13, v14
	s_waitcnt vmcnt(6)
	v_add3_u32 v1, v1, v15, v16
	;; [unrolled: 2-line block ×3, first 2 shown]
	v_mbcnt_lo_u32_b32 v2, -1, 0
	v_mbcnt_hi_u32_b32 v2, -1, v2
	v_lshlrev_b32_e32 v3, 2, v2
	v_cmp_eq_u32_e32 vcc, 0, v2
	s_waitcnt vmcnt(2)
	v_add3_u32 v1, v1, v4, v5
	v_or_b32_e32 v4, 0xfc, v3
	s_waitcnt vmcnt(0)
	v_add3_u32 v1, v1, v6, v7
	s_nop 1
	v_add_u32_dpp v1, v1, v1 quad_perm:[1,0,3,2] row_mask:0xf bank_mask:0xf bound_ctrl:1
	s_nop 1
	v_add_u32_dpp v1, v1, v1 quad_perm:[2,3,0,1] row_mask:0xf bank_mask:0xf bound_ctrl:1
	s_nop 1
	v_add_u32_dpp v1, v1, v1 row_ror:4 row_mask:0xf bank_mask:0xf bound_ctrl:1
	s_nop 1
	v_add_u32_dpp v1, v1, v1 row_ror:8 row_mask:0xf bank_mask:0xf bound_ctrl:1
	s_nop 1
	v_add_u32_dpp v1, v1, v1 row_bcast:15 row_mask:0xf bank_mask:0xf bound_ctrl:1
	s_nop 1
	v_add_u32_dpp v1, v1, v1 row_bcast:31 row_mask:0xf bank_mask:0xf bound_ctrl:1
	ds_bpermute_b32 v1, v4, v1
	s_and_saveexec_b64 s[6:7], vcc
	s_cbranch_execz .LBB122_19
; %bb.18:
	v_lshrrev_b32_e32 v4, 4, v0
	v_and_b32_e32 v4, 12, v4
	s_waitcnt lgkmcnt(0)
	ds_write_b32 v4, v1
.LBB122_19:
	s_or_b64 exec, exec, s[6:7]
	v_cmp_gt_u32_e32 vcc, 64, v0
	s_waitcnt lgkmcnt(0)
	s_barrier
	s_and_saveexec_b64 s[6:7], vcc
	s_cbranch_execz .LBB122_21
; %bb.20:
	v_and_b32_e32 v1, 3, v2
	v_lshlrev_b32_e32 v4, 2, v1
	ds_read_b32 v4, v4
	v_cmp_ne_u32_e32 vcc, 3, v1
	s_nop 1
	v_addc_co_u32_e32 v1, vcc, 0, v2, vcc
	v_lshlrev_b32_e32 v1, 2, v1
	s_waitcnt lgkmcnt(0)
	ds_bpermute_b32 v1, v1, v4
	v_or_b32_e32 v2, 8, v3
	s_waitcnt lgkmcnt(0)
	v_add_u32_e32 v1, v1, v4
	ds_bpermute_b32 v2, v2, v1
	s_waitcnt lgkmcnt(0)
	v_add_u32_e32 v1, v2, v1
.LBB122_21:
	s_or_b64 exec, exec, s[6:7]
	s_mov_b64 s[6:7], 0
	s_branch .LBB122_95
.LBB122_22:
                                        ; implicit-def: $vgpr1
	s_branch .LBB122_142
.LBB122_23:
                                        ; implicit-def: $vgpr1
	s_cbranch_execz .LBB122_10
; %bb.24:
	s_sub_i32 s76, s70, s4
	v_mov_b32_e32 v2, 0
	v_cmp_gt_u32_e32 vcc, s76, v0
	v_mov_b32_e32 v3, v2
	v_mov_b32_e32 v4, v2
	v_mov_b32_e32 v5, v2
	v_mov_b32_e32 v6, v2
	v_mov_b32_e32 v7, v2
	v_mov_b32_e32 v8, v2
	v_mov_b32_e32 v9, v2
	v_mov_b32_e32 v10, v2
	v_mov_b32_e32 v11, v2
	v_mov_b32_e32 v12, v2
	v_mov_b32_e32 v13, v2
	v_mov_b32_e32 v14, v2
	v_mov_b32_e32 v15, v2
	v_mov_b32_e32 v16, v2
	v_mov_b32_e32 v17, v2
	v_mov_b32_e32 v18, v2
	v_mov_b32_e32 v19, v2
	v_mov_b32_e32 v20, v2
	v_mov_b32_e32 v21, v2
	v_mov_b32_e32 v22, v2
	v_mov_b32_e32 v23, v2
	v_mov_b32_e32 v24, v2
	v_mov_b32_e32 v25, v2
	v_mov_b32_e32 v26, v2
	v_mov_b32_e32 v27, v2
	v_mov_b32_e32 v28, v2
	v_mov_b32_e32 v29, v2
	v_mov_b32_e32 v30, v2
	v_mov_b32_e32 v31, v2
	v_mov_b32_e32 v32, v2
	v_mov_b32_e32 v33, v2
	s_and_saveexec_b64 s[4:5], vcc
	s_cbranch_execz .LBB122_26
; %bb.25:
	v_lshlrev_b32_e32 v1, 2, v0
	global_load_dword v4, v1, s[72:73]
	v_mov_b32_e32 v5, v2
	v_mov_b32_e32 v6, v2
	;; [unrolled: 1-line block ×31, first 2 shown]
	s_waitcnt vmcnt(0)
	v_mov_b64_e32 v[2:3], v[4:5]
	v_mov_b64_e32 v[4:5], v[6:7]
	;; [unrolled: 1-line block ×16, first 2 shown]
.LBB122_26:
	s_or_b64 exec, exec, s[4:5]
	v_or_b32_e32 v1, 0x100, v0
	v_cmp_gt_u32_e32 vcc, s76, v1
	s_and_saveexec_b64 s[4:5], vcc
	s_cbranch_execz .LBB122_28
; %bb.27:
	v_lshlrev_b32_e32 v1, 2, v0
	global_load_dword v3, v1, s[72:73] offset:1024
.LBB122_28:
	s_or_b64 exec, exec, s[4:5]
	v_or_b32_e32 v1, 0x200, v0
	v_cmp_gt_u32_e64 s[4:5], s76, v1
	s_and_saveexec_b64 s[6:7], s[4:5]
	s_cbranch_execz .LBB122_30
; %bb.29:
	v_lshlrev_b32_e32 v1, 2, v0
	global_load_dword v4, v1, s[72:73] offset:2048
.LBB122_30:
	s_or_b64 exec, exec, s[6:7]
	v_or_b32_e32 v1, 0x300, v0
	v_cmp_gt_u32_e64 s[6:7], s76, v1
	s_and_saveexec_b64 s[8:9], s[6:7]
	s_cbranch_execz .LBB122_32
; %bb.31:
	v_lshlrev_b32_e32 v1, 2, v0
	global_load_dword v5, v1, s[72:73] offset:3072
.LBB122_32:
	s_or_b64 exec, exec, s[8:9]
	v_or_b32_e32 v1, 0x400, v0
	v_cmp_gt_u32_e64 s[8:9], s76, v1
	s_and_saveexec_b64 s[10:11], s[8:9]
	s_cbranch_execz .LBB122_34
; %bb.33:
	v_lshlrev_b32_e32 v1, 2, v1
	global_load_dword v6, v1, s[72:73]
.LBB122_34:
	s_or_b64 exec, exec, s[10:11]
	v_or_b32_e32 v1, 0x500, v0
	v_cmp_gt_u32_e64 s[10:11], s76, v1
	s_and_saveexec_b64 s[12:13], s[10:11]
	s_cbranch_execz .LBB122_36
; %bb.35:
	v_lshlrev_b32_e32 v1, 2, v1
	global_load_dword v7, v1, s[72:73]
.LBB122_36:
	s_or_b64 exec, exec, s[12:13]
	v_or_b32_e32 v1, 0x600, v0
	v_cmp_gt_u32_e64 s[12:13], s76, v1
	s_and_saveexec_b64 s[14:15], s[12:13]
	;; [unrolled: 9-line block ×27, first 2 shown]
	s_cbranch_execz .LBB122_88
; %bb.87:
	v_lshlrev_b32_e32 v1, 2, v1
	global_load_dword v33, v1, s[72:73]
.LBB122_88:
	s_or_b64 exec, exec, s[74:75]
	s_waitcnt vmcnt(0)
	v_cndmask_b32_e32 v1, 0, v3, vcc
	v_add_u32_e32 v1, v1, v2
	v_cndmask_b32_e64 v2, 0, v4, s[4:5]
	v_cndmask_b32_e64 v3, 0, v5, s[6:7]
	v_add3_u32 v1, v1, v2, v3
	v_cndmask_b32_e64 v2, 0, v6, s[8:9]
	v_cndmask_b32_e64 v3, 0, v7, s[10:11]
	v_add3_u32 v1, v1, v2, v3
	v_cndmask_b32_e64 v2, 0, v8, s[12:13]
	v_cndmask_b32_e64 v3, 0, v9, s[14:15]
	v_add3_u32 v1, v1, v2, v3
	v_cndmask_b32_e64 v2, 0, v10, s[16:17]
	v_cndmask_b32_e64 v3, 0, v11, s[18:19]
	v_add3_u32 v1, v1, v2, v3
	v_cndmask_b32_e64 v2, 0, v12, s[20:21]
	v_cndmask_b32_e64 v3, 0, v13, s[22:23]
	v_add3_u32 v1, v1, v2, v3
	v_cndmask_b32_e64 v2, 0, v14, s[24:25]
	v_cndmask_b32_e64 v3, 0, v15, s[26:27]
	v_add3_u32 v1, v1, v2, v3
	v_cndmask_b32_e64 v2, 0, v16, s[28:29]
	v_cndmask_b32_e64 v3, 0, v17, s[30:31]
	v_add3_u32 v1, v1, v2, v3
	v_cndmask_b32_e64 v2, 0, v18, s[34:35]
	v_cndmask_b32_e64 v3, 0, v19, s[36:37]
	v_add3_u32 v1, v1, v2, v3
	v_cndmask_b32_e64 v2, 0, v20, s[38:39]
	v_cndmask_b32_e64 v3, 0, v21, s[40:41]
	v_add3_u32 v1, v1, v2, v3
	v_cndmask_b32_e64 v2, 0, v22, s[42:43]
	v_cndmask_b32_e64 v3, 0, v23, s[44:45]
	v_add3_u32 v1, v1, v2, v3
	v_cndmask_b32_e64 v2, 0, v24, s[46:47]
	v_cndmask_b32_e64 v3, 0, v25, s[48:49]
	v_add3_u32 v1, v1, v2, v3
	v_cndmask_b32_e64 v2, 0, v26, s[50:51]
	v_cndmask_b32_e64 v3, 0, v27, s[52:53]
	v_add3_u32 v1, v1, v2, v3
	v_cndmask_b32_e64 v2, 0, v28, s[54:55]
	v_cndmask_b32_e64 v3, 0, v29, s[56:57]
	v_add3_u32 v1, v1, v2, v3
	v_cndmask_b32_e64 v2, 0, v30, s[58:59]
	v_cndmask_b32_e64 v3, 0, v31, s[60:61]
	v_add3_u32 v1, v1, v2, v3
	v_cndmask_b32_e64 v2, 0, v32, s[62:63]
	v_cndmask_b32_e64 v3, 0, v33, s[64:65]
	v_add3_u32 v1, v1, v2, v3
	v_mbcnt_lo_u32_b32 v2, -1, 0
	v_mbcnt_hi_u32_b32 v2, -1, v2
	v_and_b32_e32 v4, 63, v2
	v_cmp_ne_u32_e32 vcc, 63, v4
	s_min_u32 s6, s76, 0x100
	v_and_b32_e32 v5, 0xc0, v0
	v_addc_co_u32_e32 v3, vcc, 0, v2, vcc
	v_lshlrev_b32_e32 v3, 2, v3
	ds_bpermute_b32 v3, v3, v1
	v_sub_u32_e64 v5, s6, v5 clamp
	v_add_u32_e32 v6, 1, v4
	v_cmp_lt_u32_e32 vcc, v6, v5
	v_add_u32_e32 v6, 2, v4
	s_waitcnt lgkmcnt(0)
	v_cndmask_b32_e32 v3, 0, v3, vcc
	v_cmp_gt_u32_e32 vcc, 62, v4
	v_add_u32_e32 v1, v1, v3
	s_nop 0
	v_cndmask_b32_e64 v3, 0, 2, vcc
	v_add_lshl_u32 v3, v3, v2, 2
	ds_bpermute_b32 v3, v3, v1
	v_cmp_lt_u32_e32 vcc, v6, v5
	v_add_u32_e32 v6, 4, v4
	s_waitcnt lgkmcnt(0)
	v_cndmask_b32_e32 v3, 0, v3, vcc
	v_cmp_gt_u32_e32 vcc, 60, v4
	v_add_u32_e32 v1, v1, v3
	s_nop 0
	v_cndmask_b32_e64 v3, 0, 4, vcc
	v_add_lshl_u32 v3, v3, v2, 2
	ds_bpermute_b32 v3, v3, v1
	;; [unrolled: 10-line block ×3, first 2 shown]
	v_cmp_lt_u32_e32 vcc, v6, v5
	v_add_u32_e32 v6, 16, v4
	s_waitcnt lgkmcnt(0)
	v_cndmask_b32_e32 v3, 0, v3, vcc
	v_cmp_gt_u32_e32 vcc, 48, v4
	v_add_u32_e32 v1, v1, v3
	v_add_u32_e32 v4, 32, v4
	v_cndmask_b32_e64 v3, 0, 16, vcc
	v_add_lshl_u32 v3, v3, v2, 2
	ds_bpermute_b32 v3, v3, v1
	v_cmp_lt_u32_e32 vcc, v6, v5
	s_waitcnt lgkmcnt(0)
	s_nop 0
	v_cndmask_b32_e32 v3, 0, v3, vcc
	v_add_u32_e32 v1, v1, v3
	v_lshlrev_b32_e32 v3, 2, v2
	v_or_b32_e32 v6, 0x80, v3
	ds_bpermute_b32 v6, v6, v1
	v_cmp_lt_u32_e32 vcc, v4, v5
	s_waitcnt lgkmcnt(0)
	s_nop 0
	v_cndmask_b32_e32 v4, 0, v6, vcc
	v_add_u32_e32 v1, v1, v4
	v_cmp_eq_u32_e32 vcc, 0, v2
	s_and_saveexec_b64 s[4:5], vcc
; %bb.89:
	v_lshrrev_b32_e32 v4, 4, v0
	v_and_b32_e32 v4, 12, v4
	ds_write_b32 v4, v1 offset:96
; %bb.90:
	s_or_b64 exec, exec, s[4:5]
	v_cmp_gt_u32_e32 vcc, 4, v0
	s_waitcnt lgkmcnt(0)
	s_barrier
	s_and_saveexec_b64 s[4:5], vcc
	s_cbranch_execz .LBB122_92
; %bb.91:
	ds_read_b32 v1, v3 offset:96
	v_and_b32_e32 v4, 3, v2
	v_cmp_ne_u32_e32 vcc, 3, v4
	s_add_i32 s6, s6, 63
	s_lshr_b32 s6, s6, 6
	v_addc_co_u32_e32 v2, vcc, 0, v2, vcc
	v_lshlrev_b32_e32 v2, 2, v2
	s_waitcnt lgkmcnt(0)
	ds_bpermute_b32 v2, v2, v1
	v_add_u32_e32 v5, 1, v4
	v_cmp_gt_u32_e32 vcc, s6, v5
	s_waitcnt lgkmcnt(0)
	s_nop 0
	v_cndmask_b32_e32 v2, 0, v2, vcc
	v_add_u32_e32 v1, v2, v1
	v_or_b32_e32 v2, 8, v3
	ds_bpermute_b32 v2, v2, v1
	v_add_u32_e32 v3, 2, v4
	v_cmp_gt_u32_e32 vcc, s6, v3
	s_waitcnt lgkmcnt(0)
	s_nop 0
	v_cndmask_b32_e32 v2, 0, v2, vcc
	v_add_u32_e32 v1, v1, v2
.LBB122_92:
	s_or_b64 exec, exec, s[4:5]
	v_cmp_eq_u32_e64 s[4:5], 0, v0
	s_and_b64 vcc, exec, s[66:67]
	s_cbranch_vccnz .LBB122_15
.LBB122_93:
	s_branch .LBB122_142
.LBB122_94:
	s_mov_b64 s[6:7], -1
                                        ; implicit-def: $vgpr1
.LBB122_95:
	s_and_b64 vcc, exec, s[6:7]
	s_cbranch_vccz .LBB122_133
; %bb.96:
	s_sub_i32 s38, s70, s4
	v_mov_b32_e32 v2, 0
	v_cmp_gt_u32_e32 vcc, s38, v0
	v_mov_b32_e32 v3, v2
	v_mov_b32_e32 v4, v2
	;; [unrolled: 1-line block ×15, first 2 shown]
	s_and_saveexec_b64 s[4:5], vcc
	s_cbranch_execz .LBB122_98
; %bb.97:
	v_lshlrev_b32_e32 v1, 2, v0
	global_load_dword v4, v1, s[34:35]
	v_mov_b32_e32 v5, v2
	v_mov_b32_e32 v6, v2
	;; [unrolled: 1-line block ×15, first 2 shown]
	s_waitcnt vmcnt(0)
	v_mov_b64_e32 v[2:3], v[4:5]
	v_mov_b64_e32 v[4:5], v[6:7]
	;; [unrolled: 1-line block ×8, first 2 shown]
.LBB122_98:
	s_or_b64 exec, exec, s[4:5]
	v_or_b32_e32 v1, 0x100, v0
	v_cmp_gt_u32_e32 vcc, s38, v1
	s_and_saveexec_b64 s[4:5], vcc
	s_cbranch_execz .LBB122_100
; %bb.99:
	v_lshlrev_b32_e32 v1, 2, v0
	global_load_dword v3, v1, s[34:35] offset:1024
.LBB122_100:
	s_or_b64 exec, exec, s[4:5]
	v_or_b32_e32 v1, 0x200, v0
	v_cmp_gt_u32_e64 s[4:5], s38, v1
	s_and_saveexec_b64 s[6:7], s[4:5]
	s_cbranch_execz .LBB122_102
; %bb.101:
	v_lshlrev_b32_e32 v1, 2, v0
	global_load_dword v4, v1, s[34:35] offset:2048
.LBB122_102:
	s_or_b64 exec, exec, s[6:7]
	v_or_b32_e32 v1, 0x300, v0
	v_cmp_gt_u32_e64 s[6:7], s38, v1
	s_and_saveexec_b64 s[8:9], s[6:7]
	;; [unrolled: 9-line block ×3, first 2 shown]
	s_cbranch_execz .LBB122_106
; %bb.105:
	v_lshlrev_b32_e32 v1, 2, v1
	global_load_dword v6, v1, s[34:35]
.LBB122_106:
	s_or_b64 exec, exec, s[10:11]
	v_or_b32_e32 v1, 0x500, v0
	v_cmp_gt_u32_e64 s[10:11], s38, v1
	s_and_saveexec_b64 s[12:13], s[10:11]
	s_cbranch_execz .LBB122_108
; %bb.107:
	v_lshlrev_b32_e32 v1, 2, v1
	global_load_dword v7, v1, s[34:35]
.LBB122_108:
	s_or_b64 exec, exec, s[12:13]
	v_or_b32_e32 v1, 0x600, v0
	v_cmp_gt_u32_e64 s[12:13], s38, v1
	s_and_saveexec_b64 s[14:15], s[12:13]
	;; [unrolled: 9-line block ×11, first 2 shown]
	s_cbranch_execz .LBB122_128
; %bb.127:
	v_lshlrev_b32_e32 v1, 2, v1
	global_load_dword v17, v1, s[34:35]
.LBB122_128:
	s_or_b64 exec, exec, s[36:37]
	s_waitcnt vmcnt(0)
	v_cndmask_b32_e32 v1, 0, v3, vcc
	v_add_u32_e32 v1, v1, v2
	v_cndmask_b32_e64 v2, 0, v4, s[4:5]
	v_cndmask_b32_e64 v3, 0, v5, s[6:7]
	v_add3_u32 v1, v1, v2, v3
	v_cndmask_b32_e64 v2, 0, v6, s[8:9]
	v_cndmask_b32_e64 v3, 0, v7, s[10:11]
	v_add3_u32 v1, v1, v2, v3
	;; [unrolled: 3-line block ×7, first 2 shown]
	v_mbcnt_lo_u32_b32 v2, -1, 0
	v_mbcnt_hi_u32_b32 v2, -1, v2
	v_and_b32_e32 v4, 63, v2
	v_cmp_ne_u32_e32 vcc, 63, v4
	s_min_u32 s6, s38, 0x100
	v_and_b32_e32 v5, 0xc0, v0
	v_addc_co_u32_e32 v3, vcc, 0, v2, vcc
	v_lshlrev_b32_e32 v3, 2, v3
	ds_bpermute_b32 v3, v3, v1
	v_sub_u32_e64 v5, s6, v5 clamp
	v_add_u32_e32 v6, 1, v4
	v_cmp_lt_u32_e32 vcc, v6, v5
	v_add_u32_e32 v6, 2, v4
	s_waitcnt lgkmcnt(0)
	v_cndmask_b32_e32 v3, 0, v3, vcc
	v_cmp_gt_u32_e32 vcc, 62, v4
	v_add_u32_e32 v1, v1, v3
	s_nop 0
	v_cndmask_b32_e64 v3, 0, 2, vcc
	v_add_lshl_u32 v3, v3, v2, 2
	ds_bpermute_b32 v3, v3, v1
	v_cmp_lt_u32_e32 vcc, v6, v5
	v_add_u32_e32 v6, 4, v4
	s_waitcnt lgkmcnt(0)
	v_cndmask_b32_e32 v3, 0, v3, vcc
	v_cmp_gt_u32_e32 vcc, 60, v4
	v_add_u32_e32 v1, v1, v3
	s_nop 0
	v_cndmask_b32_e64 v3, 0, 4, vcc
	v_add_lshl_u32 v3, v3, v2, 2
	ds_bpermute_b32 v3, v3, v1
	;; [unrolled: 10-line block ×3, first 2 shown]
	v_cmp_lt_u32_e32 vcc, v6, v5
	v_add_u32_e32 v6, 16, v4
	s_waitcnt lgkmcnt(0)
	v_cndmask_b32_e32 v3, 0, v3, vcc
	v_cmp_gt_u32_e32 vcc, 48, v4
	v_add_u32_e32 v1, v1, v3
	v_add_u32_e32 v4, 32, v4
	v_cndmask_b32_e64 v3, 0, 16, vcc
	v_add_lshl_u32 v3, v3, v2, 2
	ds_bpermute_b32 v3, v3, v1
	v_cmp_lt_u32_e32 vcc, v6, v5
	s_waitcnt lgkmcnt(0)
	s_nop 0
	v_cndmask_b32_e32 v3, 0, v3, vcc
	v_add_u32_e32 v1, v1, v3
	v_lshlrev_b32_e32 v3, 2, v2
	v_or_b32_e32 v6, 0x80, v3
	ds_bpermute_b32 v6, v6, v1
	v_cmp_lt_u32_e32 vcc, v4, v5
	s_waitcnt lgkmcnt(0)
	s_nop 0
	v_cndmask_b32_e32 v4, 0, v6, vcc
	v_add_u32_e32 v1, v1, v4
	v_cmp_eq_u32_e32 vcc, 0, v2
	s_and_saveexec_b64 s[4:5], vcc
; %bb.129:
	v_lshrrev_b32_e32 v4, 4, v0
	v_and_b32_e32 v4, 12, v4
	ds_write_b32 v4, v1 offset:96
; %bb.130:
	s_or_b64 exec, exec, s[4:5]
	v_cmp_gt_u32_e32 vcc, 4, v0
	s_waitcnt lgkmcnt(0)
	s_barrier
	s_and_saveexec_b64 s[4:5], vcc
	s_cbranch_execz .LBB122_132
; %bb.131:
	ds_read_b32 v1, v3 offset:96
	v_and_b32_e32 v4, 3, v2
	v_cmp_ne_u32_e32 vcc, 3, v4
	s_add_i32 s6, s6, 63
	s_lshr_b32 s6, s6, 6
	v_addc_co_u32_e32 v2, vcc, 0, v2, vcc
	v_lshlrev_b32_e32 v2, 2, v2
	s_waitcnt lgkmcnt(0)
	ds_bpermute_b32 v2, v2, v1
	v_add_u32_e32 v5, 1, v4
	v_cmp_gt_u32_e32 vcc, s6, v5
	s_waitcnt lgkmcnt(0)
	s_nop 0
	v_cndmask_b32_e32 v2, 0, v2, vcc
	v_add_u32_e32 v1, v2, v1
	v_or_b32_e32 v2, 8, v3
	ds_bpermute_b32 v2, v2, v1
	v_add_u32_e32 v3, 2, v4
	v_cmp_gt_u32_e32 vcc, s6, v3
	s_waitcnt lgkmcnt(0)
	s_nop 0
	v_cndmask_b32_e32 v2, 0, v2, vcc
	v_add_u32_e32 v1, v1, v2
.LBB122_132:
	s_or_b64 exec, exec, s[4:5]
.LBB122_133:
	v_cmp_eq_u32_e64 s[4:5], 0, v0
	s_branch .LBB122_142
.LBB122_134:
	s_cmp_eq_u32 s33, 8
	s_cbranch_scc0 .LBB122_141
; %bb.135:
	s_mov_b32 s3, 0
	s_lshl_b32 s4, s2, 11
	s_mov_b32 s5, s3
	s_lshr_b64 s[6:7], s[70:71], 11
	s_lshl_b64 s[8:9], s[4:5], 2
	s_add_u32 s16, s68, s8
	s_addc_u32 s17, s69, s9
	s_cmp_lg_u64 s[6:7], s[2:3]
	s_cbranch_scc0 .LBB122_143
; %bb.136:
	v_lshlrev_b32_e32 v2, 2, v0
	v_mov_b32_e32 v3, 0
	v_lshl_add_u64 v[4:5], s[16:17], 0, v[2:3]
	v_add_co_u32_e32 v4, vcc, 0x1000, v4
	s_nop 1
	v_addc_co_u32_e32 v5, vcc, 0, v5, vcc
	global_load_dword v1, v2, s[16:17]
	global_load_dword v6, v2, s[16:17] offset:1024
	global_load_dword v7, v2, s[16:17] offset:2048
	;; [unrolled: 1-line block ×3, first 2 shown]
	global_load_dword v9, v[4:5], off
	global_load_dword v10, v[4:5], off offset:1024
	global_load_dword v11, v[4:5], off offset:2048
	;; [unrolled: 1-line block ×3, first 2 shown]
	v_mbcnt_lo_u32_b32 v2, -1, 0
	v_mbcnt_hi_u32_b32 v2, -1, v2
	v_lshlrev_b32_e32 v3, 2, v2
	v_or_b32_e32 v4, 0xfc, v3
	v_cmp_eq_u32_e32 vcc, 0, v2
	s_waitcnt vmcnt(6)
	v_add_u32_e32 v1, v6, v1
	s_waitcnt vmcnt(4)
	v_add3_u32 v1, v1, v7, v8
	s_waitcnt vmcnt(2)
	v_add3_u32 v1, v1, v9, v10
	;; [unrolled: 2-line block ×3, first 2 shown]
	s_nop 1
	v_add_u32_dpp v1, v1, v1 quad_perm:[1,0,3,2] row_mask:0xf bank_mask:0xf bound_ctrl:1
	s_nop 1
	v_add_u32_dpp v1, v1, v1 quad_perm:[2,3,0,1] row_mask:0xf bank_mask:0xf bound_ctrl:1
	s_nop 1
	v_add_u32_dpp v1, v1, v1 row_ror:4 row_mask:0xf bank_mask:0xf bound_ctrl:1
	s_nop 1
	v_add_u32_dpp v1, v1, v1 row_ror:8 row_mask:0xf bank_mask:0xf bound_ctrl:1
	s_nop 1
	v_add_u32_dpp v1, v1, v1 row_bcast:15 row_mask:0xf bank_mask:0xf bound_ctrl:1
	s_nop 1
	v_add_u32_dpp v1, v1, v1 row_bcast:31 row_mask:0xf bank_mask:0xf bound_ctrl:1
	ds_bpermute_b32 v1, v4, v1
	s_and_saveexec_b64 s[6:7], vcc
	s_cbranch_execz .LBB122_138
; %bb.137:
	v_lshrrev_b32_e32 v4, 4, v0
	v_and_b32_e32 v4, 12, v4
	s_waitcnt lgkmcnt(0)
	ds_write_b32 v4, v1 offset:80
.LBB122_138:
	s_or_b64 exec, exec, s[6:7]
	v_cmp_gt_u32_e32 vcc, 64, v0
	s_waitcnt lgkmcnt(0)
	s_barrier
	s_and_saveexec_b64 s[6:7], vcc
	s_cbranch_execz .LBB122_140
; %bb.139:
	v_and_b32_e32 v1, 3, v2
	v_lshlrev_b32_e32 v4, 2, v1
	ds_read_b32 v4, v4 offset:80
	v_cmp_ne_u32_e32 vcc, 3, v1
	s_nop 1
	v_addc_co_u32_e32 v1, vcc, 0, v2, vcc
	v_lshlrev_b32_e32 v1, 2, v1
	s_waitcnt lgkmcnt(0)
	ds_bpermute_b32 v1, v1, v4
	v_or_b32_e32 v2, 8, v3
	s_waitcnt lgkmcnt(0)
	v_add_u32_e32 v1, v1, v4
	ds_bpermute_b32 v2, v2, v1
	s_waitcnt lgkmcnt(0)
	v_add_u32_e32 v1, v2, v1
.LBB122_140:
	s_or_b64 exec, exec, s[6:7]
	s_branch .LBB122_165
.LBB122_141:
                                        ; implicit-def: $vgpr1
.LBB122_142:
	s_branch .LBB122_224
.LBB122_143:
                                        ; implicit-def: $vgpr1
	s_cbranch_execz .LBB122_165
; %bb.144:
	s_sub_i32 s20, s70, s4
	v_mov_b32_e32 v2, 0
	v_cmp_gt_u32_e32 vcc, s20, v0
	v_mov_b32_e32 v3, v2
	v_mov_b32_e32 v4, v2
	;; [unrolled: 1-line block ×7, first 2 shown]
	s_and_saveexec_b64 s[4:5], vcc
	s_cbranch_execz .LBB122_146
; %bb.145:
	v_lshlrev_b32_e32 v1, 2, v0
	global_load_dword v4, v1, s[16:17]
	v_mov_b32_e32 v5, v2
	v_mov_b32_e32 v6, v2
	;; [unrolled: 1-line block ×7, first 2 shown]
	s_waitcnt vmcnt(0)
	v_mov_b64_e32 v[2:3], v[4:5]
	v_mov_b64_e32 v[4:5], v[6:7]
	;; [unrolled: 1-line block ×4, first 2 shown]
.LBB122_146:
	s_or_b64 exec, exec, s[4:5]
	v_or_b32_e32 v1, 0x100, v0
	v_cmp_gt_u32_e32 vcc, s20, v1
	s_and_saveexec_b64 s[4:5], vcc
	s_cbranch_execz .LBB122_148
; %bb.147:
	v_lshlrev_b32_e32 v1, 2, v0
	global_load_dword v3, v1, s[16:17] offset:1024
.LBB122_148:
	s_or_b64 exec, exec, s[4:5]
	v_or_b32_e32 v1, 0x200, v0
	v_cmp_gt_u32_e64 s[4:5], s20, v1
	s_and_saveexec_b64 s[6:7], s[4:5]
	s_cbranch_execz .LBB122_150
; %bb.149:
	v_lshlrev_b32_e32 v1, 2, v0
	global_load_dword v4, v1, s[16:17] offset:2048
.LBB122_150:
	s_or_b64 exec, exec, s[6:7]
	v_or_b32_e32 v1, 0x300, v0
	v_cmp_gt_u32_e64 s[6:7], s20, v1
	s_and_saveexec_b64 s[8:9], s[6:7]
	;; [unrolled: 9-line block ×3, first 2 shown]
	s_cbranch_execz .LBB122_154
; %bb.153:
	v_lshlrev_b32_e32 v1, 2, v1
	global_load_dword v6, v1, s[16:17]
.LBB122_154:
	s_or_b64 exec, exec, s[10:11]
	v_or_b32_e32 v1, 0x500, v0
	v_cmp_gt_u32_e64 s[10:11], s20, v1
	s_and_saveexec_b64 s[12:13], s[10:11]
	s_cbranch_execz .LBB122_156
; %bb.155:
	v_lshlrev_b32_e32 v1, 2, v1
	global_load_dword v7, v1, s[16:17]
.LBB122_156:
	s_or_b64 exec, exec, s[12:13]
	v_or_b32_e32 v1, 0x600, v0
	v_cmp_gt_u32_e64 s[12:13], s20, v1
	s_and_saveexec_b64 s[14:15], s[12:13]
	;; [unrolled: 9-line block ×3, first 2 shown]
	s_cbranch_execz .LBB122_160
; %bb.159:
	v_lshlrev_b32_e32 v1, 2, v1
	global_load_dword v9, v1, s[16:17]
.LBB122_160:
	s_or_b64 exec, exec, s[18:19]
	s_waitcnt vmcnt(0)
	v_cndmask_b32_e32 v1, 0, v3, vcc
	v_add_u32_e32 v1, v1, v2
	v_cndmask_b32_e64 v2, 0, v4, s[4:5]
	v_cndmask_b32_e64 v3, 0, v5, s[6:7]
	v_add3_u32 v1, v1, v2, v3
	v_cndmask_b32_e64 v2, 0, v6, s[8:9]
	v_cndmask_b32_e64 v3, 0, v7, s[10:11]
	v_add3_u32 v1, v1, v2, v3
	;; [unrolled: 3-line block ×3, first 2 shown]
	v_mbcnt_lo_u32_b32 v2, -1, 0
	v_mbcnt_hi_u32_b32 v2, -1, v2
	v_and_b32_e32 v4, 63, v2
	v_cmp_ne_u32_e32 vcc, 63, v4
	s_min_u32 s6, s20, 0x100
	v_and_b32_e32 v5, 0xc0, v0
	v_addc_co_u32_e32 v3, vcc, 0, v2, vcc
	v_lshlrev_b32_e32 v3, 2, v3
	ds_bpermute_b32 v3, v3, v1
	v_sub_u32_e64 v5, s6, v5 clamp
	v_add_u32_e32 v6, 1, v4
	v_cmp_lt_u32_e32 vcc, v6, v5
	v_add_u32_e32 v6, 2, v4
	s_waitcnt lgkmcnt(0)
	v_cndmask_b32_e32 v3, 0, v3, vcc
	v_cmp_gt_u32_e32 vcc, 62, v4
	v_add_u32_e32 v1, v1, v3
	s_nop 0
	v_cndmask_b32_e64 v3, 0, 2, vcc
	v_add_lshl_u32 v3, v3, v2, 2
	ds_bpermute_b32 v3, v3, v1
	v_cmp_lt_u32_e32 vcc, v6, v5
	v_add_u32_e32 v6, 4, v4
	s_waitcnt lgkmcnt(0)
	v_cndmask_b32_e32 v3, 0, v3, vcc
	v_cmp_gt_u32_e32 vcc, 60, v4
	v_add_u32_e32 v1, v1, v3
	s_nop 0
	v_cndmask_b32_e64 v3, 0, 4, vcc
	v_add_lshl_u32 v3, v3, v2, 2
	ds_bpermute_b32 v3, v3, v1
	;; [unrolled: 10-line block ×3, first 2 shown]
	v_cmp_lt_u32_e32 vcc, v6, v5
	v_add_u32_e32 v6, 16, v4
	s_waitcnt lgkmcnt(0)
	v_cndmask_b32_e32 v3, 0, v3, vcc
	v_cmp_gt_u32_e32 vcc, 48, v4
	v_add_u32_e32 v1, v1, v3
	v_add_u32_e32 v4, 32, v4
	v_cndmask_b32_e64 v3, 0, 16, vcc
	v_add_lshl_u32 v3, v3, v2, 2
	ds_bpermute_b32 v3, v3, v1
	v_cmp_lt_u32_e32 vcc, v6, v5
	s_waitcnt lgkmcnt(0)
	s_nop 0
	v_cndmask_b32_e32 v3, 0, v3, vcc
	v_add_u32_e32 v1, v1, v3
	v_lshlrev_b32_e32 v3, 2, v2
	v_or_b32_e32 v6, 0x80, v3
	ds_bpermute_b32 v6, v6, v1
	v_cmp_lt_u32_e32 vcc, v4, v5
	s_waitcnt lgkmcnt(0)
	s_nop 0
	v_cndmask_b32_e32 v4, 0, v6, vcc
	v_add_u32_e32 v1, v1, v4
	v_cmp_eq_u32_e32 vcc, 0, v2
	s_and_saveexec_b64 s[4:5], vcc
; %bb.161:
	v_lshrrev_b32_e32 v4, 4, v0
	v_and_b32_e32 v4, 12, v4
	ds_write_b32 v4, v1 offset:96
; %bb.162:
	s_or_b64 exec, exec, s[4:5]
	v_cmp_gt_u32_e32 vcc, 4, v0
	s_waitcnt lgkmcnt(0)
	s_barrier
	s_and_saveexec_b64 s[4:5], vcc
	s_cbranch_execz .LBB122_164
; %bb.163:
	ds_read_b32 v1, v3 offset:96
	v_and_b32_e32 v4, 3, v2
	v_cmp_ne_u32_e32 vcc, 3, v4
	s_add_i32 s6, s6, 63
	s_lshr_b32 s6, s6, 6
	v_addc_co_u32_e32 v2, vcc, 0, v2, vcc
	v_lshlrev_b32_e32 v2, 2, v2
	s_waitcnt lgkmcnt(0)
	ds_bpermute_b32 v2, v2, v1
	v_add_u32_e32 v5, 1, v4
	v_cmp_gt_u32_e32 vcc, s6, v5
	s_waitcnt lgkmcnt(0)
	s_nop 0
	v_cndmask_b32_e32 v2, 0, v2, vcc
	v_add_u32_e32 v1, v2, v1
	v_or_b32_e32 v2, 8, v3
	ds_bpermute_b32 v2, v2, v1
	v_add_u32_e32 v3, 2, v4
	v_cmp_gt_u32_e32 vcc, s6, v3
	s_waitcnt lgkmcnt(0)
	s_nop 0
	v_cndmask_b32_e32 v2, 0, v2, vcc
	v_add_u32_e32 v1, v1, v2
.LBB122_164:
	s_or_b64 exec, exec, s[4:5]
.LBB122_165:
	v_cmp_eq_u32_e64 s[4:5], 0, v0
	s_branch .LBB122_224
.LBB122_166:
	s_cmp_gt_i32 s33, 1
	s_cbranch_scc0 .LBB122_175
; %bb.167:
	s_cmp_gt_i32 s33, 3
	s_cbranch_scc0 .LBB122_176
; %bb.168:
	s_cmp_eq_u32 s33, 4
	s_cbranch_scc0 .LBB122_177
; %bb.169:
	s_mov_b32 s3, 0
	s_lshl_b32 s4, s2, 10
	s_mov_b32 s5, s3
	s_lshr_b64 s[6:7], s[70:71], 10
	s_lshl_b64 s[8:9], s[4:5], 2
	s_add_u32 s8, s68, s8
	s_addc_u32 s9, s69, s9
	s_cmp_lg_u64 s[6:7], s[2:3]
	s_cbranch_scc0 .LBB122_179
; %bb.170:
	v_lshlrev_b32_e32 v1, 2, v0
	global_load_dword v4, v1, s[8:9]
	global_load_dword v5, v1, s[8:9] offset:1024
	global_load_dword v6, v1, s[8:9] offset:2048
	;; [unrolled: 1-line block ×3, first 2 shown]
	v_mbcnt_lo_u32_b32 v1, -1, 0
	v_mbcnt_hi_u32_b32 v2, -1, v1
	v_lshlrev_b32_e32 v3, 2, v2
	v_cmp_eq_u32_e32 vcc, 0, v2
	s_waitcnt vmcnt(2)
	v_add_u32_e32 v1, v5, v4
	v_or_b32_e32 v4, 0xfc, v3
	s_waitcnt vmcnt(0)
	v_add3_u32 v1, v1, v6, v7
	s_nop 1
	v_add_u32_dpp v1, v1, v1 quad_perm:[1,0,3,2] row_mask:0xf bank_mask:0xf bound_ctrl:1
	s_nop 1
	v_add_u32_dpp v1, v1, v1 quad_perm:[2,3,0,1] row_mask:0xf bank_mask:0xf bound_ctrl:1
	s_nop 1
	v_add_u32_dpp v1, v1, v1 row_ror:4 row_mask:0xf bank_mask:0xf bound_ctrl:1
	s_nop 1
	v_add_u32_dpp v1, v1, v1 row_ror:8 row_mask:0xf bank_mask:0xf bound_ctrl:1
	s_nop 1
	v_add_u32_dpp v1, v1, v1 row_bcast:15 row_mask:0xf bank_mask:0xf bound_ctrl:1
	s_nop 1
	v_add_u32_dpp v1, v1, v1 row_bcast:31 row_mask:0xf bank_mask:0xf bound_ctrl:1
	ds_bpermute_b32 v1, v4, v1
	s_and_saveexec_b64 s[6:7], vcc
	s_cbranch_execz .LBB122_172
; %bb.171:
	v_lshrrev_b32_e32 v4, 4, v0
	v_and_b32_e32 v4, 12, v4
	s_waitcnt lgkmcnt(0)
	ds_write_b32 v4, v1 offset:64
.LBB122_172:
	s_or_b64 exec, exec, s[6:7]
	v_cmp_gt_u32_e32 vcc, 64, v0
	s_waitcnt lgkmcnt(0)
	s_barrier
	s_and_saveexec_b64 s[6:7], vcc
	s_cbranch_execz .LBB122_174
; %bb.173:
	v_and_b32_e32 v1, 3, v2
	v_lshlrev_b32_e32 v4, 2, v1
	ds_read_b32 v4, v4 offset:64
	v_cmp_ne_u32_e32 vcc, 3, v1
	s_nop 1
	v_addc_co_u32_e32 v1, vcc, 0, v2, vcc
	v_lshlrev_b32_e32 v1, 2, v1
	s_waitcnt lgkmcnt(0)
	ds_bpermute_b32 v1, v1, v4
	v_or_b32_e32 v2, 8, v3
	s_waitcnt lgkmcnt(0)
	v_add_u32_e32 v1, v1, v4
	ds_bpermute_b32 v2, v2, v1
	s_waitcnt lgkmcnt(0)
	v_add_u32_e32 v1, v2, v1
.LBB122_174:
	s_or_b64 exec, exec, s[6:7]
	s_mov_b64 s[6:7], 0
	s_branch .LBB122_180
.LBB122_175:
                                        ; implicit-def: $vgpr1
	s_cbranch_execnz .LBB122_215
	s_branch .LBB122_224
.LBB122_176:
                                        ; implicit-def: $vgpr1
	s_cbranch_execz .LBB122_178
	s_branch .LBB122_195
.LBB122_177:
                                        ; implicit-def: $vgpr1
.LBB122_178:
	s_branch .LBB122_224
.LBB122_179:
	s_mov_b64 s[6:7], -1
                                        ; implicit-def: $vgpr1
.LBB122_180:
	s_and_b64 vcc, exec, s[6:7]
	s_cbranch_vccz .LBB122_194
; %bb.181:
	s_sub_i32 s12, s70, s4
	v_mov_b32_e32 v2, 0
	v_cmp_gt_u32_e32 vcc, s12, v0
	v_mov_b32_e32 v3, v2
	v_mov_b32_e32 v4, v2
	;; [unrolled: 1-line block ×3, first 2 shown]
	s_and_saveexec_b64 s[4:5], vcc
	s_cbranch_execz .LBB122_183
; %bb.182:
	v_lshlrev_b32_e32 v1, 2, v0
	global_load_dword v4, v1, s[8:9]
	v_mov_b32_e32 v5, v2
	v_mov_b32_e32 v6, v2
	;; [unrolled: 1-line block ×3, first 2 shown]
	s_waitcnt vmcnt(0)
	v_mov_b64_e32 v[2:3], v[4:5]
	v_mov_b64_e32 v[4:5], v[6:7]
.LBB122_183:
	s_or_b64 exec, exec, s[4:5]
	v_or_b32_e32 v1, 0x100, v0
	v_cmp_gt_u32_e32 vcc, s12, v1
	s_and_saveexec_b64 s[4:5], vcc
	s_cbranch_execz .LBB122_185
; %bb.184:
	v_lshlrev_b32_e32 v1, 2, v0
	global_load_dword v3, v1, s[8:9] offset:1024
.LBB122_185:
	s_or_b64 exec, exec, s[4:5]
	v_or_b32_e32 v1, 0x200, v0
	v_cmp_gt_u32_e64 s[4:5], s12, v1
	s_and_saveexec_b64 s[6:7], s[4:5]
	s_cbranch_execz .LBB122_187
; %bb.186:
	v_lshlrev_b32_e32 v1, 2, v0
	global_load_dword v4, v1, s[8:9] offset:2048
.LBB122_187:
	s_or_b64 exec, exec, s[6:7]
	v_or_b32_e32 v1, 0x300, v0
	v_cmp_gt_u32_e64 s[6:7], s12, v1
	s_and_saveexec_b64 s[10:11], s[6:7]
	s_cbranch_execz .LBB122_189
; %bb.188:
	v_lshlrev_b32_e32 v1, 2, v0
	global_load_dword v5, v1, s[8:9] offset:3072
.LBB122_189:
	s_or_b64 exec, exec, s[10:11]
	s_waitcnt vmcnt(0)
	v_cndmask_b32_e32 v1, 0, v3, vcc
	v_add_u32_e32 v1, v1, v2
	v_cndmask_b32_e64 v2, 0, v4, s[4:5]
	v_cndmask_b32_e64 v3, 0, v5, s[6:7]
	v_add3_u32 v1, v1, v2, v3
	v_mbcnt_lo_u32_b32 v2, -1, 0
	v_mbcnt_hi_u32_b32 v2, -1, v2
	v_and_b32_e32 v4, 63, v2
	v_cmp_ne_u32_e32 vcc, 63, v4
	s_min_u32 s6, s12, 0x100
	v_and_b32_e32 v5, 0xc0, v0
	v_addc_co_u32_e32 v3, vcc, 0, v2, vcc
	v_lshlrev_b32_e32 v3, 2, v3
	ds_bpermute_b32 v3, v3, v1
	v_sub_u32_e64 v5, s6, v5 clamp
	v_add_u32_e32 v6, 1, v4
	v_cmp_lt_u32_e32 vcc, v6, v5
	v_add_u32_e32 v6, 2, v4
	s_waitcnt lgkmcnt(0)
	v_cndmask_b32_e32 v3, 0, v3, vcc
	v_cmp_gt_u32_e32 vcc, 62, v4
	v_add_u32_e32 v1, v3, v1
	s_nop 0
	v_cndmask_b32_e64 v3, 0, 2, vcc
	v_add_lshl_u32 v3, v3, v2, 2
	ds_bpermute_b32 v3, v3, v1
	v_cmp_lt_u32_e32 vcc, v6, v5
	v_add_u32_e32 v6, 4, v4
	s_waitcnt lgkmcnt(0)
	v_cndmask_b32_e32 v3, 0, v3, vcc
	v_cmp_gt_u32_e32 vcc, 60, v4
	v_add_u32_e32 v1, v1, v3
	s_nop 0
	v_cndmask_b32_e64 v3, 0, 4, vcc
	v_add_lshl_u32 v3, v3, v2, 2
	ds_bpermute_b32 v3, v3, v1
	;; [unrolled: 10-line block ×3, first 2 shown]
	v_cmp_lt_u32_e32 vcc, v6, v5
	v_add_u32_e32 v6, 16, v4
	s_waitcnt lgkmcnt(0)
	v_cndmask_b32_e32 v3, 0, v3, vcc
	v_cmp_gt_u32_e32 vcc, 48, v4
	v_add_u32_e32 v1, v1, v3
	v_add_u32_e32 v4, 32, v4
	v_cndmask_b32_e64 v3, 0, 16, vcc
	v_add_lshl_u32 v3, v3, v2, 2
	ds_bpermute_b32 v3, v3, v1
	v_cmp_lt_u32_e32 vcc, v6, v5
	s_waitcnt lgkmcnt(0)
	s_nop 0
	v_cndmask_b32_e32 v3, 0, v3, vcc
	v_add_u32_e32 v1, v1, v3
	v_lshlrev_b32_e32 v3, 2, v2
	v_or_b32_e32 v6, 0x80, v3
	ds_bpermute_b32 v6, v6, v1
	v_cmp_lt_u32_e32 vcc, v4, v5
	s_waitcnt lgkmcnt(0)
	s_nop 0
	v_cndmask_b32_e32 v4, 0, v6, vcc
	v_add_u32_e32 v1, v1, v4
	v_cmp_eq_u32_e32 vcc, 0, v2
	s_and_saveexec_b64 s[4:5], vcc
; %bb.190:
	v_lshrrev_b32_e32 v4, 4, v0
	v_and_b32_e32 v4, 12, v4
	ds_write_b32 v4, v1 offset:96
; %bb.191:
	s_or_b64 exec, exec, s[4:5]
	v_cmp_gt_u32_e32 vcc, 4, v0
	s_waitcnt lgkmcnt(0)
	s_barrier
	s_and_saveexec_b64 s[4:5], vcc
	s_cbranch_execz .LBB122_193
; %bb.192:
	ds_read_b32 v1, v3 offset:96
	v_and_b32_e32 v4, 3, v2
	v_cmp_ne_u32_e32 vcc, 3, v4
	s_add_i32 s6, s6, 63
	s_lshr_b32 s6, s6, 6
	v_addc_co_u32_e32 v2, vcc, 0, v2, vcc
	v_lshlrev_b32_e32 v2, 2, v2
	s_waitcnt lgkmcnt(0)
	ds_bpermute_b32 v2, v2, v1
	v_add_u32_e32 v5, 1, v4
	v_cmp_gt_u32_e32 vcc, s6, v5
	s_waitcnt lgkmcnt(0)
	s_nop 0
	v_cndmask_b32_e32 v2, 0, v2, vcc
	v_add_u32_e32 v1, v2, v1
	v_or_b32_e32 v2, 8, v3
	ds_bpermute_b32 v2, v2, v1
	v_add_u32_e32 v3, 2, v4
	v_cmp_gt_u32_e32 vcc, s6, v3
	s_waitcnt lgkmcnt(0)
	s_nop 0
	v_cndmask_b32_e32 v2, 0, v2, vcc
	v_add_u32_e32 v1, v1, v2
.LBB122_193:
	s_or_b64 exec, exec, s[4:5]
.LBB122_194:
	v_cmp_eq_u32_e64 s[4:5], 0, v0
	s_branch .LBB122_178
.LBB122_195:
	s_cmp_eq_u32 s33, 2
	s_cbranch_scc0 .LBB122_202
; %bb.196:
	s_mov_b32 s3, 0
	s_lshl_b32 s6, s2, 9
	s_mov_b32 s7, s3
	s_lshr_b64 s[8:9], s[70:71], 9
	s_lshl_b64 s[4:5], s[6:7], 2
	s_add_u32 s4, s68, s4
	s_addc_u32 s5, s69, s5
	s_cmp_lg_u64 s[8:9], s[2:3]
	s_cbranch_scc0 .LBB122_203
; %bb.197:
	v_lshlrev_b32_e32 v1, 2, v0
	global_load_dword v4, v1, s[4:5]
	global_load_dword v5, v1, s[4:5] offset:1024
	v_mbcnt_lo_u32_b32 v1, -1, 0
	v_mbcnt_hi_u32_b32 v2, -1, v1
	v_lshlrev_b32_e32 v3, 2, v2
	v_cmp_eq_u32_e32 vcc, 0, v2
	s_waitcnt vmcnt(0)
	v_add_u32_e32 v1, v5, v4
	s_nop 1
	v_add_u32_dpp v1, v1, v1 quad_perm:[1,0,3,2] row_mask:0xf bank_mask:0xf bound_ctrl:1
	v_or_b32_e32 v4, 0xfc, v3
	s_nop 0
	v_add_u32_dpp v1, v1, v1 quad_perm:[2,3,0,1] row_mask:0xf bank_mask:0xf bound_ctrl:1
	s_nop 1
	v_add_u32_dpp v1, v1, v1 row_ror:4 row_mask:0xf bank_mask:0xf bound_ctrl:1
	s_nop 1
	v_add_u32_dpp v1, v1, v1 row_ror:8 row_mask:0xf bank_mask:0xf bound_ctrl:1
	s_nop 1
	v_add_u32_dpp v1, v1, v1 row_bcast:15 row_mask:0xf bank_mask:0xf bound_ctrl:1
	s_nop 1
	v_add_u32_dpp v1, v1, v1 row_bcast:31 row_mask:0xf bank_mask:0xf bound_ctrl:1
	ds_bpermute_b32 v1, v4, v1
	s_and_saveexec_b64 s[8:9], vcc
	s_cbranch_execz .LBB122_199
; %bb.198:
	v_lshrrev_b32_e32 v4, 4, v0
	v_and_b32_e32 v4, 12, v4
	s_waitcnt lgkmcnt(0)
	ds_write_b32 v4, v1 offset:32
.LBB122_199:
	s_or_b64 exec, exec, s[8:9]
	v_cmp_gt_u32_e32 vcc, 64, v0
	s_waitcnt lgkmcnt(0)
	s_barrier
	s_and_saveexec_b64 s[8:9], vcc
	s_cbranch_execz .LBB122_201
; %bb.200:
	v_and_b32_e32 v1, 3, v2
	v_lshlrev_b32_e32 v4, 2, v1
	ds_read_b32 v4, v4 offset:32
	v_cmp_ne_u32_e32 vcc, 3, v1
	s_nop 1
	v_addc_co_u32_e32 v1, vcc, 0, v2, vcc
	v_lshlrev_b32_e32 v1, 2, v1
	s_waitcnt lgkmcnt(0)
	ds_bpermute_b32 v1, v1, v4
	v_or_b32_e32 v2, 8, v3
	s_waitcnt lgkmcnt(0)
	v_add_u32_e32 v1, v1, v4
	ds_bpermute_b32 v2, v2, v1
	s_waitcnt lgkmcnt(0)
	v_add_u32_e32 v1, v2, v1
.LBB122_201:
	s_or_b64 exec, exec, s[8:9]
	s_mov_b64 s[8:9], 0
	s_branch .LBB122_204
.LBB122_202:
                                        ; implicit-def: $vgpr1
	s_branch .LBB122_224
.LBB122_203:
	s_mov_b64 s[8:9], -1
                                        ; implicit-def: $vgpr1
.LBB122_204:
	s_and_b64 vcc, exec, s[8:9]
	s_cbranch_vccz .LBB122_214
; %bb.205:
	s_sub_i32 s8, s70, s6
	v_mov_b32_e32 v2, 0
	v_cmp_gt_u32_e32 vcc, s8, v0
	v_mov_b32_e32 v3, v2
	s_and_saveexec_b64 s[6:7], vcc
	s_cbranch_execz .LBB122_207
; %bb.206:
	v_lshlrev_b32_e32 v1, 2, v0
	global_load_dword v4, v1, s[4:5]
	v_mov_b32_e32 v5, v2
	s_waitcnt vmcnt(0)
	v_mov_b64_e32 v[2:3], v[4:5]
.LBB122_207:
	s_or_b64 exec, exec, s[6:7]
	v_or_b32_e32 v1, 0x100, v0
	v_cmp_gt_u32_e32 vcc, s8, v1
	s_and_saveexec_b64 s[6:7], vcc
	s_cbranch_execz .LBB122_209
; %bb.208:
	v_lshlrev_b32_e32 v1, 2, v0
	global_load_dword v3, v1, s[4:5] offset:1024
.LBB122_209:
	s_or_b64 exec, exec, s[6:7]
	s_waitcnt vmcnt(0)
	v_cndmask_b32_e32 v1, 0, v3, vcc
	v_add_u32_e32 v1, v1, v2
	v_mbcnt_lo_u32_b32 v2, -1, 0
	v_mbcnt_hi_u32_b32 v2, -1, v2
	v_and_b32_e32 v4, 63, v2
	v_cmp_ne_u32_e32 vcc, 63, v4
	s_min_u32 s6, s8, 0x100
	v_and_b32_e32 v5, 0xc0, v0
	v_addc_co_u32_e32 v3, vcc, 0, v2, vcc
	v_lshlrev_b32_e32 v3, 2, v3
	ds_bpermute_b32 v3, v3, v1
	v_sub_u32_e64 v5, s6, v5 clamp
	v_add_u32_e32 v6, 1, v4
	v_cmp_lt_u32_e32 vcc, v6, v5
	v_add_u32_e32 v6, 2, v4
	s_waitcnt lgkmcnt(0)
	v_cndmask_b32_e32 v3, 0, v3, vcc
	v_cmp_gt_u32_e32 vcc, 62, v4
	v_add_u32_e32 v1, v3, v1
	s_nop 0
	v_cndmask_b32_e64 v3, 0, 2, vcc
	v_add_lshl_u32 v3, v3, v2, 2
	ds_bpermute_b32 v3, v3, v1
	v_cmp_lt_u32_e32 vcc, v6, v5
	v_add_u32_e32 v6, 4, v4
	s_waitcnt lgkmcnt(0)
	v_cndmask_b32_e32 v3, 0, v3, vcc
	v_cmp_gt_u32_e32 vcc, 60, v4
	v_add_u32_e32 v1, v1, v3
	s_nop 0
	v_cndmask_b32_e64 v3, 0, 4, vcc
	v_add_lshl_u32 v3, v3, v2, 2
	ds_bpermute_b32 v3, v3, v1
	;; [unrolled: 10-line block ×3, first 2 shown]
	v_cmp_lt_u32_e32 vcc, v6, v5
	v_add_u32_e32 v6, 16, v4
	s_waitcnt lgkmcnt(0)
	v_cndmask_b32_e32 v3, 0, v3, vcc
	v_cmp_gt_u32_e32 vcc, 48, v4
	v_add_u32_e32 v1, v1, v3
	v_add_u32_e32 v4, 32, v4
	v_cndmask_b32_e64 v3, 0, 16, vcc
	v_add_lshl_u32 v3, v3, v2, 2
	ds_bpermute_b32 v3, v3, v1
	v_cmp_lt_u32_e32 vcc, v6, v5
	s_waitcnt lgkmcnt(0)
	s_nop 0
	v_cndmask_b32_e32 v3, 0, v3, vcc
	v_add_u32_e32 v1, v1, v3
	v_lshlrev_b32_e32 v3, 2, v2
	v_or_b32_e32 v6, 0x80, v3
	ds_bpermute_b32 v6, v6, v1
	v_cmp_lt_u32_e32 vcc, v4, v5
	s_waitcnt lgkmcnt(0)
	s_nop 0
	v_cndmask_b32_e32 v4, 0, v6, vcc
	v_add_u32_e32 v1, v1, v4
	v_cmp_eq_u32_e32 vcc, 0, v2
	s_and_saveexec_b64 s[4:5], vcc
; %bb.210:
	v_lshrrev_b32_e32 v4, 4, v0
	v_and_b32_e32 v4, 12, v4
	ds_write_b32 v4, v1 offset:96
; %bb.211:
	s_or_b64 exec, exec, s[4:5]
	v_cmp_gt_u32_e32 vcc, 4, v0
	s_waitcnt lgkmcnt(0)
	s_barrier
	s_and_saveexec_b64 s[4:5], vcc
	s_cbranch_execz .LBB122_213
; %bb.212:
	ds_read_b32 v1, v3 offset:96
	v_and_b32_e32 v4, 3, v2
	v_cmp_ne_u32_e32 vcc, 3, v4
	s_add_i32 s6, s6, 63
	s_lshr_b32 s6, s6, 6
	v_addc_co_u32_e32 v2, vcc, 0, v2, vcc
	v_lshlrev_b32_e32 v2, 2, v2
	s_waitcnt lgkmcnt(0)
	ds_bpermute_b32 v2, v2, v1
	v_add_u32_e32 v5, 1, v4
	v_cmp_gt_u32_e32 vcc, s6, v5
	s_waitcnt lgkmcnt(0)
	s_nop 0
	v_cndmask_b32_e32 v2, 0, v2, vcc
	v_add_u32_e32 v1, v2, v1
	v_or_b32_e32 v2, 8, v3
	ds_bpermute_b32 v2, v2, v1
	v_add_u32_e32 v3, 2, v4
	v_cmp_gt_u32_e32 vcc, s6, v3
	s_waitcnt lgkmcnt(0)
	s_nop 0
	v_cndmask_b32_e32 v2, 0, v2, vcc
	v_add_u32_e32 v1, v1, v2
.LBB122_213:
	s_or_b64 exec, exec, s[4:5]
.LBB122_214:
	v_cmp_eq_u32_e64 s[4:5], 0, v0
	s_branch .LBB122_224
.LBB122_215:
	s_cmp_eq_u32 s33, 1
	s_cbranch_scc0 .LBB122_223
; %bb.216:
	s_mov_b32 s5, 0
	s_lshl_b32 s4, s2, 8
	s_mov_b32 s3, s5
	s_lshr_b64 s[6:7], s[70:71], 8
	s_cmp_lg_u64 s[6:7], s[2:3]
	v_mbcnt_lo_u32_b32 v2, -1, 0
	s_cbranch_scc0 .LBB122_227
; %bb.217:
	s_lshl_b64 s[6:7], s[4:5], 2
	s_add_u32 s6, s68, s6
	s_addc_u32 s7, s69, s7
	v_lshlrev_b32_e32 v1, 2, v0
	global_load_dword v1, v1, s[6:7]
	v_mbcnt_hi_u32_b32 v3, -1, v2
	v_lshlrev_b32_e32 v4, 2, v3
	v_or_b32_e32 v5, 0xfc, v4
	v_cmp_eq_u32_e32 vcc, 0, v3
	s_waitcnt vmcnt(0)
	v_add_u32_dpp v1, v1, v1 quad_perm:[1,0,3,2] row_mask:0xf bank_mask:0xf bound_ctrl:1
	s_nop 1
	v_add_u32_dpp v1, v1, v1 quad_perm:[2,3,0,1] row_mask:0xf bank_mask:0xf bound_ctrl:1
	s_nop 1
	v_add_u32_dpp v1, v1, v1 row_ror:4 row_mask:0xf bank_mask:0xf bound_ctrl:1
	s_nop 1
	v_add_u32_dpp v1, v1, v1 row_ror:8 row_mask:0xf bank_mask:0xf bound_ctrl:1
	s_nop 1
	v_add_u32_dpp v1, v1, v1 row_bcast:15 row_mask:0xf bank_mask:0xf bound_ctrl:1
	s_nop 1
	v_add_u32_dpp v1, v1, v1 row_bcast:31 row_mask:0xf bank_mask:0xf bound_ctrl:1
	ds_bpermute_b32 v1, v5, v1
	s_and_saveexec_b64 s[6:7], vcc
	s_cbranch_execz .LBB122_219
; %bb.218:
	v_lshrrev_b32_e32 v5, 4, v0
	v_and_b32_e32 v5, 12, v5
	s_waitcnt lgkmcnt(0)
	ds_write_b32 v5, v1 offset:16
.LBB122_219:
	s_or_b64 exec, exec, s[6:7]
	v_cmp_gt_u32_e32 vcc, 64, v0
	s_waitcnt lgkmcnt(0)
	s_barrier
	s_and_saveexec_b64 s[6:7], vcc
	s_cbranch_execz .LBB122_221
; %bb.220:
	v_and_b32_e32 v1, 3, v3
	v_lshlrev_b32_e32 v5, 2, v1
	ds_read_b32 v5, v5 offset:16
	v_cmp_ne_u32_e32 vcc, 3, v1
	s_nop 1
	v_addc_co_u32_e32 v1, vcc, 0, v3, vcc
	v_lshlrev_b32_e32 v1, 2, v1
	s_waitcnt lgkmcnt(0)
	ds_bpermute_b32 v1, v1, v5
	v_or_b32_e32 v3, 8, v4
	s_waitcnt lgkmcnt(0)
	v_add_u32_e32 v1, v1, v5
	ds_bpermute_b32 v3, v3, v1
	s_waitcnt lgkmcnt(0)
	v_add_u32_e32 v1, v3, v1
.LBB122_221:
	s_or_b64 exec, exec, s[6:7]
.LBB122_222:
	v_cmp_eq_u32_e64 s[4:5], 0, v0
	s_and_saveexec_b64 s[6:7], s[4:5]
	s_cbranch_execnz .LBB122_225
	s_branch .LBB122_226
.LBB122_223:
                                        ; implicit-def: $vgpr1
                                        ; implicit-def: $sgpr2_sgpr3
.LBB122_224:
	s_and_saveexec_b64 s[6:7], s[4:5]
	s_cbranch_execz .LBB122_226
.LBB122_225:
	s_load_dwordx2 s[4:5], s[0:1], 0x18
	s_load_dword s6, s[0:1], 0x20
	s_lshl_b64 s[0:1], s[2:3], 2
	v_mov_b32_e32 v0, 0
	s_waitcnt lgkmcnt(0)
	s_add_u32 s0, s4, s0
	s_addc_u32 s1, s5, s1
	s_cmp_lg_u64 s[70:71], 0
	s_cselect_b64 vcc, -1, 0
	v_cndmask_b32_e32 v1, 0, v1, vcc
	v_add_u32_e32 v1, s6, v1
	global_store_dword v0, v1, s[0:1]
.LBB122_226:
	s_endpgm
.LBB122_227:
                                        ; implicit-def: $vgpr1
	s_cbranch_execz .LBB122_222
; %bb.228:
	s_sub_i32 s8, s70, s4
	v_cmp_gt_u32_e32 vcc, s8, v0
                                        ; implicit-def: $vgpr1
	s_and_saveexec_b64 s[6:7], vcc
	s_cbranch_execz .LBB122_230
; %bb.229:
	s_lshl_b64 s[4:5], s[4:5], 2
	s_add_u32 s4, s68, s4
	s_addc_u32 s5, s69, s5
	v_lshlrev_b32_e32 v1, 2, v0
	global_load_dword v1, v1, s[4:5]
.LBB122_230:
	s_or_b64 exec, exec, s[6:7]
	v_mbcnt_hi_u32_b32 v2, -1, v2
	v_and_b32_e32 v4, 63, v2
	v_cmp_ne_u32_e32 vcc, 63, v4
	s_min_u32 s6, s8, 0x100
	v_and_b32_e32 v5, 0xc0, v0
	v_addc_co_u32_e32 v3, vcc, 0, v2, vcc
	v_lshlrev_b32_e32 v3, 2, v3
	s_waitcnt vmcnt(0)
	ds_bpermute_b32 v3, v3, v1
	v_sub_u32_e64 v5, s6, v5 clamp
	v_add_u32_e32 v6, 1, v4
	v_cmp_lt_u32_e32 vcc, v6, v5
	v_add_u32_e32 v6, 2, v4
	s_waitcnt lgkmcnt(0)
	v_cndmask_b32_e32 v3, 0, v3, vcc
	v_cmp_gt_u32_e32 vcc, 62, v4
	v_add_u32_e32 v1, v3, v1
	s_nop 0
	v_cndmask_b32_e64 v3, 0, 2, vcc
	v_add_lshl_u32 v3, v3, v2, 2
	ds_bpermute_b32 v3, v3, v1
	v_cmp_lt_u32_e32 vcc, v6, v5
	v_add_u32_e32 v6, 4, v4
	s_waitcnt lgkmcnt(0)
	v_cndmask_b32_e32 v3, 0, v3, vcc
	v_cmp_gt_u32_e32 vcc, 60, v4
	v_add_u32_e32 v1, v1, v3
	s_nop 0
	v_cndmask_b32_e64 v3, 0, 4, vcc
	v_add_lshl_u32 v3, v3, v2, 2
	ds_bpermute_b32 v3, v3, v1
	;; [unrolled: 10-line block ×3, first 2 shown]
	v_cmp_lt_u32_e32 vcc, v6, v5
	v_add_u32_e32 v6, 16, v4
	s_waitcnt lgkmcnt(0)
	v_cndmask_b32_e32 v3, 0, v3, vcc
	v_cmp_gt_u32_e32 vcc, 48, v4
	v_add_u32_e32 v1, v1, v3
	v_add_u32_e32 v4, 32, v4
	v_cndmask_b32_e64 v3, 0, 16, vcc
	v_add_lshl_u32 v3, v3, v2, 2
	ds_bpermute_b32 v3, v3, v1
	v_cmp_lt_u32_e32 vcc, v6, v5
	s_waitcnt lgkmcnt(0)
	s_nop 0
	v_cndmask_b32_e32 v3, 0, v3, vcc
	v_add_u32_e32 v1, v1, v3
	v_lshlrev_b32_e32 v3, 2, v2
	v_or_b32_e32 v6, 0x80, v3
	ds_bpermute_b32 v6, v6, v1
	v_cmp_lt_u32_e32 vcc, v4, v5
	s_waitcnt lgkmcnt(0)
	s_nop 0
	v_cndmask_b32_e32 v4, 0, v6, vcc
	v_add_u32_e32 v1, v1, v4
	v_cmp_eq_u32_e32 vcc, 0, v2
	s_and_saveexec_b64 s[4:5], vcc
; %bb.231:
	v_lshrrev_b32_e32 v4, 4, v0
	v_and_b32_e32 v4, 12, v4
	ds_write_b32 v4, v1 offset:96
; %bb.232:
	s_or_b64 exec, exec, s[4:5]
	v_cmp_gt_u32_e32 vcc, 4, v0
	s_waitcnt lgkmcnt(0)
	s_barrier
	s_and_saveexec_b64 s[4:5], vcc
	s_cbranch_execz .LBB122_234
; %bb.233:
	ds_read_b32 v1, v3 offset:96
	v_and_b32_e32 v4, 3, v2
	v_cmp_ne_u32_e32 vcc, 3, v4
	s_add_i32 s6, s6, 63
	s_lshr_b32 s6, s6, 6
	v_addc_co_u32_e32 v2, vcc, 0, v2, vcc
	v_lshlrev_b32_e32 v2, 2, v2
	s_waitcnt lgkmcnt(0)
	ds_bpermute_b32 v2, v2, v1
	v_add_u32_e32 v5, 1, v4
	v_cmp_gt_u32_e32 vcc, s6, v5
	s_waitcnt lgkmcnt(0)
	s_nop 0
	v_cndmask_b32_e32 v2, 0, v2, vcc
	v_add_u32_e32 v1, v2, v1
	v_or_b32_e32 v2, 8, v3
	ds_bpermute_b32 v2, v2, v1
	v_add_u32_e32 v3, 2, v4
	v_cmp_gt_u32_e32 vcc, s6, v3
	s_waitcnt lgkmcnt(0)
	s_nop 0
	v_cndmask_b32_e32 v2, 0, v2, vcc
	v_add_u32_e32 v1, v1, v2
.LBB122_234:
	s_or_b64 exec, exec, s[4:5]
	v_cmp_eq_u32_e64 s[4:5], 0, v0
	s_and_saveexec_b64 s[6:7], s[4:5]
	s_cbranch_execnz .LBB122_225
	s_branch .LBB122_226
	.section	.rodata,"a",@progbits
	.p2align	6, 0x0
	.amdhsa_kernel _ZN7rocprim17ROCPRIM_400000_NS6detail17trampoline_kernelINS0_14default_configENS1_22reduce_config_selectorIjEEZNS1_11reduce_implILb1ES3_PjS7_jN6thrust23THRUST_200600_302600_NS4plusIjEEEE10hipError_tPvRmT1_T2_T3_mT4_P12ihipStream_tbEUlT_E1_NS1_11comp_targetILNS1_3genE0ELNS1_11target_archE4294967295ELNS1_3gpuE0ELNS1_3repE0EEENS1_30default_config_static_selectorELNS0_4arch9wavefront6targetE1EEEvSF_
		.amdhsa_group_segment_fixed_size 112
		.amdhsa_private_segment_fixed_size 0
		.amdhsa_kernarg_size 40
		.amdhsa_user_sgpr_count 2
		.amdhsa_user_sgpr_dispatch_ptr 0
		.amdhsa_user_sgpr_queue_ptr 0
		.amdhsa_user_sgpr_kernarg_segment_ptr 1
		.amdhsa_user_sgpr_dispatch_id 0
		.amdhsa_user_sgpr_kernarg_preload_length 0
		.amdhsa_user_sgpr_kernarg_preload_offset 0
		.amdhsa_user_sgpr_private_segment_size 0
		.amdhsa_uses_dynamic_stack 0
		.amdhsa_enable_private_segment 0
		.amdhsa_system_sgpr_workgroup_id_x 1
		.amdhsa_system_sgpr_workgroup_id_y 0
		.amdhsa_system_sgpr_workgroup_id_z 0
		.amdhsa_system_sgpr_workgroup_info 0
		.amdhsa_system_vgpr_workitem_id 0
		.amdhsa_next_free_vgpr 36
		.amdhsa_next_free_sgpr 77
		.amdhsa_accum_offset 36
		.amdhsa_reserve_vcc 1
		.amdhsa_float_round_mode_32 0
		.amdhsa_float_round_mode_16_64 0
		.amdhsa_float_denorm_mode_32 3
		.amdhsa_float_denorm_mode_16_64 3
		.amdhsa_dx10_clamp 1
		.amdhsa_ieee_mode 1
		.amdhsa_fp16_overflow 0
		.amdhsa_tg_split 0
		.amdhsa_exception_fp_ieee_invalid_op 0
		.amdhsa_exception_fp_denorm_src 0
		.amdhsa_exception_fp_ieee_div_zero 0
		.amdhsa_exception_fp_ieee_overflow 0
		.amdhsa_exception_fp_ieee_underflow 0
		.amdhsa_exception_fp_ieee_inexact 0
		.amdhsa_exception_int_div_zero 0
	.end_amdhsa_kernel
	.section	.text._ZN7rocprim17ROCPRIM_400000_NS6detail17trampoline_kernelINS0_14default_configENS1_22reduce_config_selectorIjEEZNS1_11reduce_implILb1ES3_PjS7_jN6thrust23THRUST_200600_302600_NS4plusIjEEEE10hipError_tPvRmT1_T2_T3_mT4_P12ihipStream_tbEUlT_E1_NS1_11comp_targetILNS1_3genE0ELNS1_11target_archE4294967295ELNS1_3gpuE0ELNS1_3repE0EEENS1_30default_config_static_selectorELNS0_4arch9wavefront6targetE1EEEvSF_,"axG",@progbits,_ZN7rocprim17ROCPRIM_400000_NS6detail17trampoline_kernelINS0_14default_configENS1_22reduce_config_selectorIjEEZNS1_11reduce_implILb1ES3_PjS7_jN6thrust23THRUST_200600_302600_NS4plusIjEEEE10hipError_tPvRmT1_T2_T3_mT4_P12ihipStream_tbEUlT_E1_NS1_11comp_targetILNS1_3genE0ELNS1_11target_archE4294967295ELNS1_3gpuE0ELNS1_3repE0EEENS1_30default_config_static_selectorELNS0_4arch9wavefront6targetE1EEEvSF_,comdat
.Lfunc_end122:
	.size	_ZN7rocprim17ROCPRIM_400000_NS6detail17trampoline_kernelINS0_14default_configENS1_22reduce_config_selectorIjEEZNS1_11reduce_implILb1ES3_PjS7_jN6thrust23THRUST_200600_302600_NS4plusIjEEEE10hipError_tPvRmT1_T2_T3_mT4_P12ihipStream_tbEUlT_E1_NS1_11comp_targetILNS1_3genE0ELNS1_11target_archE4294967295ELNS1_3gpuE0ELNS1_3repE0EEENS1_30default_config_static_selectorELNS0_4arch9wavefront6targetE1EEEvSF_, .Lfunc_end122-_ZN7rocprim17ROCPRIM_400000_NS6detail17trampoline_kernelINS0_14default_configENS1_22reduce_config_selectorIjEEZNS1_11reduce_implILb1ES3_PjS7_jN6thrust23THRUST_200600_302600_NS4plusIjEEEE10hipError_tPvRmT1_T2_T3_mT4_P12ihipStream_tbEUlT_E1_NS1_11comp_targetILNS1_3genE0ELNS1_11target_archE4294967295ELNS1_3gpuE0ELNS1_3repE0EEENS1_30default_config_static_selectorELNS0_4arch9wavefront6targetE1EEEvSF_
                                        ; -- End function
	.set _ZN7rocprim17ROCPRIM_400000_NS6detail17trampoline_kernelINS0_14default_configENS1_22reduce_config_selectorIjEEZNS1_11reduce_implILb1ES3_PjS7_jN6thrust23THRUST_200600_302600_NS4plusIjEEEE10hipError_tPvRmT1_T2_T3_mT4_P12ihipStream_tbEUlT_E1_NS1_11comp_targetILNS1_3genE0ELNS1_11target_archE4294967295ELNS1_3gpuE0ELNS1_3repE0EEENS1_30default_config_static_selectorELNS0_4arch9wavefront6targetE1EEEvSF_.num_vgpr, 36
	.set _ZN7rocprim17ROCPRIM_400000_NS6detail17trampoline_kernelINS0_14default_configENS1_22reduce_config_selectorIjEEZNS1_11reduce_implILb1ES3_PjS7_jN6thrust23THRUST_200600_302600_NS4plusIjEEEE10hipError_tPvRmT1_T2_T3_mT4_P12ihipStream_tbEUlT_E1_NS1_11comp_targetILNS1_3genE0ELNS1_11target_archE4294967295ELNS1_3gpuE0ELNS1_3repE0EEENS1_30default_config_static_selectorELNS0_4arch9wavefront6targetE1EEEvSF_.num_agpr, 0
	.set _ZN7rocprim17ROCPRIM_400000_NS6detail17trampoline_kernelINS0_14default_configENS1_22reduce_config_selectorIjEEZNS1_11reduce_implILb1ES3_PjS7_jN6thrust23THRUST_200600_302600_NS4plusIjEEEE10hipError_tPvRmT1_T2_T3_mT4_P12ihipStream_tbEUlT_E1_NS1_11comp_targetILNS1_3genE0ELNS1_11target_archE4294967295ELNS1_3gpuE0ELNS1_3repE0EEENS1_30default_config_static_selectorELNS0_4arch9wavefront6targetE1EEEvSF_.numbered_sgpr, 77
	.set _ZN7rocprim17ROCPRIM_400000_NS6detail17trampoline_kernelINS0_14default_configENS1_22reduce_config_selectorIjEEZNS1_11reduce_implILb1ES3_PjS7_jN6thrust23THRUST_200600_302600_NS4plusIjEEEE10hipError_tPvRmT1_T2_T3_mT4_P12ihipStream_tbEUlT_E1_NS1_11comp_targetILNS1_3genE0ELNS1_11target_archE4294967295ELNS1_3gpuE0ELNS1_3repE0EEENS1_30default_config_static_selectorELNS0_4arch9wavefront6targetE1EEEvSF_.num_named_barrier, 0
	.set _ZN7rocprim17ROCPRIM_400000_NS6detail17trampoline_kernelINS0_14default_configENS1_22reduce_config_selectorIjEEZNS1_11reduce_implILb1ES3_PjS7_jN6thrust23THRUST_200600_302600_NS4plusIjEEEE10hipError_tPvRmT1_T2_T3_mT4_P12ihipStream_tbEUlT_E1_NS1_11comp_targetILNS1_3genE0ELNS1_11target_archE4294967295ELNS1_3gpuE0ELNS1_3repE0EEENS1_30default_config_static_selectorELNS0_4arch9wavefront6targetE1EEEvSF_.private_seg_size, 0
	.set _ZN7rocprim17ROCPRIM_400000_NS6detail17trampoline_kernelINS0_14default_configENS1_22reduce_config_selectorIjEEZNS1_11reduce_implILb1ES3_PjS7_jN6thrust23THRUST_200600_302600_NS4plusIjEEEE10hipError_tPvRmT1_T2_T3_mT4_P12ihipStream_tbEUlT_E1_NS1_11comp_targetILNS1_3genE0ELNS1_11target_archE4294967295ELNS1_3gpuE0ELNS1_3repE0EEENS1_30default_config_static_selectorELNS0_4arch9wavefront6targetE1EEEvSF_.uses_vcc, 1
	.set _ZN7rocprim17ROCPRIM_400000_NS6detail17trampoline_kernelINS0_14default_configENS1_22reduce_config_selectorIjEEZNS1_11reduce_implILb1ES3_PjS7_jN6thrust23THRUST_200600_302600_NS4plusIjEEEE10hipError_tPvRmT1_T2_T3_mT4_P12ihipStream_tbEUlT_E1_NS1_11comp_targetILNS1_3genE0ELNS1_11target_archE4294967295ELNS1_3gpuE0ELNS1_3repE0EEENS1_30default_config_static_selectorELNS0_4arch9wavefront6targetE1EEEvSF_.uses_flat_scratch, 0
	.set _ZN7rocprim17ROCPRIM_400000_NS6detail17trampoline_kernelINS0_14default_configENS1_22reduce_config_selectorIjEEZNS1_11reduce_implILb1ES3_PjS7_jN6thrust23THRUST_200600_302600_NS4plusIjEEEE10hipError_tPvRmT1_T2_T3_mT4_P12ihipStream_tbEUlT_E1_NS1_11comp_targetILNS1_3genE0ELNS1_11target_archE4294967295ELNS1_3gpuE0ELNS1_3repE0EEENS1_30default_config_static_selectorELNS0_4arch9wavefront6targetE1EEEvSF_.has_dyn_sized_stack, 0
	.set _ZN7rocprim17ROCPRIM_400000_NS6detail17trampoline_kernelINS0_14default_configENS1_22reduce_config_selectorIjEEZNS1_11reduce_implILb1ES3_PjS7_jN6thrust23THRUST_200600_302600_NS4plusIjEEEE10hipError_tPvRmT1_T2_T3_mT4_P12ihipStream_tbEUlT_E1_NS1_11comp_targetILNS1_3genE0ELNS1_11target_archE4294967295ELNS1_3gpuE0ELNS1_3repE0EEENS1_30default_config_static_selectorELNS0_4arch9wavefront6targetE1EEEvSF_.has_recursion, 0
	.set _ZN7rocprim17ROCPRIM_400000_NS6detail17trampoline_kernelINS0_14default_configENS1_22reduce_config_selectorIjEEZNS1_11reduce_implILb1ES3_PjS7_jN6thrust23THRUST_200600_302600_NS4plusIjEEEE10hipError_tPvRmT1_T2_T3_mT4_P12ihipStream_tbEUlT_E1_NS1_11comp_targetILNS1_3genE0ELNS1_11target_archE4294967295ELNS1_3gpuE0ELNS1_3repE0EEENS1_30default_config_static_selectorELNS0_4arch9wavefront6targetE1EEEvSF_.has_indirect_call, 0
	.section	.AMDGPU.csdata,"",@progbits
; Kernel info:
; codeLenInByte = 9884
; TotalNumSgprs: 83
; NumVgprs: 36
; NumAgprs: 0
; TotalNumVgprs: 36
; ScratchSize: 0
; MemoryBound: 0
; FloatMode: 240
; IeeeMode: 1
; LDSByteSize: 112 bytes/workgroup (compile time only)
; SGPRBlocks: 10
; VGPRBlocks: 4
; NumSGPRsForWavesPerEU: 83
; NumVGPRsForWavesPerEU: 36
; AccumOffset: 36
; Occupancy: 8
; WaveLimiterHint : 1
; COMPUTE_PGM_RSRC2:SCRATCH_EN: 0
; COMPUTE_PGM_RSRC2:USER_SGPR: 2
; COMPUTE_PGM_RSRC2:TRAP_HANDLER: 0
; COMPUTE_PGM_RSRC2:TGID_X_EN: 1
; COMPUTE_PGM_RSRC2:TGID_Y_EN: 0
; COMPUTE_PGM_RSRC2:TGID_Z_EN: 0
; COMPUTE_PGM_RSRC2:TIDIG_COMP_CNT: 0
; COMPUTE_PGM_RSRC3_GFX90A:ACCUM_OFFSET: 8
; COMPUTE_PGM_RSRC3_GFX90A:TG_SPLIT: 0
	.section	.text._ZN7rocprim17ROCPRIM_400000_NS6detail17trampoline_kernelINS0_14default_configENS1_22reduce_config_selectorIjEEZNS1_11reduce_implILb1ES3_PjS7_jN6thrust23THRUST_200600_302600_NS4plusIjEEEE10hipError_tPvRmT1_T2_T3_mT4_P12ihipStream_tbEUlT_E1_NS1_11comp_targetILNS1_3genE5ELNS1_11target_archE942ELNS1_3gpuE9ELNS1_3repE0EEENS1_30default_config_static_selectorELNS0_4arch9wavefront6targetE1EEEvSF_,"axG",@progbits,_ZN7rocprim17ROCPRIM_400000_NS6detail17trampoline_kernelINS0_14default_configENS1_22reduce_config_selectorIjEEZNS1_11reduce_implILb1ES3_PjS7_jN6thrust23THRUST_200600_302600_NS4plusIjEEEE10hipError_tPvRmT1_T2_T3_mT4_P12ihipStream_tbEUlT_E1_NS1_11comp_targetILNS1_3genE5ELNS1_11target_archE942ELNS1_3gpuE9ELNS1_3repE0EEENS1_30default_config_static_selectorELNS0_4arch9wavefront6targetE1EEEvSF_,comdat
	.protected	_ZN7rocprim17ROCPRIM_400000_NS6detail17trampoline_kernelINS0_14default_configENS1_22reduce_config_selectorIjEEZNS1_11reduce_implILb1ES3_PjS7_jN6thrust23THRUST_200600_302600_NS4plusIjEEEE10hipError_tPvRmT1_T2_T3_mT4_P12ihipStream_tbEUlT_E1_NS1_11comp_targetILNS1_3genE5ELNS1_11target_archE942ELNS1_3gpuE9ELNS1_3repE0EEENS1_30default_config_static_selectorELNS0_4arch9wavefront6targetE1EEEvSF_ ; -- Begin function _ZN7rocprim17ROCPRIM_400000_NS6detail17trampoline_kernelINS0_14default_configENS1_22reduce_config_selectorIjEEZNS1_11reduce_implILb1ES3_PjS7_jN6thrust23THRUST_200600_302600_NS4plusIjEEEE10hipError_tPvRmT1_T2_T3_mT4_P12ihipStream_tbEUlT_E1_NS1_11comp_targetILNS1_3genE5ELNS1_11target_archE942ELNS1_3gpuE9ELNS1_3repE0EEENS1_30default_config_static_selectorELNS0_4arch9wavefront6targetE1EEEvSF_
	.globl	_ZN7rocprim17ROCPRIM_400000_NS6detail17trampoline_kernelINS0_14default_configENS1_22reduce_config_selectorIjEEZNS1_11reduce_implILb1ES3_PjS7_jN6thrust23THRUST_200600_302600_NS4plusIjEEEE10hipError_tPvRmT1_T2_T3_mT4_P12ihipStream_tbEUlT_E1_NS1_11comp_targetILNS1_3genE5ELNS1_11target_archE942ELNS1_3gpuE9ELNS1_3repE0EEENS1_30default_config_static_selectorELNS0_4arch9wavefront6targetE1EEEvSF_
	.p2align	8
	.type	_ZN7rocprim17ROCPRIM_400000_NS6detail17trampoline_kernelINS0_14default_configENS1_22reduce_config_selectorIjEEZNS1_11reduce_implILb1ES3_PjS7_jN6thrust23THRUST_200600_302600_NS4plusIjEEEE10hipError_tPvRmT1_T2_T3_mT4_P12ihipStream_tbEUlT_E1_NS1_11comp_targetILNS1_3genE5ELNS1_11target_archE942ELNS1_3gpuE9ELNS1_3repE0EEENS1_30default_config_static_selectorELNS0_4arch9wavefront6targetE1EEEvSF_,@function
_ZN7rocprim17ROCPRIM_400000_NS6detail17trampoline_kernelINS0_14default_configENS1_22reduce_config_selectorIjEEZNS1_11reduce_implILb1ES3_PjS7_jN6thrust23THRUST_200600_302600_NS4plusIjEEEE10hipError_tPvRmT1_T2_T3_mT4_P12ihipStream_tbEUlT_E1_NS1_11comp_targetILNS1_3genE5ELNS1_11target_archE942ELNS1_3gpuE9ELNS1_3repE0EEENS1_30default_config_static_selectorELNS0_4arch9wavefront6targetE1EEEvSF_: ; @_ZN7rocprim17ROCPRIM_400000_NS6detail17trampoline_kernelINS0_14default_configENS1_22reduce_config_selectorIjEEZNS1_11reduce_implILb1ES3_PjS7_jN6thrust23THRUST_200600_302600_NS4plusIjEEEE10hipError_tPvRmT1_T2_T3_mT4_P12ihipStream_tbEUlT_E1_NS1_11comp_targetILNS1_3genE5ELNS1_11target_archE942ELNS1_3gpuE9ELNS1_3repE0EEENS1_30default_config_static_selectorELNS0_4arch9wavefront6targetE1EEEvSF_
; %bb.0:
	.section	.rodata,"a",@progbits
	.p2align	6, 0x0
	.amdhsa_kernel _ZN7rocprim17ROCPRIM_400000_NS6detail17trampoline_kernelINS0_14default_configENS1_22reduce_config_selectorIjEEZNS1_11reduce_implILb1ES3_PjS7_jN6thrust23THRUST_200600_302600_NS4plusIjEEEE10hipError_tPvRmT1_T2_T3_mT4_P12ihipStream_tbEUlT_E1_NS1_11comp_targetILNS1_3genE5ELNS1_11target_archE942ELNS1_3gpuE9ELNS1_3repE0EEENS1_30default_config_static_selectorELNS0_4arch9wavefront6targetE1EEEvSF_
		.amdhsa_group_segment_fixed_size 0
		.amdhsa_private_segment_fixed_size 0
		.amdhsa_kernarg_size 40
		.amdhsa_user_sgpr_count 2
		.amdhsa_user_sgpr_dispatch_ptr 0
		.amdhsa_user_sgpr_queue_ptr 0
		.amdhsa_user_sgpr_kernarg_segment_ptr 1
		.amdhsa_user_sgpr_dispatch_id 0
		.amdhsa_user_sgpr_kernarg_preload_length 0
		.amdhsa_user_sgpr_kernarg_preload_offset 0
		.amdhsa_user_sgpr_private_segment_size 0
		.amdhsa_uses_dynamic_stack 0
		.amdhsa_enable_private_segment 0
		.amdhsa_system_sgpr_workgroup_id_x 1
		.amdhsa_system_sgpr_workgroup_id_y 0
		.amdhsa_system_sgpr_workgroup_id_z 0
		.amdhsa_system_sgpr_workgroup_info 0
		.amdhsa_system_vgpr_workitem_id 0
		.amdhsa_next_free_vgpr 1
		.amdhsa_next_free_sgpr 0
		.amdhsa_accum_offset 4
		.amdhsa_reserve_vcc 0
		.amdhsa_float_round_mode_32 0
		.amdhsa_float_round_mode_16_64 0
		.amdhsa_float_denorm_mode_32 3
		.amdhsa_float_denorm_mode_16_64 3
		.amdhsa_dx10_clamp 1
		.amdhsa_ieee_mode 1
		.amdhsa_fp16_overflow 0
		.amdhsa_tg_split 0
		.amdhsa_exception_fp_ieee_invalid_op 0
		.amdhsa_exception_fp_denorm_src 0
		.amdhsa_exception_fp_ieee_div_zero 0
		.amdhsa_exception_fp_ieee_overflow 0
		.amdhsa_exception_fp_ieee_underflow 0
		.amdhsa_exception_fp_ieee_inexact 0
		.amdhsa_exception_int_div_zero 0
	.end_amdhsa_kernel
	.section	.text._ZN7rocprim17ROCPRIM_400000_NS6detail17trampoline_kernelINS0_14default_configENS1_22reduce_config_selectorIjEEZNS1_11reduce_implILb1ES3_PjS7_jN6thrust23THRUST_200600_302600_NS4plusIjEEEE10hipError_tPvRmT1_T2_T3_mT4_P12ihipStream_tbEUlT_E1_NS1_11comp_targetILNS1_3genE5ELNS1_11target_archE942ELNS1_3gpuE9ELNS1_3repE0EEENS1_30default_config_static_selectorELNS0_4arch9wavefront6targetE1EEEvSF_,"axG",@progbits,_ZN7rocprim17ROCPRIM_400000_NS6detail17trampoline_kernelINS0_14default_configENS1_22reduce_config_selectorIjEEZNS1_11reduce_implILb1ES3_PjS7_jN6thrust23THRUST_200600_302600_NS4plusIjEEEE10hipError_tPvRmT1_T2_T3_mT4_P12ihipStream_tbEUlT_E1_NS1_11comp_targetILNS1_3genE5ELNS1_11target_archE942ELNS1_3gpuE9ELNS1_3repE0EEENS1_30default_config_static_selectorELNS0_4arch9wavefront6targetE1EEEvSF_,comdat
.Lfunc_end123:
	.size	_ZN7rocprim17ROCPRIM_400000_NS6detail17trampoline_kernelINS0_14default_configENS1_22reduce_config_selectorIjEEZNS1_11reduce_implILb1ES3_PjS7_jN6thrust23THRUST_200600_302600_NS4plusIjEEEE10hipError_tPvRmT1_T2_T3_mT4_P12ihipStream_tbEUlT_E1_NS1_11comp_targetILNS1_3genE5ELNS1_11target_archE942ELNS1_3gpuE9ELNS1_3repE0EEENS1_30default_config_static_selectorELNS0_4arch9wavefront6targetE1EEEvSF_, .Lfunc_end123-_ZN7rocprim17ROCPRIM_400000_NS6detail17trampoline_kernelINS0_14default_configENS1_22reduce_config_selectorIjEEZNS1_11reduce_implILb1ES3_PjS7_jN6thrust23THRUST_200600_302600_NS4plusIjEEEE10hipError_tPvRmT1_T2_T3_mT4_P12ihipStream_tbEUlT_E1_NS1_11comp_targetILNS1_3genE5ELNS1_11target_archE942ELNS1_3gpuE9ELNS1_3repE0EEENS1_30default_config_static_selectorELNS0_4arch9wavefront6targetE1EEEvSF_
                                        ; -- End function
	.set _ZN7rocprim17ROCPRIM_400000_NS6detail17trampoline_kernelINS0_14default_configENS1_22reduce_config_selectorIjEEZNS1_11reduce_implILb1ES3_PjS7_jN6thrust23THRUST_200600_302600_NS4plusIjEEEE10hipError_tPvRmT1_T2_T3_mT4_P12ihipStream_tbEUlT_E1_NS1_11comp_targetILNS1_3genE5ELNS1_11target_archE942ELNS1_3gpuE9ELNS1_3repE0EEENS1_30default_config_static_selectorELNS0_4arch9wavefront6targetE1EEEvSF_.num_vgpr, 0
	.set _ZN7rocprim17ROCPRIM_400000_NS6detail17trampoline_kernelINS0_14default_configENS1_22reduce_config_selectorIjEEZNS1_11reduce_implILb1ES3_PjS7_jN6thrust23THRUST_200600_302600_NS4plusIjEEEE10hipError_tPvRmT1_T2_T3_mT4_P12ihipStream_tbEUlT_E1_NS1_11comp_targetILNS1_3genE5ELNS1_11target_archE942ELNS1_3gpuE9ELNS1_3repE0EEENS1_30default_config_static_selectorELNS0_4arch9wavefront6targetE1EEEvSF_.num_agpr, 0
	.set _ZN7rocprim17ROCPRIM_400000_NS6detail17trampoline_kernelINS0_14default_configENS1_22reduce_config_selectorIjEEZNS1_11reduce_implILb1ES3_PjS7_jN6thrust23THRUST_200600_302600_NS4plusIjEEEE10hipError_tPvRmT1_T2_T3_mT4_P12ihipStream_tbEUlT_E1_NS1_11comp_targetILNS1_3genE5ELNS1_11target_archE942ELNS1_3gpuE9ELNS1_3repE0EEENS1_30default_config_static_selectorELNS0_4arch9wavefront6targetE1EEEvSF_.numbered_sgpr, 0
	.set _ZN7rocprim17ROCPRIM_400000_NS6detail17trampoline_kernelINS0_14default_configENS1_22reduce_config_selectorIjEEZNS1_11reduce_implILb1ES3_PjS7_jN6thrust23THRUST_200600_302600_NS4plusIjEEEE10hipError_tPvRmT1_T2_T3_mT4_P12ihipStream_tbEUlT_E1_NS1_11comp_targetILNS1_3genE5ELNS1_11target_archE942ELNS1_3gpuE9ELNS1_3repE0EEENS1_30default_config_static_selectorELNS0_4arch9wavefront6targetE1EEEvSF_.num_named_barrier, 0
	.set _ZN7rocprim17ROCPRIM_400000_NS6detail17trampoline_kernelINS0_14default_configENS1_22reduce_config_selectorIjEEZNS1_11reduce_implILb1ES3_PjS7_jN6thrust23THRUST_200600_302600_NS4plusIjEEEE10hipError_tPvRmT1_T2_T3_mT4_P12ihipStream_tbEUlT_E1_NS1_11comp_targetILNS1_3genE5ELNS1_11target_archE942ELNS1_3gpuE9ELNS1_3repE0EEENS1_30default_config_static_selectorELNS0_4arch9wavefront6targetE1EEEvSF_.private_seg_size, 0
	.set _ZN7rocprim17ROCPRIM_400000_NS6detail17trampoline_kernelINS0_14default_configENS1_22reduce_config_selectorIjEEZNS1_11reduce_implILb1ES3_PjS7_jN6thrust23THRUST_200600_302600_NS4plusIjEEEE10hipError_tPvRmT1_T2_T3_mT4_P12ihipStream_tbEUlT_E1_NS1_11comp_targetILNS1_3genE5ELNS1_11target_archE942ELNS1_3gpuE9ELNS1_3repE0EEENS1_30default_config_static_selectorELNS0_4arch9wavefront6targetE1EEEvSF_.uses_vcc, 0
	.set _ZN7rocprim17ROCPRIM_400000_NS6detail17trampoline_kernelINS0_14default_configENS1_22reduce_config_selectorIjEEZNS1_11reduce_implILb1ES3_PjS7_jN6thrust23THRUST_200600_302600_NS4plusIjEEEE10hipError_tPvRmT1_T2_T3_mT4_P12ihipStream_tbEUlT_E1_NS1_11comp_targetILNS1_3genE5ELNS1_11target_archE942ELNS1_3gpuE9ELNS1_3repE0EEENS1_30default_config_static_selectorELNS0_4arch9wavefront6targetE1EEEvSF_.uses_flat_scratch, 0
	.set _ZN7rocprim17ROCPRIM_400000_NS6detail17trampoline_kernelINS0_14default_configENS1_22reduce_config_selectorIjEEZNS1_11reduce_implILb1ES3_PjS7_jN6thrust23THRUST_200600_302600_NS4plusIjEEEE10hipError_tPvRmT1_T2_T3_mT4_P12ihipStream_tbEUlT_E1_NS1_11comp_targetILNS1_3genE5ELNS1_11target_archE942ELNS1_3gpuE9ELNS1_3repE0EEENS1_30default_config_static_selectorELNS0_4arch9wavefront6targetE1EEEvSF_.has_dyn_sized_stack, 0
	.set _ZN7rocprim17ROCPRIM_400000_NS6detail17trampoline_kernelINS0_14default_configENS1_22reduce_config_selectorIjEEZNS1_11reduce_implILb1ES3_PjS7_jN6thrust23THRUST_200600_302600_NS4plusIjEEEE10hipError_tPvRmT1_T2_T3_mT4_P12ihipStream_tbEUlT_E1_NS1_11comp_targetILNS1_3genE5ELNS1_11target_archE942ELNS1_3gpuE9ELNS1_3repE0EEENS1_30default_config_static_selectorELNS0_4arch9wavefront6targetE1EEEvSF_.has_recursion, 0
	.set _ZN7rocprim17ROCPRIM_400000_NS6detail17trampoline_kernelINS0_14default_configENS1_22reduce_config_selectorIjEEZNS1_11reduce_implILb1ES3_PjS7_jN6thrust23THRUST_200600_302600_NS4plusIjEEEE10hipError_tPvRmT1_T2_T3_mT4_P12ihipStream_tbEUlT_E1_NS1_11comp_targetILNS1_3genE5ELNS1_11target_archE942ELNS1_3gpuE9ELNS1_3repE0EEENS1_30default_config_static_selectorELNS0_4arch9wavefront6targetE1EEEvSF_.has_indirect_call, 0
	.section	.AMDGPU.csdata,"",@progbits
; Kernel info:
; codeLenInByte = 0
; TotalNumSgprs: 6
; NumVgprs: 0
; NumAgprs: 0
; TotalNumVgprs: 0
; ScratchSize: 0
; MemoryBound: 0
; FloatMode: 240
; IeeeMode: 1
; LDSByteSize: 0 bytes/workgroup (compile time only)
; SGPRBlocks: 0
; VGPRBlocks: 0
; NumSGPRsForWavesPerEU: 6
; NumVGPRsForWavesPerEU: 1
; AccumOffset: 4
; Occupancy: 8
; WaveLimiterHint : 0
; COMPUTE_PGM_RSRC2:SCRATCH_EN: 0
; COMPUTE_PGM_RSRC2:USER_SGPR: 2
; COMPUTE_PGM_RSRC2:TRAP_HANDLER: 0
; COMPUTE_PGM_RSRC2:TGID_X_EN: 1
; COMPUTE_PGM_RSRC2:TGID_Y_EN: 0
; COMPUTE_PGM_RSRC2:TGID_Z_EN: 0
; COMPUTE_PGM_RSRC2:TIDIG_COMP_CNT: 0
; COMPUTE_PGM_RSRC3_GFX90A:ACCUM_OFFSET: 0
; COMPUTE_PGM_RSRC3_GFX90A:TG_SPLIT: 0
	.section	.text._ZN7rocprim17ROCPRIM_400000_NS6detail17trampoline_kernelINS0_14default_configENS1_22reduce_config_selectorIjEEZNS1_11reduce_implILb1ES3_PjS7_jN6thrust23THRUST_200600_302600_NS4plusIjEEEE10hipError_tPvRmT1_T2_T3_mT4_P12ihipStream_tbEUlT_E1_NS1_11comp_targetILNS1_3genE4ELNS1_11target_archE910ELNS1_3gpuE8ELNS1_3repE0EEENS1_30default_config_static_selectorELNS0_4arch9wavefront6targetE1EEEvSF_,"axG",@progbits,_ZN7rocprim17ROCPRIM_400000_NS6detail17trampoline_kernelINS0_14default_configENS1_22reduce_config_selectorIjEEZNS1_11reduce_implILb1ES3_PjS7_jN6thrust23THRUST_200600_302600_NS4plusIjEEEE10hipError_tPvRmT1_T2_T3_mT4_P12ihipStream_tbEUlT_E1_NS1_11comp_targetILNS1_3genE4ELNS1_11target_archE910ELNS1_3gpuE8ELNS1_3repE0EEENS1_30default_config_static_selectorELNS0_4arch9wavefront6targetE1EEEvSF_,comdat
	.protected	_ZN7rocprim17ROCPRIM_400000_NS6detail17trampoline_kernelINS0_14default_configENS1_22reduce_config_selectorIjEEZNS1_11reduce_implILb1ES3_PjS7_jN6thrust23THRUST_200600_302600_NS4plusIjEEEE10hipError_tPvRmT1_T2_T3_mT4_P12ihipStream_tbEUlT_E1_NS1_11comp_targetILNS1_3genE4ELNS1_11target_archE910ELNS1_3gpuE8ELNS1_3repE0EEENS1_30default_config_static_selectorELNS0_4arch9wavefront6targetE1EEEvSF_ ; -- Begin function _ZN7rocprim17ROCPRIM_400000_NS6detail17trampoline_kernelINS0_14default_configENS1_22reduce_config_selectorIjEEZNS1_11reduce_implILb1ES3_PjS7_jN6thrust23THRUST_200600_302600_NS4plusIjEEEE10hipError_tPvRmT1_T2_T3_mT4_P12ihipStream_tbEUlT_E1_NS1_11comp_targetILNS1_3genE4ELNS1_11target_archE910ELNS1_3gpuE8ELNS1_3repE0EEENS1_30default_config_static_selectorELNS0_4arch9wavefront6targetE1EEEvSF_
	.globl	_ZN7rocprim17ROCPRIM_400000_NS6detail17trampoline_kernelINS0_14default_configENS1_22reduce_config_selectorIjEEZNS1_11reduce_implILb1ES3_PjS7_jN6thrust23THRUST_200600_302600_NS4plusIjEEEE10hipError_tPvRmT1_T2_T3_mT4_P12ihipStream_tbEUlT_E1_NS1_11comp_targetILNS1_3genE4ELNS1_11target_archE910ELNS1_3gpuE8ELNS1_3repE0EEENS1_30default_config_static_selectorELNS0_4arch9wavefront6targetE1EEEvSF_
	.p2align	8
	.type	_ZN7rocprim17ROCPRIM_400000_NS6detail17trampoline_kernelINS0_14default_configENS1_22reduce_config_selectorIjEEZNS1_11reduce_implILb1ES3_PjS7_jN6thrust23THRUST_200600_302600_NS4plusIjEEEE10hipError_tPvRmT1_T2_T3_mT4_P12ihipStream_tbEUlT_E1_NS1_11comp_targetILNS1_3genE4ELNS1_11target_archE910ELNS1_3gpuE8ELNS1_3repE0EEENS1_30default_config_static_selectorELNS0_4arch9wavefront6targetE1EEEvSF_,@function
_ZN7rocprim17ROCPRIM_400000_NS6detail17trampoline_kernelINS0_14default_configENS1_22reduce_config_selectorIjEEZNS1_11reduce_implILb1ES3_PjS7_jN6thrust23THRUST_200600_302600_NS4plusIjEEEE10hipError_tPvRmT1_T2_T3_mT4_P12ihipStream_tbEUlT_E1_NS1_11comp_targetILNS1_3genE4ELNS1_11target_archE910ELNS1_3gpuE8ELNS1_3repE0EEENS1_30default_config_static_selectorELNS0_4arch9wavefront6targetE1EEEvSF_: ; @_ZN7rocprim17ROCPRIM_400000_NS6detail17trampoline_kernelINS0_14default_configENS1_22reduce_config_selectorIjEEZNS1_11reduce_implILb1ES3_PjS7_jN6thrust23THRUST_200600_302600_NS4plusIjEEEE10hipError_tPvRmT1_T2_T3_mT4_P12ihipStream_tbEUlT_E1_NS1_11comp_targetILNS1_3genE4ELNS1_11target_archE910ELNS1_3gpuE8ELNS1_3repE0EEENS1_30default_config_static_selectorELNS0_4arch9wavefront6targetE1EEEvSF_
; %bb.0:
	.section	.rodata,"a",@progbits
	.p2align	6, 0x0
	.amdhsa_kernel _ZN7rocprim17ROCPRIM_400000_NS6detail17trampoline_kernelINS0_14default_configENS1_22reduce_config_selectorIjEEZNS1_11reduce_implILb1ES3_PjS7_jN6thrust23THRUST_200600_302600_NS4plusIjEEEE10hipError_tPvRmT1_T2_T3_mT4_P12ihipStream_tbEUlT_E1_NS1_11comp_targetILNS1_3genE4ELNS1_11target_archE910ELNS1_3gpuE8ELNS1_3repE0EEENS1_30default_config_static_selectorELNS0_4arch9wavefront6targetE1EEEvSF_
		.amdhsa_group_segment_fixed_size 0
		.amdhsa_private_segment_fixed_size 0
		.amdhsa_kernarg_size 40
		.amdhsa_user_sgpr_count 2
		.amdhsa_user_sgpr_dispatch_ptr 0
		.amdhsa_user_sgpr_queue_ptr 0
		.amdhsa_user_sgpr_kernarg_segment_ptr 1
		.amdhsa_user_sgpr_dispatch_id 0
		.amdhsa_user_sgpr_kernarg_preload_length 0
		.amdhsa_user_sgpr_kernarg_preload_offset 0
		.amdhsa_user_sgpr_private_segment_size 0
		.amdhsa_uses_dynamic_stack 0
		.amdhsa_enable_private_segment 0
		.amdhsa_system_sgpr_workgroup_id_x 1
		.amdhsa_system_sgpr_workgroup_id_y 0
		.amdhsa_system_sgpr_workgroup_id_z 0
		.amdhsa_system_sgpr_workgroup_info 0
		.amdhsa_system_vgpr_workitem_id 0
		.amdhsa_next_free_vgpr 1
		.amdhsa_next_free_sgpr 0
		.amdhsa_accum_offset 4
		.amdhsa_reserve_vcc 0
		.amdhsa_float_round_mode_32 0
		.amdhsa_float_round_mode_16_64 0
		.amdhsa_float_denorm_mode_32 3
		.amdhsa_float_denorm_mode_16_64 3
		.amdhsa_dx10_clamp 1
		.amdhsa_ieee_mode 1
		.amdhsa_fp16_overflow 0
		.amdhsa_tg_split 0
		.amdhsa_exception_fp_ieee_invalid_op 0
		.amdhsa_exception_fp_denorm_src 0
		.amdhsa_exception_fp_ieee_div_zero 0
		.amdhsa_exception_fp_ieee_overflow 0
		.amdhsa_exception_fp_ieee_underflow 0
		.amdhsa_exception_fp_ieee_inexact 0
		.amdhsa_exception_int_div_zero 0
	.end_amdhsa_kernel
	.section	.text._ZN7rocprim17ROCPRIM_400000_NS6detail17trampoline_kernelINS0_14default_configENS1_22reduce_config_selectorIjEEZNS1_11reduce_implILb1ES3_PjS7_jN6thrust23THRUST_200600_302600_NS4plusIjEEEE10hipError_tPvRmT1_T2_T3_mT4_P12ihipStream_tbEUlT_E1_NS1_11comp_targetILNS1_3genE4ELNS1_11target_archE910ELNS1_3gpuE8ELNS1_3repE0EEENS1_30default_config_static_selectorELNS0_4arch9wavefront6targetE1EEEvSF_,"axG",@progbits,_ZN7rocprim17ROCPRIM_400000_NS6detail17trampoline_kernelINS0_14default_configENS1_22reduce_config_selectorIjEEZNS1_11reduce_implILb1ES3_PjS7_jN6thrust23THRUST_200600_302600_NS4plusIjEEEE10hipError_tPvRmT1_T2_T3_mT4_P12ihipStream_tbEUlT_E1_NS1_11comp_targetILNS1_3genE4ELNS1_11target_archE910ELNS1_3gpuE8ELNS1_3repE0EEENS1_30default_config_static_selectorELNS0_4arch9wavefront6targetE1EEEvSF_,comdat
.Lfunc_end124:
	.size	_ZN7rocprim17ROCPRIM_400000_NS6detail17trampoline_kernelINS0_14default_configENS1_22reduce_config_selectorIjEEZNS1_11reduce_implILb1ES3_PjS7_jN6thrust23THRUST_200600_302600_NS4plusIjEEEE10hipError_tPvRmT1_T2_T3_mT4_P12ihipStream_tbEUlT_E1_NS1_11comp_targetILNS1_3genE4ELNS1_11target_archE910ELNS1_3gpuE8ELNS1_3repE0EEENS1_30default_config_static_selectorELNS0_4arch9wavefront6targetE1EEEvSF_, .Lfunc_end124-_ZN7rocprim17ROCPRIM_400000_NS6detail17trampoline_kernelINS0_14default_configENS1_22reduce_config_selectorIjEEZNS1_11reduce_implILb1ES3_PjS7_jN6thrust23THRUST_200600_302600_NS4plusIjEEEE10hipError_tPvRmT1_T2_T3_mT4_P12ihipStream_tbEUlT_E1_NS1_11comp_targetILNS1_3genE4ELNS1_11target_archE910ELNS1_3gpuE8ELNS1_3repE0EEENS1_30default_config_static_selectorELNS0_4arch9wavefront6targetE1EEEvSF_
                                        ; -- End function
	.set _ZN7rocprim17ROCPRIM_400000_NS6detail17trampoline_kernelINS0_14default_configENS1_22reduce_config_selectorIjEEZNS1_11reduce_implILb1ES3_PjS7_jN6thrust23THRUST_200600_302600_NS4plusIjEEEE10hipError_tPvRmT1_T2_T3_mT4_P12ihipStream_tbEUlT_E1_NS1_11comp_targetILNS1_3genE4ELNS1_11target_archE910ELNS1_3gpuE8ELNS1_3repE0EEENS1_30default_config_static_selectorELNS0_4arch9wavefront6targetE1EEEvSF_.num_vgpr, 0
	.set _ZN7rocprim17ROCPRIM_400000_NS6detail17trampoline_kernelINS0_14default_configENS1_22reduce_config_selectorIjEEZNS1_11reduce_implILb1ES3_PjS7_jN6thrust23THRUST_200600_302600_NS4plusIjEEEE10hipError_tPvRmT1_T2_T3_mT4_P12ihipStream_tbEUlT_E1_NS1_11comp_targetILNS1_3genE4ELNS1_11target_archE910ELNS1_3gpuE8ELNS1_3repE0EEENS1_30default_config_static_selectorELNS0_4arch9wavefront6targetE1EEEvSF_.num_agpr, 0
	.set _ZN7rocprim17ROCPRIM_400000_NS6detail17trampoline_kernelINS0_14default_configENS1_22reduce_config_selectorIjEEZNS1_11reduce_implILb1ES3_PjS7_jN6thrust23THRUST_200600_302600_NS4plusIjEEEE10hipError_tPvRmT1_T2_T3_mT4_P12ihipStream_tbEUlT_E1_NS1_11comp_targetILNS1_3genE4ELNS1_11target_archE910ELNS1_3gpuE8ELNS1_3repE0EEENS1_30default_config_static_selectorELNS0_4arch9wavefront6targetE1EEEvSF_.numbered_sgpr, 0
	.set _ZN7rocprim17ROCPRIM_400000_NS6detail17trampoline_kernelINS0_14default_configENS1_22reduce_config_selectorIjEEZNS1_11reduce_implILb1ES3_PjS7_jN6thrust23THRUST_200600_302600_NS4plusIjEEEE10hipError_tPvRmT1_T2_T3_mT4_P12ihipStream_tbEUlT_E1_NS1_11comp_targetILNS1_3genE4ELNS1_11target_archE910ELNS1_3gpuE8ELNS1_3repE0EEENS1_30default_config_static_selectorELNS0_4arch9wavefront6targetE1EEEvSF_.num_named_barrier, 0
	.set _ZN7rocprim17ROCPRIM_400000_NS6detail17trampoline_kernelINS0_14default_configENS1_22reduce_config_selectorIjEEZNS1_11reduce_implILb1ES3_PjS7_jN6thrust23THRUST_200600_302600_NS4plusIjEEEE10hipError_tPvRmT1_T2_T3_mT4_P12ihipStream_tbEUlT_E1_NS1_11comp_targetILNS1_3genE4ELNS1_11target_archE910ELNS1_3gpuE8ELNS1_3repE0EEENS1_30default_config_static_selectorELNS0_4arch9wavefront6targetE1EEEvSF_.private_seg_size, 0
	.set _ZN7rocprim17ROCPRIM_400000_NS6detail17trampoline_kernelINS0_14default_configENS1_22reduce_config_selectorIjEEZNS1_11reduce_implILb1ES3_PjS7_jN6thrust23THRUST_200600_302600_NS4plusIjEEEE10hipError_tPvRmT1_T2_T3_mT4_P12ihipStream_tbEUlT_E1_NS1_11comp_targetILNS1_3genE4ELNS1_11target_archE910ELNS1_3gpuE8ELNS1_3repE0EEENS1_30default_config_static_selectorELNS0_4arch9wavefront6targetE1EEEvSF_.uses_vcc, 0
	.set _ZN7rocprim17ROCPRIM_400000_NS6detail17trampoline_kernelINS0_14default_configENS1_22reduce_config_selectorIjEEZNS1_11reduce_implILb1ES3_PjS7_jN6thrust23THRUST_200600_302600_NS4plusIjEEEE10hipError_tPvRmT1_T2_T3_mT4_P12ihipStream_tbEUlT_E1_NS1_11comp_targetILNS1_3genE4ELNS1_11target_archE910ELNS1_3gpuE8ELNS1_3repE0EEENS1_30default_config_static_selectorELNS0_4arch9wavefront6targetE1EEEvSF_.uses_flat_scratch, 0
	.set _ZN7rocprim17ROCPRIM_400000_NS6detail17trampoline_kernelINS0_14default_configENS1_22reduce_config_selectorIjEEZNS1_11reduce_implILb1ES3_PjS7_jN6thrust23THRUST_200600_302600_NS4plusIjEEEE10hipError_tPvRmT1_T2_T3_mT4_P12ihipStream_tbEUlT_E1_NS1_11comp_targetILNS1_3genE4ELNS1_11target_archE910ELNS1_3gpuE8ELNS1_3repE0EEENS1_30default_config_static_selectorELNS0_4arch9wavefront6targetE1EEEvSF_.has_dyn_sized_stack, 0
	.set _ZN7rocprim17ROCPRIM_400000_NS6detail17trampoline_kernelINS0_14default_configENS1_22reduce_config_selectorIjEEZNS1_11reduce_implILb1ES3_PjS7_jN6thrust23THRUST_200600_302600_NS4plusIjEEEE10hipError_tPvRmT1_T2_T3_mT4_P12ihipStream_tbEUlT_E1_NS1_11comp_targetILNS1_3genE4ELNS1_11target_archE910ELNS1_3gpuE8ELNS1_3repE0EEENS1_30default_config_static_selectorELNS0_4arch9wavefront6targetE1EEEvSF_.has_recursion, 0
	.set _ZN7rocprim17ROCPRIM_400000_NS6detail17trampoline_kernelINS0_14default_configENS1_22reduce_config_selectorIjEEZNS1_11reduce_implILb1ES3_PjS7_jN6thrust23THRUST_200600_302600_NS4plusIjEEEE10hipError_tPvRmT1_T2_T3_mT4_P12ihipStream_tbEUlT_E1_NS1_11comp_targetILNS1_3genE4ELNS1_11target_archE910ELNS1_3gpuE8ELNS1_3repE0EEENS1_30default_config_static_selectorELNS0_4arch9wavefront6targetE1EEEvSF_.has_indirect_call, 0
	.section	.AMDGPU.csdata,"",@progbits
; Kernel info:
; codeLenInByte = 0
; TotalNumSgprs: 6
; NumVgprs: 0
; NumAgprs: 0
; TotalNumVgprs: 0
; ScratchSize: 0
; MemoryBound: 0
; FloatMode: 240
; IeeeMode: 1
; LDSByteSize: 0 bytes/workgroup (compile time only)
; SGPRBlocks: 0
; VGPRBlocks: 0
; NumSGPRsForWavesPerEU: 6
; NumVGPRsForWavesPerEU: 1
; AccumOffset: 4
; Occupancy: 8
; WaveLimiterHint : 0
; COMPUTE_PGM_RSRC2:SCRATCH_EN: 0
; COMPUTE_PGM_RSRC2:USER_SGPR: 2
; COMPUTE_PGM_RSRC2:TRAP_HANDLER: 0
; COMPUTE_PGM_RSRC2:TGID_X_EN: 1
; COMPUTE_PGM_RSRC2:TGID_Y_EN: 0
; COMPUTE_PGM_RSRC2:TGID_Z_EN: 0
; COMPUTE_PGM_RSRC2:TIDIG_COMP_CNT: 0
; COMPUTE_PGM_RSRC3_GFX90A:ACCUM_OFFSET: 0
; COMPUTE_PGM_RSRC3_GFX90A:TG_SPLIT: 0
	.section	.text._ZN7rocprim17ROCPRIM_400000_NS6detail17trampoline_kernelINS0_14default_configENS1_22reduce_config_selectorIjEEZNS1_11reduce_implILb1ES3_PjS7_jN6thrust23THRUST_200600_302600_NS4plusIjEEEE10hipError_tPvRmT1_T2_T3_mT4_P12ihipStream_tbEUlT_E1_NS1_11comp_targetILNS1_3genE3ELNS1_11target_archE908ELNS1_3gpuE7ELNS1_3repE0EEENS1_30default_config_static_selectorELNS0_4arch9wavefront6targetE1EEEvSF_,"axG",@progbits,_ZN7rocprim17ROCPRIM_400000_NS6detail17trampoline_kernelINS0_14default_configENS1_22reduce_config_selectorIjEEZNS1_11reduce_implILb1ES3_PjS7_jN6thrust23THRUST_200600_302600_NS4plusIjEEEE10hipError_tPvRmT1_T2_T3_mT4_P12ihipStream_tbEUlT_E1_NS1_11comp_targetILNS1_3genE3ELNS1_11target_archE908ELNS1_3gpuE7ELNS1_3repE0EEENS1_30default_config_static_selectorELNS0_4arch9wavefront6targetE1EEEvSF_,comdat
	.protected	_ZN7rocprim17ROCPRIM_400000_NS6detail17trampoline_kernelINS0_14default_configENS1_22reduce_config_selectorIjEEZNS1_11reduce_implILb1ES3_PjS7_jN6thrust23THRUST_200600_302600_NS4plusIjEEEE10hipError_tPvRmT1_T2_T3_mT4_P12ihipStream_tbEUlT_E1_NS1_11comp_targetILNS1_3genE3ELNS1_11target_archE908ELNS1_3gpuE7ELNS1_3repE0EEENS1_30default_config_static_selectorELNS0_4arch9wavefront6targetE1EEEvSF_ ; -- Begin function _ZN7rocprim17ROCPRIM_400000_NS6detail17trampoline_kernelINS0_14default_configENS1_22reduce_config_selectorIjEEZNS1_11reduce_implILb1ES3_PjS7_jN6thrust23THRUST_200600_302600_NS4plusIjEEEE10hipError_tPvRmT1_T2_T3_mT4_P12ihipStream_tbEUlT_E1_NS1_11comp_targetILNS1_3genE3ELNS1_11target_archE908ELNS1_3gpuE7ELNS1_3repE0EEENS1_30default_config_static_selectorELNS0_4arch9wavefront6targetE1EEEvSF_
	.globl	_ZN7rocprim17ROCPRIM_400000_NS6detail17trampoline_kernelINS0_14default_configENS1_22reduce_config_selectorIjEEZNS1_11reduce_implILb1ES3_PjS7_jN6thrust23THRUST_200600_302600_NS4plusIjEEEE10hipError_tPvRmT1_T2_T3_mT4_P12ihipStream_tbEUlT_E1_NS1_11comp_targetILNS1_3genE3ELNS1_11target_archE908ELNS1_3gpuE7ELNS1_3repE0EEENS1_30default_config_static_selectorELNS0_4arch9wavefront6targetE1EEEvSF_
	.p2align	8
	.type	_ZN7rocprim17ROCPRIM_400000_NS6detail17trampoline_kernelINS0_14default_configENS1_22reduce_config_selectorIjEEZNS1_11reduce_implILb1ES3_PjS7_jN6thrust23THRUST_200600_302600_NS4plusIjEEEE10hipError_tPvRmT1_T2_T3_mT4_P12ihipStream_tbEUlT_E1_NS1_11comp_targetILNS1_3genE3ELNS1_11target_archE908ELNS1_3gpuE7ELNS1_3repE0EEENS1_30default_config_static_selectorELNS0_4arch9wavefront6targetE1EEEvSF_,@function
_ZN7rocprim17ROCPRIM_400000_NS6detail17trampoline_kernelINS0_14default_configENS1_22reduce_config_selectorIjEEZNS1_11reduce_implILb1ES3_PjS7_jN6thrust23THRUST_200600_302600_NS4plusIjEEEE10hipError_tPvRmT1_T2_T3_mT4_P12ihipStream_tbEUlT_E1_NS1_11comp_targetILNS1_3genE3ELNS1_11target_archE908ELNS1_3gpuE7ELNS1_3repE0EEENS1_30default_config_static_selectorELNS0_4arch9wavefront6targetE1EEEvSF_: ; @_ZN7rocprim17ROCPRIM_400000_NS6detail17trampoline_kernelINS0_14default_configENS1_22reduce_config_selectorIjEEZNS1_11reduce_implILb1ES3_PjS7_jN6thrust23THRUST_200600_302600_NS4plusIjEEEE10hipError_tPvRmT1_T2_T3_mT4_P12ihipStream_tbEUlT_E1_NS1_11comp_targetILNS1_3genE3ELNS1_11target_archE908ELNS1_3gpuE7ELNS1_3repE0EEENS1_30default_config_static_selectorELNS0_4arch9wavefront6targetE1EEEvSF_
; %bb.0:
	.section	.rodata,"a",@progbits
	.p2align	6, 0x0
	.amdhsa_kernel _ZN7rocprim17ROCPRIM_400000_NS6detail17trampoline_kernelINS0_14default_configENS1_22reduce_config_selectorIjEEZNS1_11reduce_implILb1ES3_PjS7_jN6thrust23THRUST_200600_302600_NS4plusIjEEEE10hipError_tPvRmT1_T2_T3_mT4_P12ihipStream_tbEUlT_E1_NS1_11comp_targetILNS1_3genE3ELNS1_11target_archE908ELNS1_3gpuE7ELNS1_3repE0EEENS1_30default_config_static_selectorELNS0_4arch9wavefront6targetE1EEEvSF_
		.amdhsa_group_segment_fixed_size 0
		.amdhsa_private_segment_fixed_size 0
		.amdhsa_kernarg_size 40
		.amdhsa_user_sgpr_count 2
		.amdhsa_user_sgpr_dispatch_ptr 0
		.amdhsa_user_sgpr_queue_ptr 0
		.amdhsa_user_sgpr_kernarg_segment_ptr 1
		.amdhsa_user_sgpr_dispatch_id 0
		.amdhsa_user_sgpr_kernarg_preload_length 0
		.amdhsa_user_sgpr_kernarg_preload_offset 0
		.amdhsa_user_sgpr_private_segment_size 0
		.amdhsa_uses_dynamic_stack 0
		.amdhsa_enable_private_segment 0
		.amdhsa_system_sgpr_workgroup_id_x 1
		.amdhsa_system_sgpr_workgroup_id_y 0
		.amdhsa_system_sgpr_workgroup_id_z 0
		.amdhsa_system_sgpr_workgroup_info 0
		.amdhsa_system_vgpr_workitem_id 0
		.amdhsa_next_free_vgpr 1
		.amdhsa_next_free_sgpr 0
		.amdhsa_accum_offset 4
		.amdhsa_reserve_vcc 0
		.amdhsa_float_round_mode_32 0
		.amdhsa_float_round_mode_16_64 0
		.amdhsa_float_denorm_mode_32 3
		.amdhsa_float_denorm_mode_16_64 3
		.amdhsa_dx10_clamp 1
		.amdhsa_ieee_mode 1
		.amdhsa_fp16_overflow 0
		.amdhsa_tg_split 0
		.amdhsa_exception_fp_ieee_invalid_op 0
		.amdhsa_exception_fp_denorm_src 0
		.amdhsa_exception_fp_ieee_div_zero 0
		.amdhsa_exception_fp_ieee_overflow 0
		.amdhsa_exception_fp_ieee_underflow 0
		.amdhsa_exception_fp_ieee_inexact 0
		.amdhsa_exception_int_div_zero 0
	.end_amdhsa_kernel
	.section	.text._ZN7rocprim17ROCPRIM_400000_NS6detail17trampoline_kernelINS0_14default_configENS1_22reduce_config_selectorIjEEZNS1_11reduce_implILb1ES3_PjS7_jN6thrust23THRUST_200600_302600_NS4plusIjEEEE10hipError_tPvRmT1_T2_T3_mT4_P12ihipStream_tbEUlT_E1_NS1_11comp_targetILNS1_3genE3ELNS1_11target_archE908ELNS1_3gpuE7ELNS1_3repE0EEENS1_30default_config_static_selectorELNS0_4arch9wavefront6targetE1EEEvSF_,"axG",@progbits,_ZN7rocprim17ROCPRIM_400000_NS6detail17trampoline_kernelINS0_14default_configENS1_22reduce_config_selectorIjEEZNS1_11reduce_implILb1ES3_PjS7_jN6thrust23THRUST_200600_302600_NS4plusIjEEEE10hipError_tPvRmT1_T2_T3_mT4_P12ihipStream_tbEUlT_E1_NS1_11comp_targetILNS1_3genE3ELNS1_11target_archE908ELNS1_3gpuE7ELNS1_3repE0EEENS1_30default_config_static_selectorELNS0_4arch9wavefront6targetE1EEEvSF_,comdat
.Lfunc_end125:
	.size	_ZN7rocprim17ROCPRIM_400000_NS6detail17trampoline_kernelINS0_14default_configENS1_22reduce_config_selectorIjEEZNS1_11reduce_implILb1ES3_PjS7_jN6thrust23THRUST_200600_302600_NS4plusIjEEEE10hipError_tPvRmT1_T2_T3_mT4_P12ihipStream_tbEUlT_E1_NS1_11comp_targetILNS1_3genE3ELNS1_11target_archE908ELNS1_3gpuE7ELNS1_3repE0EEENS1_30default_config_static_selectorELNS0_4arch9wavefront6targetE1EEEvSF_, .Lfunc_end125-_ZN7rocprim17ROCPRIM_400000_NS6detail17trampoline_kernelINS0_14default_configENS1_22reduce_config_selectorIjEEZNS1_11reduce_implILb1ES3_PjS7_jN6thrust23THRUST_200600_302600_NS4plusIjEEEE10hipError_tPvRmT1_T2_T3_mT4_P12ihipStream_tbEUlT_E1_NS1_11comp_targetILNS1_3genE3ELNS1_11target_archE908ELNS1_3gpuE7ELNS1_3repE0EEENS1_30default_config_static_selectorELNS0_4arch9wavefront6targetE1EEEvSF_
                                        ; -- End function
	.set _ZN7rocprim17ROCPRIM_400000_NS6detail17trampoline_kernelINS0_14default_configENS1_22reduce_config_selectorIjEEZNS1_11reduce_implILb1ES3_PjS7_jN6thrust23THRUST_200600_302600_NS4plusIjEEEE10hipError_tPvRmT1_T2_T3_mT4_P12ihipStream_tbEUlT_E1_NS1_11comp_targetILNS1_3genE3ELNS1_11target_archE908ELNS1_3gpuE7ELNS1_3repE0EEENS1_30default_config_static_selectorELNS0_4arch9wavefront6targetE1EEEvSF_.num_vgpr, 0
	.set _ZN7rocprim17ROCPRIM_400000_NS6detail17trampoline_kernelINS0_14default_configENS1_22reduce_config_selectorIjEEZNS1_11reduce_implILb1ES3_PjS7_jN6thrust23THRUST_200600_302600_NS4plusIjEEEE10hipError_tPvRmT1_T2_T3_mT4_P12ihipStream_tbEUlT_E1_NS1_11comp_targetILNS1_3genE3ELNS1_11target_archE908ELNS1_3gpuE7ELNS1_3repE0EEENS1_30default_config_static_selectorELNS0_4arch9wavefront6targetE1EEEvSF_.num_agpr, 0
	.set _ZN7rocprim17ROCPRIM_400000_NS6detail17trampoline_kernelINS0_14default_configENS1_22reduce_config_selectorIjEEZNS1_11reduce_implILb1ES3_PjS7_jN6thrust23THRUST_200600_302600_NS4plusIjEEEE10hipError_tPvRmT1_T2_T3_mT4_P12ihipStream_tbEUlT_E1_NS1_11comp_targetILNS1_3genE3ELNS1_11target_archE908ELNS1_3gpuE7ELNS1_3repE0EEENS1_30default_config_static_selectorELNS0_4arch9wavefront6targetE1EEEvSF_.numbered_sgpr, 0
	.set _ZN7rocprim17ROCPRIM_400000_NS6detail17trampoline_kernelINS0_14default_configENS1_22reduce_config_selectorIjEEZNS1_11reduce_implILb1ES3_PjS7_jN6thrust23THRUST_200600_302600_NS4plusIjEEEE10hipError_tPvRmT1_T2_T3_mT4_P12ihipStream_tbEUlT_E1_NS1_11comp_targetILNS1_3genE3ELNS1_11target_archE908ELNS1_3gpuE7ELNS1_3repE0EEENS1_30default_config_static_selectorELNS0_4arch9wavefront6targetE1EEEvSF_.num_named_barrier, 0
	.set _ZN7rocprim17ROCPRIM_400000_NS6detail17trampoline_kernelINS0_14default_configENS1_22reduce_config_selectorIjEEZNS1_11reduce_implILb1ES3_PjS7_jN6thrust23THRUST_200600_302600_NS4plusIjEEEE10hipError_tPvRmT1_T2_T3_mT4_P12ihipStream_tbEUlT_E1_NS1_11comp_targetILNS1_3genE3ELNS1_11target_archE908ELNS1_3gpuE7ELNS1_3repE0EEENS1_30default_config_static_selectorELNS0_4arch9wavefront6targetE1EEEvSF_.private_seg_size, 0
	.set _ZN7rocprim17ROCPRIM_400000_NS6detail17trampoline_kernelINS0_14default_configENS1_22reduce_config_selectorIjEEZNS1_11reduce_implILb1ES3_PjS7_jN6thrust23THRUST_200600_302600_NS4plusIjEEEE10hipError_tPvRmT1_T2_T3_mT4_P12ihipStream_tbEUlT_E1_NS1_11comp_targetILNS1_3genE3ELNS1_11target_archE908ELNS1_3gpuE7ELNS1_3repE0EEENS1_30default_config_static_selectorELNS0_4arch9wavefront6targetE1EEEvSF_.uses_vcc, 0
	.set _ZN7rocprim17ROCPRIM_400000_NS6detail17trampoline_kernelINS0_14default_configENS1_22reduce_config_selectorIjEEZNS1_11reduce_implILb1ES3_PjS7_jN6thrust23THRUST_200600_302600_NS4plusIjEEEE10hipError_tPvRmT1_T2_T3_mT4_P12ihipStream_tbEUlT_E1_NS1_11comp_targetILNS1_3genE3ELNS1_11target_archE908ELNS1_3gpuE7ELNS1_3repE0EEENS1_30default_config_static_selectorELNS0_4arch9wavefront6targetE1EEEvSF_.uses_flat_scratch, 0
	.set _ZN7rocprim17ROCPRIM_400000_NS6detail17trampoline_kernelINS0_14default_configENS1_22reduce_config_selectorIjEEZNS1_11reduce_implILb1ES3_PjS7_jN6thrust23THRUST_200600_302600_NS4plusIjEEEE10hipError_tPvRmT1_T2_T3_mT4_P12ihipStream_tbEUlT_E1_NS1_11comp_targetILNS1_3genE3ELNS1_11target_archE908ELNS1_3gpuE7ELNS1_3repE0EEENS1_30default_config_static_selectorELNS0_4arch9wavefront6targetE1EEEvSF_.has_dyn_sized_stack, 0
	.set _ZN7rocprim17ROCPRIM_400000_NS6detail17trampoline_kernelINS0_14default_configENS1_22reduce_config_selectorIjEEZNS1_11reduce_implILb1ES3_PjS7_jN6thrust23THRUST_200600_302600_NS4plusIjEEEE10hipError_tPvRmT1_T2_T3_mT4_P12ihipStream_tbEUlT_E1_NS1_11comp_targetILNS1_3genE3ELNS1_11target_archE908ELNS1_3gpuE7ELNS1_3repE0EEENS1_30default_config_static_selectorELNS0_4arch9wavefront6targetE1EEEvSF_.has_recursion, 0
	.set _ZN7rocprim17ROCPRIM_400000_NS6detail17trampoline_kernelINS0_14default_configENS1_22reduce_config_selectorIjEEZNS1_11reduce_implILb1ES3_PjS7_jN6thrust23THRUST_200600_302600_NS4plusIjEEEE10hipError_tPvRmT1_T2_T3_mT4_P12ihipStream_tbEUlT_E1_NS1_11comp_targetILNS1_3genE3ELNS1_11target_archE908ELNS1_3gpuE7ELNS1_3repE0EEENS1_30default_config_static_selectorELNS0_4arch9wavefront6targetE1EEEvSF_.has_indirect_call, 0
	.section	.AMDGPU.csdata,"",@progbits
; Kernel info:
; codeLenInByte = 0
; TotalNumSgprs: 6
; NumVgprs: 0
; NumAgprs: 0
; TotalNumVgprs: 0
; ScratchSize: 0
; MemoryBound: 0
; FloatMode: 240
; IeeeMode: 1
; LDSByteSize: 0 bytes/workgroup (compile time only)
; SGPRBlocks: 0
; VGPRBlocks: 0
; NumSGPRsForWavesPerEU: 6
; NumVGPRsForWavesPerEU: 1
; AccumOffset: 4
; Occupancy: 8
; WaveLimiterHint : 0
; COMPUTE_PGM_RSRC2:SCRATCH_EN: 0
; COMPUTE_PGM_RSRC2:USER_SGPR: 2
; COMPUTE_PGM_RSRC2:TRAP_HANDLER: 0
; COMPUTE_PGM_RSRC2:TGID_X_EN: 1
; COMPUTE_PGM_RSRC2:TGID_Y_EN: 0
; COMPUTE_PGM_RSRC2:TGID_Z_EN: 0
; COMPUTE_PGM_RSRC2:TIDIG_COMP_CNT: 0
; COMPUTE_PGM_RSRC3_GFX90A:ACCUM_OFFSET: 0
; COMPUTE_PGM_RSRC3_GFX90A:TG_SPLIT: 0
	.section	.text._ZN7rocprim17ROCPRIM_400000_NS6detail17trampoline_kernelINS0_14default_configENS1_22reduce_config_selectorIjEEZNS1_11reduce_implILb1ES3_PjS7_jN6thrust23THRUST_200600_302600_NS4plusIjEEEE10hipError_tPvRmT1_T2_T3_mT4_P12ihipStream_tbEUlT_E1_NS1_11comp_targetILNS1_3genE2ELNS1_11target_archE906ELNS1_3gpuE6ELNS1_3repE0EEENS1_30default_config_static_selectorELNS0_4arch9wavefront6targetE1EEEvSF_,"axG",@progbits,_ZN7rocprim17ROCPRIM_400000_NS6detail17trampoline_kernelINS0_14default_configENS1_22reduce_config_selectorIjEEZNS1_11reduce_implILb1ES3_PjS7_jN6thrust23THRUST_200600_302600_NS4plusIjEEEE10hipError_tPvRmT1_T2_T3_mT4_P12ihipStream_tbEUlT_E1_NS1_11comp_targetILNS1_3genE2ELNS1_11target_archE906ELNS1_3gpuE6ELNS1_3repE0EEENS1_30default_config_static_selectorELNS0_4arch9wavefront6targetE1EEEvSF_,comdat
	.protected	_ZN7rocprim17ROCPRIM_400000_NS6detail17trampoline_kernelINS0_14default_configENS1_22reduce_config_selectorIjEEZNS1_11reduce_implILb1ES3_PjS7_jN6thrust23THRUST_200600_302600_NS4plusIjEEEE10hipError_tPvRmT1_T2_T3_mT4_P12ihipStream_tbEUlT_E1_NS1_11comp_targetILNS1_3genE2ELNS1_11target_archE906ELNS1_3gpuE6ELNS1_3repE0EEENS1_30default_config_static_selectorELNS0_4arch9wavefront6targetE1EEEvSF_ ; -- Begin function _ZN7rocprim17ROCPRIM_400000_NS6detail17trampoline_kernelINS0_14default_configENS1_22reduce_config_selectorIjEEZNS1_11reduce_implILb1ES3_PjS7_jN6thrust23THRUST_200600_302600_NS4plusIjEEEE10hipError_tPvRmT1_T2_T3_mT4_P12ihipStream_tbEUlT_E1_NS1_11comp_targetILNS1_3genE2ELNS1_11target_archE906ELNS1_3gpuE6ELNS1_3repE0EEENS1_30default_config_static_selectorELNS0_4arch9wavefront6targetE1EEEvSF_
	.globl	_ZN7rocprim17ROCPRIM_400000_NS6detail17trampoline_kernelINS0_14default_configENS1_22reduce_config_selectorIjEEZNS1_11reduce_implILb1ES3_PjS7_jN6thrust23THRUST_200600_302600_NS4plusIjEEEE10hipError_tPvRmT1_T2_T3_mT4_P12ihipStream_tbEUlT_E1_NS1_11comp_targetILNS1_3genE2ELNS1_11target_archE906ELNS1_3gpuE6ELNS1_3repE0EEENS1_30default_config_static_selectorELNS0_4arch9wavefront6targetE1EEEvSF_
	.p2align	8
	.type	_ZN7rocprim17ROCPRIM_400000_NS6detail17trampoline_kernelINS0_14default_configENS1_22reduce_config_selectorIjEEZNS1_11reduce_implILb1ES3_PjS7_jN6thrust23THRUST_200600_302600_NS4plusIjEEEE10hipError_tPvRmT1_T2_T3_mT4_P12ihipStream_tbEUlT_E1_NS1_11comp_targetILNS1_3genE2ELNS1_11target_archE906ELNS1_3gpuE6ELNS1_3repE0EEENS1_30default_config_static_selectorELNS0_4arch9wavefront6targetE1EEEvSF_,@function
_ZN7rocprim17ROCPRIM_400000_NS6detail17trampoline_kernelINS0_14default_configENS1_22reduce_config_selectorIjEEZNS1_11reduce_implILb1ES3_PjS7_jN6thrust23THRUST_200600_302600_NS4plusIjEEEE10hipError_tPvRmT1_T2_T3_mT4_P12ihipStream_tbEUlT_E1_NS1_11comp_targetILNS1_3genE2ELNS1_11target_archE906ELNS1_3gpuE6ELNS1_3repE0EEENS1_30default_config_static_selectorELNS0_4arch9wavefront6targetE1EEEvSF_: ; @_ZN7rocprim17ROCPRIM_400000_NS6detail17trampoline_kernelINS0_14default_configENS1_22reduce_config_selectorIjEEZNS1_11reduce_implILb1ES3_PjS7_jN6thrust23THRUST_200600_302600_NS4plusIjEEEE10hipError_tPvRmT1_T2_T3_mT4_P12ihipStream_tbEUlT_E1_NS1_11comp_targetILNS1_3genE2ELNS1_11target_archE906ELNS1_3gpuE6ELNS1_3repE0EEENS1_30default_config_static_selectorELNS0_4arch9wavefront6targetE1EEEvSF_
; %bb.0:
	.section	.rodata,"a",@progbits
	.p2align	6, 0x0
	.amdhsa_kernel _ZN7rocprim17ROCPRIM_400000_NS6detail17trampoline_kernelINS0_14default_configENS1_22reduce_config_selectorIjEEZNS1_11reduce_implILb1ES3_PjS7_jN6thrust23THRUST_200600_302600_NS4plusIjEEEE10hipError_tPvRmT1_T2_T3_mT4_P12ihipStream_tbEUlT_E1_NS1_11comp_targetILNS1_3genE2ELNS1_11target_archE906ELNS1_3gpuE6ELNS1_3repE0EEENS1_30default_config_static_selectorELNS0_4arch9wavefront6targetE1EEEvSF_
		.amdhsa_group_segment_fixed_size 0
		.amdhsa_private_segment_fixed_size 0
		.amdhsa_kernarg_size 40
		.amdhsa_user_sgpr_count 2
		.amdhsa_user_sgpr_dispatch_ptr 0
		.amdhsa_user_sgpr_queue_ptr 0
		.amdhsa_user_sgpr_kernarg_segment_ptr 1
		.amdhsa_user_sgpr_dispatch_id 0
		.amdhsa_user_sgpr_kernarg_preload_length 0
		.amdhsa_user_sgpr_kernarg_preload_offset 0
		.amdhsa_user_sgpr_private_segment_size 0
		.amdhsa_uses_dynamic_stack 0
		.amdhsa_enable_private_segment 0
		.amdhsa_system_sgpr_workgroup_id_x 1
		.amdhsa_system_sgpr_workgroup_id_y 0
		.amdhsa_system_sgpr_workgroup_id_z 0
		.amdhsa_system_sgpr_workgroup_info 0
		.amdhsa_system_vgpr_workitem_id 0
		.amdhsa_next_free_vgpr 1
		.amdhsa_next_free_sgpr 0
		.amdhsa_accum_offset 4
		.amdhsa_reserve_vcc 0
		.amdhsa_float_round_mode_32 0
		.amdhsa_float_round_mode_16_64 0
		.amdhsa_float_denorm_mode_32 3
		.amdhsa_float_denorm_mode_16_64 3
		.amdhsa_dx10_clamp 1
		.amdhsa_ieee_mode 1
		.amdhsa_fp16_overflow 0
		.amdhsa_tg_split 0
		.amdhsa_exception_fp_ieee_invalid_op 0
		.amdhsa_exception_fp_denorm_src 0
		.amdhsa_exception_fp_ieee_div_zero 0
		.amdhsa_exception_fp_ieee_overflow 0
		.amdhsa_exception_fp_ieee_underflow 0
		.amdhsa_exception_fp_ieee_inexact 0
		.amdhsa_exception_int_div_zero 0
	.end_amdhsa_kernel
	.section	.text._ZN7rocprim17ROCPRIM_400000_NS6detail17trampoline_kernelINS0_14default_configENS1_22reduce_config_selectorIjEEZNS1_11reduce_implILb1ES3_PjS7_jN6thrust23THRUST_200600_302600_NS4plusIjEEEE10hipError_tPvRmT1_T2_T3_mT4_P12ihipStream_tbEUlT_E1_NS1_11comp_targetILNS1_3genE2ELNS1_11target_archE906ELNS1_3gpuE6ELNS1_3repE0EEENS1_30default_config_static_selectorELNS0_4arch9wavefront6targetE1EEEvSF_,"axG",@progbits,_ZN7rocprim17ROCPRIM_400000_NS6detail17trampoline_kernelINS0_14default_configENS1_22reduce_config_selectorIjEEZNS1_11reduce_implILb1ES3_PjS7_jN6thrust23THRUST_200600_302600_NS4plusIjEEEE10hipError_tPvRmT1_T2_T3_mT4_P12ihipStream_tbEUlT_E1_NS1_11comp_targetILNS1_3genE2ELNS1_11target_archE906ELNS1_3gpuE6ELNS1_3repE0EEENS1_30default_config_static_selectorELNS0_4arch9wavefront6targetE1EEEvSF_,comdat
.Lfunc_end126:
	.size	_ZN7rocprim17ROCPRIM_400000_NS6detail17trampoline_kernelINS0_14default_configENS1_22reduce_config_selectorIjEEZNS1_11reduce_implILb1ES3_PjS7_jN6thrust23THRUST_200600_302600_NS4plusIjEEEE10hipError_tPvRmT1_T2_T3_mT4_P12ihipStream_tbEUlT_E1_NS1_11comp_targetILNS1_3genE2ELNS1_11target_archE906ELNS1_3gpuE6ELNS1_3repE0EEENS1_30default_config_static_selectorELNS0_4arch9wavefront6targetE1EEEvSF_, .Lfunc_end126-_ZN7rocprim17ROCPRIM_400000_NS6detail17trampoline_kernelINS0_14default_configENS1_22reduce_config_selectorIjEEZNS1_11reduce_implILb1ES3_PjS7_jN6thrust23THRUST_200600_302600_NS4plusIjEEEE10hipError_tPvRmT1_T2_T3_mT4_P12ihipStream_tbEUlT_E1_NS1_11comp_targetILNS1_3genE2ELNS1_11target_archE906ELNS1_3gpuE6ELNS1_3repE0EEENS1_30default_config_static_selectorELNS0_4arch9wavefront6targetE1EEEvSF_
                                        ; -- End function
	.set _ZN7rocprim17ROCPRIM_400000_NS6detail17trampoline_kernelINS0_14default_configENS1_22reduce_config_selectorIjEEZNS1_11reduce_implILb1ES3_PjS7_jN6thrust23THRUST_200600_302600_NS4plusIjEEEE10hipError_tPvRmT1_T2_T3_mT4_P12ihipStream_tbEUlT_E1_NS1_11comp_targetILNS1_3genE2ELNS1_11target_archE906ELNS1_3gpuE6ELNS1_3repE0EEENS1_30default_config_static_selectorELNS0_4arch9wavefront6targetE1EEEvSF_.num_vgpr, 0
	.set _ZN7rocprim17ROCPRIM_400000_NS6detail17trampoline_kernelINS0_14default_configENS1_22reduce_config_selectorIjEEZNS1_11reduce_implILb1ES3_PjS7_jN6thrust23THRUST_200600_302600_NS4plusIjEEEE10hipError_tPvRmT1_T2_T3_mT4_P12ihipStream_tbEUlT_E1_NS1_11comp_targetILNS1_3genE2ELNS1_11target_archE906ELNS1_3gpuE6ELNS1_3repE0EEENS1_30default_config_static_selectorELNS0_4arch9wavefront6targetE1EEEvSF_.num_agpr, 0
	.set _ZN7rocprim17ROCPRIM_400000_NS6detail17trampoline_kernelINS0_14default_configENS1_22reduce_config_selectorIjEEZNS1_11reduce_implILb1ES3_PjS7_jN6thrust23THRUST_200600_302600_NS4plusIjEEEE10hipError_tPvRmT1_T2_T3_mT4_P12ihipStream_tbEUlT_E1_NS1_11comp_targetILNS1_3genE2ELNS1_11target_archE906ELNS1_3gpuE6ELNS1_3repE0EEENS1_30default_config_static_selectorELNS0_4arch9wavefront6targetE1EEEvSF_.numbered_sgpr, 0
	.set _ZN7rocprim17ROCPRIM_400000_NS6detail17trampoline_kernelINS0_14default_configENS1_22reduce_config_selectorIjEEZNS1_11reduce_implILb1ES3_PjS7_jN6thrust23THRUST_200600_302600_NS4plusIjEEEE10hipError_tPvRmT1_T2_T3_mT4_P12ihipStream_tbEUlT_E1_NS1_11comp_targetILNS1_3genE2ELNS1_11target_archE906ELNS1_3gpuE6ELNS1_3repE0EEENS1_30default_config_static_selectorELNS0_4arch9wavefront6targetE1EEEvSF_.num_named_barrier, 0
	.set _ZN7rocprim17ROCPRIM_400000_NS6detail17trampoline_kernelINS0_14default_configENS1_22reduce_config_selectorIjEEZNS1_11reduce_implILb1ES3_PjS7_jN6thrust23THRUST_200600_302600_NS4plusIjEEEE10hipError_tPvRmT1_T2_T3_mT4_P12ihipStream_tbEUlT_E1_NS1_11comp_targetILNS1_3genE2ELNS1_11target_archE906ELNS1_3gpuE6ELNS1_3repE0EEENS1_30default_config_static_selectorELNS0_4arch9wavefront6targetE1EEEvSF_.private_seg_size, 0
	.set _ZN7rocprim17ROCPRIM_400000_NS6detail17trampoline_kernelINS0_14default_configENS1_22reduce_config_selectorIjEEZNS1_11reduce_implILb1ES3_PjS7_jN6thrust23THRUST_200600_302600_NS4plusIjEEEE10hipError_tPvRmT1_T2_T3_mT4_P12ihipStream_tbEUlT_E1_NS1_11comp_targetILNS1_3genE2ELNS1_11target_archE906ELNS1_3gpuE6ELNS1_3repE0EEENS1_30default_config_static_selectorELNS0_4arch9wavefront6targetE1EEEvSF_.uses_vcc, 0
	.set _ZN7rocprim17ROCPRIM_400000_NS6detail17trampoline_kernelINS0_14default_configENS1_22reduce_config_selectorIjEEZNS1_11reduce_implILb1ES3_PjS7_jN6thrust23THRUST_200600_302600_NS4plusIjEEEE10hipError_tPvRmT1_T2_T3_mT4_P12ihipStream_tbEUlT_E1_NS1_11comp_targetILNS1_3genE2ELNS1_11target_archE906ELNS1_3gpuE6ELNS1_3repE0EEENS1_30default_config_static_selectorELNS0_4arch9wavefront6targetE1EEEvSF_.uses_flat_scratch, 0
	.set _ZN7rocprim17ROCPRIM_400000_NS6detail17trampoline_kernelINS0_14default_configENS1_22reduce_config_selectorIjEEZNS1_11reduce_implILb1ES3_PjS7_jN6thrust23THRUST_200600_302600_NS4plusIjEEEE10hipError_tPvRmT1_T2_T3_mT4_P12ihipStream_tbEUlT_E1_NS1_11comp_targetILNS1_3genE2ELNS1_11target_archE906ELNS1_3gpuE6ELNS1_3repE0EEENS1_30default_config_static_selectorELNS0_4arch9wavefront6targetE1EEEvSF_.has_dyn_sized_stack, 0
	.set _ZN7rocprim17ROCPRIM_400000_NS6detail17trampoline_kernelINS0_14default_configENS1_22reduce_config_selectorIjEEZNS1_11reduce_implILb1ES3_PjS7_jN6thrust23THRUST_200600_302600_NS4plusIjEEEE10hipError_tPvRmT1_T2_T3_mT4_P12ihipStream_tbEUlT_E1_NS1_11comp_targetILNS1_3genE2ELNS1_11target_archE906ELNS1_3gpuE6ELNS1_3repE0EEENS1_30default_config_static_selectorELNS0_4arch9wavefront6targetE1EEEvSF_.has_recursion, 0
	.set _ZN7rocprim17ROCPRIM_400000_NS6detail17trampoline_kernelINS0_14default_configENS1_22reduce_config_selectorIjEEZNS1_11reduce_implILb1ES3_PjS7_jN6thrust23THRUST_200600_302600_NS4plusIjEEEE10hipError_tPvRmT1_T2_T3_mT4_P12ihipStream_tbEUlT_E1_NS1_11comp_targetILNS1_3genE2ELNS1_11target_archE906ELNS1_3gpuE6ELNS1_3repE0EEENS1_30default_config_static_selectorELNS0_4arch9wavefront6targetE1EEEvSF_.has_indirect_call, 0
	.section	.AMDGPU.csdata,"",@progbits
; Kernel info:
; codeLenInByte = 0
; TotalNumSgprs: 6
; NumVgprs: 0
; NumAgprs: 0
; TotalNumVgprs: 0
; ScratchSize: 0
; MemoryBound: 0
; FloatMode: 240
; IeeeMode: 1
; LDSByteSize: 0 bytes/workgroup (compile time only)
; SGPRBlocks: 0
; VGPRBlocks: 0
; NumSGPRsForWavesPerEU: 6
; NumVGPRsForWavesPerEU: 1
; AccumOffset: 4
; Occupancy: 8
; WaveLimiterHint : 0
; COMPUTE_PGM_RSRC2:SCRATCH_EN: 0
; COMPUTE_PGM_RSRC2:USER_SGPR: 2
; COMPUTE_PGM_RSRC2:TRAP_HANDLER: 0
; COMPUTE_PGM_RSRC2:TGID_X_EN: 1
; COMPUTE_PGM_RSRC2:TGID_Y_EN: 0
; COMPUTE_PGM_RSRC2:TGID_Z_EN: 0
; COMPUTE_PGM_RSRC2:TIDIG_COMP_CNT: 0
; COMPUTE_PGM_RSRC3_GFX90A:ACCUM_OFFSET: 0
; COMPUTE_PGM_RSRC3_GFX90A:TG_SPLIT: 0
	.section	.text._ZN7rocprim17ROCPRIM_400000_NS6detail17trampoline_kernelINS0_14default_configENS1_22reduce_config_selectorIjEEZNS1_11reduce_implILb1ES3_PjS7_jN6thrust23THRUST_200600_302600_NS4plusIjEEEE10hipError_tPvRmT1_T2_T3_mT4_P12ihipStream_tbEUlT_E1_NS1_11comp_targetILNS1_3genE10ELNS1_11target_archE1201ELNS1_3gpuE5ELNS1_3repE0EEENS1_30default_config_static_selectorELNS0_4arch9wavefront6targetE1EEEvSF_,"axG",@progbits,_ZN7rocprim17ROCPRIM_400000_NS6detail17trampoline_kernelINS0_14default_configENS1_22reduce_config_selectorIjEEZNS1_11reduce_implILb1ES3_PjS7_jN6thrust23THRUST_200600_302600_NS4plusIjEEEE10hipError_tPvRmT1_T2_T3_mT4_P12ihipStream_tbEUlT_E1_NS1_11comp_targetILNS1_3genE10ELNS1_11target_archE1201ELNS1_3gpuE5ELNS1_3repE0EEENS1_30default_config_static_selectorELNS0_4arch9wavefront6targetE1EEEvSF_,comdat
	.protected	_ZN7rocprim17ROCPRIM_400000_NS6detail17trampoline_kernelINS0_14default_configENS1_22reduce_config_selectorIjEEZNS1_11reduce_implILb1ES3_PjS7_jN6thrust23THRUST_200600_302600_NS4plusIjEEEE10hipError_tPvRmT1_T2_T3_mT4_P12ihipStream_tbEUlT_E1_NS1_11comp_targetILNS1_3genE10ELNS1_11target_archE1201ELNS1_3gpuE5ELNS1_3repE0EEENS1_30default_config_static_selectorELNS0_4arch9wavefront6targetE1EEEvSF_ ; -- Begin function _ZN7rocprim17ROCPRIM_400000_NS6detail17trampoline_kernelINS0_14default_configENS1_22reduce_config_selectorIjEEZNS1_11reduce_implILb1ES3_PjS7_jN6thrust23THRUST_200600_302600_NS4plusIjEEEE10hipError_tPvRmT1_T2_T3_mT4_P12ihipStream_tbEUlT_E1_NS1_11comp_targetILNS1_3genE10ELNS1_11target_archE1201ELNS1_3gpuE5ELNS1_3repE0EEENS1_30default_config_static_selectorELNS0_4arch9wavefront6targetE1EEEvSF_
	.globl	_ZN7rocprim17ROCPRIM_400000_NS6detail17trampoline_kernelINS0_14default_configENS1_22reduce_config_selectorIjEEZNS1_11reduce_implILb1ES3_PjS7_jN6thrust23THRUST_200600_302600_NS4plusIjEEEE10hipError_tPvRmT1_T2_T3_mT4_P12ihipStream_tbEUlT_E1_NS1_11comp_targetILNS1_3genE10ELNS1_11target_archE1201ELNS1_3gpuE5ELNS1_3repE0EEENS1_30default_config_static_selectorELNS0_4arch9wavefront6targetE1EEEvSF_
	.p2align	8
	.type	_ZN7rocprim17ROCPRIM_400000_NS6detail17trampoline_kernelINS0_14default_configENS1_22reduce_config_selectorIjEEZNS1_11reduce_implILb1ES3_PjS7_jN6thrust23THRUST_200600_302600_NS4plusIjEEEE10hipError_tPvRmT1_T2_T3_mT4_P12ihipStream_tbEUlT_E1_NS1_11comp_targetILNS1_3genE10ELNS1_11target_archE1201ELNS1_3gpuE5ELNS1_3repE0EEENS1_30default_config_static_selectorELNS0_4arch9wavefront6targetE1EEEvSF_,@function
_ZN7rocprim17ROCPRIM_400000_NS6detail17trampoline_kernelINS0_14default_configENS1_22reduce_config_selectorIjEEZNS1_11reduce_implILb1ES3_PjS7_jN6thrust23THRUST_200600_302600_NS4plusIjEEEE10hipError_tPvRmT1_T2_T3_mT4_P12ihipStream_tbEUlT_E1_NS1_11comp_targetILNS1_3genE10ELNS1_11target_archE1201ELNS1_3gpuE5ELNS1_3repE0EEENS1_30default_config_static_selectorELNS0_4arch9wavefront6targetE1EEEvSF_: ; @_ZN7rocprim17ROCPRIM_400000_NS6detail17trampoline_kernelINS0_14default_configENS1_22reduce_config_selectorIjEEZNS1_11reduce_implILb1ES3_PjS7_jN6thrust23THRUST_200600_302600_NS4plusIjEEEE10hipError_tPvRmT1_T2_T3_mT4_P12ihipStream_tbEUlT_E1_NS1_11comp_targetILNS1_3genE10ELNS1_11target_archE1201ELNS1_3gpuE5ELNS1_3repE0EEENS1_30default_config_static_selectorELNS0_4arch9wavefront6targetE1EEEvSF_
; %bb.0:
	.section	.rodata,"a",@progbits
	.p2align	6, 0x0
	.amdhsa_kernel _ZN7rocprim17ROCPRIM_400000_NS6detail17trampoline_kernelINS0_14default_configENS1_22reduce_config_selectorIjEEZNS1_11reduce_implILb1ES3_PjS7_jN6thrust23THRUST_200600_302600_NS4plusIjEEEE10hipError_tPvRmT1_T2_T3_mT4_P12ihipStream_tbEUlT_E1_NS1_11comp_targetILNS1_3genE10ELNS1_11target_archE1201ELNS1_3gpuE5ELNS1_3repE0EEENS1_30default_config_static_selectorELNS0_4arch9wavefront6targetE1EEEvSF_
		.amdhsa_group_segment_fixed_size 0
		.amdhsa_private_segment_fixed_size 0
		.amdhsa_kernarg_size 40
		.amdhsa_user_sgpr_count 2
		.amdhsa_user_sgpr_dispatch_ptr 0
		.amdhsa_user_sgpr_queue_ptr 0
		.amdhsa_user_sgpr_kernarg_segment_ptr 1
		.amdhsa_user_sgpr_dispatch_id 0
		.amdhsa_user_sgpr_kernarg_preload_length 0
		.amdhsa_user_sgpr_kernarg_preload_offset 0
		.amdhsa_user_sgpr_private_segment_size 0
		.amdhsa_uses_dynamic_stack 0
		.amdhsa_enable_private_segment 0
		.amdhsa_system_sgpr_workgroup_id_x 1
		.amdhsa_system_sgpr_workgroup_id_y 0
		.amdhsa_system_sgpr_workgroup_id_z 0
		.amdhsa_system_sgpr_workgroup_info 0
		.amdhsa_system_vgpr_workitem_id 0
		.amdhsa_next_free_vgpr 1
		.amdhsa_next_free_sgpr 0
		.amdhsa_accum_offset 4
		.amdhsa_reserve_vcc 0
		.amdhsa_float_round_mode_32 0
		.amdhsa_float_round_mode_16_64 0
		.amdhsa_float_denorm_mode_32 3
		.amdhsa_float_denorm_mode_16_64 3
		.amdhsa_dx10_clamp 1
		.amdhsa_ieee_mode 1
		.amdhsa_fp16_overflow 0
		.amdhsa_tg_split 0
		.amdhsa_exception_fp_ieee_invalid_op 0
		.amdhsa_exception_fp_denorm_src 0
		.amdhsa_exception_fp_ieee_div_zero 0
		.amdhsa_exception_fp_ieee_overflow 0
		.amdhsa_exception_fp_ieee_underflow 0
		.amdhsa_exception_fp_ieee_inexact 0
		.amdhsa_exception_int_div_zero 0
	.end_amdhsa_kernel
	.section	.text._ZN7rocprim17ROCPRIM_400000_NS6detail17trampoline_kernelINS0_14default_configENS1_22reduce_config_selectorIjEEZNS1_11reduce_implILb1ES3_PjS7_jN6thrust23THRUST_200600_302600_NS4plusIjEEEE10hipError_tPvRmT1_T2_T3_mT4_P12ihipStream_tbEUlT_E1_NS1_11comp_targetILNS1_3genE10ELNS1_11target_archE1201ELNS1_3gpuE5ELNS1_3repE0EEENS1_30default_config_static_selectorELNS0_4arch9wavefront6targetE1EEEvSF_,"axG",@progbits,_ZN7rocprim17ROCPRIM_400000_NS6detail17trampoline_kernelINS0_14default_configENS1_22reduce_config_selectorIjEEZNS1_11reduce_implILb1ES3_PjS7_jN6thrust23THRUST_200600_302600_NS4plusIjEEEE10hipError_tPvRmT1_T2_T3_mT4_P12ihipStream_tbEUlT_E1_NS1_11comp_targetILNS1_3genE10ELNS1_11target_archE1201ELNS1_3gpuE5ELNS1_3repE0EEENS1_30default_config_static_selectorELNS0_4arch9wavefront6targetE1EEEvSF_,comdat
.Lfunc_end127:
	.size	_ZN7rocprim17ROCPRIM_400000_NS6detail17trampoline_kernelINS0_14default_configENS1_22reduce_config_selectorIjEEZNS1_11reduce_implILb1ES3_PjS7_jN6thrust23THRUST_200600_302600_NS4plusIjEEEE10hipError_tPvRmT1_T2_T3_mT4_P12ihipStream_tbEUlT_E1_NS1_11comp_targetILNS1_3genE10ELNS1_11target_archE1201ELNS1_3gpuE5ELNS1_3repE0EEENS1_30default_config_static_selectorELNS0_4arch9wavefront6targetE1EEEvSF_, .Lfunc_end127-_ZN7rocprim17ROCPRIM_400000_NS6detail17trampoline_kernelINS0_14default_configENS1_22reduce_config_selectorIjEEZNS1_11reduce_implILb1ES3_PjS7_jN6thrust23THRUST_200600_302600_NS4plusIjEEEE10hipError_tPvRmT1_T2_T3_mT4_P12ihipStream_tbEUlT_E1_NS1_11comp_targetILNS1_3genE10ELNS1_11target_archE1201ELNS1_3gpuE5ELNS1_3repE0EEENS1_30default_config_static_selectorELNS0_4arch9wavefront6targetE1EEEvSF_
                                        ; -- End function
	.set _ZN7rocprim17ROCPRIM_400000_NS6detail17trampoline_kernelINS0_14default_configENS1_22reduce_config_selectorIjEEZNS1_11reduce_implILb1ES3_PjS7_jN6thrust23THRUST_200600_302600_NS4plusIjEEEE10hipError_tPvRmT1_T2_T3_mT4_P12ihipStream_tbEUlT_E1_NS1_11comp_targetILNS1_3genE10ELNS1_11target_archE1201ELNS1_3gpuE5ELNS1_3repE0EEENS1_30default_config_static_selectorELNS0_4arch9wavefront6targetE1EEEvSF_.num_vgpr, 0
	.set _ZN7rocprim17ROCPRIM_400000_NS6detail17trampoline_kernelINS0_14default_configENS1_22reduce_config_selectorIjEEZNS1_11reduce_implILb1ES3_PjS7_jN6thrust23THRUST_200600_302600_NS4plusIjEEEE10hipError_tPvRmT1_T2_T3_mT4_P12ihipStream_tbEUlT_E1_NS1_11comp_targetILNS1_3genE10ELNS1_11target_archE1201ELNS1_3gpuE5ELNS1_3repE0EEENS1_30default_config_static_selectorELNS0_4arch9wavefront6targetE1EEEvSF_.num_agpr, 0
	.set _ZN7rocprim17ROCPRIM_400000_NS6detail17trampoline_kernelINS0_14default_configENS1_22reduce_config_selectorIjEEZNS1_11reduce_implILb1ES3_PjS7_jN6thrust23THRUST_200600_302600_NS4plusIjEEEE10hipError_tPvRmT1_T2_T3_mT4_P12ihipStream_tbEUlT_E1_NS1_11comp_targetILNS1_3genE10ELNS1_11target_archE1201ELNS1_3gpuE5ELNS1_3repE0EEENS1_30default_config_static_selectorELNS0_4arch9wavefront6targetE1EEEvSF_.numbered_sgpr, 0
	.set _ZN7rocprim17ROCPRIM_400000_NS6detail17trampoline_kernelINS0_14default_configENS1_22reduce_config_selectorIjEEZNS1_11reduce_implILb1ES3_PjS7_jN6thrust23THRUST_200600_302600_NS4plusIjEEEE10hipError_tPvRmT1_T2_T3_mT4_P12ihipStream_tbEUlT_E1_NS1_11comp_targetILNS1_3genE10ELNS1_11target_archE1201ELNS1_3gpuE5ELNS1_3repE0EEENS1_30default_config_static_selectorELNS0_4arch9wavefront6targetE1EEEvSF_.num_named_barrier, 0
	.set _ZN7rocprim17ROCPRIM_400000_NS6detail17trampoline_kernelINS0_14default_configENS1_22reduce_config_selectorIjEEZNS1_11reduce_implILb1ES3_PjS7_jN6thrust23THRUST_200600_302600_NS4plusIjEEEE10hipError_tPvRmT1_T2_T3_mT4_P12ihipStream_tbEUlT_E1_NS1_11comp_targetILNS1_3genE10ELNS1_11target_archE1201ELNS1_3gpuE5ELNS1_3repE0EEENS1_30default_config_static_selectorELNS0_4arch9wavefront6targetE1EEEvSF_.private_seg_size, 0
	.set _ZN7rocprim17ROCPRIM_400000_NS6detail17trampoline_kernelINS0_14default_configENS1_22reduce_config_selectorIjEEZNS1_11reduce_implILb1ES3_PjS7_jN6thrust23THRUST_200600_302600_NS4plusIjEEEE10hipError_tPvRmT1_T2_T3_mT4_P12ihipStream_tbEUlT_E1_NS1_11comp_targetILNS1_3genE10ELNS1_11target_archE1201ELNS1_3gpuE5ELNS1_3repE0EEENS1_30default_config_static_selectorELNS0_4arch9wavefront6targetE1EEEvSF_.uses_vcc, 0
	.set _ZN7rocprim17ROCPRIM_400000_NS6detail17trampoline_kernelINS0_14default_configENS1_22reduce_config_selectorIjEEZNS1_11reduce_implILb1ES3_PjS7_jN6thrust23THRUST_200600_302600_NS4plusIjEEEE10hipError_tPvRmT1_T2_T3_mT4_P12ihipStream_tbEUlT_E1_NS1_11comp_targetILNS1_3genE10ELNS1_11target_archE1201ELNS1_3gpuE5ELNS1_3repE0EEENS1_30default_config_static_selectorELNS0_4arch9wavefront6targetE1EEEvSF_.uses_flat_scratch, 0
	.set _ZN7rocprim17ROCPRIM_400000_NS6detail17trampoline_kernelINS0_14default_configENS1_22reduce_config_selectorIjEEZNS1_11reduce_implILb1ES3_PjS7_jN6thrust23THRUST_200600_302600_NS4plusIjEEEE10hipError_tPvRmT1_T2_T3_mT4_P12ihipStream_tbEUlT_E1_NS1_11comp_targetILNS1_3genE10ELNS1_11target_archE1201ELNS1_3gpuE5ELNS1_3repE0EEENS1_30default_config_static_selectorELNS0_4arch9wavefront6targetE1EEEvSF_.has_dyn_sized_stack, 0
	.set _ZN7rocprim17ROCPRIM_400000_NS6detail17trampoline_kernelINS0_14default_configENS1_22reduce_config_selectorIjEEZNS1_11reduce_implILb1ES3_PjS7_jN6thrust23THRUST_200600_302600_NS4plusIjEEEE10hipError_tPvRmT1_T2_T3_mT4_P12ihipStream_tbEUlT_E1_NS1_11comp_targetILNS1_3genE10ELNS1_11target_archE1201ELNS1_3gpuE5ELNS1_3repE0EEENS1_30default_config_static_selectorELNS0_4arch9wavefront6targetE1EEEvSF_.has_recursion, 0
	.set _ZN7rocprim17ROCPRIM_400000_NS6detail17trampoline_kernelINS0_14default_configENS1_22reduce_config_selectorIjEEZNS1_11reduce_implILb1ES3_PjS7_jN6thrust23THRUST_200600_302600_NS4plusIjEEEE10hipError_tPvRmT1_T2_T3_mT4_P12ihipStream_tbEUlT_E1_NS1_11comp_targetILNS1_3genE10ELNS1_11target_archE1201ELNS1_3gpuE5ELNS1_3repE0EEENS1_30default_config_static_selectorELNS0_4arch9wavefront6targetE1EEEvSF_.has_indirect_call, 0
	.section	.AMDGPU.csdata,"",@progbits
; Kernel info:
; codeLenInByte = 0
; TotalNumSgprs: 6
; NumVgprs: 0
; NumAgprs: 0
; TotalNumVgprs: 0
; ScratchSize: 0
; MemoryBound: 0
; FloatMode: 240
; IeeeMode: 1
; LDSByteSize: 0 bytes/workgroup (compile time only)
; SGPRBlocks: 0
; VGPRBlocks: 0
; NumSGPRsForWavesPerEU: 6
; NumVGPRsForWavesPerEU: 1
; AccumOffset: 4
; Occupancy: 8
; WaveLimiterHint : 0
; COMPUTE_PGM_RSRC2:SCRATCH_EN: 0
; COMPUTE_PGM_RSRC2:USER_SGPR: 2
; COMPUTE_PGM_RSRC2:TRAP_HANDLER: 0
; COMPUTE_PGM_RSRC2:TGID_X_EN: 1
; COMPUTE_PGM_RSRC2:TGID_Y_EN: 0
; COMPUTE_PGM_RSRC2:TGID_Z_EN: 0
; COMPUTE_PGM_RSRC2:TIDIG_COMP_CNT: 0
; COMPUTE_PGM_RSRC3_GFX90A:ACCUM_OFFSET: 0
; COMPUTE_PGM_RSRC3_GFX90A:TG_SPLIT: 0
	.section	.text._ZN7rocprim17ROCPRIM_400000_NS6detail17trampoline_kernelINS0_14default_configENS1_22reduce_config_selectorIjEEZNS1_11reduce_implILb1ES3_PjS7_jN6thrust23THRUST_200600_302600_NS4plusIjEEEE10hipError_tPvRmT1_T2_T3_mT4_P12ihipStream_tbEUlT_E1_NS1_11comp_targetILNS1_3genE10ELNS1_11target_archE1200ELNS1_3gpuE4ELNS1_3repE0EEENS1_30default_config_static_selectorELNS0_4arch9wavefront6targetE1EEEvSF_,"axG",@progbits,_ZN7rocprim17ROCPRIM_400000_NS6detail17trampoline_kernelINS0_14default_configENS1_22reduce_config_selectorIjEEZNS1_11reduce_implILb1ES3_PjS7_jN6thrust23THRUST_200600_302600_NS4plusIjEEEE10hipError_tPvRmT1_T2_T3_mT4_P12ihipStream_tbEUlT_E1_NS1_11comp_targetILNS1_3genE10ELNS1_11target_archE1200ELNS1_3gpuE4ELNS1_3repE0EEENS1_30default_config_static_selectorELNS0_4arch9wavefront6targetE1EEEvSF_,comdat
	.protected	_ZN7rocprim17ROCPRIM_400000_NS6detail17trampoline_kernelINS0_14default_configENS1_22reduce_config_selectorIjEEZNS1_11reduce_implILb1ES3_PjS7_jN6thrust23THRUST_200600_302600_NS4plusIjEEEE10hipError_tPvRmT1_T2_T3_mT4_P12ihipStream_tbEUlT_E1_NS1_11comp_targetILNS1_3genE10ELNS1_11target_archE1200ELNS1_3gpuE4ELNS1_3repE0EEENS1_30default_config_static_selectorELNS0_4arch9wavefront6targetE1EEEvSF_ ; -- Begin function _ZN7rocprim17ROCPRIM_400000_NS6detail17trampoline_kernelINS0_14default_configENS1_22reduce_config_selectorIjEEZNS1_11reduce_implILb1ES3_PjS7_jN6thrust23THRUST_200600_302600_NS4plusIjEEEE10hipError_tPvRmT1_T2_T3_mT4_P12ihipStream_tbEUlT_E1_NS1_11comp_targetILNS1_3genE10ELNS1_11target_archE1200ELNS1_3gpuE4ELNS1_3repE0EEENS1_30default_config_static_selectorELNS0_4arch9wavefront6targetE1EEEvSF_
	.globl	_ZN7rocprim17ROCPRIM_400000_NS6detail17trampoline_kernelINS0_14default_configENS1_22reduce_config_selectorIjEEZNS1_11reduce_implILb1ES3_PjS7_jN6thrust23THRUST_200600_302600_NS4plusIjEEEE10hipError_tPvRmT1_T2_T3_mT4_P12ihipStream_tbEUlT_E1_NS1_11comp_targetILNS1_3genE10ELNS1_11target_archE1200ELNS1_3gpuE4ELNS1_3repE0EEENS1_30default_config_static_selectorELNS0_4arch9wavefront6targetE1EEEvSF_
	.p2align	8
	.type	_ZN7rocprim17ROCPRIM_400000_NS6detail17trampoline_kernelINS0_14default_configENS1_22reduce_config_selectorIjEEZNS1_11reduce_implILb1ES3_PjS7_jN6thrust23THRUST_200600_302600_NS4plusIjEEEE10hipError_tPvRmT1_T2_T3_mT4_P12ihipStream_tbEUlT_E1_NS1_11comp_targetILNS1_3genE10ELNS1_11target_archE1200ELNS1_3gpuE4ELNS1_3repE0EEENS1_30default_config_static_selectorELNS0_4arch9wavefront6targetE1EEEvSF_,@function
_ZN7rocprim17ROCPRIM_400000_NS6detail17trampoline_kernelINS0_14default_configENS1_22reduce_config_selectorIjEEZNS1_11reduce_implILb1ES3_PjS7_jN6thrust23THRUST_200600_302600_NS4plusIjEEEE10hipError_tPvRmT1_T2_T3_mT4_P12ihipStream_tbEUlT_E1_NS1_11comp_targetILNS1_3genE10ELNS1_11target_archE1200ELNS1_3gpuE4ELNS1_3repE0EEENS1_30default_config_static_selectorELNS0_4arch9wavefront6targetE1EEEvSF_: ; @_ZN7rocprim17ROCPRIM_400000_NS6detail17trampoline_kernelINS0_14default_configENS1_22reduce_config_selectorIjEEZNS1_11reduce_implILb1ES3_PjS7_jN6thrust23THRUST_200600_302600_NS4plusIjEEEE10hipError_tPvRmT1_T2_T3_mT4_P12ihipStream_tbEUlT_E1_NS1_11comp_targetILNS1_3genE10ELNS1_11target_archE1200ELNS1_3gpuE4ELNS1_3repE0EEENS1_30default_config_static_selectorELNS0_4arch9wavefront6targetE1EEEvSF_
; %bb.0:
	.section	.rodata,"a",@progbits
	.p2align	6, 0x0
	.amdhsa_kernel _ZN7rocprim17ROCPRIM_400000_NS6detail17trampoline_kernelINS0_14default_configENS1_22reduce_config_selectorIjEEZNS1_11reduce_implILb1ES3_PjS7_jN6thrust23THRUST_200600_302600_NS4plusIjEEEE10hipError_tPvRmT1_T2_T3_mT4_P12ihipStream_tbEUlT_E1_NS1_11comp_targetILNS1_3genE10ELNS1_11target_archE1200ELNS1_3gpuE4ELNS1_3repE0EEENS1_30default_config_static_selectorELNS0_4arch9wavefront6targetE1EEEvSF_
		.amdhsa_group_segment_fixed_size 0
		.amdhsa_private_segment_fixed_size 0
		.amdhsa_kernarg_size 40
		.amdhsa_user_sgpr_count 2
		.amdhsa_user_sgpr_dispatch_ptr 0
		.amdhsa_user_sgpr_queue_ptr 0
		.amdhsa_user_sgpr_kernarg_segment_ptr 1
		.amdhsa_user_sgpr_dispatch_id 0
		.amdhsa_user_sgpr_kernarg_preload_length 0
		.amdhsa_user_sgpr_kernarg_preload_offset 0
		.amdhsa_user_sgpr_private_segment_size 0
		.amdhsa_uses_dynamic_stack 0
		.amdhsa_enable_private_segment 0
		.amdhsa_system_sgpr_workgroup_id_x 1
		.amdhsa_system_sgpr_workgroup_id_y 0
		.amdhsa_system_sgpr_workgroup_id_z 0
		.amdhsa_system_sgpr_workgroup_info 0
		.amdhsa_system_vgpr_workitem_id 0
		.amdhsa_next_free_vgpr 1
		.amdhsa_next_free_sgpr 0
		.amdhsa_accum_offset 4
		.amdhsa_reserve_vcc 0
		.amdhsa_float_round_mode_32 0
		.amdhsa_float_round_mode_16_64 0
		.amdhsa_float_denorm_mode_32 3
		.amdhsa_float_denorm_mode_16_64 3
		.amdhsa_dx10_clamp 1
		.amdhsa_ieee_mode 1
		.amdhsa_fp16_overflow 0
		.amdhsa_tg_split 0
		.amdhsa_exception_fp_ieee_invalid_op 0
		.amdhsa_exception_fp_denorm_src 0
		.amdhsa_exception_fp_ieee_div_zero 0
		.amdhsa_exception_fp_ieee_overflow 0
		.amdhsa_exception_fp_ieee_underflow 0
		.amdhsa_exception_fp_ieee_inexact 0
		.amdhsa_exception_int_div_zero 0
	.end_amdhsa_kernel
	.section	.text._ZN7rocprim17ROCPRIM_400000_NS6detail17trampoline_kernelINS0_14default_configENS1_22reduce_config_selectorIjEEZNS1_11reduce_implILb1ES3_PjS7_jN6thrust23THRUST_200600_302600_NS4plusIjEEEE10hipError_tPvRmT1_T2_T3_mT4_P12ihipStream_tbEUlT_E1_NS1_11comp_targetILNS1_3genE10ELNS1_11target_archE1200ELNS1_3gpuE4ELNS1_3repE0EEENS1_30default_config_static_selectorELNS0_4arch9wavefront6targetE1EEEvSF_,"axG",@progbits,_ZN7rocprim17ROCPRIM_400000_NS6detail17trampoline_kernelINS0_14default_configENS1_22reduce_config_selectorIjEEZNS1_11reduce_implILb1ES3_PjS7_jN6thrust23THRUST_200600_302600_NS4plusIjEEEE10hipError_tPvRmT1_T2_T3_mT4_P12ihipStream_tbEUlT_E1_NS1_11comp_targetILNS1_3genE10ELNS1_11target_archE1200ELNS1_3gpuE4ELNS1_3repE0EEENS1_30default_config_static_selectorELNS0_4arch9wavefront6targetE1EEEvSF_,comdat
.Lfunc_end128:
	.size	_ZN7rocprim17ROCPRIM_400000_NS6detail17trampoline_kernelINS0_14default_configENS1_22reduce_config_selectorIjEEZNS1_11reduce_implILb1ES3_PjS7_jN6thrust23THRUST_200600_302600_NS4plusIjEEEE10hipError_tPvRmT1_T2_T3_mT4_P12ihipStream_tbEUlT_E1_NS1_11comp_targetILNS1_3genE10ELNS1_11target_archE1200ELNS1_3gpuE4ELNS1_3repE0EEENS1_30default_config_static_selectorELNS0_4arch9wavefront6targetE1EEEvSF_, .Lfunc_end128-_ZN7rocprim17ROCPRIM_400000_NS6detail17trampoline_kernelINS0_14default_configENS1_22reduce_config_selectorIjEEZNS1_11reduce_implILb1ES3_PjS7_jN6thrust23THRUST_200600_302600_NS4plusIjEEEE10hipError_tPvRmT1_T2_T3_mT4_P12ihipStream_tbEUlT_E1_NS1_11comp_targetILNS1_3genE10ELNS1_11target_archE1200ELNS1_3gpuE4ELNS1_3repE0EEENS1_30default_config_static_selectorELNS0_4arch9wavefront6targetE1EEEvSF_
                                        ; -- End function
	.set _ZN7rocprim17ROCPRIM_400000_NS6detail17trampoline_kernelINS0_14default_configENS1_22reduce_config_selectorIjEEZNS1_11reduce_implILb1ES3_PjS7_jN6thrust23THRUST_200600_302600_NS4plusIjEEEE10hipError_tPvRmT1_T2_T3_mT4_P12ihipStream_tbEUlT_E1_NS1_11comp_targetILNS1_3genE10ELNS1_11target_archE1200ELNS1_3gpuE4ELNS1_3repE0EEENS1_30default_config_static_selectorELNS0_4arch9wavefront6targetE1EEEvSF_.num_vgpr, 0
	.set _ZN7rocprim17ROCPRIM_400000_NS6detail17trampoline_kernelINS0_14default_configENS1_22reduce_config_selectorIjEEZNS1_11reduce_implILb1ES3_PjS7_jN6thrust23THRUST_200600_302600_NS4plusIjEEEE10hipError_tPvRmT1_T2_T3_mT4_P12ihipStream_tbEUlT_E1_NS1_11comp_targetILNS1_3genE10ELNS1_11target_archE1200ELNS1_3gpuE4ELNS1_3repE0EEENS1_30default_config_static_selectorELNS0_4arch9wavefront6targetE1EEEvSF_.num_agpr, 0
	.set _ZN7rocprim17ROCPRIM_400000_NS6detail17trampoline_kernelINS0_14default_configENS1_22reduce_config_selectorIjEEZNS1_11reduce_implILb1ES3_PjS7_jN6thrust23THRUST_200600_302600_NS4plusIjEEEE10hipError_tPvRmT1_T2_T3_mT4_P12ihipStream_tbEUlT_E1_NS1_11comp_targetILNS1_3genE10ELNS1_11target_archE1200ELNS1_3gpuE4ELNS1_3repE0EEENS1_30default_config_static_selectorELNS0_4arch9wavefront6targetE1EEEvSF_.numbered_sgpr, 0
	.set _ZN7rocprim17ROCPRIM_400000_NS6detail17trampoline_kernelINS0_14default_configENS1_22reduce_config_selectorIjEEZNS1_11reduce_implILb1ES3_PjS7_jN6thrust23THRUST_200600_302600_NS4plusIjEEEE10hipError_tPvRmT1_T2_T3_mT4_P12ihipStream_tbEUlT_E1_NS1_11comp_targetILNS1_3genE10ELNS1_11target_archE1200ELNS1_3gpuE4ELNS1_3repE0EEENS1_30default_config_static_selectorELNS0_4arch9wavefront6targetE1EEEvSF_.num_named_barrier, 0
	.set _ZN7rocprim17ROCPRIM_400000_NS6detail17trampoline_kernelINS0_14default_configENS1_22reduce_config_selectorIjEEZNS1_11reduce_implILb1ES3_PjS7_jN6thrust23THRUST_200600_302600_NS4plusIjEEEE10hipError_tPvRmT1_T2_T3_mT4_P12ihipStream_tbEUlT_E1_NS1_11comp_targetILNS1_3genE10ELNS1_11target_archE1200ELNS1_3gpuE4ELNS1_3repE0EEENS1_30default_config_static_selectorELNS0_4arch9wavefront6targetE1EEEvSF_.private_seg_size, 0
	.set _ZN7rocprim17ROCPRIM_400000_NS6detail17trampoline_kernelINS0_14default_configENS1_22reduce_config_selectorIjEEZNS1_11reduce_implILb1ES3_PjS7_jN6thrust23THRUST_200600_302600_NS4plusIjEEEE10hipError_tPvRmT1_T2_T3_mT4_P12ihipStream_tbEUlT_E1_NS1_11comp_targetILNS1_3genE10ELNS1_11target_archE1200ELNS1_3gpuE4ELNS1_3repE0EEENS1_30default_config_static_selectorELNS0_4arch9wavefront6targetE1EEEvSF_.uses_vcc, 0
	.set _ZN7rocprim17ROCPRIM_400000_NS6detail17trampoline_kernelINS0_14default_configENS1_22reduce_config_selectorIjEEZNS1_11reduce_implILb1ES3_PjS7_jN6thrust23THRUST_200600_302600_NS4plusIjEEEE10hipError_tPvRmT1_T2_T3_mT4_P12ihipStream_tbEUlT_E1_NS1_11comp_targetILNS1_3genE10ELNS1_11target_archE1200ELNS1_3gpuE4ELNS1_3repE0EEENS1_30default_config_static_selectorELNS0_4arch9wavefront6targetE1EEEvSF_.uses_flat_scratch, 0
	.set _ZN7rocprim17ROCPRIM_400000_NS6detail17trampoline_kernelINS0_14default_configENS1_22reduce_config_selectorIjEEZNS1_11reduce_implILb1ES3_PjS7_jN6thrust23THRUST_200600_302600_NS4plusIjEEEE10hipError_tPvRmT1_T2_T3_mT4_P12ihipStream_tbEUlT_E1_NS1_11comp_targetILNS1_3genE10ELNS1_11target_archE1200ELNS1_3gpuE4ELNS1_3repE0EEENS1_30default_config_static_selectorELNS0_4arch9wavefront6targetE1EEEvSF_.has_dyn_sized_stack, 0
	.set _ZN7rocprim17ROCPRIM_400000_NS6detail17trampoline_kernelINS0_14default_configENS1_22reduce_config_selectorIjEEZNS1_11reduce_implILb1ES3_PjS7_jN6thrust23THRUST_200600_302600_NS4plusIjEEEE10hipError_tPvRmT1_T2_T3_mT4_P12ihipStream_tbEUlT_E1_NS1_11comp_targetILNS1_3genE10ELNS1_11target_archE1200ELNS1_3gpuE4ELNS1_3repE0EEENS1_30default_config_static_selectorELNS0_4arch9wavefront6targetE1EEEvSF_.has_recursion, 0
	.set _ZN7rocprim17ROCPRIM_400000_NS6detail17trampoline_kernelINS0_14default_configENS1_22reduce_config_selectorIjEEZNS1_11reduce_implILb1ES3_PjS7_jN6thrust23THRUST_200600_302600_NS4plusIjEEEE10hipError_tPvRmT1_T2_T3_mT4_P12ihipStream_tbEUlT_E1_NS1_11comp_targetILNS1_3genE10ELNS1_11target_archE1200ELNS1_3gpuE4ELNS1_3repE0EEENS1_30default_config_static_selectorELNS0_4arch9wavefront6targetE1EEEvSF_.has_indirect_call, 0
	.section	.AMDGPU.csdata,"",@progbits
; Kernel info:
; codeLenInByte = 0
; TotalNumSgprs: 6
; NumVgprs: 0
; NumAgprs: 0
; TotalNumVgprs: 0
; ScratchSize: 0
; MemoryBound: 0
; FloatMode: 240
; IeeeMode: 1
; LDSByteSize: 0 bytes/workgroup (compile time only)
; SGPRBlocks: 0
; VGPRBlocks: 0
; NumSGPRsForWavesPerEU: 6
; NumVGPRsForWavesPerEU: 1
; AccumOffset: 4
; Occupancy: 8
; WaveLimiterHint : 0
; COMPUTE_PGM_RSRC2:SCRATCH_EN: 0
; COMPUTE_PGM_RSRC2:USER_SGPR: 2
; COMPUTE_PGM_RSRC2:TRAP_HANDLER: 0
; COMPUTE_PGM_RSRC2:TGID_X_EN: 1
; COMPUTE_PGM_RSRC2:TGID_Y_EN: 0
; COMPUTE_PGM_RSRC2:TGID_Z_EN: 0
; COMPUTE_PGM_RSRC2:TIDIG_COMP_CNT: 0
; COMPUTE_PGM_RSRC3_GFX90A:ACCUM_OFFSET: 0
; COMPUTE_PGM_RSRC3_GFX90A:TG_SPLIT: 0
	.section	.text._ZN7rocprim17ROCPRIM_400000_NS6detail17trampoline_kernelINS0_14default_configENS1_22reduce_config_selectorIjEEZNS1_11reduce_implILb1ES3_PjS7_jN6thrust23THRUST_200600_302600_NS4plusIjEEEE10hipError_tPvRmT1_T2_T3_mT4_P12ihipStream_tbEUlT_E1_NS1_11comp_targetILNS1_3genE9ELNS1_11target_archE1100ELNS1_3gpuE3ELNS1_3repE0EEENS1_30default_config_static_selectorELNS0_4arch9wavefront6targetE1EEEvSF_,"axG",@progbits,_ZN7rocprim17ROCPRIM_400000_NS6detail17trampoline_kernelINS0_14default_configENS1_22reduce_config_selectorIjEEZNS1_11reduce_implILb1ES3_PjS7_jN6thrust23THRUST_200600_302600_NS4plusIjEEEE10hipError_tPvRmT1_T2_T3_mT4_P12ihipStream_tbEUlT_E1_NS1_11comp_targetILNS1_3genE9ELNS1_11target_archE1100ELNS1_3gpuE3ELNS1_3repE0EEENS1_30default_config_static_selectorELNS0_4arch9wavefront6targetE1EEEvSF_,comdat
	.protected	_ZN7rocprim17ROCPRIM_400000_NS6detail17trampoline_kernelINS0_14default_configENS1_22reduce_config_selectorIjEEZNS1_11reduce_implILb1ES3_PjS7_jN6thrust23THRUST_200600_302600_NS4plusIjEEEE10hipError_tPvRmT1_T2_T3_mT4_P12ihipStream_tbEUlT_E1_NS1_11comp_targetILNS1_3genE9ELNS1_11target_archE1100ELNS1_3gpuE3ELNS1_3repE0EEENS1_30default_config_static_selectorELNS0_4arch9wavefront6targetE1EEEvSF_ ; -- Begin function _ZN7rocprim17ROCPRIM_400000_NS6detail17trampoline_kernelINS0_14default_configENS1_22reduce_config_selectorIjEEZNS1_11reduce_implILb1ES3_PjS7_jN6thrust23THRUST_200600_302600_NS4plusIjEEEE10hipError_tPvRmT1_T2_T3_mT4_P12ihipStream_tbEUlT_E1_NS1_11comp_targetILNS1_3genE9ELNS1_11target_archE1100ELNS1_3gpuE3ELNS1_3repE0EEENS1_30default_config_static_selectorELNS0_4arch9wavefront6targetE1EEEvSF_
	.globl	_ZN7rocprim17ROCPRIM_400000_NS6detail17trampoline_kernelINS0_14default_configENS1_22reduce_config_selectorIjEEZNS1_11reduce_implILb1ES3_PjS7_jN6thrust23THRUST_200600_302600_NS4plusIjEEEE10hipError_tPvRmT1_T2_T3_mT4_P12ihipStream_tbEUlT_E1_NS1_11comp_targetILNS1_3genE9ELNS1_11target_archE1100ELNS1_3gpuE3ELNS1_3repE0EEENS1_30default_config_static_selectorELNS0_4arch9wavefront6targetE1EEEvSF_
	.p2align	8
	.type	_ZN7rocprim17ROCPRIM_400000_NS6detail17trampoline_kernelINS0_14default_configENS1_22reduce_config_selectorIjEEZNS1_11reduce_implILb1ES3_PjS7_jN6thrust23THRUST_200600_302600_NS4plusIjEEEE10hipError_tPvRmT1_T2_T3_mT4_P12ihipStream_tbEUlT_E1_NS1_11comp_targetILNS1_3genE9ELNS1_11target_archE1100ELNS1_3gpuE3ELNS1_3repE0EEENS1_30default_config_static_selectorELNS0_4arch9wavefront6targetE1EEEvSF_,@function
_ZN7rocprim17ROCPRIM_400000_NS6detail17trampoline_kernelINS0_14default_configENS1_22reduce_config_selectorIjEEZNS1_11reduce_implILb1ES3_PjS7_jN6thrust23THRUST_200600_302600_NS4plusIjEEEE10hipError_tPvRmT1_T2_T3_mT4_P12ihipStream_tbEUlT_E1_NS1_11comp_targetILNS1_3genE9ELNS1_11target_archE1100ELNS1_3gpuE3ELNS1_3repE0EEENS1_30default_config_static_selectorELNS0_4arch9wavefront6targetE1EEEvSF_: ; @_ZN7rocprim17ROCPRIM_400000_NS6detail17trampoline_kernelINS0_14default_configENS1_22reduce_config_selectorIjEEZNS1_11reduce_implILb1ES3_PjS7_jN6thrust23THRUST_200600_302600_NS4plusIjEEEE10hipError_tPvRmT1_T2_T3_mT4_P12ihipStream_tbEUlT_E1_NS1_11comp_targetILNS1_3genE9ELNS1_11target_archE1100ELNS1_3gpuE3ELNS1_3repE0EEENS1_30default_config_static_selectorELNS0_4arch9wavefront6targetE1EEEvSF_
; %bb.0:
	.section	.rodata,"a",@progbits
	.p2align	6, 0x0
	.amdhsa_kernel _ZN7rocprim17ROCPRIM_400000_NS6detail17trampoline_kernelINS0_14default_configENS1_22reduce_config_selectorIjEEZNS1_11reduce_implILb1ES3_PjS7_jN6thrust23THRUST_200600_302600_NS4plusIjEEEE10hipError_tPvRmT1_T2_T3_mT4_P12ihipStream_tbEUlT_E1_NS1_11comp_targetILNS1_3genE9ELNS1_11target_archE1100ELNS1_3gpuE3ELNS1_3repE0EEENS1_30default_config_static_selectorELNS0_4arch9wavefront6targetE1EEEvSF_
		.amdhsa_group_segment_fixed_size 0
		.amdhsa_private_segment_fixed_size 0
		.amdhsa_kernarg_size 40
		.amdhsa_user_sgpr_count 2
		.amdhsa_user_sgpr_dispatch_ptr 0
		.amdhsa_user_sgpr_queue_ptr 0
		.amdhsa_user_sgpr_kernarg_segment_ptr 1
		.amdhsa_user_sgpr_dispatch_id 0
		.amdhsa_user_sgpr_kernarg_preload_length 0
		.amdhsa_user_sgpr_kernarg_preload_offset 0
		.amdhsa_user_sgpr_private_segment_size 0
		.amdhsa_uses_dynamic_stack 0
		.amdhsa_enable_private_segment 0
		.amdhsa_system_sgpr_workgroup_id_x 1
		.amdhsa_system_sgpr_workgroup_id_y 0
		.amdhsa_system_sgpr_workgroup_id_z 0
		.amdhsa_system_sgpr_workgroup_info 0
		.amdhsa_system_vgpr_workitem_id 0
		.amdhsa_next_free_vgpr 1
		.amdhsa_next_free_sgpr 0
		.amdhsa_accum_offset 4
		.amdhsa_reserve_vcc 0
		.amdhsa_float_round_mode_32 0
		.amdhsa_float_round_mode_16_64 0
		.amdhsa_float_denorm_mode_32 3
		.amdhsa_float_denorm_mode_16_64 3
		.amdhsa_dx10_clamp 1
		.amdhsa_ieee_mode 1
		.amdhsa_fp16_overflow 0
		.amdhsa_tg_split 0
		.amdhsa_exception_fp_ieee_invalid_op 0
		.amdhsa_exception_fp_denorm_src 0
		.amdhsa_exception_fp_ieee_div_zero 0
		.amdhsa_exception_fp_ieee_overflow 0
		.amdhsa_exception_fp_ieee_underflow 0
		.amdhsa_exception_fp_ieee_inexact 0
		.amdhsa_exception_int_div_zero 0
	.end_amdhsa_kernel
	.section	.text._ZN7rocprim17ROCPRIM_400000_NS6detail17trampoline_kernelINS0_14default_configENS1_22reduce_config_selectorIjEEZNS1_11reduce_implILb1ES3_PjS7_jN6thrust23THRUST_200600_302600_NS4plusIjEEEE10hipError_tPvRmT1_T2_T3_mT4_P12ihipStream_tbEUlT_E1_NS1_11comp_targetILNS1_3genE9ELNS1_11target_archE1100ELNS1_3gpuE3ELNS1_3repE0EEENS1_30default_config_static_selectorELNS0_4arch9wavefront6targetE1EEEvSF_,"axG",@progbits,_ZN7rocprim17ROCPRIM_400000_NS6detail17trampoline_kernelINS0_14default_configENS1_22reduce_config_selectorIjEEZNS1_11reduce_implILb1ES3_PjS7_jN6thrust23THRUST_200600_302600_NS4plusIjEEEE10hipError_tPvRmT1_T2_T3_mT4_P12ihipStream_tbEUlT_E1_NS1_11comp_targetILNS1_3genE9ELNS1_11target_archE1100ELNS1_3gpuE3ELNS1_3repE0EEENS1_30default_config_static_selectorELNS0_4arch9wavefront6targetE1EEEvSF_,comdat
.Lfunc_end129:
	.size	_ZN7rocprim17ROCPRIM_400000_NS6detail17trampoline_kernelINS0_14default_configENS1_22reduce_config_selectorIjEEZNS1_11reduce_implILb1ES3_PjS7_jN6thrust23THRUST_200600_302600_NS4plusIjEEEE10hipError_tPvRmT1_T2_T3_mT4_P12ihipStream_tbEUlT_E1_NS1_11comp_targetILNS1_3genE9ELNS1_11target_archE1100ELNS1_3gpuE3ELNS1_3repE0EEENS1_30default_config_static_selectorELNS0_4arch9wavefront6targetE1EEEvSF_, .Lfunc_end129-_ZN7rocprim17ROCPRIM_400000_NS6detail17trampoline_kernelINS0_14default_configENS1_22reduce_config_selectorIjEEZNS1_11reduce_implILb1ES3_PjS7_jN6thrust23THRUST_200600_302600_NS4plusIjEEEE10hipError_tPvRmT1_T2_T3_mT4_P12ihipStream_tbEUlT_E1_NS1_11comp_targetILNS1_3genE9ELNS1_11target_archE1100ELNS1_3gpuE3ELNS1_3repE0EEENS1_30default_config_static_selectorELNS0_4arch9wavefront6targetE1EEEvSF_
                                        ; -- End function
	.set _ZN7rocprim17ROCPRIM_400000_NS6detail17trampoline_kernelINS0_14default_configENS1_22reduce_config_selectorIjEEZNS1_11reduce_implILb1ES3_PjS7_jN6thrust23THRUST_200600_302600_NS4plusIjEEEE10hipError_tPvRmT1_T2_T3_mT4_P12ihipStream_tbEUlT_E1_NS1_11comp_targetILNS1_3genE9ELNS1_11target_archE1100ELNS1_3gpuE3ELNS1_3repE0EEENS1_30default_config_static_selectorELNS0_4arch9wavefront6targetE1EEEvSF_.num_vgpr, 0
	.set _ZN7rocprim17ROCPRIM_400000_NS6detail17trampoline_kernelINS0_14default_configENS1_22reduce_config_selectorIjEEZNS1_11reduce_implILb1ES3_PjS7_jN6thrust23THRUST_200600_302600_NS4plusIjEEEE10hipError_tPvRmT1_T2_T3_mT4_P12ihipStream_tbEUlT_E1_NS1_11comp_targetILNS1_3genE9ELNS1_11target_archE1100ELNS1_3gpuE3ELNS1_3repE0EEENS1_30default_config_static_selectorELNS0_4arch9wavefront6targetE1EEEvSF_.num_agpr, 0
	.set _ZN7rocprim17ROCPRIM_400000_NS6detail17trampoline_kernelINS0_14default_configENS1_22reduce_config_selectorIjEEZNS1_11reduce_implILb1ES3_PjS7_jN6thrust23THRUST_200600_302600_NS4plusIjEEEE10hipError_tPvRmT1_T2_T3_mT4_P12ihipStream_tbEUlT_E1_NS1_11comp_targetILNS1_3genE9ELNS1_11target_archE1100ELNS1_3gpuE3ELNS1_3repE0EEENS1_30default_config_static_selectorELNS0_4arch9wavefront6targetE1EEEvSF_.numbered_sgpr, 0
	.set _ZN7rocprim17ROCPRIM_400000_NS6detail17trampoline_kernelINS0_14default_configENS1_22reduce_config_selectorIjEEZNS1_11reduce_implILb1ES3_PjS7_jN6thrust23THRUST_200600_302600_NS4plusIjEEEE10hipError_tPvRmT1_T2_T3_mT4_P12ihipStream_tbEUlT_E1_NS1_11comp_targetILNS1_3genE9ELNS1_11target_archE1100ELNS1_3gpuE3ELNS1_3repE0EEENS1_30default_config_static_selectorELNS0_4arch9wavefront6targetE1EEEvSF_.num_named_barrier, 0
	.set _ZN7rocprim17ROCPRIM_400000_NS6detail17trampoline_kernelINS0_14default_configENS1_22reduce_config_selectorIjEEZNS1_11reduce_implILb1ES3_PjS7_jN6thrust23THRUST_200600_302600_NS4plusIjEEEE10hipError_tPvRmT1_T2_T3_mT4_P12ihipStream_tbEUlT_E1_NS1_11comp_targetILNS1_3genE9ELNS1_11target_archE1100ELNS1_3gpuE3ELNS1_3repE0EEENS1_30default_config_static_selectorELNS0_4arch9wavefront6targetE1EEEvSF_.private_seg_size, 0
	.set _ZN7rocprim17ROCPRIM_400000_NS6detail17trampoline_kernelINS0_14default_configENS1_22reduce_config_selectorIjEEZNS1_11reduce_implILb1ES3_PjS7_jN6thrust23THRUST_200600_302600_NS4plusIjEEEE10hipError_tPvRmT1_T2_T3_mT4_P12ihipStream_tbEUlT_E1_NS1_11comp_targetILNS1_3genE9ELNS1_11target_archE1100ELNS1_3gpuE3ELNS1_3repE0EEENS1_30default_config_static_selectorELNS0_4arch9wavefront6targetE1EEEvSF_.uses_vcc, 0
	.set _ZN7rocprim17ROCPRIM_400000_NS6detail17trampoline_kernelINS0_14default_configENS1_22reduce_config_selectorIjEEZNS1_11reduce_implILb1ES3_PjS7_jN6thrust23THRUST_200600_302600_NS4plusIjEEEE10hipError_tPvRmT1_T2_T3_mT4_P12ihipStream_tbEUlT_E1_NS1_11comp_targetILNS1_3genE9ELNS1_11target_archE1100ELNS1_3gpuE3ELNS1_3repE0EEENS1_30default_config_static_selectorELNS0_4arch9wavefront6targetE1EEEvSF_.uses_flat_scratch, 0
	.set _ZN7rocprim17ROCPRIM_400000_NS6detail17trampoline_kernelINS0_14default_configENS1_22reduce_config_selectorIjEEZNS1_11reduce_implILb1ES3_PjS7_jN6thrust23THRUST_200600_302600_NS4plusIjEEEE10hipError_tPvRmT1_T2_T3_mT4_P12ihipStream_tbEUlT_E1_NS1_11comp_targetILNS1_3genE9ELNS1_11target_archE1100ELNS1_3gpuE3ELNS1_3repE0EEENS1_30default_config_static_selectorELNS0_4arch9wavefront6targetE1EEEvSF_.has_dyn_sized_stack, 0
	.set _ZN7rocprim17ROCPRIM_400000_NS6detail17trampoline_kernelINS0_14default_configENS1_22reduce_config_selectorIjEEZNS1_11reduce_implILb1ES3_PjS7_jN6thrust23THRUST_200600_302600_NS4plusIjEEEE10hipError_tPvRmT1_T2_T3_mT4_P12ihipStream_tbEUlT_E1_NS1_11comp_targetILNS1_3genE9ELNS1_11target_archE1100ELNS1_3gpuE3ELNS1_3repE0EEENS1_30default_config_static_selectorELNS0_4arch9wavefront6targetE1EEEvSF_.has_recursion, 0
	.set _ZN7rocprim17ROCPRIM_400000_NS6detail17trampoline_kernelINS0_14default_configENS1_22reduce_config_selectorIjEEZNS1_11reduce_implILb1ES3_PjS7_jN6thrust23THRUST_200600_302600_NS4plusIjEEEE10hipError_tPvRmT1_T2_T3_mT4_P12ihipStream_tbEUlT_E1_NS1_11comp_targetILNS1_3genE9ELNS1_11target_archE1100ELNS1_3gpuE3ELNS1_3repE0EEENS1_30default_config_static_selectorELNS0_4arch9wavefront6targetE1EEEvSF_.has_indirect_call, 0
	.section	.AMDGPU.csdata,"",@progbits
; Kernel info:
; codeLenInByte = 0
; TotalNumSgprs: 6
; NumVgprs: 0
; NumAgprs: 0
; TotalNumVgprs: 0
; ScratchSize: 0
; MemoryBound: 0
; FloatMode: 240
; IeeeMode: 1
; LDSByteSize: 0 bytes/workgroup (compile time only)
; SGPRBlocks: 0
; VGPRBlocks: 0
; NumSGPRsForWavesPerEU: 6
; NumVGPRsForWavesPerEU: 1
; AccumOffset: 4
; Occupancy: 8
; WaveLimiterHint : 0
; COMPUTE_PGM_RSRC2:SCRATCH_EN: 0
; COMPUTE_PGM_RSRC2:USER_SGPR: 2
; COMPUTE_PGM_RSRC2:TRAP_HANDLER: 0
; COMPUTE_PGM_RSRC2:TGID_X_EN: 1
; COMPUTE_PGM_RSRC2:TGID_Y_EN: 0
; COMPUTE_PGM_RSRC2:TGID_Z_EN: 0
; COMPUTE_PGM_RSRC2:TIDIG_COMP_CNT: 0
; COMPUTE_PGM_RSRC3_GFX90A:ACCUM_OFFSET: 0
; COMPUTE_PGM_RSRC3_GFX90A:TG_SPLIT: 0
	.section	.text._ZN7rocprim17ROCPRIM_400000_NS6detail17trampoline_kernelINS0_14default_configENS1_22reduce_config_selectorIjEEZNS1_11reduce_implILb1ES3_PjS7_jN6thrust23THRUST_200600_302600_NS4plusIjEEEE10hipError_tPvRmT1_T2_T3_mT4_P12ihipStream_tbEUlT_E1_NS1_11comp_targetILNS1_3genE8ELNS1_11target_archE1030ELNS1_3gpuE2ELNS1_3repE0EEENS1_30default_config_static_selectorELNS0_4arch9wavefront6targetE1EEEvSF_,"axG",@progbits,_ZN7rocprim17ROCPRIM_400000_NS6detail17trampoline_kernelINS0_14default_configENS1_22reduce_config_selectorIjEEZNS1_11reduce_implILb1ES3_PjS7_jN6thrust23THRUST_200600_302600_NS4plusIjEEEE10hipError_tPvRmT1_T2_T3_mT4_P12ihipStream_tbEUlT_E1_NS1_11comp_targetILNS1_3genE8ELNS1_11target_archE1030ELNS1_3gpuE2ELNS1_3repE0EEENS1_30default_config_static_selectorELNS0_4arch9wavefront6targetE1EEEvSF_,comdat
	.protected	_ZN7rocprim17ROCPRIM_400000_NS6detail17trampoline_kernelINS0_14default_configENS1_22reduce_config_selectorIjEEZNS1_11reduce_implILb1ES3_PjS7_jN6thrust23THRUST_200600_302600_NS4plusIjEEEE10hipError_tPvRmT1_T2_T3_mT4_P12ihipStream_tbEUlT_E1_NS1_11comp_targetILNS1_3genE8ELNS1_11target_archE1030ELNS1_3gpuE2ELNS1_3repE0EEENS1_30default_config_static_selectorELNS0_4arch9wavefront6targetE1EEEvSF_ ; -- Begin function _ZN7rocprim17ROCPRIM_400000_NS6detail17trampoline_kernelINS0_14default_configENS1_22reduce_config_selectorIjEEZNS1_11reduce_implILb1ES3_PjS7_jN6thrust23THRUST_200600_302600_NS4plusIjEEEE10hipError_tPvRmT1_T2_T3_mT4_P12ihipStream_tbEUlT_E1_NS1_11comp_targetILNS1_3genE8ELNS1_11target_archE1030ELNS1_3gpuE2ELNS1_3repE0EEENS1_30default_config_static_selectorELNS0_4arch9wavefront6targetE1EEEvSF_
	.globl	_ZN7rocprim17ROCPRIM_400000_NS6detail17trampoline_kernelINS0_14default_configENS1_22reduce_config_selectorIjEEZNS1_11reduce_implILb1ES3_PjS7_jN6thrust23THRUST_200600_302600_NS4plusIjEEEE10hipError_tPvRmT1_T2_T3_mT4_P12ihipStream_tbEUlT_E1_NS1_11comp_targetILNS1_3genE8ELNS1_11target_archE1030ELNS1_3gpuE2ELNS1_3repE0EEENS1_30default_config_static_selectorELNS0_4arch9wavefront6targetE1EEEvSF_
	.p2align	8
	.type	_ZN7rocprim17ROCPRIM_400000_NS6detail17trampoline_kernelINS0_14default_configENS1_22reduce_config_selectorIjEEZNS1_11reduce_implILb1ES3_PjS7_jN6thrust23THRUST_200600_302600_NS4plusIjEEEE10hipError_tPvRmT1_T2_T3_mT4_P12ihipStream_tbEUlT_E1_NS1_11comp_targetILNS1_3genE8ELNS1_11target_archE1030ELNS1_3gpuE2ELNS1_3repE0EEENS1_30default_config_static_selectorELNS0_4arch9wavefront6targetE1EEEvSF_,@function
_ZN7rocprim17ROCPRIM_400000_NS6detail17trampoline_kernelINS0_14default_configENS1_22reduce_config_selectorIjEEZNS1_11reduce_implILb1ES3_PjS7_jN6thrust23THRUST_200600_302600_NS4plusIjEEEE10hipError_tPvRmT1_T2_T3_mT4_P12ihipStream_tbEUlT_E1_NS1_11comp_targetILNS1_3genE8ELNS1_11target_archE1030ELNS1_3gpuE2ELNS1_3repE0EEENS1_30default_config_static_selectorELNS0_4arch9wavefront6targetE1EEEvSF_: ; @_ZN7rocprim17ROCPRIM_400000_NS6detail17trampoline_kernelINS0_14default_configENS1_22reduce_config_selectorIjEEZNS1_11reduce_implILb1ES3_PjS7_jN6thrust23THRUST_200600_302600_NS4plusIjEEEE10hipError_tPvRmT1_T2_T3_mT4_P12ihipStream_tbEUlT_E1_NS1_11comp_targetILNS1_3genE8ELNS1_11target_archE1030ELNS1_3gpuE2ELNS1_3repE0EEENS1_30default_config_static_selectorELNS0_4arch9wavefront6targetE1EEEvSF_
; %bb.0:
	.section	.rodata,"a",@progbits
	.p2align	6, 0x0
	.amdhsa_kernel _ZN7rocprim17ROCPRIM_400000_NS6detail17trampoline_kernelINS0_14default_configENS1_22reduce_config_selectorIjEEZNS1_11reduce_implILb1ES3_PjS7_jN6thrust23THRUST_200600_302600_NS4plusIjEEEE10hipError_tPvRmT1_T2_T3_mT4_P12ihipStream_tbEUlT_E1_NS1_11comp_targetILNS1_3genE8ELNS1_11target_archE1030ELNS1_3gpuE2ELNS1_3repE0EEENS1_30default_config_static_selectorELNS0_4arch9wavefront6targetE1EEEvSF_
		.amdhsa_group_segment_fixed_size 0
		.amdhsa_private_segment_fixed_size 0
		.amdhsa_kernarg_size 40
		.amdhsa_user_sgpr_count 2
		.amdhsa_user_sgpr_dispatch_ptr 0
		.amdhsa_user_sgpr_queue_ptr 0
		.amdhsa_user_sgpr_kernarg_segment_ptr 1
		.amdhsa_user_sgpr_dispatch_id 0
		.amdhsa_user_sgpr_kernarg_preload_length 0
		.amdhsa_user_sgpr_kernarg_preload_offset 0
		.amdhsa_user_sgpr_private_segment_size 0
		.amdhsa_uses_dynamic_stack 0
		.amdhsa_enable_private_segment 0
		.amdhsa_system_sgpr_workgroup_id_x 1
		.amdhsa_system_sgpr_workgroup_id_y 0
		.amdhsa_system_sgpr_workgroup_id_z 0
		.amdhsa_system_sgpr_workgroup_info 0
		.amdhsa_system_vgpr_workitem_id 0
		.amdhsa_next_free_vgpr 1
		.amdhsa_next_free_sgpr 0
		.amdhsa_accum_offset 4
		.amdhsa_reserve_vcc 0
		.amdhsa_float_round_mode_32 0
		.amdhsa_float_round_mode_16_64 0
		.amdhsa_float_denorm_mode_32 3
		.amdhsa_float_denorm_mode_16_64 3
		.amdhsa_dx10_clamp 1
		.amdhsa_ieee_mode 1
		.amdhsa_fp16_overflow 0
		.amdhsa_tg_split 0
		.amdhsa_exception_fp_ieee_invalid_op 0
		.amdhsa_exception_fp_denorm_src 0
		.amdhsa_exception_fp_ieee_div_zero 0
		.amdhsa_exception_fp_ieee_overflow 0
		.amdhsa_exception_fp_ieee_underflow 0
		.amdhsa_exception_fp_ieee_inexact 0
		.amdhsa_exception_int_div_zero 0
	.end_amdhsa_kernel
	.section	.text._ZN7rocprim17ROCPRIM_400000_NS6detail17trampoline_kernelINS0_14default_configENS1_22reduce_config_selectorIjEEZNS1_11reduce_implILb1ES3_PjS7_jN6thrust23THRUST_200600_302600_NS4plusIjEEEE10hipError_tPvRmT1_T2_T3_mT4_P12ihipStream_tbEUlT_E1_NS1_11comp_targetILNS1_3genE8ELNS1_11target_archE1030ELNS1_3gpuE2ELNS1_3repE0EEENS1_30default_config_static_selectorELNS0_4arch9wavefront6targetE1EEEvSF_,"axG",@progbits,_ZN7rocprim17ROCPRIM_400000_NS6detail17trampoline_kernelINS0_14default_configENS1_22reduce_config_selectorIjEEZNS1_11reduce_implILb1ES3_PjS7_jN6thrust23THRUST_200600_302600_NS4plusIjEEEE10hipError_tPvRmT1_T2_T3_mT4_P12ihipStream_tbEUlT_E1_NS1_11comp_targetILNS1_3genE8ELNS1_11target_archE1030ELNS1_3gpuE2ELNS1_3repE0EEENS1_30default_config_static_selectorELNS0_4arch9wavefront6targetE1EEEvSF_,comdat
.Lfunc_end130:
	.size	_ZN7rocprim17ROCPRIM_400000_NS6detail17trampoline_kernelINS0_14default_configENS1_22reduce_config_selectorIjEEZNS1_11reduce_implILb1ES3_PjS7_jN6thrust23THRUST_200600_302600_NS4plusIjEEEE10hipError_tPvRmT1_T2_T3_mT4_P12ihipStream_tbEUlT_E1_NS1_11comp_targetILNS1_3genE8ELNS1_11target_archE1030ELNS1_3gpuE2ELNS1_3repE0EEENS1_30default_config_static_selectorELNS0_4arch9wavefront6targetE1EEEvSF_, .Lfunc_end130-_ZN7rocprim17ROCPRIM_400000_NS6detail17trampoline_kernelINS0_14default_configENS1_22reduce_config_selectorIjEEZNS1_11reduce_implILb1ES3_PjS7_jN6thrust23THRUST_200600_302600_NS4plusIjEEEE10hipError_tPvRmT1_T2_T3_mT4_P12ihipStream_tbEUlT_E1_NS1_11comp_targetILNS1_3genE8ELNS1_11target_archE1030ELNS1_3gpuE2ELNS1_3repE0EEENS1_30default_config_static_selectorELNS0_4arch9wavefront6targetE1EEEvSF_
                                        ; -- End function
	.set _ZN7rocprim17ROCPRIM_400000_NS6detail17trampoline_kernelINS0_14default_configENS1_22reduce_config_selectorIjEEZNS1_11reduce_implILb1ES3_PjS7_jN6thrust23THRUST_200600_302600_NS4plusIjEEEE10hipError_tPvRmT1_T2_T3_mT4_P12ihipStream_tbEUlT_E1_NS1_11comp_targetILNS1_3genE8ELNS1_11target_archE1030ELNS1_3gpuE2ELNS1_3repE0EEENS1_30default_config_static_selectorELNS0_4arch9wavefront6targetE1EEEvSF_.num_vgpr, 0
	.set _ZN7rocprim17ROCPRIM_400000_NS6detail17trampoline_kernelINS0_14default_configENS1_22reduce_config_selectorIjEEZNS1_11reduce_implILb1ES3_PjS7_jN6thrust23THRUST_200600_302600_NS4plusIjEEEE10hipError_tPvRmT1_T2_T3_mT4_P12ihipStream_tbEUlT_E1_NS1_11comp_targetILNS1_3genE8ELNS1_11target_archE1030ELNS1_3gpuE2ELNS1_3repE0EEENS1_30default_config_static_selectorELNS0_4arch9wavefront6targetE1EEEvSF_.num_agpr, 0
	.set _ZN7rocprim17ROCPRIM_400000_NS6detail17trampoline_kernelINS0_14default_configENS1_22reduce_config_selectorIjEEZNS1_11reduce_implILb1ES3_PjS7_jN6thrust23THRUST_200600_302600_NS4plusIjEEEE10hipError_tPvRmT1_T2_T3_mT4_P12ihipStream_tbEUlT_E1_NS1_11comp_targetILNS1_3genE8ELNS1_11target_archE1030ELNS1_3gpuE2ELNS1_3repE0EEENS1_30default_config_static_selectorELNS0_4arch9wavefront6targetE1EEEvSF_.numbered_sgpr, 0
	.set _ZN7rocprim17ROCPRIM_400000_NS6detail17trampoline_kernelINS0_14default_configENS1_22reduce_config_selectorIjEEZNS1_11reduce_implILb1ES3_PjS7_jN6thrust23THRUST_200600_302600_NS4plusIjEEEE10hipError_tPvRmT1_T2_T3_mT4_P12ihipStream_tbEUlT_E1_NS1_11comp_targetILNS1_3genE8ELNS1_11target_archE1030ELNS1_3gpuE2ELNS1_3repE0EEENS1_30default_config_static_selectorELNS0_4arch9wavefront6targetE1EEEvSF_.num_named_barrier, 0
	.set _ZN7rocprim17ROCPRIM_400000_NS6detail17trampoline_kernelINS0_14default_configENS1_22reduce_config_selectorIjEEZNS1_11reduce_implILb1ES3_PjS7_jN6thrust23THRUST_200600_302600_NS4plusIjEEEE10hipError_tPvRmT1_T2_T3_mT4_P12ihipStream_tbEUlT_E1_NS1_11comp_targetILNS1_3genE8ELNS1_11target_archE1030ELNS1_3gpuE2ELNS1_3repE0EEENS1_30default_config_static_selectorELNS0_4arch9wavefront6targetE1EEEvSF_.private_seg_size, 0
	.set _ZN7rocprim17ROCPRIM_400000_NS6detail17trampoline_kernelINS0_14default_configENS1_22reduce_config_selectorIjEEZNS1_11reduce_implILb1ES3_PjS7_jN6thrust23THRUST_200600_302600_NS4plusIjEEEE10hipError_tPvRmT1_T2_T3_mT4_P12ihipStream_tbEUlT_E1_NS1_11comp_targetILNS1_3genE8ELNS1_11target_archE1030ELNS1_3gpuE2ELNS1_3repE0EEENS1_30default_config_static_selectorELNS0_4arch9wavefront6targetE1EEEvSF_.uses_vcc, 0
	.set _ZN7rocprim17ROCPRIM_400000_NS6detail17trampoline_kernelINS0_14default_configENS1_22reduce_config_selectorIjEEZNS1_11reduce_implILb1ES3_PjS7_jN6thrust23THRUST_200600_302600_NS4plusIjEEEE10hipError_tPvRmT1_T2_T3_mT4_P12ihipStream_tbEUlT_E1_NS1_11comp_targetILNS1_3genE8ELNS1_11target_archE1030ELNS1_3gpuE2ELNS1_3repE0EEENS1_30default_config_static_selectorELNS0_4arch9wavefront6targetE1EEEvSF_.uses_flat_scratch, 0
	.set _ZN7rocprim17ROCPRIM_400000_NS6detail17trampoline_kernelINS0_14default_configENS1_22reduce_config_selectorIjEEZNS1_11reduce_implILb1ES3_PjS7_jN6thrust23THRUST_200600_302600_NS4plusIjEEEE10hipError_tPvRmT1_T2_T3_mT4_P12ihipStream_tbEUlT_E1_NS1_11comp_targetILNS1_3genE8ELNS1_11target_archE1030ELNS1_3gpuE2ELNS1_3repE0EEENS1_30default_config_static_selectorELNS0_4arch9wavefront6targetE1EEEvSF_.has_dyn_sized_stack, 0
	.set _ZN7rocprim17ROCPRIM_400000_NS6detail17trampoline_kernelINS0_14default_configENS1_22reduce_config_selectorIjEEZNS1_11reduce_implILb1ES3_PjS7_jN6thrust23THRUST_200600_302600_NS4plusIjEEEE10hipError_tPvRmT1_T2_T3_mT4_P12ihipStream_tbEUlT_E1_NS1_11comp_targetILNS1_3genE8ELNS1_11target_archE1030ELNS1_3gpuE2ELNS1_3repE0EEENS1_30default_config_static_selectorELNS0_4arch9wavefront6targetE1EEEvSF_.has_recursion, 0
	.set _ZN7rocprim17ROCPRIM_400000_NS6detail17trampoline_kernelINS0_14default_configENS1_22reduce_config_selectorIjEEZNS1_11reduce_implILb1ES3_PjS7_jN6thrust23THRUST_200600_302600_NS4plusIjEEEE10hipError_tPvRmT1_T2_T3_mT4_P12ihipStream_tbEUlT_E1_NS1_11comp_targetILNS1_3genE8ELNS1_11target_archE1030ELNS1_3gpuE2ELNS1_3repE0EEENS1_30default_config_static_selectorELNS0_4arch9wavefront6targetE1EEEvSF_.has_indirect_call, 0
	.section	.AMDGPU.csdata,"",@progbits
; Kernel info:
; codeLenInByte = 0
; TotalNumSgprs: 6
; NumVgprs: 0
; NumAgprs: 0
; TotalNumVgprs: 0
; ScratchSize: 0
; MemoryBound: 0
; FloatMode: 240
; IeeeMode: 1
; LDSByteSize: 0 bytes/workgroup (compile time only)
; SGPRBlocks: 0
; VGPRBlocks: 0
; NumSGPRsForWavesPerEU: 6
; NumVGPRsForWavesPerEU: 1
; AccumOffset: 4
; Occupancy: 8
; WaveLimiterHint : 0
; COMPUTE_PGM_RSRC2:SCRATCH_EN: 0
; COMPUTE_PGM_RSRC2:USER_SGPR: 2
; COMPUTE_PGM_RSRC2:TRAP_HANDLER: 0
; COMPUTE_PGM_RSRC2:TGID_X_EN: 1
; COMPUTE_PGM_RSRC2:TGID_Y_EN: 0
; COMPUTE_PGM_RSRC2:TGID_Z_EN: 0
; COMPUTE_PGM_RSRC2:TIDIG_COMP_CNT: 0
; COMPUTE_PGM_RSRC3_GFX90A:ACCUM_OFFSET: 0
; COMPUTE_PGM_RSRC3_GFX90A:TG_SPLIT: 0
	.section	.text._ZN7rocprim17ROCPRIM_400000_NS6detail17trampoline_kernelINS0_14default_configENS1_22reduce_config_selectorIjEEZNS1_11reduce_implILb1ES3_N6thrust23THRUST_200600_302600_NS6detail15normal_iteratorINS8_10device_ptrIjEEEEPjjNS8_4plusIjEEEE10hipError_tPvRmT1_T2_T3_mT4_P12ihipStream_tbEUlT_E0_NS1_11comp_targetILNS1_3genE0ELNS1_11target_archE4294967295ELNS1_3gpuE0ELNS1_3repE0EEENS1_30default_config_static_selectorELNS0_4arch9wavefront6targetE1EEEvSK_,"axG",@progbits,_ZN7rocprim17ROCPRIM_400000_NS6detail17trampoline_kernelINS0_14default_configENS1_22reduce_config_selectorIjEEZNS1_11reduce_implILb1ES3_N6thrust23THRUST_200600_302600_NS6detail15normal_iteratorINS8_10device_ptrIjEEEEPjjNS8_4plusIjEEEE10hipError_tPvRmT1_T2_T3_mT4_P12ihipStream_tbEUlT_E0_NS1_11comp_targetILNS1_3genE0ELNS1_11target_archE4294967295ELNS1_3gpuE0ELNS1_3repE0EEENS1_30default_config_static_selectorELNS0_4arch9wavefront6targetE1EEEvSK_,comdat
	.protected	_ZN7rocprim17ROCPRIM_400000_NS6detail17trampoline_kernelINS0_14default_configENS1_22reduce_config_selectorIjEEZNS1_11reduce_implILb1ES3_N6thrust23THRUST_200600_302600_NS6detail15normal_iteratorINS8_10device_ptrIjEEEEPjjNS8_4plusIjEEEE10hipError_tPvRmT1_T2_T3_mT4_P12ihipStream_tbEUlT_E0_NS1_11comp_targetILNS1_3genE0ELNS1_11target_archE4294967295ELNS1_3gpuE0ELNS1_3repE0EEENS1_30default_config_static_selectorELNS0_4arch9wavefront6targetE1EEEvSK_ ; -- Begin function _ZN7rocprim17ROCPRIM_400000_NS6detail17trampoline_kernelINS0_14default_configENS1_22reduce_config_selectorIjEEZNS1_11reduce_implILb1ES3_N6thrust23THRUST_200600_302600_NS6detail15normal_iteratorINS8_10device_ptrIjEEEEPjjNS8_4plusIjEEEE10hipError_tPvRmT1_T2_T3_mT4_P12ihipStream_tbEUlT_E0_NS1_11comp_targetILNS1_3genE0ELNS1_11target_archE4294967295ELNS1_3gpuE0ELNS1_3repE0EEENS1_30default_config_static_selectorELNS0_4arch9wavefront6targetE1EEEvSK_
	.globl	_ZN7rocprim17ROCPRIM_400000_NS6detail17trampoline_kernelINS0_14default_configENS1_22reduce_config_selectorIjEEZNS1_11reduce_implILb1ES3_N6thrust23THRUST_200600_302600_NS6detail15normal_iteratorINS8_10device_ptrIjEEEEPjjNS8_4plusIjEEEE10hipError_tPvRmT1_T2_T3_mT4_P12ihipStream_tbEUlT_E0_NS1_11comp_targetILNS1_3genE0ELNS1_11target_archE4294967295ELNS1_3gpuE0ELNS1_3repE0EEENS1_30default_config_static_selectorELNS0_4arch9wavefront6targetE1EEEvSK_
	.p2align	8
	.type	_ZN7rocprim17ROCPRIM_400000_NS6detail17trampoline_kernelINS0_14default_configENS1_22reduce_config_selectorIjEEZNS1_11reduce_implILb1ES3_N6thrust23THRUST_200600_302600_NS6detail15normal_iteratorINS8_10device_ptrIjEEEEPjjNS8_4plusIjEEEE10hipError_tPvRmT1_T2_T3_mT4_P12ihipStream_tbEUlT_E0_NS1_11comp_targetILNS1_3genE0ELNS1_11target_archE4294967295ELNS1_3gpuE0ELNS1_3repE0EEENS1_30default_config_static_selectorELNS0_4arch9wavefront6targetE1EEEvSK_,@function
_ZN7rocprim17ROCPRIM_400000_NS6detail17trampoline_kernelINS0_14default_configENS1_22reduce_config_selectorIjEEZNS1_11reduce_implILb1ES3_N6thrust23THRUST_200600_302600_NS6detail15normal_iteratorINS8_10device_ptrIjEEEEPjjNS8_4plusIjEEEE10hipError_tPvRmT1_T2_T3_mT4_P12ihipStream_tbEUlT_E0_NS1_11comp_targetILNS1_3genE0ELNS1_11target_archE4294967295ELNS1_3gpuE0ELNS1_3repE0EEENS1_30default_config_static_selectorELNS0_4arch9wavefront6targetE1EEEvSK_: ; @_ZN7rocprim17ROCPRIM_400000_NS6detail17trampoline_kernelINS0_14default_configENS1_22reduce_config_selectorIjEEZNS1_11reduce_implILb1ES3_N6thrust23THRUST_200600_302600_NS6detail15normal_iteratorINS8_10device_ptrIjEEEEPjjNS8_4plusIjEEEE10hipError_tPvRmT1_T2_T3_mT4_P12ihipStream_tbEUlT_E0_NS1_11comp_targetILNS1_3genE0ELNS1_11target_archE4294967295ELNS1_3gpuE0ELNS1_3repE0EEENS1_30default_config_static_selectorELNS0_4arch9wavefront6targetE1EEEvSK_
; %bb.0:
	s_load_dwordx8 s[4:11], s[0:1], 0x0
	s_load_dwordx4 s[12:15], s[0:1], 0x20
	v_lshlrev_b32_e32 v6, 2, v0
	v_mbcnt_lo_u32_b32 v1, -1, 0
	s_waitcnt lgkmcnt(0)
	s_lshl_b64 s[6:7], s[6:7], 2
	s_add_u32 s18, s4, s6
	s_addc_u32 s19, s5, s7
	s_lshl_b32 s4, s2, 10
	s_mov_b32 s5, 0
	s_lshr_b64 s[16:17], s[8:9], 10
	s_lshl_b64 s[6:7], s[4:5], 2
	s_add_u32 s6, s18, s6
	s_mov_b32 s3, s5
	s_addc_u32 s7, s19, s7
	s_cmp_lg_u64 s[16:17], s[2:3]
	s_cbranch_scc0 .LBB131_6
; %bb.1:
	v_mov_b32_e32 v7, 0
	v_lshl_add_u64 v[2:3], s[6:7], 0, v[6:7]
	flat_load_dword v5, v[2:3]
	flat_load_dword v7, v[2:3] offset:1024
	flat_load_dword v8, v[2:3] offset:2048
	flat_load_dword v9, v[2:3] offset:3072
	v_mbcnt_hi_u32_b32 v3, -1, v1
	v_lshlrev_b32_e32 v4, 2, v3
	v_cmp_eq_u32_e32 vcc, 0, v3
	s_waitcnt vmcnt(0) lgkmcnt(0)
	v_add_u32_e32 v2, v7, v5
	v_or_b32_e32 v5, 0xfc, v4
	v_add3_u32 v2, v2, v8, v9
	s_nop 1
	v_add_u32_dpp v2, v2, v2 quad_perm:[1,0,3,2] row_mask:0xf bank_mask:0xf bound_ctrl:1
	s_nop 1
	v_add_u32_dpp v2, v2, v2 quad_perm:[2,3,0,1] row_mask:0xf bank_mask:0xf bound_ctrl:1
	s_nop 1
	v_add_u32_dpp v2, v2, v2 row_ror:4 row_mask:0xf bank_mask:0xf bound_ctrl:1
	s_nop 1
	v_add_u32_dpp v2, v2, v2 row_ror:8 row_mask:0xf bank_mask:0xf bound_ctrl:1
	s_nop 1
	v_add_u32_dpp v2, v2, v2 row_bcast:15 row_mask:0xf bank_mask:0xf bound_ctrl:1
	s_nop 1
	v_add_u32_dpp v2, v2, v2 row_bcast:31 row_mask:0xf bank_mask:0xf bound_ctrl:1
	ds_bpermute_b32 v2, v5, v2
	s_and_saveexec_b64 s[16:17], vcc
	s_cbranch_execz .LBB131_3
; %bb.2:
	v_lshrrev_b32_e32 v5, 4, v0
	v_and_b32_e32 v5, 12, v5
	s_waitcnt lgkmcnt(0)
	ds_write_b32 v5, v2
.LBB131_3:
	s_or_b64 exec, exec, s[16:17]
	v_cmp_gt_u32_e32 vcc, 64, v0
	s_waitcnt lgkmcnt(0)
	s_barrier
	s_and_saveexec_b64 s[16:17], vcc
	s_cbranch_execz .LBB131_5
; %bb.4:
	v_and_b32_e32 v2, 3, v3
	v_lshlrev_b32_e32 v5, 2, v2
	ds_read_b32 v5, v5
	v_cmp_ne_u32_e32 vcc, 3, v2
	s_nop 1
	v_addc_co_u32_e32 v2, vcc, 0, v3, vcc
	v_lshlrev_b32_e32 v2, 2, v2
	s_waitcnt lgkmcnt(0)
	ds_bpermute_b32 v2, v2, v5
	v_or_b32_e32 v3, 8, v4
	s_waitcnt lgkmcnt(0)
	v_add_u32_e32 v2, v2, v5
	ds_bpermute_b32 v3, v3, v2
	s_waitcnt lgkmcnt(0)
	v_add_u32_e32 v2, v3, v2
.LBB131_5:
	s_or_b64 exec, exec, s[16:17]
	s_load_dword s18, s[0:1], 0x30
	s_branch .LBB131_20
.LBB131_6:
                                        ; implicit-def: $vgpr2
	s_load_dword s18, s[0:1], 0x30
	s_cbranch_execz .LBB131_20
; %bb.7:
	s_sub_i32 s19, s8, s4
	v_mov_b32_e32 v2, 0
	v_cmp_gt_u32_e32 vcc, s19, v0
	v_mov_b32_e32 v3, v2
	v_mov_b32_e32 v4, v2
	;; [unrolled: 1-line block ×3, first 2 shown]
	s_and_saveexec_b64 s[0:1], vcc
	s_cbranch_execz .LBB131_9
; %bb.8:
	v_mov_b32_e32 v7, v2
	v_lshl_add_u64 v[4:5], s[6:7], 0, v[6:7]
	flat_load_dword v8, v[4:5]
	v_mov_b32_e32 v9, v2
	v_mov_b32_e32 v10, v2
	v_mov_b32_e32 v11, v2
	s_waitcnt vmcnt(0) lgkmcnt(0)
	v_mov_b64_e32 v[2:3], v[8:9]
	v_mov_b64_e32 v[4:5], v[10:11]
.LBB131_9:
	s_or_b64 exec, exec, s[0:1]
	v_or_b32_e32 v7, 0x100, v0
	v_cmp_gt_u32_e32 vcc, s19, v7
	s_and_saveexec_b64 s[0:1], vcc
	s_cbranch_execz .LBB131_11
; %bb.10:
	v_mov_b32_e32 v7, 0
	v_lshl_add_u64 v[8:9], s[6:7], 0, v[6:7]
	flat_load_dword v3, v[8:9] offset:1024
.LBB131_11:
	s_or_b64 exec, exec, s[0:1]
	v_or_b32_e32 v7, 0x200, v0
	v_cmp_gt_u32_e64 s[0:1], s19, v7
	s_and_saveexec_b64 s[4:5], s[0:1]
	s_cbranch_execz .LBB131_13
; %bb.12:
	v_mov_b32_e32 v7, 0
	v_lshl_add_u64 v[8:9], s[6:7], 0, v[6:7]
	flat_load_dword v4, v[8:9] offset:2048
.LBB131_13:
	s_or_b64 exec, exec, s[4:5]
	v_or_b32_e32 v7, 0x300, v0
	v_cmp_gt_u32_e64 s[4:5], s19, v7
	s_and_saveexec_b64 s[16:17], s[4:5]
	s_cbranch_execz .LBB131_15
; %bb.14:
	v_mov_b32_e32 v7, 0
	v_lshl_add_u64 v[6:7], s[6:7], 0, v[6:7]
	flat_load_dword v5, v[6:7] offset:3072
.LBB131_15:
	s_or_b64 exec, exec, s[16:17]
	s_waitcnt vmcnt(0) lgkmcnt(0)
	v_cndmask_b32_e32 v3, 0, v3, vcc
	v_add_u32_e32 v2, v3, v2
	v_cndmask_b32_e64 v3, 0, v4, s[0:1]
	v_cndmask_b32_e64 v4, 0, v5, s[4:5]
	v_mbcnt_hi_u32_b32 v1, -1, v1
	v_add3_u32 v2, v2, v3, v4
	v_and_b32_e32 v4, 63, v1
	v_cmp_ne_u32_e32 vcc, 63, v4
	s_min_u32 s4, s19, 0x100
	v_and_b32_e32 v5, 0xc0, v0
	v_addc_co_u32_e32 v3, vcc, 0, v1, vcc
	v_lshlrev_b32_e32 v3, 2, v3
	ds_bpermute_b32 v3, v3, v2
	v_sub_u32_e64 v5, s4, v5 clamp
	v_add_u32_e32 v6, 1, v4
	v_cmp_lt_u32_e32 vcc, v6, v5
	v_add_u32_e32 v6, 2, v4
	s_waitcnt lgkmcnt(0)
	v_cndmask_b32_e32 v3, 0, v3, vcc
	v_cmp_gt_u32_e32 vcc, 62, v4
	v_add_u32_e32 v2, v3, v2
	s_nop 0
	v_cndmask_b32_e64 v3, 0, 2, vcc
	v_add_lshl_u32 v3, v3, v1, 2
	ds_bpermute_b32 v3, v3, v2
	v_cmp_lt_u32_e32 vcc, v6, v5
	v_add_u32_e32 v6, 4, v4
	s_waitcnt lgkmcnt(0)
	v_cndmask_b32_e32 v3, 0, v3, vcc
	v_cmp_gt_u32_e32 vcc, 60, v4
	v_add_u32_e32 v2, v2, v3
	s_nop 0
	v_cndmask_b32_e64 v3, 0, 4, vcc
	v_add_lshl_u32 v3, v3, v1, 2
	ds_bpermute_b32 v3, v3, v2
	;; [unrolled: 10-line block ×3, first 2 shown]
	v_cmp_lt_u32_e32 vcc, v6, v5
	v_add_u32_e32 v6, 16, v4
	s_waitcnt lgkmcnt(0)
	v_cndmask_b32_e32 v3, 0, v3, vcc
	v_cmp_gt_u32_e32 vcc, 48, v4
	v_add_u32_e32 v2, v2, v3
	v_add_u32_e32 v4, 32, v4
	v_cndmask_b32_e64 v3, 0, 16, vcc
	v_add_lshl_u32 v3, v3, v1, 2
	ds_bpermute_b32 v3, v3, v2
	v_cmp_lt_u32_e32 vcc, v6, v5
	s_waitcnt lgkmcnt(0)
	s_nop 0
	v_cndmask_b32_e32 v3, 0, v3, vcc
	v_add_u32_e32 v2, v2, v3
	v_lshlrev_b32_e32 v3, 2, v1
	v_or_b32_e32 v6, 0x80, v3
	ds_bpermute_b32 v6, v6, v2
	v_cmp_lt_u32_e32 vcc, v4, v5
	s_waitcnt lgkmcnt(0)
	s_nop 0
	v_cndmask_b32_e32 v4, 0, v6, vcc
	v_add_u32_e32 v2, v2, v4
	v_cmp_eq_u32_e32 vcc, 0, v1
	s_and_saveexec_b64 s[0:1], vcc
; %bb.16:
	v_lshrrev_b32_e32 v4, 4, v0
	v_and_b32_e32 v4, 12, v4
	ds_write_b32 v4, v2 offset:16
; %bb.17:
	s_or_b64 exec, exec, s[0:1]
	v_cmp_gt_u32_e32 vcc, 4, v0
	s_waitcnt lgkmcnt(0)
	s_barrier
	s_and_saveexec_b64 s[0:1], vcc
	s_cbranch_execz .LBB131_19
; %bb.18:
	ds_read_b32 v2, v3 offset:16
	v_and_b32_e32 v4, 3, v1
	v_cmp_ne_u32_e32 vcc, 3, v4
	s_add_i32 s4, s4, 63
	s_lshr_b32 s4, s4, 6
	v_addc_co_u32_e32 v1, vcc, 0, v1, vcc
	v_lshlrev_b32_e32 v1, 2, v1
	s_waitcnt lgkmcnt(0)
	ds_bpermute_b32 v1, v1, v2
	v_add_u32_e32 v5, 1, v4
	v_cmp_gt_u32_e32 vcc, s4, v5
	s_waitcnt lgkmcnt(0)
	s_nop 0
	v_cndmask_b32_e32 v1, 0, v1, vcc
	v_add_u32_e32 v1, v1, v2
	v_or_b32_e32 v2, 8, v3
	ds_bpermute_b32 v2, v2, v1
	v_add_u32_e32 v3, 2, v4
	v_cmp_gt_u32_e32 vcc, s4, v3
	s_waitcnt lgkmcnt(0)
	s_nop 0
	v_cndmask_b32_e32 v2, 0, v2, vcc
	v_add_u32_e32 v2, v1, v2
.LBB131_19:
	s_or_b64 exec, exec, s[0:1]
.LBB131_20:
	v_cmp_eq_u32_e32 vcc, 0, v0
	s_and_saveexec_b64 s[0:1], vcc
	s_cbranch_execnz .LBB131_22
; %bb.21:
	s_endpgm
.LBB131_22:
	s_mul_i32 s0, s14, s13
	s_mul_hi_u32 s1, s14, s12
	s_add_i32 s0, s1, s0
	s_mul_i32 s1, s15, s12
	s_add_i32 s1, s0, s1
	s_mul_i32 s0, s14, s12
	s_lshl_b64 s[0:1], s[0:1], 2
	s_add_u32 s4, s10, s0
	s_addc_u32 s5, s11, s1
	s_cmp_eq_u64 s[8:9], 0
	s_cselect_b64 vcc, -1, 0
	s_lshl_b64 s[0:1], s[2:3], 2
	s_waitcnt lgkmcnt(0)
	v_mov_b32_e32 v0, s18
	s_add_u32 s0, s4, s0
	v_cndmask_b32_e32 v0, v2, v0, vcc
	s_addc_u32 s1, s5, s1
	v_mov_b32_e32 v1, 0
	global_store_dword v1, v0, s[0:1]
	s_endpgm
	.section	.rodata,"a",@progbits
	.p2align	6, 0x0
	.amdhsa_kernel _ZN7rocprim17ROCPRIM_400000_NS6detail17trampoline_kernelINS0_14default_configENS1_22reduce_config_selectorIjEEZNS1_11reduce_implILb1ES3_N6thrust23THRUST_200600_302600_NS6detail15normal_iteratorINS8_10device_ptrIjEEEEPjjNS8_4plusIjEEEE10hipError_tPvRmT1_T2_T3_mT4_P12ihipStream_tbEUlT_E0_NS1_11comp_targetILNS1_3genE0ELNS1_11target_archE4294967295ELNS1_3gpuE0ELNS1_3repE0EEENS1_30default_config_static_selectorELNS0_4arch9wavefront6targetE1EEEvSK_
		.amdhsa_group_segment_fixed_size 32
		.amdhsa_private_segment_fixed_size 0
		.amdhsa_kernarg_size 56
		.amdhsa_user_sgpr_count 2
		.amdhsa_user_sgpr_dispatch_ptr 0
		.amdhsa_user_sgpr_queue_ptr 0
		.amdhsa_user_sgpr_kernarg_segment_ptr 1
		.amdhsa_user_sgpr_dispatch_id 0
		.amdhsa_user_sgpr_kernarg_preload_length 0
		.amdhsa_user_sgpr_kernarg_preload_offset 0
		.amdhsa_user_sgpr_private_segment_size 0
		.amdhsa_uses_dynamic_stack 0
		.amdhsa_enable_private_segment 0
		.amdhsa_system_sgpr_workgroup_id_x 1
		.amdhsa_system_sgpr_workgroup_id_y 0
		.amdhsa_system_sgpr_workgroup_id_z 0
		.amdhsa_system_sgpr_workgroup_info 0
		.amdhsa_system_vgpr_workitem_id 0
		.amdhsa_next_free_vgpr 12
		.amdhsa_next_free_sgpr 20
		.amdhsa_accum_offset 12
		.amdhsa_reserve_vcc 1
		.amdhsa_float_round_mode_32 0
		.amdhsa_float_round_mode_16_64 0
		.amdhsa_float_denorm_mode_32 3
		.amdhsa_float_denorm_mode_16_64 3
		.amdhsa_dx10_clamp 1
		.amdhsa_ieee_mode 1
		.amdhsa_fp16_overflow 0
		.amdhsa_tg_split 0
		.amdhsa_exception_fp_ieee_invalid_op 0
		.amdhsa_exception_fp_denorm_src 0
		.amdhsa_exception_fp_ieee_div_zero 0
		.amdhsa_exception_fp_ieee_overflow 0
		.amdhsa_exception_fp_ieee_underflow 0
		.amdhsa_exception_fp_ieee_inexact 0
		.amdhsa_exception_int_div_zero 0
	.end_amdhsa_kernel
	.section	.text._ZN7rocprim17ROCPRIM_400000_NS6detail17trampoline_kernelINS0_14default_configENS1_22reduce_config_selectorIjEEZNS1_11reduce_implILb1ES3_N6thrust23THRUST_200600_302600_NS6detail15normal_iteratorINS8_10device_ptrIjEEEEPjjNS8_4plusIjEEEE10hipError_tPvRmT1_T2_T3_mT4_P12ihipStream_tbEUlT_E0_NS1_11comp_targetILNS1_3genE0ELNS1_11target_archE4294967295ELNS1_3gpuE0ELNS1_3repE0EEENS1_30default_config_static_selectorELNS0_4arch9wavefront6targetE1EEEvSK_,"axG",@progbits,_ZN7rocprim17ROCPRIM_400000_NS6detail17trampoline_kernelINS0_14default_configENS1_22reduce_config_selectorIjEEZNS1_11reduce_implILb1ES3_N6thrust23THRUST_200600_302600_NS6detail15normal_iteratorINS8_10device_ptrIjEEEEPjjNS8_4plusIjEEEE10hipError_tPvRmT1_T2_T3_mT4_P12ihipStream_tbEUlT_E0_NS1_11comp_targetILNS1_3genE0ELNS1_11target_archE4294967295ELNS1_3gpuE0ELNS1_3repE0EEENS1_30default_config_static_selectorELNS0_4arch9wavefront6targetE1EEEvSK_,comdat
.Lfunc_end131:
	.size	_ZN7rocprim17ROCPRIM_400000_NS6detail17trampoline_kernelINS0_14default_configENS1_22reduce_config_selectorIjEEZNS1_11reduce_implILb1ES3_N6thrust23THRUST_200600_302600_NS6detail15normal_iteratorINS8_10device_ptrIjEEEEPjjNS8_4plusIjEEEE10hipError_tPvRmT1_T2_T3_mT4_P12ihipStream_tbEUlT_E0_NS1_11comp_targetILNS1_3genE0ELNS1_11target_archE4294967295ELNS1_3gpuE0ELNS1_3repE0EEENS1_30default_config_static_selectorELNS0_4arch9wavefront6targetE1EEEvSK_, .Lfunc_end131-_ZN7rocprim17ROCPRIM_400000_NS6detail17trampoline_kernelINS0_14default_configENS1_22reduce_config_selectorIjEEZNS1_11reduce_implILb1ES3_N6thrust23THRUST_200600_302600_NS6detail15normal_iteratorINS8_10device_ptrIjEEEEPjjNS8_4plusIjEEEE10hipError_tPvRmT1_T2_T3_mT4_P12ihipStream_tbEUlT_E0_NS1_11comp_targetILNS1_3genE0ELNS1_11target_archE4294967295ELNS1_3gpuE0ELNS1_3repE0EEENS1_30default_config_static_selectorELNS0_4arch9wavefront6targetE1EEEvSK_
                                        ; -- End function
	.set _ZN7rocprim17ROCPRIM_400000_NS6detail17trampoline_kernelINS0_14default_configENS1_22reduce_config_selectorIjEEZNS1_11reduce_implILb1ES3_N6thrust23THRUST_200600_302600_NS6detail15normal_iteratorINS8_10device_ptrIjEEEEPjjNS8_4plusIjEEEE10hipError_tPvRmT1_T2_T3_mT4_P12ihipStream_tbEUlT_E0_NS1_11comp_targetILNS1_3genE0ELNS1_11target_archE4294967295ELNS1_3gpuE0ELNS1_3repE0EEENS1_30default_config_static_selectorELNS0_4arch9wavefront6targetE1EEEvSK_.num_vgpr, 12
	.set _ZN7rocprim17ROCPRIM_400000_NS6detail17trampoline_kernelINS0_14default_configENS1_22reduce_config_selectorIjEEZNS1_11reduce_implILb1ES3_N6thrust23THRUST_200600_302600_NS6detail15normal_iteratorINS8_10device_ptrIjEEEEPjjNS8_4plusIjEEEE10hipError_tPvRmT1_T2_T3_mT4_P12ihipStream_tbEUlT_E0_NS1_11comp_targetILNS1_3genE0ELNS1_11target_archE4294967295ELNS1_3gpuE0ELNS1_3repE0EEENS1_30default_config_static_selectorELNS0_4arch9wavefront6targetE1EEEvSK_.num_agpr, 0
	.set _ZN7rocprim17ROCPRIM_400000_NS6detail17trampoline_kernelINS0_14default_configENS1_22reduce_config_selectorIjEEZNS1_11reduce_implILb1ES3_N6thrust23THRUST_200600_302600_NS6detail15normal_iteratorINS8_10device_ptrIjEEEEPjjNS8_4plusIjEEEE10hipError_tPvRmT1_T2_T3_mT4_P12ihipStream_tbEUlT_E0_NS1_11comp_targetILNS1_3genE0ELNS1_11target_archE4294967295ELNS1_3gpuE0ELNS1_3repE0EEENS1_30default_config_static_selectorELNS0_4arch9wavefront6targetE1EEEvSK_.numbered_sgpr, 20
	.set _ZN7rocprim17ROCPRIM_400000_NS6detail17trampoline_kernelINS0_14default_configENS1_22reduce_config_selectorIjEEZNS1_11reduce_implILb1ES3_N6thrust23THRUST_200600_302600_NS6detail15normal_iteratorINS8_10device_ptrIjEEEEPjjNS8_4plusIjEEEE10hipError_tPvRmT1_T2_T3_mT4_P12ihipStream_tbEUlT_E0_NS1_11comp_targetILNS1_3genE0ELNS1_11target_archE4294967295ELNS1_3gpuE0ELNS1_3repE0EEENS1_30default_config_static_selectorELNS0_4arch9wavefront6targetE1EEEvSK_.num_named_barrier, 0
	.set _ZN7rocprim17ROCPRIM_400000_NS6detail17trampoline_kernelINS0_14default_configENS1_22reduce_config_selectorIjEEZNS1_11reduce_implILb1ES3_N6thrust23THRUST_200600_302600_NS6detail15normal_iteratorINS8_10device_ptrIjEEEEPjjNS8_4plusIjEEEE10hipError_tPvRmT1_T2_T3_mT4_P12ihipStream_tbEUlT_E0_NS1_11comp_targetILNS1_3genE0ELNS1_11target_archE4294967295ELNS1_3gpuE0ELNS1_3repE0EEENS1_30default_config_static_selectorELNS0_4arch9wavefront6targetE1EEEvSK_.private_seg_size, 0
	.set _ZN7rocprim17ROCPRIM_400000_NS6detail17trampoline_kernelINS0_14default_configENS1_22reduce_config_selectorIjEEZNS1_11reduce_implILb1ES3_N6thrust23THRUST_200600_302600_NS6detail15normal_iteratorINS8_10device_ptrIjEEEEPjjNS8_4plusIjEEEE10hipError_tPvRmT1_T2_T3_mT4_P12ihipStream_tbEUlT_E0_NS1_11comp_targetILNS1_3genE0ELNS1_11target_archE4294967295ELNS1_3gpuE0ELNS1_3repE0EEENS1_30default_config_static_selectorELNS0_4arch9wavefront6targetE1EEEvSK_.uses_vcc, 1
	.set _ZN7rocprim17ROCPRIM_400000_NS6detail17trampoline_kernelINS0_14default_configENS1_22reduce_config_selectorIjEEZNS1_11reduce_implILb1ES3_N6thrust23THRUST_200600_302600_NS6detail15normal_iteratorINS8_10device_ptrIjEEEEPjjNS8_4plusIjEEEE10hipError_tPvRmT1_T2_T3_mT4_P12ihipStream_tbEUlT_E0_NS1_11comp_targetILNS1_3genE0ELNS1_11target_archE4294967295ELNS1_3gpuE0ELNS1_3repE0EEENS1_30default_config_static_selectorELNS0_4arch9wavefront6targetE1EEEvSK_.uses_flat_scratch, 0
	.set _ZN7rocprim17ROCPRIM_400000_NS6detail17trampoline_kernelINS0_14default_configENS1_22reduce_config_selectorIjEEZNS1_11reduce_implILb1ES3_N6thrust23THRUST_200600_302600_NS6detail15normal_iteratorINS8_10device_ptrIjEEEEPjjNS8_4plusIjEEEE10hipError_tPvRmT1_T2_T3_mT4_P12ihipStream_tbEUlT_E0_NS1_11comp_targetILNS1_3genE0ELNS1_11target_archE4294967295ELNS1_3gpuE0ELNS1_3repE0EEENS1_30default_config_static_selectorELNS0_4arch9wavefront6targetE1EEEvSK_.has_dyn_sized_stack, 0
	.set _ZN7rocprim17ROCPRIM_400000_NS6detail17trampoline_kernelINS0_14default_configENS1_22reduce_config_selectorIjEEZNS1_11reduce_implILb1ES3_N6thrust23THRUST_200600_302600_NS6detail15normal_iteratorINS8_10device_ptrIjEEEEPjjNS8_4plusIjEEEE10hipError_tPvRmT1_T2_T3_mT4_P12ihipStream_tbEUlT_E0_NS1_11comp_targetILNS1_3genE0ELNS1_11target_archE4294967295ELNS1_3gpuE0ELNS1_3repE0EEENS1_30default_config_static_selectorELNS0_4arch9wavefront6targetE1EEEvSK_.has_recursion, 0
	.set _ZN7rocprim17ROCPRIM_400000_NS6detail17trampoline_kernelINS0_14default_configENS1_22reduce_config_selectorIjEEZNS1_11reduce_implILb1ES3_N6thrust23THRUST_200600_302600_NS6detail15normal_iteratorINS8_10device_ptrIjEEEEPjjNS8_4plusIjEEEE10hipError_tPvRmT1_T2_T3_mT4_P12ihipStream_tbEUlT_E0_NS1_11comp_targetILNS1_3genE0ELNS1_11target_archE4294967295ELNS1_3gpuE0ELNS1_3repE0EEENS1_30default_config_static_selectorELNS0_4arch9wavefront6targetE1EEEvSK_.has_indirect_call, 0
	.section	.AMDGPU.csdata,"",@progbits
; Kernel info:
; codeLenInByte = 1236
; TotalNumSgprs: 26
; NumVgprs: 12
; NumAgprs: 0
; TotalNumVgprs: 12
; ScratchSize: 0
; MemoryBound: 0
; FloatMode: 240
; IeeeMode: 1
; LDSByteSize: 32 bytes/workgroup (compile time only)
; SGPRBlocks: 3
; VGPRBlocks: 1
; NumSGPRsForWavesPerEU: 26
; NumVGPRsForWavesPerEU: 12
; AccumOffset: 12
; Occupancy: 8
; WaveLimiterHint : 1
; COMPUTE_PGM_RSRC2:SCRATCH_EN: 0
; COMPUTE_PGM_RSRC2:USER_SGPR: 2
; COMPUTE_PGM_RSRC2:TRAP_HANDLER: 0
; COMPUTE_PGM_RSRC2:TGID_X_EN: 1
; COMPUTE_PGM_RSRC2:TGID_Y_EN: 0
; COMPUTE_PGM_RSRC2:TGID_Z_EN: 0
; COMPUTE_PGM_RSRC2:TIDIG_COMP_CNT: 0
; COMPUTE_PGM_RSRC3_GFX90A:ACCUM_OFFSET: 2
; COMPUTE_PGM_RSRC3_GFX90A:TG_SPLIT: 0
	.section	.text._ZN7rocprim17ROCPRIM_400000_NS6detail17trampoline_kernelINS0_14default_configENS1_22reduce_config_selectorIjEEZNS1_11reduce_implILb1ES3_N6thrust23THRUST_200600_302600_NS6detail15normal_iteratorINS8_10device_ptrIjEEEEPjjNS8_4plusIjEEEE10hipError_tPvRmT1_T2_T3_mT4_P12ihipStream_tbEUlT_E0_NS1_11comp_targetILNS1_3genE5ELNS1_11target_archE942ELNS1_3gpuE9ELNS1_3repE0EEENS1_30default_config_static_selectorELNS0_4arch9wavefront6targetE1EEEvSK_,"axG",@progbits,_ZN7rocprim17ROCPRIM_400000_NS6detail17trampoline_kernelINS0_14default_configENS1_22reduce_config_selectorIjEEZNS1_11reduce_implILb1ES3_N6thrust23THRUST_200600_302600_NS6detail15normal_iteratorINS8_10device_ptrIjEEEEPjjNS8_4plusIjEEEE10hipError_tPvRmT1_T2_T3_mT4_P12ihipStream_tbEUlT_E0_NS1_11comp_targetILNS1_3genE5ELNS1_11target_archE942ELNS1_3gpuE9ELNS1_3repE0EEENS1_30default_config_static_selectorELNS0_4arch9wavefront6targetE1EEEvSK_,comdat
	.protected	_ZN7rocprim17ROCPRIM_400000_NS6detail17trampoline_kernelINS0_14default_configENS1_22reduce_config_selectorIjEEZNS1_11reduce_implILb1ES3_N6thrust23THRUST_200600_302600_NS6detail15normal_iteratorINS8_10device_ptrIjEEEEPjjNS8_4plusIjEEEE10hipError_tPvRmT1_T2_T3_mT4_P12ihipStream_tbEUlT_E0_NS1_11comp_targetILNS1_3genE5ELNS1_11target_archE942ELNS1_3gpuE9ELNS1_3repE0EEENS1_30default_config_static_selectorELNS0_4arch9wavefront6targetE1EEEvSK_ ; -- Begin function _ZN7rocprim17ROCPRIM_400000_NS6detail17trampoline_kernelINS0_14default_configENS1_22reduce_config_selectorIjEEZNS1_11reduce_implILb1ES3_N6thrust23THRUST_200600_302600_NS6detail15normal_iteratorINS8_10device_ptrIjEEEEPjjNS8_4plusIjEEEE10hipError_tPvRmT1_T2_T3_mT4_P12ihipStream_tbEUlT_E0_NS1_11comp_targetILNS1_3genE5ELNS1_11target_archE942ELNS1_3gpuE9ELNS1_3repE0EEENS1_30default_config_static_selectorELNS0_4arch9wavefront6targetE1EEEvSK_
	.globl	_ZN7rocprim17ROCPRIM_400000_NS6detail17trampoline_kernelINS0_14default_configENS1_22reduce_config_selectorIjEEZNS1_11reduce_implILb1ES3_N6thrust23THRUST_200600_302600_NS6detail15normal_iteratorINS8_10device_ptrIjEEEEPjjNS8_4plusIjEEEE10hipError_tPvRmT1_T2_T3_mT4_P12ihipStream_tbEUlT_E0_NS1_11comp_targetILNS1_3genE5ELNS1_11target_archE942ELNS1_3gpuE9ELNS1_3repE0EEENS1_30default_config_static_selectorELNS0_4arch9wavefront6targetE1EEEvSK_
	.p2align	8
	.type	_ZN7rocprim17ROCPRIM_400000_NS6detail17trampoline_kernelINS0_14default_configENS1_22reduce_config_selectorIjEEZNS1_11reduce_implILb1ES3_N6thrust23THRUST_200600_302600_NS6detail15normal_iteratorINS8_10device_ptrIjEEEEPjjNS8_4plusIjEEEE10hipError_tPvRmT1_T2_T3_mT4_P12ihipStream_tbEUlT_E0_NS1_11comp_targetILNS1_3genE5ELNS1_11target_archE942ELNS1_3gpuE9ELNS1_3repE0EEENS1_30default_config_static_selectorELNS0_4arch9wavefront6targetE1EEEvSK_,@function
_ZN7rocprim17ROCPRIM_400000_NS6detail17trampoline_kernelINS0_14default_configENS1_22reduce_config_selectorIjEEZNS1_11reduce_implILb1ES3_N6thrust23THRUST_200600_302600_NS6detail15normal_iteratorINS8_10device_ptrIjEEEEPjjNS8_4plusIjEEEE10hipError_tPvRmT1_T2_T3_mT4_P12ihipStream_tbEUlT_E0_NS1_11comp_targetILNS1_3genE5ELNS1_11target_archE942ELNS1_3gpuE9ELNS1_3repE0EEENS1_30default_config_static_selectorELNS0_4arch9wavefront6targetE1EEEvSK_: ; @_ZN7rocprim17ROCPRIM_400000_NS6detail17trampoline_kernelINS0_14default_configENS1_22reduce_config_selectorIjEEZNS1_11reduce_implILb1ES3_N6thrust23THRUST_200600_302600_NS6detail15normal_iteratorINS8_10device_ptrIjEEEEPjjNS8_4plusIjEEEE10hipError_tPvRmT1_T2_T3_mT4_P12ihipStream_tbEUlT_E0_NS1_11comp_targetILNS1_3genE5ELNS1_11target_archE942ELNS1_3gpuE9ELNS1_3repE0EEENS1_30default_config_static_selectorELNS0_4arch9wavefront6targetE1EEEvSK_
; %bb.0:
	.section	.rodata,"a",@progbits
	.p2align	6, 0x0
	.amdhsa_kernel _ZN7rocprim17ROCPRIM_400000_NS6detail17trampoline_kernelINS0_14default_configENS1_22reduce_config_selectorIjEEZNS1_11reduce_implILb1ES3_N6thrust23THRUST_200600_302600_NS6detail15normal_iteratorINS8_10device_ptrIjEEEEPjjNS8_4plusIjEEEE10hipError_tPvRmT1_T2_T3_mT4_P12ihipStream_tbEUlT_E0_NS1_11comp_targetILNS1_3genE5ELNS1_11target_archE942ELNS1_3gpuE9ELNS1_3repE0EEENS1_30default_config_static_selectorELNS0_4arch9wavefront6targetE1EEEvSK_
		.amdhsa_group_segment_fixed_size 0
		.amdhsa_private_segment_fixed_size 0
		.amdhsa_kernarg_size 56
		.amdhsa_user_sgpr_count 2
		.amdhsa_user_sgpr_dispatch_ptr 0
		.amdhsa_user_sgpr_queue_ptr 0
		.amdhsa_user_sgpr_kernarg_segment_ptr 1
		.amdhsa_user_sgpr_dispatch_id 0
		.amdhsa_user_sgpr_kernarg_preload_length 0
		.amdhsa_user_sgpr_kernarg_preload_offset 0
		.amdhsa_user_sgpr_private_segment_size 0
		.amdhsa_uses_dynamic_stack 0
		.amdhsa_enable_private_segment 0
		.amdhsa_system_sgpr_workgroup_id_x 1
		.amdhsa_system_sgpr_workgroup_id_y 0
		.amdhsa_system_sgpr_workgroup_id_z 0
		.amdhsa_system_sgpr_workgroup_info 0
		.amdhsa_system_vgpr_workitem_id 0
		.amdhsa_next_free_vgpr 1
		.amdhsa_next_free_sgpr 0
		.amdhsa_accum_offset 4
		.amdhsa_reserve_vcc 0
		.amdhsa_float_round_mode_32 0
		.amdhsa_float_round_mode_16_64 0
		.amdhsa_float_denorm_mode_32 3
		.amdhsa_float_denorm_mode_16_64 3
		.amdhsa_dx10_clamp 1
		.amdhsa_ieee_mode 1
		.amdhsa_fp16_overflow 0
		.amdhsa_tg_split 0
		.amdhsa_exception_fp_ieee_invalid_op 0
		.amdhsa_exception_fp_denorm_src 0
		.amdhsa_exception_fp_ieee_div_zero 0
		.amdhsa_exception_fp_ieee_overflow 0
		.amdhsa_exception_fp_ieee_underflow 0
		.amdhsa_exception_fp_ieee_inexact 0
		.amdhsa_exception_int_div_zero 0
	.end_amdhsa_kernel
	.section	.text._ZN7rocprim17ROCPRIM_400000_NS6detail17trampoline_kernelINS0_14default_configENS1_22reduce_config_selectorIjEEZNS1_11reduce_implILb1ES3_N6thrust23THRUST_200600_302600_NS6detail15normal_iteratorINS8_10device_ptrIjEEEEPjjNS8_4plusIjEEEE10hipError_tPvRmT1_T2_T3_mT4_P12ihipStream_tbEUlT_E0_NS1_11comp_targetILNS1_3genE5ELNS1_11target_archE942ELNS1_3gpuE9ELNS1_3repE0EEENS1_30default_config_static_selectorELNS0_4arch9wavefront6targetE1EEEvSK_,"axG",@progbits,_ZN7rocprim17ROCPRIM_400000_NS6detail17trampoline_kernelINS0_14default_configENS1_22reduce_config_selectorIjEEZNS1_11reduce_implILb1ES3_N6thrust23THRUST_200600_302600_NS6detail15normal_iteratorINS8_10device_ptrIjEEEEPjjNS8_4plusIjEEEE10hipError_tPvRmT1_T2_T3_mT4_P12ihipStream_tbEUlT_E0_NS1_11comp_targetILNS1_3genE5ELNS1_11target_archE942ELNS1_3gpuE9ELNS1_3repE0EEENS1_30default_config_static_selectorELNS0_4arch9wavefront6targetE1EEEvSK_,comdat
.Lfunc_end132:
	.size	_ZN7rocprim17ROCPRIM_400000_NS6detail17trampoline_kernelINS0_14default_configENS1_22reduce_config_selectorIjEEZNS1_11reduce_implILb1ES3_N6thrust23THRUST_200600_302600_NS6detail15normal_iteratorINS8_10device_ptrIjEEEEPjjNS8_4plusIjEEEE10hipError_tPvRmT1_T2_T3_mT4_P12ihipStream_tbEUlT_E0_NS1_11comp_targetILNS1_3genE5ELNS1_11target_archE942ELNS1_3gpuE9ELNS1_3repE0EEENS1_30default_config_static_selectorELNS0_4arch9wavefront6targetE1EEEvSK_, .Lfunc_end132-_ZN7rocprim17ROCPRIM_400000_NS6detail17trampoline_kernelINS0_14default_configENS1_22reduce_config_selectorIjEEZNS1_11reduce_implILb1ES3_N6thrust23THRUST_200600_302600_NS6detail15normal_iteratorINS8_10device_ptrIjEEEEPjjNS8_4plusIjEEEE10hipError_tPvRmT1_T2_T3_mT4_P12ihipStream_tbEUlT_E0_NS1_11comp_targetILNS1_3genE5ELNS1_11target_archE942ELNS1_3gpuE9ELNS1_3repE0EEENS1_30default_config_static_selectorELNS0_4arch9wavefront6targetE1EEEvSK_
                                        ; -- End function
	.set _ZN7rocprim17ROCPRIM_400000_NS6detail17trampoline_kernelINS0_14default_configENS1_22reduce_config_selectorIjEEZNS1_11reduce_implILb1ES3_N6thrust23THRUST_200600_302600_NS6detail15normal_iteratorINS8_10device_ptrIjEEEEPjjNS8_4plusIjEEEE10hipError_tPvRmT1_T2_T3_mT4_P12ihipStream_tbEUlT_E0_NS1_11comp_targetILNS1_3genE5ELNS1_11target_archE942ELNS1_3gpuE9ELNS1_3repE0EEENS1_30default_config_static_selectorELNS0_4arch9wavefront6targetE1EEEvSK_.num_vgpr, 0
	.set _ZN7rocprim17ROCPRIM_400000_NS6detail17trampoline_kernelINS0_14default_configENS1_22reduce_config_selectorIjEEZNS1_11reduce_implILb1ES3_N6thrust23THRUST_200600_302600_NS6detail15normal_iteratorINS8_10device_ptrIjEEEEPjjNS8_4plusIjEEEE10hipError_tPvRmT1_T2_T3_mT4_P12ihipStream_tbEUlT_E0_NS1_11comp_targetILNS1_3genE5ELNS1_11target_archE942ELNS1_3gpuE9ELNS1_3repE0EEENS1_30default_config_static_selectorELNS0_4arch9wavefront6targetE1EEEvSK_.num_agpr, 0
	.set _ZN7rocprim17ROCPRIM_400000_NS6detail17trampoline_kernelINS0_14default_configENS1_22reduce_config_selectorIjEEZNS1_11reduce_implILb1ES3_N6thrust23THRUST_200600_302600_NS6detail15normal_iteratorINS8_10device_ptrIjEEEEPjjNS8_4plusIjEEEE10hipError_tPvRmT1_T2_T3_mT4_P12ihipStream_tbEUlT_E0_NS1_11comp_targetILNS1_3genE5ELNS1_11target_archE942ELNS1_3gpuE9ELNS1_3repE0EEENS1_30default_config_static_selectorELNS0_4arch9wavefront6targetE1EEEvSK_.numbered_sgpr, 0
	.set _ZN7rocprim17ROCPRIM_400000_NS6detail17trampoline_kernelINS0_14default_configENS1_22reduce_config_selectorIjEEZNS1_11reduce_implILb1ES3_N6thrust23THRUST_200600_302600_NS6detail15normal_iteratorINS8_10device_ptrIjEEEEPjjNS8_4plusIjEEEE10hipError_tPvRmT1_T2_T3_mT4_P12ihipStream_tbEUlT_E0_NS1_11comp_targetILNS1_3genE5ELNS1_11target_archE942ELNS1_3gpuE9ELNS1_3repE0EEENS1_30default_config_static_selectorELNS0_4arch9wavefront6targetE1EEEvSK_.num_named_barrier, 0
	.set _ZN7rocprim17ROCPRIM_400000_NS6detail17trampoline_kernelINS0_14default_configENS1_22reduce_config_selectorIjEEZNS1_11reduce_implILb1ES3_N6thrust23THRUST_200600_302600_NS6detail15normal_iteratorINS8_10device_ptrIjEEEEPjjNS8_4plusIjEEEE10hipError_tPvRmT1_T2_T3_mT4_P12ihipStream_tbEUlT_E0_NS1_11comp_targetILNS1_3genE5ELNS1_11target_archE942ELNS1_3gpuE9ELNS1_3repE0EEENS1_30default_config_static_selectorELNS0_4arch9wavefront6targetE1EEEvSK_.private_seg_size, 0
	.set _ZN7rocprim17ROCPRIM_400000_NS6detail17trampoline_kernelINS0_14default_configENS1_22reduce_config_selectorIjEEZNS1_11reduce_implILb1ES3_N6thrust23THRUST_200600_302600_NS6detail15normal_iteratorINS8_10device_ptrIjEEEEPjjNS8_4plusIjEEEE10hipError_tPvRmT1_T2_T3_mT4_P12ihipStream_tbEUlT_E0_NS1_11comp_targetILNS1_3genE5ELNS1_11target_archE942ELNS1_3gpuE9ELNS1_3repE0EEENS1_30default_config_static_selectorELNS0_4arch9wavefront6targetE1EEEvSK_.uses_vcc, 0
	.set _ZN7rocprim17ROCPRIM_400000_NS6detail17trampoline_kernelINS0_14default_configENS1_22reduce_config_selectorIjEEZNS1_11reduce_implILb1ES3_N6thrust23THRUST_200600_302600_NS6detail15normal_iteratorINS8_10device_ptrIjEEEEPjjNS8_4plusIjEEEE10hipError_tPvRmT1_T2_T3_mT4_P12ihipStream_tbEUlT_E0_NS1_11comp_targetILNS1_3genE5ELNS1_11target_archE942ELNS1_3gpuE9ELNS1_3repE0EEENS1_30default_config_static_selectorELNS0_4arch9wavefront6targetE1EEEvSK_.uses_flat_scratch, 0
	.set _ZN7rocprim17ROCPRIM_400000_NS6detail17trampoline_kernelINS0_14default_configENS1_22reduce_config_selectorIjEEZNS1_11reduce_implILb1ES3_N6thrust23THRUST_200600_302600_NS6detail15normal_iteratorINS8_10device_ptrIjEEEEPjjNS8_4plusIjEEEE10hipError_tPvRmT1_T2_T3_mT4_P12ihipStream_tbEUlT_E0_NS1_11comp_targetILNS1_3genE5ELNS1_11target_archE942ELNS1_3gpuE9ELNS1_3repE0EEENS1_30default_config_static_selectorELNS0_4arch9wavefront6targetE1EEEvSK_.has_dyn_sized_stack, 0
	.set _ZN7rocprim17ROCPRIM_400000_NS6detail17trampoline_kernelINS0_14default_configENS1_22reduce_config_selectorIjEEZNS1_11reduce_implILb1ES3_N6thrust23THRUST_200600_302600_NS6detail15normal_iteratorINS8_10device_ptrIjEEEEPjjNS8_4plusIjEEEE10hipError_tPvRmT1_T2_T3_mT4_P12ihipStream_tbEUlT_E0_NS1_11comp_targetILNS1_3genE5ELNS1_11target_archE942ELNS1_3gpuE9ELNS1_3repE0EEENS1_30default_config_static_selectorELNS0_4arch9wavefront6targetE1EEEvSK_.has_recursion, 0
	.set _ZN7rocprim17ROCPRIM_400000_NS6detail17trampoline_kernelINS0_14default_configENS1_22reduce_config_selectorIjEEZNS1_11reduce_implILb1ES3_N6thrust23THRUST_200600_302600_NS6detail15normal_iteratorINS8_10device_ptrIjEEEEPjjNS8_4plusIjEEEE10hipError_tPvRmT1_T2_T3_mT4_P12ihipStream_tbEUlT_E0_NS1_11comp_targetILNS1_3genE5ELNS1_11target_archE942ELNS1_3gpuE9ELNS1_3repE0EEENS1_30default_config_static_selectorELNS0_4arch9wavefront6targetE1EEEvSK_.has_indirect_call, 0
	.section	.AMDGPU.csdata,"",@progbits
; Kernel info:
; codeLenInByte = 0
; TotalNumSgprs: 6
; NumVgprs: 0
; NumAgprs: 0
; TotalNumVgprs: 0
; ScratchSize: 0
; MemoryBound: 0
; FloatMode: 240
; IeeeMode: 1
; LDSByteSize: 0 bytes/workgroup (compile time only)
; SGPRBlocks: 0
; VGPRBlocks: 0
; NumSGPRsForWavesPerEU: 6
; NumVGPRsForWavesPerEU: 1
; AccumOffset: 4
; Occupancy: 8
; WaveLimiterHint : 0
; COMPUTE_PGM_RSRC2:SCRATCH_EN: 0
; COMPUTE_PGM_RSRC2:USER_SGPR: 2
; COMPUTE_PGM_RSRC2:TRAP_HANDLER: 0
; COMPUTE_PGM_RSRC2:TGID_X_EN: 1
; COMPUTE_PGM_RSRC2:TGID_Y_EN: 0
; COMPUTE_PGM_RSRC2:TGID_Z_EN: 0
; COMPUTE_PGM_RSRC2:TIDIG_COMP_CNT: 0
; COMPUTE_PGM_RSRC3_GFX90A:ACCUM_OFFSET: 0
; COMPUTE_PGM_RSRC3_GFX90A:TG_SPLIT: 0
	.section	.text._ZN7rocprim17ROCPRIM_400000_NS6detail17trampoline_kernelINS0_14default_configENS1_22reduce_config_selectorIjEEZNS1_11reduce_implILb1ES3_N6thrust23THRUST_200600_302600_NS6detail15normal_iteratorINS8_10device_ptrIjEEEEPjjNS8_4plusIjEEEE10hipError_tPvRmT1_T2_T3_mT4_P12ihipStream_tbEUlT_E0_NS1_11comp_targetILNS1_3genE4ELNS1_11target_archE910ELNS1_3gpuE8ELNS1_3repE0EEENS1_30default_config_static_selectorELNS0_4arch9wavefront6targetE1EEEvSK_,"axG",@progbits,_ZN7rocprim17ROCPRIM_400000_NS6detail17trampoline_kernelINS0_14default_configENS1_22reduce_config_selectorIjEEZNS1_11reduce_implILb1ES3_N6thrust23THRUST_200600_302600_NS6detail15normal_iteratorINS8_10device_ptrIjEEEEPjjNS8_4plusIjEEEE10hipError_tPvRmT1_T2_T3_mT4_P12ihipStream_tbEUlT_E0_NS1_11comp_targetILNS1_3genE4ELNS1_11target_archE910ELNS1_3gpuE8ELNS1_3repE0EEENS1_30default_config_static_selectorELNS0_4arch9wavefront6targetE1EEEvSK_,comdat
	.protected	_ZN7rocprim17ROCPRIM_400000_NS6detail17trampoline_kernelINS0_14default_configENS1_22reduce_config_selectorIjEEZNS1_11reduce_implILb1ES3_N6thrust23THRUST_200600_302600_NS6detail15normal_iteratorINS8_10device_ptrIjEEEEPjjNS8_4plusIjEEEE10hipError_tPvRmT1_T2_T3_mT4_P12ihipStream_tbEUlT_E0_NS1_11comp_targetILNS1_3genE4ELNS1_11target_archE910ELNS1_3gpuE8ELNS1_3repE0EEENS1_30default_config_static_selectorELNS0_4arch9wavefront6targetE1EEEvSK_ ; -- Begin function _ZN7rocprim17ROCPRIM_400000_NS6detail17trampoline_kernelINS0_14default_configENS1_22reduce_config_selectorIjEEZNS1_11reduce_implILb1ES3_N6thrust23THRUST_200600_302600_NS6detail15normal_iteratorINS8_10device_ptrIjEEEEPjjNS8_4plusIjEEEE10hipError_tPvRmT1_T2_T3_mT4_P12ihipStream_tbEUlT_E0_NS1_11comp_targetILNS1_3genE4ELNS1_11target_archE910ELNS1_3gpuE8ELNS1_3repE0EEENS1_30default_config_static_selectorELNS0_4arch9wavefront6targetE1EEEvSK_
	.globl	_ZN7rocprim17ROCPRIM_400000_NS6detail17trampoline_kernelINS0_14default_configENS1_22reduce_config_selectorIjEEZNS1_11reduce_implILb1ES3_N6thrust23THRUST_200600_302600_NS6detail15normal_iteratorINS8_10device_ptrIjEEEEPjjNS8_4plusIjEEEE10hipError_tPvRmT1_T2_T3_mT4_P12ihipStream_tbEUlT_E0_NS1_11comp_targetILNS1_3genE4ELNS1_11target_archE910ELNS1_3gpuE8ELNS1_3repE0EEENS1_30default_config_static_selectorELNS0_4arch9wavefront6targetE1EEEvSK_
	.p2align	8
	.type	_ZN7rocprim17ROCPRIM_400000_NS6detail17trampoline_kernelINS0_14default_configENS1_22reduce_config_selectorIjEEZNS1_11reduce_implILb1ES3_N6thrust23THRUST_200600_302600_NS6detail15normal_iteratorINS8_10device_ptrIjEEEEPjjNS8_4plusIjEEEE10hipError_tPvRmT1_T2_T3_mT4_P12ihipStream_tbEUlT_E0_NS1_11comp_targetILNS1_3genE4ELNS1_11target_archE910ELNS1_3gpuE8ELNS1_3repE0EEENS1_30default_config_static_selectorELNS0_4arch9wavefront6targetE1EEEvSK_,@function
_ZN7rocprim17ROCPRIM_400000_NS6detail17trampoline_kernelINS0_14default_configENS1_22reduce_config_selectorIjEEZNS1_11reduce_implILb1ES3_N6thrust23THRUST_200600_302600_NS6detail15normal_iteratorINS8_10device_ptrIjEEEEPjjNS8_4plusIjEEEE10hipError_tPvRmT1_T2_T3_mT4_P12ihipStream_tbEUlT_E0_NS1_11comp_targetILNS1_3genE4ELNS1_11target_archE910ELNS1_3gpuE8ELNS1_3repE0EEENS1_30default_config_static_selectorELNS0_4arch9wavefront6targetE1EEEvSK_: ; @_ZN7rocprim17ROCPRIM_400000_NS6detail17trampoline_kernelINS0_14default_configENS1_22reduce_config_selectorIjEEZNS1_11reduce_implILb1ES3_N6thrust23THRUST_200600_302600_NS6detail15normal_iteratorINS8_10device_ptrIjEEEEPjjNS8_4plusIjEEEE10hipError_tPvRmT1_T2_T3_mT4_P12ihipStream_tbEUlT_E0_NS1_11comp_targetILNS1_3genE4ELNS1_11target_archE910ELNS1_3gpuE8ELNS1_3repE0EEENS1_30default_config_static_selectorELNS0_4arch9wavefront6targetE1EEEvSK_
; %bb.0:
	.section	.rodata,"a",@progbits
	.p2align	6, 0x0
	.amdhsa_kernel _ZN7rocprim17ROCPRIM_400000_NS6detail17trampoline_kernelINS0_14default_configENS1_22reduce_config_selectorIjEEZNS1_11reduce_implILb1ES3_N6thrust23THRUST_200600_302600_NS6detail15normal_iteratorINS8_10device_ptrIjEEEEPjjNS8_4plusIjEEEE10hipError_tPvRmT1_T2_T3_mT4_P12ihipStream_tbEUlT_E0_NS1_11comp_targetILNS1_3genE4ELNS1_11target_archE910ELNS1_3gpuE8ELNS1_3repE0EEENS1_30default_config_static_selectorELNS0_4arch9wavefront6targetE1EEEvSK_
		.amdhsa_group_segment_fixed_size 0
		.amdhsa_private_segment_fixed_size 0
		.amdhsa_kernarg_size 56
		.amdhsa_user_sgpr_count 2
		.amdhsa_user_sgpr_dispatch_ptr 0
		.amdhsa_user_sgpr_queue_ptr 0
		.amdhsa_user_sgpr_kernarg_segment_ptr 1
		.amdhsa_user_sgpr_dispatch_id 0
		.amdhsa_user_sgpr_kernarg_preload_length 0
		.amdhsa_user_sgpr_kernarg_preload_offset 0
		.amdhsa_user_sgpr_private_segment_size 0
		.amdhsa_uses_dynamic_stack 0
		.amdhsa_enable_private_segment 0
		.amdhsa_system_sgpr_workgroup_id_x 1
		.amdhsa_system_sgpr_workgroup_id_y 0
		.amdhsa_system_sgpr_workgroup_id_z 0
		.amdhsa_system_sgpr_workgroup_info 0
		.amdhsa_system_vgpr_workitem_id 0
		.amdhsa_next_free_vgpr 1
		.amdhsa_next_free_sgpr 0
		.amdhsa_accum_offset 4
		.amdhsa_reserve_vcc 0
		.amdhsa_float_round_mode_32 0
		.amdhsa_float_round_mode_16_64 0
		.amdhsa_float_denorm_mode_32 3
		.amdhsa_float_denorm_mode_16_64 3
		.amdhsa_dx10_clamp 1
		.amdhsa_ieee_mode 1
		.amdhsa_fp16_overflow 0
		.amdhsa_tg_split 0
		.amdhsa_exception_fp_ieee_invalid_op 0
		.amdhsa_exception_fp_denorm_src 0
		.amdhsa_exception_fp_ieee_div_zero 0
		.amdhsa_exception_fp_ieee_overflow 0
		.amdhsa_exception_fp_ieee_underflow 0
		.amdhsa_exception_fp_ieee_inexact 0
		.amdhsa_exception_int_div_zero 0
	.end_amdhsa_kernel
	.section	.text._ZN7rocprim17ROCPRIM_400000_NS6detail17trampoline_kernelINS0_14default_configENS1_22reduce_config_selectorIjEEZNS1_11reduce_implILb1ES3_N6thrust23THRUST_200600_302600_NS6detail15normal_iteratorINS8_10device_ptrIjEEEEPjjNS8_4plusIjEEEE10hipError_tPvRmT1_T2_T3_mT4_P12ihipStream_tbEUlT_E0_NS1_11comp_targetILNS1_3genE4ELNS1_11target_archE910ELNS1_3gpuE8ELNS1_3repE0EEENS1_30default_config_static_selectorELNS0_4arch9wavefront6targetE1EEEvSK_,"axG",@progbits,_ZN7rocprim17ROCPRIM_400000_NS6detail17trampoline_kernelINS0_14default_configENS1_22reduce_config_selectorIjEEZNS1_11reduce_implILb1ES3_N6thrust23THRUST_200600_302600_NS6detail15normal_iteratorINS8_10device_ptrIjEEEEPjjNS8_4plusIjEEEE10hipError_tPvRmT1_T2_T3_mT4_P12ihipStream_tbEUlT_E0_NS1_11comp_targetILNS1_3genE4ELNS1_11target_archE910ELNS1_3gpuE8ELNS1_3repE0EEENS1_30default_config_static_selectorELNS0_4arch9wavefront6targetE1EEEvSK_,comdat
.Lfunc_end133:
	.size	_ZN7rocprim17ROCPRIM_400000_NS6detail17trampoline_kernelINS0_14default_configENS1_22reduce_config_selectorIjEEZNS1_11reduce_implILb1ES3_N6thrust23THRUST_200600_302600_NS6detail15normal_iteratorINS8_10device_ptrIjEEEEPjjNS8_4plusIjEEEE10hipError_tPvRmT1_T2_T3_mT4_P12ihipStream_tbEUlT_E0_NS1_11comp_targetILNS1_3genE4ELNS1_11target_archE910ELNS1_3gpuE8ELNS1_3repE0EEENS1_30default_config_static_selectorELNS0_4arch9wavefront6targetE1EEEvSK_, .Lfunc_end133-_ZN7rocprim17ROCPRIM_400000_NS6detail17trampoline_kernelINS0_14default_configENS1_22reduce_config_selectorIjEEZNS1_11reduce_implILb1ES3_N6thrust23THRUST_200600_302600_NS6detail15normal_iteratorINS8_10device_ptrIjEEEEPjjNS8_4plusIjEEEE10hipError_tPvRmT1_T2_T3_mT4_P12ihipStream_tbEUlT_E0_NS1_11comp_targetILNS1_3genE4ELNS1_11target_archE910ELNS1_3gpuE8ELNS1_3repE0EEENS1_30default_config_static_selectorELNS0_4arch9wavefront6targetE1EEEvSK_
                                        ; -- End function
	.set _ZN7rocprim17ROCPRIM_400000_NS6detail17trampoline_kernelINS0_14default_configENS1_22reduce_config_selectorIjEEZNS1_11reduce_implILb1ES3_N6thrust23THRUST_200600_302600_NS6detail15normal_iteratorINS8_10device_ptrIjEEEEPjjNS8_4plusIjEEEE10hipError_tPvRmT1_T2_T3_mT4_P12ihipStream_tbEUlT_E0_NS1_11comp_targetILNS1_3genE4ELNS1_11target_archE910ELNS1_3gpuE8ELNS1_3repE0EEENS1_30default_config_static_selectorELNS0_4arch9wavefront6targetE1EEEvSK_.num_vgpr, 0
	.set _ZN7rocprim17ROCPRIM_400000_NS6detail17trampoline_kernelINS0_14default_configENS1_22reduce_config_selectorIjEEZNS1_11reduce_implILb1ES3_N6thrust23THRUST_200600_302600_NS6detail15normal_iteratorINS8_10device_ptrIjEEEEPjjNS8_4plusIjEEEE10hipError_tPvRmT1_T2_T3_mT4_P12ihipStream_tbEUlT_E0_NS1_11comp_targetILNS1_3genE4ELNS1_11target_archE910ELNS1_3gpuE8ELNS1_3repE0EEENS1_30default_config_static_selectorELNS0_4arch9wavefront6targetE1EEEvSK_.num_agpr, 0
	.set _ZN7rocprim17ROCPRIM_400000_NS6detail17trampoline_kernelINS0_14default_configENS1_22reduce_config_selectorIjEEZNS1_11reduce_implILb1ES3_N6thrust23THRUST_200600_302600_NS6detail15normal_iteratorINS8_10device_ptrIjEEEEPjjNS8_4plusIjEEEE10hipError_tPvRmT1_T2_T3_mT4_P12ihipStream_tbEUlT_E0_NS1_11comp_targetILNS1_3genE4ELNS1_11target_archE910ELNS1_3gpuE8ELNS1_3repE0EEENS1_30default_config_static_selectorELNS0_4arch9wavefront6targetE1EEEvSK_.numbered_sgpr, 0
	.set _ZN7rocprim17ROCPRIM_400000_NS6detail17trampoline_kernelINS0_14default_configENS1_22reduce_config_selectorIjEEZNS1_11reduce_implILb1ES3_N6thrust23THRUST_200600_302600_NS6detail15normal_iteratorINS8_10device_ptrIjEEEEPjjNS8_4plusIjEEEE10hipError_tPvRmT1_T2_T3_mT4_P12ihipStream_tbEUlT_E0_NS1_11comp_targetILNS1_3genE4ELNS1_11target_archE910ELNS1_3gpuE8ELNS1_3repE0EEENS1_30default_config_static_selectorELNS0_4arch9wavefront6targetE1EEEvSK_.num_named_barrier, 0
	.set _ZN7rocprim17ROCPRIM_400000_NS6detail17trampoline_kernelINS0_14default_configENS1_22reduce_config_selectorIjEEZNS1_11reduce_implILb1ES3_N6thrust23THRUST_200600_302600_NS6detail15normal_iteratorINS8_10device_ptrIjEEEEPjjNS8_4plusIjEEEE10hipError_tPvRmT1_T2_T3_mT4_P12ihipStream_tbEUlT_E0_NS1_11comp_targetILNS1_3genE4ELNS1_11target_archE910ELNS1_3gpuE8ELNS1_3repE0EEENS1_30default_config_static_selectorELNS0_4arch9wavefront6targetE1EEEvSK_.private_seg_size, 0
	.set _ZN7rocprim17ROCPRIM_400000_NS6detail17trampoline_kernelINS0_14default_configENS1_22reduce_config_selectorIjEEZNS1_11reduce_implILb1ES3_N6thrust23THRUST_200600_302600_NS6detail15normal_iteratorINS8_10device_ptrIjEEEEPjjNS8_4plusIjEEEE10hipError_tPvRmT1_T2_T3_mT4_P12ihipStream_tbEUlT_E0_NS1_11comp_targetILNS1_3genE4ELNS1_11target_archE910ELNS1_3gpuE8ELNS1_3repE0EEENS1_30default_config_static_selectorELNS0_4arch9wavefront6targetE1EEEvSK_.uses_vcc, 0
	.set _ZN7rocprim17ROCPRIM_400000_NS6detail17trampoline_kernelINS0_14default_configENS1_22reduce_config_selectorIjEEZNS1_11reduce_implILb1ES3_N6thrust23THRUST_200600_302600_NS6detail15normal_iteratorINS8_10device_ptrIjEEEEPjjNS8_4plusIjEEEE10hipError_tPvRmT1_T2_T3_mT4_P12ihipStream_tbEUlT_E0_NS1_11comp_targetILNS1_3genE4ELNS1_11target_archE910ELNS1_3gpuE8ELNS1_3repE0EEENS1_30default_config_static_selectorELNS0_4arch9wavefront6targetE1EEEvSK_.uses_flat_scratch, 0
	.set _ZN7rocprim17ROCPRIM_400000_NS6detail17trampoline_kernelINS0_14default_configENS1_22reduce_config_selectorIjEEZNS1_11reduce_implILb1ES3_N6thrust23THRUST_200600_302600_NS6detail15normal_iteratorINS8_10device_ptrIjEEEEPjjNS8_4plusIjEEEE10hipError_tPvRmT1_T2_T3_mT4_P12ihipStream_tbEUlT_E0_NS1_11comp_targetILNS1_3genE4ELNS1_11target_archE910ELNS1_3gpuE8ELNS1_3repE0EEENS1_30default_config_static_selectorELNS0_4arch9wavefront6targetE1EEEvSK_.has_dyn_sized_stack, 0
	.set _ZN7rocprim17ROCPRIM_400000_NS6detail17trampoline_kernelINS0_14default_configENS1_22reduce_config_selectorIjEEZNS1_11reduce_implILb1ES3_N6thrust23THRUST_200600_302600_NS6detail15normal_iteratorINS8_10device_ptrIjEEEEPjjNS8_4plusIjEEEE10hipError_tPvRmT1_T2_T3_mT4_P12ihipStream_tbEUlT_E0_NS1_11comp_targetILNS1_3genE4ELNS1_11target_archE910ELNS1_3gpuE8ELNS1_3repE0EEENS1_30default_config_static_selectorELNS0_4arch9wavefront6targetE1EEEvSK_.has_recursion, 0
	.set _ZN7rocprim17ROCPRIM_400000_NS6detail17trampoline_kernelINS0_14default_configENS1_22reduce_config_selectorIjEEZNS1_11reduce_implILb1ES3_N6thrust23THRUST_200600_302600_NS6detail15normal_iteratorINS8_10device_ptrIjEEEEPjjNS8_4plusIjEEEE10hipError_tPvRmT1_T2_T3_mT4_P12ihipStream_tbEUlT_E0_NS1_11comp_targetILNS1_3genE4ELNS1_11target_archE910ELNS1_3gpuE8ELNS1_3repE0EEENS1_30default_config_static_selectorELNS0_4arch9wavefront6targetE1EEEvSK_.has_indirect_call, 0
	.section	.AMDGPU.csdata,"",@progbits
; Kernel info:
; codeLenInByte = 0
; TotalNumSgprs: 6
; NumVgprs: 0
; NumAgprs: 0
; TotalNumVgprs: 0
; ScratchSize: 0
; MemoryBound: 0
; FloatMode: 240
; IeeeMode: 1
; LDSByteSize: 0 bytes/workgroup (compile time only)
; SGPRBlocks: 0
; VGPRBlocks: 0
; NumSGPRsForWavesPerEU: 6
; NumVGPRsForWavesPerEU: 1
; AccumOffset: 4
; Occupancy: 8
; WaveLimiterHint : 0
; COMPUTE_PGM_RSRC2:SCRATCH_EN: 0
; COMPUTE_PGM_RSRC2:USER_SGPR: 2
; COMPUTE_PGM_RSRC2:TRAP_HANDLER: 0
; COMPUTE_PGM_RSRC2:TGID_X_EN: 1
; COMPUTE_PGM_RSRC2:TGID_Y_EN: 0
; COMPUTE_PGM_RSRC2:TGID_Z_EN: 0
; COMPUTE_PGM_RSRC2:TIDIG_COMP_CNT: 0
; COMPUTE_PGM_RSRC3_GFX90A:ACCUM_OFFSET: 0
; COMPUTE_PGM_RSRC3_GFX90A:TG_SPLIT: 0
	.section	.text._ZN7rocprim17ROCPRIM_400000_NS6detail17trampoline_kernelINS0_14default_configENS1_22reduce_config_selectorIjEEZNS1_11reduce_implILb1ES3_N6thrust23THRUST_200600_302600_NS6detail15normal_iteratorINS8_10device_ptrIjEEEEPjjNS8_4plusIjEEEE10hipError_tPvRmT1_T2_T3_mT4_P12ihipStream_tbEUlT_E0_NS1_11comp_targetILNS1_3genE3ELNS1_11target_archE908ELNS1_3gpuE7ELNS1_3repE0EEENS1_30default_config_static_selectorELNS0_4arch9wavefront6targetE1EEEvSK_,"axG",@progbits,_ZN7rocprim17ROCPRIM_400000_NS6detail17trampoline_kernelINS0_14default_configENS1_22reduce_config_selectorIjEEZNS1_11reduce_implILb1ES3_N6thrust23THRUST_200600_302600_NS6detail15normal_iteratorINS8_10device_ptrIjEEEEPjjNS8_4plusIjEEEE10hipError_tPvRmT1_T2_T3_mT4_P12ihipStream_tbEUlT_E0_NS1_11comp_targetILNS1_3genE3ELNS1_11target_archE908ELNS1_3gpuE7ELNS1_3repE0EEENS1_30default_config_static_selectorELNS0_4arch9wavefront6targetE1EEEvSK_,comdat
	.protected	_ZN7rocprim17ROCPRIM_400000_NS6detail17trampoline_kernelINS0_14default_configENS1_22reduce_config_selectorIjEEZNS1_11reduce_implILb1ES3_N6thrust23THRUST_200600_302600_NS6detail15normal_iteratorINS8_10device_ptrIjEEEEPjjNS8_4plusIjEEEE10hipError_tPvRmT1_T2_T3_mT4_P12ihipStream_tbEUlT_E0_NS1_11comp_targetILNS1_3genE3ELNS1_11target_archE908ELNS1_3gpuE7ELNS1_3repE0EEENS1_30default_config_static_selectorELNS0_4arch9wavefront6targetE1EEEvSK_ ; -- Begin function _ZN7rocprim17ROCPRIM_400000_NS6detail17trampoline_kernelINS0_14default_configENS1_22reduce_config_selectorIjEEZNS1_11reduce_implILb1ES3_N6thrust23THRUST_200600_302600_NS6detail15normal_iteratorINS8_10device_ptrIjEEEEPjjNS8_4plusIjEEEE10hipError_tPvRmT1_T2_T3_mT4_P12ihipStream_tbEUlT_E0_NS1_11comp_targetILNS1_3genE3ELNS1_11target_archE908ELNS1_3gpuE7ELNS1_3repE0EEENS1_30default_config_static_selectorELNS0_4arch9wavefront6targetE1EEEvSK_
	.globl	_ZN7rocprim17ROCPRIM_400000_NS6detail17trampoline_kernelINS0_14default_configENS1_22reduce_config_selectorIjEEZNS1_11reduce_implILb1ES3_N6thrust23THRUST_200600_302600_NS6detail15normal_iteratorINS8_10device_ptrIjEEEEPjjNS8_4plusIjEEEE10hipError_tPvRmT1_T2_T3_mT4_P12ihipStream_tbEUlT_E0_NS1_11comp_targetILNS1_3genE3ELNS1_11target_archE908ELNS1_3gpuE7ELNS1_3repE0EEENS1_30default_config_static_selectorELNS0_4arch9wavefront6targetE1EEEvSK_
	.p2align	8
	.type	_ZN7rocprim17ROCPRIM_400000_NS6detail17trampoline_kernelINS0_14default_configENS1_22reduce_config_selectorIjEEZNS1_11reduce_implILb1ES3_N6thrust23THRUST_200600_302600_NS6detail15normal_iteratorINS8_10device_ptrIjEEEEPjjNS8_4plusIjEEEE10hipError_tPvRmT1_T2_T3_mT4_P12ihipStream_tbEUlT_E0_NS1_11comp_targetILNS1_3genE3ELNS1_11target_archE908ELNS1_3gpuE7ELNS1_3repE0EEENS1_30default_config_static_selectorELNS0_4arch9wavefront6targetE1EEEvSK_,@function
_ZN7rocprim17ROCPRIM_400000_NS6detail17trampoline_kernelINS0_14default_configENS1_22reduce_config_selectorIjEEZNS1_11reduce_implILb1ES3_N6thrust23THRUST_200600_302600_NS6detail15normal_iteratorINS8_10device_ptrIjEEEEPjjNS8_4plusIjEEEE10hipError_tPvRmT1_T2_T3_mT4_P12ihipStream_tbEUlT_E0_NS1_11comp_targetILNS1_3genE3ELNS1_11target_archE908ELNS1_3gpuE7ELNS1_3repE0EEENS1_30default_config_static_selectorELNS0_4arch9wavefront6targetE1EEEvSK_: ; @_ZN7rocprim17ROCPRIM_400000_NS6detail17trampoline_kernelINS0_14default_configENS1_22reduce_config_selectorIjEEZNS1_11reduce_implILb1ES3_N6thrust23THRUST_200600_302600_NS6detail15normal_iteratorINS8_10device_ptrIjEEEEPjjNS8_4plusIjEEEE10hipError_tPvRmT1_T2_T3_mT4_P12ihipStream_tbEUlT_E0_NS1_11comp_targetILNS1_3genE3ELNS1_11target_archE908ELNS1_3gpuE7ELNS1_3repE0EEENS1_30default_config_static_selectorELNS0_4arch9wavefront6targetE1EEEvSK_
; %bb.0:
	.section	.rodata,"a",@progbits
	.p2align	6, 0x0
	.amdhsa_kernel _ZN7rocprim17ROCPRIM_400000_NS6detail17trampoline_kernelINS0_14default_configENS1_22reduce_config_selectorIjEEZNS1_11reduce_implILb1ES3_N6thrust23THRUST_200600_302600_NS6detail15normal_iteratorINS8_10device_ptrIjEEEEPjjNS8_4plusIjEEEE10hipError_tPvRmT1_T2_T3_mT4_P12ihipStream_tbEUlT_E0_NS1_11comp_targetILNS1_3genE3ELNS1_11target_archE908ELNS1_3gpuE7ELNS1_3repE0EEENS1_30default_config_static_selectorELNS0_4arch9wavefront6targetE1EEEvSK_
		.amdhsa_group_segment_fixed_size 0
		.amdhsa_private_segment_fixed_size 0
		.amdhsa_kernarg_size 56
		.amdhsa_user_sgpr_count 2
		.amdhsa_user_sgpr_dispatch_ptr 0
		.amdhsa_user_sgpr_queue_ptr 0
		.amdhsa_user_sgpr_kernarg_segment_ptr 1
		.amdhsa_user_sgpr_dispatch_id 0
		.amdhsa_user_sgpr_kernarg_preload_length 0
		.amdhsa_user_sgpr_kernarg_preload_offset 0
		.amdhsa_user_sgpr_private_segment_size 0
		.amdhsa_uses_dynamic_stack 0
		.amdhsa_enable_private_segment 0
		.amdhsa_system_sgpr_workgroup_id_x 1
		.amdhsa_system_sgpr_workgroup_id_y 0
		.amdhsa_system_sgpr_workgroup_id_z 0
		.amdhsa_system_sgpr_workgroup_info 0
		.amdhsa_system_vgpr_workitem_id 0
		.amdhsa_next_free_vgpr 1
		.amdhsa_next_free_sgpr 0
		.amdhsa_accum_offset 4
		.amdhsa_reserve_vcc 0
		.amdhsa_float_round_mode_32 0
		.amdhsa_float_round_mode_16_64 0
		.amdhsa_float_denorm_mode_32 3
		.amdhsa_float_denorm_mode_16_64 3
		.amdhsa_dx10_clamp 1
		.amdhsa_ieee_mode 1
		.amdhsa_fp16_overflow 0
		.amdhsa_tg_split 0
		.amdhsa_exception_fp_ieee_invalid_op 0
		.amdhsa_exception_fp_denorm_src 0
		.amdhsa_exception_fp_ieee_div_zero 0
		.amdhsa_exception_fp_ieee_overflow 0
		.amdhsa_exception_fp_ieee_underflow 0
		.amdhsa_exception_fp_ieee_inexact 0
		.amdhsa_exception_int_div_zero 0
	.end_amdhsa_kernel
	.section	.text._ZN7rocprim17ROCPRIM_400000_NS6detail17trampoline_kernelINS0_14default_configENS1_22reduce_config_selectorIjEEZNS1_11reduce_implILb1ES3_N6thrust23THRUST_200600_302600_NS6detail15normal_iteratorINS8_10device_ptrIjEEEEPjjNS8_4plusIjEEEE10hipError_tPvRmT1_T2_T3_mT4_P12ihipStream_tbEUlT_E0_NS1_11comp_targetILNS1_3genE3ELNS1_11target_archE908ELNS1_3gpuE7ELNS1_3repE0EEENS1_30default_config_static_selectorELNS0_4arch9wavefront6targetE1EEEvSK_,"axG",@progbits,_ZN7rocprim17ROCPRIM_400000_NS6detail17trampoline_kernelINS0_14default_configENS1_22reduce_config_selectorIjEEZNS1_11reduce_implILb1ES3_N6thrust23THRUST_200600_302600_NS6detail15normal_iteratorINS8_10device_ptrIjEEEEPjjNS8_4plusIjEEEE10hipError_tPvRmT1_T2_T3_mT4_P12ihipStream_tbEUlT_E0_NS1_11comp_targetILNS1_3genE3ELNS1_11target_archE908ELNS1_3gpuE7ELNS1_3repE0EEENS1_30default_config_static_selectorELNS0_4arch9wavefront6targetE1EEEvSK_,comdat
.Lfunc_end134:
	.size	_ZN7rocprim17ROCPRIM_400000_NS6detail17trampoline_kernelINS0_14default_configENS1_22reduce_config_selectorIjEEZNS1_11reduce_implILb1ES3_N6thrust23THRUST_200600_302600_NS6detail15normal_iteratorINS8_10device_ptrIjEEEEPjjNS8_4plusIjEEEE10hipError_tPvRmT1_T2_T3_mT4_P12ihipStream_tbEUlT_E0_NS1_11comp_targetILNS1_3genE3ELNS1_11target_archE908ELNS1_3gpuE7ELNS1_3repE0EEENS1_30default_config_static_selectorELNS0_4arch9wavefront6targetE1EEEvSK_, .Lfunc_end134-_ZN7rocprim17ROCPRIM_400000_NS6detail17trampoline_kernelINS0_14default_configENS1_22reduce_config_selectorIjEEZNS1_11reduce_implILb1ES3_N6thrust23THRUST_200600_302600_NS6detail15normal_iteratorINS8_10device_ptrIjEEEEPjjNS8_4plusIjEEEE10hipError_tPvRmT1_T2_T3_mT4_P12ihipStream_tbEUlT_E0_NS1_11comp_targetILNS1_3genE3ELNS1_11target_archE908ELNS1_3gpuE7ELNS1_3repE0EEENS1_30default_config_static_selectorELNS0_4arch9wavefront6targetE1EEEvSK_
                                        ; -- End function
	.set _ZN7rocprim17ROCPRIM_400000_NS6detail17trampoline_kernelINS0_14default_configENS1_22reduce_config_selectorIjEEZNS1_11reduce_implILb1ES3_N6thrust23THRUST_200600_302600_NS6detail15normal_iteratorINS8_10device_ptrIjEEEEPjjNS8_4plusIjEEEE10hipError_tPvRmT1_T2_T3_mT4_P12ihipStream_tbEUlT_E0_NS1_11comp_targetILNS1_3genE3ELNS1_11target_archE908ELNS1_3gpuE7ELNS1_3repE0EEENS1_30default_config_static_selectorELNS0_4arch9wavefront6targetE1EEEvSK_.num_vgpr, 0
	.set _ZN7rocprim17ROCPRIM_400000_NS6detail17trampoline_kernelINS0_14default_configENS1_22reduce_config_selectorIjEEZNS1_11reduce_implILb1ES3_N6thrust23THRUST_200600_302600_NS6detail15normal_iteratorINS8_10device_ptrIjEEEEPjjNS8_4plusIjEEEE10hipError_tPvRmT1_T2_T3_mT4_P12ihipStream_tbEUlT_E0_NS1_11comp_targetILNS1_3genE3ELNS1_11target_archE908ELNS1_3gpuE7ELNS1_3repE0EEENS1_30default_config_static_selectorELNS0_4arch9wavefront6targetE1EEEvSK_.num_agpr, 0
	.set _ZN7rocprim17ROCPRIM_400000_NS6detail17trampoline_kernelINS0_14default_configENS1_22reduce_config_selectorIjEEZNS1_11reduce_implILb1ES3_N6thrust23THRUST_200600_302600_NS6detail15normal_iteratorINS8_10device_ptrIjEEEEPjjNS8_4plusIjEEEE10hipError_tPvRmT1_T2_T3_mT4_P12ihipStream_tbEUlT_E0_NS1_11comp_targetILNS1_3genE3ELNS1_11target_archE908ELNS1_3gpuE7ELNS1_3repE0EEENS1_30default_config_static_selectorELNS0_4arch9wavefront6targetE1EEEvSK_.numbered_sgpr, 0
	.set _ZN7rocprim17ROCPRIM_400000_NS6detail17trampoline_kernelINS0_14default_configENS1_22reduce_config_selectorIjEEZNS1_11reduce_implILb1ES3_N6thrust23THRUST_200600_302600_NS6detail15normal_iteratorINS8_10device_ptrIjEEEEPjjNS8_4plusIjEEEE10hipError_tPvRmT1_T2_T3_mT4_P12ihipStream_tbEUlT_E0_NS1_11comp_targetILNS1_3genE3ELNS1_11target_archE908ELNS1_3gpuE7ELNS1_3repE0EEENS1_30default_config_static_selectorELNS0_4arch9wavefront6targetE1EEEvSK_.num_named_barrier, 0
	.set _ZN7rocprim17ROCPRIM_400000_NS6detail17trampoline_kernelINS0_14default_configENS1_22reduce_config_selectorIjEEZNS1_11reduce_implILb1ES3_N6thrust23THRUST_200600_302600_NS6detail15normal_iteratorINS8_10device_ptrIjEEEEPjjNS8_4plusIjEEEE10hipError_tPvRmT1_T2_T3_mT4_P12ihipStream_tbEUlT_E0_NS1_11comp_targetILNS1_3genE3ELNS1_11target_archE908ELNS1_3gpuE7ELNS1_3repE0EEENS1_30default_config_static_selectorELNS0_4arch9wavefront6targetE1EEEvSK_.private_seg_size, 0
	.set _ZN7rocprim17ROCPRIM_400000_NS6detail17trampoline_kernelINS0_14default_configENS1_22reduce_config_selectorIjEEZNS1_11reduce_implILb1ES3_N6thrust23THRUST_200600_302600_NS6detail15normal_iteratorINS8_10device_ptrIjEEEEPjjNS8_4plusIjEEEE10hipError_tPvRmT1_T2_T3_mT4_P12ihipStream_tbEUlT_E0_NS1_11comp_targetILNS1_3genE3ELNS1_11target_archE908ELNS1_3gpuE7ELNS1_3repE0EEENS1_30default_config_static_selectorELNS0_4arch9wavefront6targetE1EEEvSK_.uses_vcc, 0
	.set _ZN7rocprim17ROCPRIM_400000_NS6detail17trampoline_kernelINS0_14default_configENS1_22reduce_config_selectorIjEEZNS1_11reduce_implILb1ES3_N6thrust23THRUST_200600_302600_NS6detail15normal_iteratorINS8_10device_ptrIjEEEEPjjNS8_4plusIjEEEE10hipError_tPvRmT1_T2_T3_mT4_P12ihipStream_tbEUlT_E0_NS1_11comp_targetILNS1_3genE3ELNS1_11target_archE908ELNS1_3gpuE7ELNS1_3repE0EEENS1_30default_config_static_selectorELNS0_4arch9wavefront6targetE1EEEvSK_.uses_flat_scratch, 0
	.set _ZN7rocprim17ROCPRIM_400000_NS6detail17trampoline_kernelINS0_14default_configENS1_22reduce_config_selectorIjEEZNS1_11reduce_implILb1ES3_N6thrust23THRUST_200600_302600_NS6detail15normal_iteratorINS8_10device_ptrIjEEEEPjjNS8_4plusIjEEEE10hipError_tPvRmT1_T2_T3_mT4_P12ihipStream_tbEUlT_E0_NS1_11comp_targetILNS1_3genE3ELNS1_11target_archE908ELNS1_3gpuE7ELNS1_3repE0EEENS1_30default_config_static_selectorELNS0_4arch9wavefront6targetE1EEEvSK_.has_dyn_sized_stack, 0
	.set _ZN7rocprim17ROCPRIM_400000_NS6detail17trampoline_kernelINS0_14default_configENS1_22reduce_config_selectorIjEEZNS1_11reduce_implILb1ES3_N6thrust23THRUST_200600_302600_NS6detail15normal_iteratorINS8_10device_ptrIjEEEEPjjNS8_4plusIjEEEE10hipError_tPvRmT1_T2_T3_mT4_P12ihipStream_tbEUlT_E0_NS1_11comp_targetILNS1_3genE3ELNS1_11target_archE908ELNS1_3gpuE7ELNS1_3repE0EEENS1_30default_config_static_selectorELNS0_4arch9wavefront6targetE1EEEvSK_.has_recursion, 0
	.set _ZN7rocprim17ROCPRIM_400000_NS6detail17trampoline_kernelINS0_14default_configENS1_22reduce_config_selectorIjEEZNS1_11reduce_implILb1ES3_N6thrust23THRUST_200600_302600_NS6detail15normal_iteratorINS8_10device_ptrIjEEEEPjjNS8_4plusIjEEEE10hipError_tPvRmT1_T2_T3_mT4_P12ihipStream_tbEUlT_E0_NS1_11comp_targetILNS1_3genE3ELNS1_11target_archE908ELNS1_3gpuE7ELNS1_3repE0EEENS1_30default_config_static_selectorELNS0_4arch9wavefront6targetE1EEEvSK_.has_indirect_call, 0
	.section	.AMDGPU.csdata,"",@progbits
; Kernel info:
; codeLenInByte = 0
; TotalNumSgprs: 6
; NumVgprs: 0
; NumAgprs: 0
; TotalNumVgprs: 0
; ScratchSize: 0
; MemoryBound: 0
; FloatMode: 240
; IeeeMode: 1
; LDSByteSize: 0 bytes/workgroup (compile time only)
; SGPRBlocks: 0
; VGPRBlocks: 0
; NumSGPRsForWavesPerEU: 6
; NumVGPRsForWavesPerEU: 1
; AccumOffset: 4
; Occupancy: 8
; WaveLimiterHint : 0
; COMPUTE_PGM_RSRC2:SCRATCH_EN: 0
; COMPUTE_PGM_RSRC2:USER_SGPR: 2
; COMPUTE_PGM_RSRC2:TRAP_HANDLER: 0
; COMPUTE_PGM_RSRC2:TGID_X_EN: 1
; COMPUTE_PGM_RSRC2:TGID_Y_EN: 0
; COMPUTE_PGM_RSRC2:TGID_Z_EN: 0
; COMPUTE_PGM_RSRC2:TIDIG_COMP_CNT: 0
; COMPUTE_PGM_RSRC3_GFX90A:ACCUM_OFFSET: 0
; COMPUTE_PGM_RSRC3_GFX90A:TG_SPLIT: 0
	.section	.text._ZN7rocprim17ROCPRIM_400000_NS6detail17trampoline_kernelINS0_14default_configENS1_22reduce_config_selectorIjEEZNS1_11reduce_implILb1ES3_N6thrust23THRUST_200600_302600_NS6detail15normal_iteratorINS8_10device_ptrIjEEEEPjjNS8_4plusIjEEEE10hipError_tPvRmT1_T2_T3_mT4_P12ihipStream_tbEUlT_E0_NS1_11comp_targetILNS1_3genE2ELNS1_11target_archE906ELNS1_3gpuE6ELNS1_3repE0EEENS1_30default_config_static_selectorELNS0_4arch9wavefront6targetE1EEEvSK_,"axG",@progbits,_ZN7rocprim17ROCPRIM_400000_NS6detail17trampoline_kernelINS0_14default_configENS1_22reduce_config_selectorIjEEZNS1_11reduce_implILb1ES3_N6thrust23THRUST_200600_302600_NS6detail15normal_iteratorINS8_10device_ptrIjEEEEPjjNS8_4plusIjEEEE10hipError_tPvRmT1_T2_T3_mT4_P12ihipStream_tbEUlT_E0_NS1_11comp_targetILNS1_3genE2ELNS1_11target_archE906ELNS1_3gpuE6ELNS1_3repE0EEENS1_30default_config_static_selectorELNS0_4arch9wavefront6targetE1EEEvSK_,comdat
	.protected	_ZN7rocprim17ROCPRIM_400000_NS6detail17trampoline_kernelINS0_14default_configENS1_22reduce_config_selectorIjEEZNS1_11reduce_implILb1ES3_N6thrust23THRUST_200600_302600_NS6detail15normal_iteratorINS8_10device_ptrIjEEEEPjjNS8_4plusIjEEEE10hipError_tPvRmT1_T2_T3_mT4_P12ihipStream_tbEUlT_E0_NS1_11comp_targetILNS1_3genE2ELNS1_11target_archE906ELNS1_3gpuE6ELNS1_3repE0EEENS1_30default_config_static_selectorELNS0_4arch9wavefront6targetE1EEEvSK_ ; -- Begin function _ZN7rocprim17ROCPRIM_400000_NS6detail17trampoline_kernelINS0_14default_configENS1_22reduce_config_selectorIjEEZNS1_11reduce_implILb1ES3_N6thrust23THRUST_200600_302600_NS6detail15normal_iteratorINS8_10device_ptrIjEEEEPjjNS8_4plusIjEEEE10hipError_tPvRmT1_T2_T3_mT4_P12ihipStream_tbEUlT_E0_NS1_11comp_targetILNS1_3genE2ELNS1_11target_archE906ELNS1_3gpuE6ELNS1_3repE0EEENS1_30default_config_static_selectorELNS0_4arch9wavefront6targetE1EEEvSK_
	.globl	_ZN7rocprim17ROCPRIM_400000_NS6detail17trampoline_kernelINS0_14default_configENS1_22reduce_config_selectorIjEEZNS1_11reduce_implILb1ES3_N6thrust23THRUST_200600_302600_NS6detail15normal_iteratorINS8_10device_ptrIjEEEEPjjNS8_4plusIjEEEE10hipError_tPvRmT1_T2_T3_mT4_P12ihipStream_tbEUlT_E0_NS1_11comp_targetILNS1_3genE2ELNS1_11target_archE906ELNS1_3gpuE6ELNS1_3repE0EEENS1_30default_config_static_selectorELNS0_4arch9wavefront6targetE1EEEvSK_
	.p2align	8
	.type	_ZN7rocprim17ROCPRIM_400000_NS6detail17trampoline_kernelINS0_14default_configENS1_22reduce_config_selectorIjEEZNS1_11reduce_implILb1ES3_N6thrust23THRUST_200600_302600_NS6detail15normal_iteratorINS8_10device_ptrIjEEEEPjjNS8_4plusIjEEEE10hipError_tPvRmT1_T2_T3_mT4_P12ihipStream_tbEUlT_E0_NS1_11comp_targetILNS1_3genE2ELNS1_11target_archE906ELNS1_3gpuE6ELNS1_3repE0EEENS1_30default_config_static_selectorELNS0_4arch9wavefront6targetE1EEEvSK_,@function
_ZN7rocprim17ROCPRIM_400000_NS6detail17trampoline_kernelINS0_14default_configENS1_22reduce_config_selectorIjEEZNS1_11reduce_implILb1ES3_N6thrust23THRUST_200600_302600_NS6detail15normal_iteratorINS8_10device_ptrIjEEEEPjjNS8_4plusIjEEEE10hipError_tPvRmT1_T2_T3_mT4_P12ihipStream_tbEUlT_E0_NS1_11comp_targetILNS1_3genE2ELNS1_11target_archE906ELNS1_3gpuE6ELNS1_3repE0EEENS1_30default_config_static_selectorELNS0_4arch9wavefront6targetE1EEEvSK_: ; @_ZN7rocprim17ROCPRIM_400000_NS6detail17trampoline_kernelINS0_14default_configENS1_22reduce_config_selectorIjEEZNS1_11reduce_implILb1ES3_N6thrust23THRUST_200600_302600_NS6detail15normal_iteratorINS8_10device_ptrIjEEEEPjjNS8_4plusIjEEEE10hipError_tPvRmT1_T2_T3_mT4_P12ihipStream_tbEUlT_E0_NS1_11comp_targetILNS1_3genE2ELNS1_11target_archE906ELNS1_3gpuE6ELNS1_3repE0EEENS1_30default_config_static_selectorELNS0_4arch9wavefront6targetE1EEEvSK_
; %bb.0:
	.section	.rodata,"a",@progbits
	.p2align	6, 0x0
	.amdhsa_kernel _ZN7rocprim17ROCPRIM_400000_NS6detail17trampoline_kernelINS0_14default_configENS1_22reduce_config_selectorIjEEZNS1_11reduce_implILb1ES3_N6thrust23THRUST_200600_302600_NS6detail15normal_iteratorINS8_10device_ptrIjEEEEPjjNS8_4plusIjEEEE10hipError_tPvRmT1_T2_T3_mT4_P12ihipStream_tbEUlT_E0_NS1_11comp_targetILNS1_3genE2ELNS1_11target_archE906ELNS1_3gpuE6ELNS1_3repE0EEENS1_30default_config_static_selectorELNS0_4arch9wavefront6targetE1EEEvSK_
		.amdhsa_group_segment_fixed_size 0
		.amdhsa_private_segment_fixed_size 0
		.amdhsa_kernarg_size 56
		.amdhsa_user_sgpr_count 2
		.amdhsa_user_sgpr_dispatch_ptr 0
		.amdhsa_user_sgpr_queue_ptr 0
		.amdhsa_user_sgpr_kernarg_segment_ptr 1
		.amdhsa_user_sgpr_dispatch_id 0
		.amdhsa_user_sgpr_kernarg_preload_length 0
		.amdhsa_user_sgpr_kernarg_preload_offset 0
		.amdhsa_user_sgpr_private_segment_size 0
		.amdhsa_uses_dynamic_stack 0
		.amdhsa_enable_private_segment 0
		.amdhsa_system_sgpr_workgroup_id_x 1
		.amdhsa_system_sgpr_workgroup_id_y 0
		.amdhsa_system_sgpr_workgroup_id_z 0
		.amdhsa_system_sgpr_workgroup_info 0
		.amdhsa_system_vgpr_workitem_id 0
		.amdhsa_next_free_vgpr 1
		.amdhsa_next_free_sgpr 0
		.amdhsa_accum_offset 4
		.amdhsa_reserve_vcc 0
		.amdhsa_float_round_mode_32 0
		.amdhsa_float_round_mode_16_64 0
		.amdhsa_float_denorm_mode_32 3
		.amdhsa_float_denorm_mode_16_64 3
		.amdhsa_dx10_clamp 1
		.amdhsa_ieee_mode 1
		.amdhsa_fp16_overflow 0
		.amdhsa_tg_split 0
		.amdhsa_exception_fp_ieee_invalid_op 0
		.amdhsa_exception_fp_denorm_src 0
		.amdhsa_exception_fp_ieee_div_zero 0
		.amdhsa_exception_fp_ieee_overflow 0
		.amdhsa_exception_fp_ieee_underflow 0
		.amdhsa_exception_fp_ieee_inexact 0
		.amdhsa_exception_int_div_zero 0
	.end_amdhsa_kernel
	.section	.text._ZN7rocprim17ROCPRIM_400000_NS6detail17trampoline_kernelINS0_14default_configENS1_22reduce_config_selectorIjEEZNS1_11reduce_implILb1ES3_N6thrust23THRUST_200600_302600_NS6detail15normal_iteratorINS8_10device_ptrIjEEEEPjjNS8_4plusIjEEEE10hipError_tPvRmT1_T2_T3_mT4_P12ihipStream_tbEUlT_E0_NS1_11comp_targetILNS1_3genE2ELNS1_11target_archE906ELNS1_3gpuE6ELNS1_3repE0EEENS1_30default_config_static_selectorELNS0_4arch9wavefront6targetE1EEEvSK_,"axG",@progbits,_ZN7rocprim17ROCPRIM_400000_NS6detail17trampoline_kernelINS0_14default_configENS1_22reduce_config_selectorIjEEZNS1_11reduce_implILb1ES3_N6thrust23THRUST_200600_302600_NS6detail15normal_iteratorINS8_10device_ptrIjEEEEPjjNS8_4plusIjEEEE10hipError_tPvRmT1_T2_T3_mT4_P12ihipStream_tbEUlT_E0_NS1_11comp_targetILNS1_3genE2ELNS1_11target_archE906ELNS1_3gpuE6ELNS1_3repE0EEENS1_30default_config_static_selectorELNS0_4arch9wavefront6targetE1EEEvSK_,comdat
.Lfunc_end135:
	.size	_ZN7rocprim17ROCPRIM_400000_NS6detail17trampoline_kernelINS0_14default_configENS1_22reduce_config_selectorIjEEZNS1_11reduce_implILb1ES3_N6thrust23THRUST_200600_302600_NS6detail15normal_iteratorINS8_10device_ptrIjEEEEPjjNS8_4plusIjEEEE10hipError_tPvRmT1_T2_T3_mT4_P12ihipStream_tbEUlT_E0_NS1_11comp_targetILNS1_3genE2ELNS1_11target_archE906ELNS1_3gpuE6ELNS1_3repE0EEENS1_30default_config_static_selectorELNS0_4arch9wavefront6targetE1EEEvSK_, .Lfunc_end135-_ZN7rocprim17ROCPRIM_400000_NS6detail17trampoline_kernelINS0_14default_configENS1_22reduce_config_selectorIjEEZNS1_11reduce_implILb1ES3_N6thrust23THRUST_200600_302600_NS6detail15normal_iteratorINS8_10device_ptrIjEEEEPjjNS8_4plusIjEEEE10hipError_tPvRmT1_T2_T3_mT4_P12ihipStream_tbEUlT_E0_NS1_11comp_targetILNS1_3genE2ELNS1_11target_archE906ELNS1_3gpuE6ELNS1_3repE0EEENS1_30default_config_static_selectorELNS0_4arch9wavefront6targetE1EEEvSK_
                                        ; -- End function
	.set _ZN7rocprim17ROCPRIM_400000_NS6detail17trampoline_kernelINS0_14default_configENS1_22reduce_config_selectorIjEEZNS1_11reduce_implILb1ES3_N6thrust23THRUST_200600_302600_NS6detail15normal_iteratorINS8_10device_ptrIjEEEEPjjNS8_4plusIjEEEE10hipError_tPvRmT1_T2_T3_mT4_P12ihipStream_tbEUlT_E0_NS1_11comp_targetILNS1_3genE2ELNS1_11target_archE906ELNS1_3gpuE6ELNS1_3repE0EEENS1_30default_config_static_selectorELNS0_4arch9wavefront6targetE1EEEvSK_.num_vgpr, 0
	.set _ZN7rocprim17ROCPRIM_400000_NS6detail17trampoline_kernelINS0_14default_configENS1_22reduce_config_selectorIjEEZNS1_11reduce_implILb1ES3_N6thrust23THRUST_200600_302600_NS6detail15normal_iteratorINS8_10device_ptrIjEEEEPjjNS8_4plusIjEEEE10hipError_tPvRmT1_T2_T3_mT4_P12ihipStream_tbEUlT_E0_NS1_11comp_targetILNS1_3genE2ELNS1_11target_archE906ELNS1_3gpuE6ELNS1_3repE0EEENS1_30default_config_static_selectorELNS0_4arch9wavefront6targetE1EEEvSK_.num_agpr, 0
	.set _ZN7rocprim17ROCPRIM_400000_NS6detail17trampoline_kernelINS0_14default_configENS1_22reduce_config_selectorIjEEZNS1_11reduce_implILb1ES3_N6thrust23THRUST_200600_302600_NS6detail15normal_iteratorINS8_10device_ptrIjEEEEPjjNS8_4plusIjEEEE10hipError_tPvRmT1_T2_T3_mT4_P12ihipStream_tbEUlT_E0_NS1_11comp_targetILNS1_3genE2ELNS1_11target_archE906ELNS1_3gpuE6ELNS1_3repE0EEENS1_30default_config_static_selectorELNS0_4arch9wavefront6targetE1EEEvSK_.numbered_sgpr, 0
	.set _ZN7rocprim17ROCPRIM_400000_NS6detail17trampoline_kernelINS0_14default_configENS1_22reduce_config_selectorIjEEZNS1_11reduce_implILb1ES3_N6thrust23THRUST_200600_302600_NS6detail15normal_iteratorINS8_10device_ptrIjEEEEPjjNS8_4plusIjEEEE10hipError_tPvRmT1_T2_T3_mT4_P12ihipStream_tbEUlT_E0_NS1_11comp_targetILNS1_3genE2ELNS1_11target_archE906ELNS1_3gpuE6ELNS1_3repE0EEENS1_30default_config_static_selectorELNS0_4arch9wavefront6targetE1EEEvSK_.num_named_barrier, 0
	.set _ZN7rocprim17ROCPRIM_400000_NS6detail17trampoline_kernelINS0_14default_configENS1_22reduce_config_selectorIjEEZNS1_11reduce_implILb1ES3_N6thrust23THRUST_200600_302600_NS6detail15normal_iteratorINS8_10device_ptrIjEEEEPjjNS8_4plusIjEEEE10hipError_tPvRmT1_T2_T3_mT4_P12ihipStream_tbEUlT_E0_NS1_11comp_targetILNS1_3genE2ELNS1_11target_archE906ELNS1_3gpuE6ELNS1_3repE0EEENS1_30default_config_static_selectorELNS0_4arch9wavefront6targetE1EEEvSK_.private_seg_size, 0
	.set _ZN7rocprim17ROCPRIM_400000_NS6detail17trampoline_kernelINS0_14default_configENS1_22reduce_config_selectorIjEEZNS1_11reduce_implILb1ES3_N6thrust23THRUST_200600_302600_NS6detail15normal_iteratorINS8_10device_ptrIjEEEEPjjNS8_4plusIjEEEE10hipError_tPvRmT1_T2_T3_mT4_P12ihipStream_tbEUlT_E0_NS1_11comp_targetILNS1_3genE2ELNS1_11target_archE906ELNS1_3gpuE6ELNS1_3repE0EEENS1_30default_config_static_selectorELNS0_4arch9wavefront6targetE1EEEvSK_.uses_vcc, 0
	.set _ZN7rocprim17ROCPRIM_400000_NS6detail17trampoline_kernelINS0_14default_configENS1_22reduce_config_selectorIjEEZNS1_11reduce_implILb1ES3_N6thrust23THRUST_200600_302600_NS6detail15normal_iteratorINS8_10device_ptrIjEEEEPjjNS8_4plusIjEEEE10hipError_tPvRmT1_T2_T3_mT4_P12ihipStream_tbEUlT_E0_NS1_11comp_targetILNS1_3genE2ELNS1_11target_archE906ELNS1_3gpuE6ELNS1_3repE0EEENS1_30default_config_static_selectorELNS0_4arch9wavefront6targetE1EEEvSK_.uses_flat_scratch, 0
	.set _ZN7rocprim17ROCPRIM_400000_NS6detail17trampoline_kernelINS0_14default_configENS1_22reduce_config_selectorIjEEZNS1_11reduce_implILb1ES3_N6thrust23THRUST_200600_302600_NS6detail15normal_iteratorINS8_10device_ptrIjEEEEPjjNS8_4plusIjEEEE10hipError_tPvRmT1_T2_T3_mT4_P12ihipStream_tbEUlT_E0_NS1_11comp_targetILNS1_3genE2ELNS1_11target_archE906ELNS1_3gpuE6ELNS1_3repE0EEENS1_30default_config_static_selectorELNS0_4arch9wavefront6targetE1EEEvSK_.has_dyn_sized_stack, 0
	.set _ZN7rocprim17ROCPRIM_400000_NS6detail17trampoline_kernelINS0_14default_configENS1_22reduce_config_selectorIjEEZNS1_11reduce_implILb1ES3_N6thrust23THRUST_200600_302600_NS6detail15normal_iteratorINS8_10device_ptrIjEEEEPjjNS8_4plusIjEEEE10hipError_tPvRmT1_T2_T3_mT4_P12ihipStream_tbEUlT_E0_NS1_11comp_targetILNS1_3genE2ELNS1_11target_archE906ELNS1_3gpuE6ELNS1_3repE0EEENS1_30default_config_static_selectorELNS0_4arch9wavefront6targetE1EEEvSK_.has_recursion, 0
	.set _ZN7rocprim17ROCPRIM_400000_NS6detail17trampoline_kernelINS0_14default_configENS1_22reduce_config_selectorIjEEZNS1_11reduce_implILb1ES3_N6thrust23THRUST_200600_302600_NS6detail15normal_iteratorINS8_10device_ptrIjEEEEPjjNS8_4plusIjEEEE10hipError_tPvRmT1_T2_T3_mT4_P12ihipStream_tbEUlT_E0_NS1_11comp_targetILNS1_3genE2ELNS1_11target_archE906ELNS1_3gpuE6ELNS1_3repE0EEENS1_30default_config_static_selectorELNS0_4arch9wavefront6targetE1EEEvSK_.has_indirect_call, 0
	.section	.AMDGPU.csdata,"",@progbits
; Kernel info:
; codeLenInByte = 0
; TotalNumSgprs: 6
; NumVgprs: 0
; NumAgprs: 0
; TotalNumVgprs: 0
; ScratchSize: 0
; MemoryBound: 0
; FloatMode: 240
; IeeeMode: 1
; LDSByteSize: 0 bytes/workgroup (compile time only)
; SGPRBlocks: 0
; VGPRBlocks: 0
; NumSGPRsForWavesPerEU: 6
; NumVGPRsForWavesPerEU: 1
; AccumOffset: 4
; Occupancy: 8
; WaveLimiterHint : 0
; COMPUTE_PGM_RSRC2:SCRATCH_EN: 0
; COMPUTE_PGM_RSRC2:USER_SGPR: 2
; COMPUTE_PGM_RSRC2:TRAP_HANDLER: 0
; COMPUTE_PGM_RSRC2:TGID_X_EN: 1
; COMPUTE_PGM_RSRC2:TGID_Y_EN: 0
; COMPUTE_PGM_RSRC2:TGID_Z_EN: 0
; COMPUTE_PGM_RSRC2:TIDIG_COMP_CNT: 0
; COMPUTE_PGM_RSRC3_GFX90A:ACCUM_OFFSET: 0
; COMPUTE_PGM_RSRC3_GFX90A:TG_SPLIT: 0
	.section	.text._ZN7rocprim17ROCPRIM_400000_NS6detail17trampoline_kernelINS0_14default_configENS1_22reduce_config_selectorIjEEZNS1_11reduce_implILb1ES3_N6thrust23THRUST_200600_302600_NS6detail15normal_iteratorINS8_10device_ptrIjEEEEPjjNS8_4plusIjEEEE10hipError_tPvRmT1_T2_T3_mT4_P12ihipStream_tbEUlT_E0_NS1_11comp_targetILNS1_3genE10ELNS1_11target_archE1201ELNS1_3gpuE5ELNS1_3repE0EEENS1_30default_config_static_selectorELNS0_4arch9wavefront6targetE1EEEvSK_,"axG",@progbits,_ZN7rocprim17ROCPRIM_400000_NS6detail17trampoline_kernelINS0_14default_configENS1_22reduce_config_selectorIjEEZNS1_11reduce_implILb1ES3_N6thrust23THRUST_200600_302600_NS6detail15normal_iteratorINS8_10device_ptrIjEEEEPjjNS8_4plusIjEEEE10hipError_tPvRmT1_T2_T3_mT4_P12ihipStream_tbEUlT_E0_NS1_11comp_targetILNS1_3genE10ELNS1_11target_archE1201ELNS1_3gpuE5ELNS1_3repE0EEENS1_30default_config_static_selectorELNS0_4arch9wavefront6targetE1EEEvSK_,comdat
	.protected	_ZN7rocprim17ROCPRIM_400000_NS6detail17trampoline_kernelINS0_14default_configENS1_22reduce_config_selectorIjEEZNS1_11reduce_implILb1ES3_N6thrust23THRUST_200600_302600_NS6detail15normal_iteratorINS8_10device_ptrIjEEEEPjjNS8_4plusIjEEEE10hipError_tPvRmT1_T2_T3_mT4_P12ihipStream_tbEUlT_E0_NS1_11comp_targetILNS1_3genE10ELNS1_11target_archE1201ELNS1_3gpuE5ELNS1_3repE0EEENS1_30default_config_static_selectorELNS0_4arch9wavefront6targetE1EEEvSK_ ; -- Begin function _ZN7rocprim17ROCPRIM_400000_NS6detail17trampoline_kernelINS0_14default_configENS1_22reduce_config_selectorIjEEZNS1_11reduce_implILb1ES3_N6thrust23THRUST_200600_302600_NS6detail15normal_iteratorINS8_10device_ptrIjEEEEPjjNS8_4plusIjEEEE10hipError_tPvRmT1_T2_T3_mT4_P12ihipStream_tbEUlT_E0_NS1_11comp_targetILNS1_3genE10ELNS1_11target_archE1201ELNS1_3gpuE5ELNS1_3repE0EEENS1_30default_config_static_selectorELNS0_4arch9wavefront6targetE1EEEvSK_
	.globl	_ZN7rocprim17ROCPRIM_400000_NS6detail17trampoline_kernelINS0_14default_configENS1_22reduce_config_selectorIjEEZNS1_11reduce_implILb1ES3_N6thrust23THRUST_200600_302600_NS6detail15normal_iteratorINS8_10device_ptrIjEEEEPjjNS8_4plusIjEEEE10hipError_tPvRmT1_T2_T3_mT4_P12ihipStream_tbEUlT_E0_NS1_11comp_targetILNS1_3genE10ELNS1_11target_archE1201ELNS1_3gpuE5ELNS1_3repE0EEENS1_30default_config_static_selectorELNS0_4arch9wavefront6targetE1EEEvSK_
	.p2align	8
	.type	_ZN7rocprim17ROCPRIM_400000_NS6detail17trampoline_kernelINS0_14default_configENS1_22reduce_config_selectorIjEEZNS1_11reduce_implILb1ES3_N6thrust23THRUST_200600_302600_NS6detail15normal_iteratorINS8_10device_ptrIjEEEEPjjNS8_4plusIjEEEE10hipError_tPvRmT1_T2_T3_mT4_P12ihipStream_tbEUlT_E0_NS1_11comp_targetILNS1_3genE10ELNS1_11target_archE1201ELNS1_3gpuE5ELNS1_3repE0EEENS1_30default_config_static_selectorELNS0_4arch9wavefront6targetE1EEEvSK_,@function
_ZN7rocprim17ROCPRIM_400000_NS6detail17trampoline_kernelINS0_14default_configENS1_22reduce_config_selectorIjEEZNS1_11reduce_implILb1ES3_N6thrust23THRUST_200600_302600_NS6detail15normal_iteratorINS8_10device_ptrIjEEEEPjjNS8_4plusIjEEEE10hipError_tPvRmT1_T2_T3_mT4_P12ihipStream_tbEUlT_E0_NS1_11comp_targetILNS1_3genE10ELNS1_11target_archE1201ELNS1_3gpuE5ELNS1_3repE0EEENS1_30default_config_static_selectorELNS0_4arch9wavefront6targetE1EEEvSK_: ; @_ZN7rocprim17ROCPRIM_400000_NS6detail17trampoline_kernelINS0_14default_configENS1_22reduce_config_selectorIjEEZNS1_11reduce_implILb1ES3_N6thrust23THRUST_200600_302600_NS6detail15normal_iteratorINS8_10device_ptrIjEEEEPjjNS8_4plusIjEEEE10hipError_tPvRmT1_T2_T3_mT4_P12ihipStream_tbEUlT_E0_NS1_11comp_targetILNS1_3genE10ELNS1_11target_archE1201ELNS1_3gpuE5ELNS1_3repE0EEENS1_30default_config_static_selectorELNS0_4arch9wavefront6targetE1EEEvSK_
; %bb.0:
	.section	.rodata,"a",@progbits
	.p2align	6, 0x0
	.amdhsa_kernel _ZN7rocprim17ROCPRIM_400000_NS6detail17trampoline_kernelINS0_14default_configENS1_22reduce_config_selectorIjEEZNS1_11reduce_implILb1ES3_N6thrust23THRUST_200600_302600_NS6detail15normal_iteratorINS8_10device_ptrIjEEEEPjjNS8_4plusIjEEEE10hipError_tPvRmT1_T2_T3_mT4_P12ihipStream_tbEUlT_E0_NS1_11comp_targetILNS1_3genE10ELNS1_11target_archE1201ELNS1_3gpuE5ELNS1_3repE0EEENS1_30default_config_static_selectorELNS0_4arch9wavefront6targetE1EEEvSK_
		.amdhsa_group_segment_fixed_size 0
		.amdhsa_private_segment_fixed_size 0
		.amdhsa_kernarg_size 56
		.amdhsa_user_sgpr_count 2
		.amdhsa_user_sgpr_dispatch_ptr 0
		.amdhsa_user_sgpr_queue_ptr 0
		.amdhsa_user_sgpr_kernarg_segment_ptr 1
		.amdhsa_user_sgpr_dispatch_id 0
		.amdhsa_user_sgpr_kernarg_preload_length 0
		.amdhsa_user_sgpr_kernarg_preload_offset 0
		.amdhsa_user_sgpr_private_segment_size 0
		.amdhsa_uses_dynamic_stack 0
		.amdhsa_enable_private_segment 0
		.amdhsa_system_sgpr_workgroup_id_x 1
		.amdhsa_system_sgpr_workgroup_id_y 0
		.amdhsa_system_sgpr_workgroup_id_z 0
		.amdhsa_system_sgpr_workgroup_info 0
		.amdhsa_system_vgpr_workitem_id 0
		.amdhsa_next_free_vgpr 1
		.amdhsa_next_free_sgpr 0
		.amdhsa_accum_offset 4
		.amdhsa_reserve_vcc 0
		.amdhsa_float_round_mode_32 0
		.amdhsa_float_round_mode_16_64 0
		.amdhsa_float_denorm_mode_32 3
		.amdhsa_float_denorm_mode_16_64 3
		.amdhsa_dx10_clamp 1
		.amdhsa_ieee_mode 1
		.amdhsa_fp16_overflow 0
		.amdhsa_tg_split 0
		.amdhsa_exception_fp_ieee_invalid_op 0
		.amdhsa_exception_fp_denorm_src 0
		.amdhsa_exception_fp_ieee_div_zero 0
		.amdhsa_exception_fp_ieee_overflow 0
		.amdhsa_exception_fp_ieee_underflow 0
		.amdhsa_exception_fp_ieee_inexact 0
		.amdhsa_exception_int_div_zero 0
	.end_amdhsa_kernel
	.section	.text._ZN7rocprim17ROCPRIM_400000_NS6detail17trampoline_kernelINS0_14default_configENS1_22reduce_config_selectorIjEEZNS1_11reduce_implILb1ES3_N6thrust23THRUST_200600_302600_NS6detail15normal_iteratorINS8_10device_ptrIjEEEEPjjNS8_4plusIjEEEE10hipError_tPvRmT1_T2_T3_mT4_P12ihipStream_tbEUlT_E0_NS1_11comp_targetILNS1_3genE10ELNS1_11target_archE1201ELNS1_3gpuE5ELNS1_3repE0EEENS1_30default_config_static_selectorELNS0_4arch9wavefront6targetE1EEEvSK_,"axG",@progbits,_ZN7rocprim17ROCPRIM_400000_NS6detail17trampoline_kernelINS0_14default_configENS1_22reduce_config_selectorIjEEZNS1_11reduce_implILb1ES3_N6thrust23THRUST_200600_302600_NS6detail15normal_iteratorINS8_10device_ptrIjEEEEPjjNS8_4plusIjEEEE10hipError_tPvRmT1_T2_T3_mT4_P12ihipStream_tbEUlT_E0_NS1_11comp_targetILNS1_3genE10ELNS1_11target_archE1201ELNS1_3gpuE5ELNS1_3repE0EEENS1_30default_config_static_selectorELNS0_4arch9wavefront6targetE1EEEvSK_,comdat
.Lfunc_end136:
	.size	_ZN7rocprim17ROCPRIM_400000_NS6detail17trampoline_kernelINS0_14default_configENS1_22reduce_config_selectorIjEEZNS1_11reduce_implILb1ES3_N6thrust23THRUST_200600_302600_NS6detail15normal_iteratorINS8_10device_ptrIjEEEEPjjNS8_4plusIjEEEE10hipError_tPvRmT1_T2_T3_mT4_P12ihipStream_tbEUlT_E0_NS1_11comp_targetILNS1_3genE10ELNS1_11target_archE1201ELNS1_3gpuE5ELNS1_3repE0EEENS1_30default_config_static_selectorELNS0_4arch9wavefront6targetE1EEEvSK_, .Lfunc_end136-_ZN7rocprim17ROCPRIM_400000_NS6detail17trampoline_kernelINS0_14default_configENS1_22reduce_config_selectorIjEEZNS1_11reduce_implILb1ES3_N6thrust23THRUST_200600_302600_NS6detail15normal_iteratorINS8_10device_ptrIjEEEEPjjNS8_4plusIjEEEE10hipError_tPvRmT1_T2_T3_mT4_P12ihipStream_tbEUlT_E0_NS1_11comp_targetILNS1_3genE10ELNS1_11target_archE1201ELNS1_3gpuE5ELNS1_3repE0EEENS1_30default_config_static_selectorELNS0_4arch9wavefront6targetE1EEEvSK_
                                        ; -- End function
	.set _ZN7rocprim17ROCPRIM_400000_NS6detail17trampoline_kernelINS0_14default_configENS1_22reduce_config_selectorIjEEZNS1_11reduce_implILb1ES3_N6thrust23THRUST_200600_302600_NS6detail15normal_iteratorINS8_10device_ptrIjEEEEPjjNS8_4plusIjEEEE10hipError_tPvRmT1_T2_T3_mT4_P12ihipStream_tbEUlT_E0_NS1_11comp_targetILNS1_3genE10ELNS1_11target_archE1201ELNS1_3gpuE5ELNS1_3repE0EEENS1_30default_config_static_selectorELNS0_4arch9wavefront6targetE1EEEvSK_.num_vgpr, 0
	.set _ZN7rocprim17ROCPRIM_400000_NS6detail17trampoline_kernelINS0_14default_configENS1_22reduce_config_selectorIjEEZNS1_11reduce_implILb1ES3_N6thrust23THRUST_200600_302600_NS6detail15normal_iteratorINS8_10device_ptrIjEEEEPjjNS8_4plusIjEEEE10hipError_tPvRmT1_T2_T3_mT4_P12ihipStream_tbEUlT_E0_NS1_11comp_targetILNS1_3genE10ELNS1_11target_archE1201ELNS1_3gpuE5ELNS1_3repE0EEENS1_30default_config_static_selectorELNS0_4arch9wavefront6targetE1EEEvSK_.num_agpr, 0
	.set _ZN7rocprim17ROCPRIM_400000_NS6detail17trampoline_kernelINS0_14default_configENS1_22reduce_config_selectorIjEEZNS1_11reduce_implILb1ES3_N6thrust23THRUST_200600_302600_NS6detail15normal_iteratorINS8_10device_ptrIjEEEEPjjNS8_4plusIjEEEE10hipError_tPvRmT1_T2_T3_mT4_P12ihipStream_tbEUlT_E0_NS1_11comp_targetILNS1_3genE10ELNS1_11target_archE1201ELNS1_3gpuE5ELNS1_3repE0EEENS1_30default_config_static_selectorELNS0_4arch9wavefront6targetE1EEEvSK_.numbered_sgpr, 0
	.set _ZN7rocprim17ROCPRIM_400000_NS6detail17trampoline_kernelINS0_14default_configENS1_22reduce_config_selectorIjEEZNS1_11reduce_implILb1ES3_N6thrust23THRUST_200600_302600_NS6detail15normal_iteratorINS8_10device_ptrIjEEEEPjjNS8_4plusIjEEEE10hipError_tPvRmT1_T2_T3_mT4_P12ihipStream_tbEUlT_E0_NS1_11comp_targetILNS1_3genE10ELNS1_11target_archE1201ELNS1_3gpuE5ELNS1_3repE0EEENS1_30default_config_static_selectorELNS0_4arch9wavefront6targetE1EEEvSK_.num_named_barrier, 0
	.set _ZN7rocprim17ROCPRIM_400000_NS6detail17trampoline_kernelINS0_14default_configENS1_22reduce_config_selectorIjEEZNS1_11reduce_implILb1ES3_N6thrust23THRUST_200600_302600_NS6detail15normal_iteratorINS8_10device_ptrIjEEEEPjjNS8_4plusIjEEEE10hipError_tPvRmT1_T2_T3_mT4_P12ihipStream_tbEUlT_E0_NS1_11comp_targetILNS1_3genE10ELNS1_11target_archE1201ELNS1_3gpuE5ELNS1_3repE0EEENS1_30default_config_static_selectorELNS0_4arch9wavefront6targetE1EEEvSK_.private_seg_size, 0
	.set _ZN7rocprim17ROCPRIM_400000_NS6detail17trampoline_kernelINS0_14default_configENS1_22reduce_config_selectorIjEEZNS1_11reduce_implILb1ES3_N6thrust23THRUST_200600_302600_NS6detail15normal_iteratorINS8_10device_ptrIjEEEEPjjNS8_4plusIjEEEE10hipError_tPvRmT1_T2_T3_mT4_P12ihipStream_tbEUlT_E0_NS1_11comp_targetILNS1_3genE10ELNS1_11target_archE1201ELNS1_3gpuE5ELNS1_3repE0EEENS1_30default_config_static_selectorELNS0_4arch9wavefront6targetE1EEEvSK_.uses_vcc, 0
	.set _ZN7rocprim17ROCPRIM_400000_NS6detail17trampoline_kernelINS0_14default_configENS1_22reduce_config_selectorIjEEZNS1_11reduce_implILb1ES3_N6thrust23THRUST_200600_302600_NS6detail15normal_iteratorINS8_10device_ptrIjEEEEPjjNS8_4plusIjEEEE10hipError_tPvRmT1_T2_T3_mT4_P12ihipStream_tbEUlT_E0_NS1_11comp_targetILNS1_3genE10ELNS1_11target_archE1201ELNS1_3gpuE5ELNS1_3repE0EEENS1_30default_config_static_selectorELNS0_4arch9wavefront6targetE1EEEvSK_.uses_flat_scratch, 0
	.set _ZN7rocprim17ROCPRIM_400000_NS6detail17trampoline_kernelINS0_14default_configENS1_22reduce_config_selectorIjEEZNS1_11reduce_implILb1ES3_N6thrust23THRUST_200600_302600_NS6detail15normal_iteratorINS8_10device_ptrIjEEEEPjjNS8_4plusIjEEEE10hipError_tPvRmT1_T2_T3_mT4_P12ihipStream_tbEUlT_E0_NS1_11comp_targetILNS1_3genE10ELNS1_11target_archE1201ELNS1_3gpuE5ELNS1_3repE0EEENS1_30default_config_static_selectorELNS0_4arch9wavefront6targetE1EEEvSK_.has_dyn_sized_stack, 0
	.set _ZN7rocprim17ROCPRIM_400000_NS6detail17trampoline_kernelINS0_14default_configENS1_22reduce_config_selectorIjEEZNS1_11reduce_implILb1ES3_N6thrust23THRUST_200600_302600_NS6detail15normal_iteratorINS8_10device_ptrIjEEEEPjjNS8_4plusIjEEEE10hipError_tPvRmT1_T2_T3_mT4_P12ihipStream_tbEUlT_E0_NS1_11comp_targetILNS1_3genE10ELNS1_11target_archE1201ELNS1_3gpuE5ELNS1_3repE0EEENS1_30default_config_static_selectorELNS0_4arch9wavefront6targetE1EEEvSK_.has_recursion, 0
	.set _ZN7rocprim17ROCPRIM_400000_NS6detail17trampoline_kernelINS0_14default_configENS1_22reduce_config_selectorIjEEZNS1_11reduce_implILb1ES3_N6thrust23THRUST_200600_302600_NS6detail15normal_iteratorINS8_10device_ptrIjEEEEPjjNS8_4plusIjEEEE10hipError_tPvRmT1_T2_T3_mT4_P12ihipStream_tbEUlT_E0_NS1_11comp_targetILNS1_3genE10ELNS1_11target_archE1201ELNS1_3gpuE5ELNS1_3repE0EEENS1_30default_config_static_selectorELNS0_4arch9wavefront6targetE1EEEvSK_.has_indirect_call, 0
	.section	.AMDGPU.csdata,"",@progbits
; Kernel info:
; codeLenInByte = 0
; TotalNumSgprs: 6
; NumVgprs: 0
; NumAgprs: 0
; TotalNumVgprs: 0
; ScratchSize: 0
; MemoryBound: 0
; FloatMode: 240
; IeeeMode: 1
; LDSByteSize: 0 bytes/workgroup (compile time only)
; SGPRBlocks: 0
; VGPRBlocks: 0
; NumSGPRsForWavesPerEU: 6
; NumVGPRsForWavesPerEU: 1
; AccumOffset: 4
; Occupancy: 8
; WaveLimiterHint : 0
; COMPUTE_PGM_RSRC2:SCRATCH_EN: 0
; COMPUTE_PGM_RSRC2:USER_SGPR: 2
; COMPUTE_PGM_RSRC2:TRAP_HANDLER: 0
; COMPUTE_PGM_RSRC2:TGID_X_EN: 1
; COMPUTE_PGM_RSRC2:TGID_Y_EN: 0
; COMPUTE_PGM_RSRC2:TGID_Z_EN: 0
; COMPUTE_PGM_RSRC2:TIDIG_COMP_CNT: 0
; COMPUTE_PGM_RSRC3_GFX90A:ACCUM_OFFSET: 0
; COMPUTE_PGM_RSRC3_GFX90A:TG_SPLIT: 0
	.section	.text._ZN7rocprim17ROCPRIM_400000_NS6detail17trampoline_kernelINS0_14default_configENS1_22reduce_config_selectorIjEEZNS1_11reduce_implILb1ES3_N6thrust23THRUST_200600_302600_NS6detail15normal_iteratorINS8_10device_ptrIjEEEEPjjNS8_4plusIjEEEE10hipError_tPvRmT1_T2_T3_mT4_P12ihipStream_tbEUlT_E0_NS1_11comp_targetILNS1_3genE10ELNS1_11target_archE1200ELNS1_3gpuE4ELNS1_3repE0EEENS1_30default_config_static_selectorELNS0_4arch9wavefront6targetE1EEEvSK_,"axG",@progbits,_ZN7rocprim17ROCPRIM_400000_NS6detail17trampoline_kernelINS0_14default_configENS1_22reduce_config_selectorIjEEZNS1_11reduce_implILb1ES3_N6thrust23THRUST_200600_302600_NS6detail15normal_iteratorINS8_10device_ptrIjEEEEPjjNS8_4plusIjEEEE10hipError_tPvRmT1_T2_T3_mT4_P12ihipStream_tbEUlT_E0_NS1_11comp_targetILNS1_3genE10ELNS1_11target_archE1200ELNS1_3gpuE4ELNS1_3repE0EEENS1_30default_config_static_selectorELNS0_4arch9wavefront6targetE1EEEvSK_,comdat
	.protected	_ZN7rocprim17ROCPRIM_400000_NS6detail17trampoline_kernelINS0_14default_configENS1_22reduce_config_selectorIjEEZNS1_11reduce_implILb1ES3_N6thrust23THRUST_200600_302600_NS6detail15normal_iteratorINS8_10device_ptrIjEEEEPjjNS8_4plusIjEEEE10hipError_tPvRmT1_T2_T3_mT4_P12ihipStream_tbEUlT_E0_NS1_11comp_targetILNS1_3genE10ELNS1_11target_archE1200ELNS1_3gpuE4ELNS1_3repE0EEENS1_30default_config_static_selectorELNS0_4arch9wavefront6targetE1EEEvSK_ ; -- Begin function _ZN7rocprim17ROCPRIM_400000_NS6detail17trampoline_kernelINS0_14default_configENS1_22reduce_config_selectorIjEEZNS1_11reduce_implILb1ES3_N6thrust23THRUST_200600_302600_NS6detail15normal_iteratorINS8_10device_ptrIjEEEEPjjNS8_4plusIjEEEE10hipError_tPvRmT1_T2_T3_mT4_P12ihipStream_tbEUlT_E0_NS1_11comp_targetILNS1_3genE10ELNS1_11target_archE1200ELNS1_3gpuE4ELNS1_3repE0EEENS1_30default_config_static_selectorELNS0_4arch9wavefront6targetE1EEEvSK_
	.globl	_ZN7rocprim17ROCPRIM_400000_NS6detail17trampoline_kernelINS0_14default_configENS1_22reduce_config_selectorIjEEZNS1_11reduce_implILb1ES3_N6thrust23THRUST_200600_302600_NS6detail15normal_iteratorINS8_10device_ptrIjEEEEPjjNS8_4plusIjEEEE10hipError_tPvRmT1_T2_T3_mT4_P12ihipStream_tbEUlT_E0_NS1_11comp_targetILNS1_3genE10ELNS1_11target_archE1200ELNS1_3gpuE4ELNS1_3repE0EEENS1_30default_config_static_selectorELNS0_4arch9wavefront6targetE1EEEvSK_
	.p2align	8
	.type	_ZN7rocprim17ROCPRIM_400000_NS6detail17trampoline_kernelINS0_14default_configENS1_22reduce_config_selectorIjEEZNS1_11reduce_implILb1ES3_N6thrust23THRUST_200600_302600_NS6detail15normal_iteratorINS8_10device_ptrIjEEEEPjjNS8_4plusIjEEEE10hipError_tPvRmT1_T2_T3_mT4_P12ihipStream_tbEUlT_E0_NS1_11comp_targetILNS1_3genE10ELNS1_11target_archE1200ELNS1_3gpuE4ELNS1_3repE0EEENS1_30default_config_static_selectorELNS0_4arch9wavefront6targetE1EEEvSK_,@function
_ZN7rocprim17ROCPRIM_400000_NS6detail17trampoline_kernelINS0_14default_configENS1_22reduce_config_selectorIjEEZNS1_11reduce_implILb1ES3_N6thrust23THRUST_200600_302600_NS6detail15normal_iteratorINS8_10device_ptrIjEEEEPjjNS8_4plusIjEEEE10hipError_tPvRmT1_T2_T3_mT4_P12ihipStream_tbEUlT_E0_NS1_11comp_targetILNS1_3genE10ELNS1_11target_archE1200ELNS1_3gpuE4ELNS1_3repE0EEENS1_30default_config_static_selectorELNS0_4arch9wavefront6targetE1EEEvSK_: ; @_ZN7rocprim17ROCPRIM_400000_NS6detail17trampoline_kernelINS0_14default_configENS1_22reduce_config_selectorIjEEZNS1_11reduce_implILb1ES3_N6thrust23THRUST_200600_302600_NS6detail15normal_iteratorINS8_10device_ptrIjEEEEPjjNS8_4plusIjEEEE10hipError_tPvRmT1_T2_T3_mT4_P12ihipStream_tbEUlT_E0_NS1_11comp_targetILNS1_3genE10ELNS1_11target_archE1200ELNS1_3gpuE4ELNS1_3repE0EEENS1_30default_config_static_selectorELNS0_4arch9wavefront6targetE1EEEvSK_
; %bb.0:
	.section	.rodata,"a",@progbits
	.p2align	6, 0x0
	.amdhsa_kernel _ZN7rocprim17ROCPRIM_400000_NS6detail17trampoline_kernelINS0_14default_configENS1_22reduce_config_selectorIjEEZNS1_11reduce_implILb1ES3_N6thrust23THRUST_200600_302600_NS6detail15normal_iteratorINS8_10device_ptrIjEEEEPjjNS8_4plusIjEEEE10hipError_tPvRmT1_T2_T3_mT4_P12ihipStream_tbEUlT_E0_NS1_11comp_targetILNS1_3genE10ELNS1_11target_archE1200ELNS1_3gpuE4ELNS1_3repE0EEENS1_30default_config_static_selectorELNS0_4arch9wavefront6targetE1EEEvSK_
		.amdhsa_group_segment_fixed_size 0
		.amdhsa_private_segment_fixed_size 0
		.amdhsa_kernarg_size 56
		.amdhsa_user_sgpr_count 2
		.amdhsa_user_sgpr_dispatch_ptr 0
		.amdhsa_user_sgpr_queue_ptr 0
		.amdhsa_user_sgpr_kernarg_segment_ptr 1
		.amdhsa_user_sgpr_dispatch_id 0
		.amdhsa_user_sgpr_kernarg_preload_length 0
		.amdhsa_user_sgpr_kernarg_preload_offset 0
		.amdhsa_user_sgpr_private_segment_size 0
		.amdhsa_uses_dynamic_stack 0
		.amdhsa_enable_private_segment 0
		.amdhsa_system_sgpr_workgroup_id_x 1
		.amdhsa_system_sgpr_workgroup_id_y 0
		.amdhsa_system_sgpr_workgroup_id_z 0
		.amdhsa_system_sgpr_workgroup_info 0
		.amdhsa_system_vgpr_workitem_id 0
		.amdhsa_next_free_vgpr 1
		.amdhsa_next_free_sgpr 0
		.amdhsa_accum_offset 4
		.amdhsa_reserve_vcc 0
		.amdhsa_float_round_mode_32 0
		.amdhsa_float_round_mode_16_64 0
		.amdhsa_float_denorm_mode_32 3
		.amdhsa_float_denorm_mode_16_64 3
		.amdhsa_dx10_clamp 1
		.amdhsa_ieee_mode 1
		.amdhsa_fp16_overflow 0
		.amdhsa_tg_split 0
		.amdhsa_exception_fp_ieee_invalid_op 0
		.amdhsa_exception_fp_denorm_src 0
		.amdhsa_exception_fp_ieee_div_zero 0
		.amdhsa_exception_fp_ieee_overflow 0
		.amdhsa_exception_fp_ieee_underflow 0
		.amdhsa_exception_fp_ieee_inexact 0
		.amdhsa_exception_int_div_zero 0
	.end_amdhsa_kernel
	.section	.text._ZN7rocprim17ROCPRIM_400000_NS6detail17trampoline_kernelINS0_14default_configENS1_22reduce_config_selectorIjEEZNS1_11reduce_implILb1ES3_N6thrust23THRUST_200600_302600_NS6detail15normal_iteratorINS8_10device_ptrIjEEEEPjjNS8_4plusIjEEEE10hipError_tPvRmT1_T2_T3_mT4_P12ihipStream_tbEUlT_E0_NS1_11comp_targetILNS1_3genE10ELNS1_11target_archE1200ELNS1_3gpuE4ELNS1_3repE0EEENS1_30default_config_static_selectorELNS0_4arch9wavefront6targetE1EEEvSK_,"axG",@progbits,_ZN7rocprim17ROCPRIM_400000_NS6detail17trampoline_kernelINS0_14default_configENS1_22reduce_config_selectorIjEEZNS1_11reduce_implILb1ES3_N6thrust23THRUST_200600_302600_NS6detail15normal_iteratorINS8_10device_ptrIjEEEEPjjNS8_4plusIjEEEE10hipError_tPvRmT1_T2_T3_mT4_P12ihipStream_tbEUlT_E0_NS1_11comp_targetILNS1_3genE10ELNS1_11target_archE1200ELNS1_3gpuE4ELNS1_3repE0EEENS1_30default_config_static_selectorELNS0_4arch9wavefront6targetE1EEEvSK_,comdat
.Lfunc_end137:
	.size	_ZN7rocprim17ROCPRIM_400000_NS6detail17trampoline_kernelINS0_14default_configENS1_22reduce_config_selectorIjEEZNS1_11reduce_implILb1ES3_N6thrust23THRUST_200600_302600_NS6detail15normal_iteratorINS8_10device_ptrIjEEEEPjjNS8_4plusIjEEEE10hipError_tPvRmT1_T2_T3_mT4_P12ihipStream_tbEUlT_E0_NS1_11comp_targetILNS1_3genE10ELNS1_11target_archE1200ELNS1_3gpuE4ELNS1_3repE0EEENS1_30default_config_static_selectorELNS0_4arch9wavefront6targetE1EEEvSK_, .Lfunc_end137-_ZN7rocprim17ROCPRIM_400000_NS6detail17trampoline_kernelINS0_14default_configENS1_22reduce_config_selectorIjEEZNS1_11reduce_implILb1ES3_N6thrust23THRUST_200600_302600_NS6detail15normal_iteratorINS8_10device_ptrIjEEEEPjjNS8_4plusIjEEEE10hipError_tPvRmT1_T2_T3_mT4_P12ihipStream_tbEUlT_E0_NS1_11comp_targetILNS1_3genE10ELNS1_11target_archE1200ELNS1_3gpuE4ELNS1_3repE0EEENS1_30default_config_static_selectorELNS0_4arch9wavefront6targetE1EEEvSK_
                                        ; -- End function
	.set _ZN7rocprim17ROCPRIM_400000_NS6detail17trampoline_kernelINS0_14default_configENS1_22reduce_config_selectorIjEEZNS1_11reduce_implILb1ES3_N6thrust23THRUST_200600_302600_NS6detail15normal_iteratorINS8_10device_ptrIjEEEEPjjNS8_4plusIjEEEE10hipError_tPvRmT1_T2_T3_mT4_P12ihipStream_tbEUlT_E0_NS1_11comp_targetILNS1_3genE10ELNS1_11target_archE1200ELNS1_3gpuE4ELNS1_3repE0EEENS1_30default_config_static_selectorELNS0_4arch9wavefront6targetE1EEEvSK_.num_vgpr, 0
	.set _ZN7rocprim17ROCPRIM_400000_NS6detail17trampoline_kernelINS0_14default_configENS1_22reduce_config_selectorIjEEZNS1_11reduce_implILb1ES3_N6thrust23THRUST_200600_302600_NS6detail15normal_iteratorINS8_10device_ptrIjEEEEPjjNS8_4plusIjEEEE10hipError_tPvRmT1_T2_T3_mT4_P12ihipStream_tbEUlT_E0_NS1_11comp_targetILNS1_3genE10ELNS1_11target_archE1200ELNS1_3gpuE4ELNS1_3repE0EEENS1_30default_config_static_selectorELNS0_4arch9wavefront6targetE1EEEvSK_.num_agpr, 0
	.set _ZN7rocprim17ROCPRIM_400000_NS6detail17trampoline_kernelINS0_14default_configENS1_22reduce_config_selectorIjEEZNS1_11reduce_implILb1ES3_N6thrust23THRUST_200600_302600_NS6detail15normal_iteratorINS8_10device_ptrIjEEEEPjjNS8_4plusIjEEEE10hipError_tPvRmT1_T2_T3_mT4_P12ihipStream_tbEUlT_E0_NS1_11comp_targetILNS1_3genE10ELNS1_11target_archE1200ELNS1_3gpuE4ELNS1_3repE0EEENS1_30default_config_static_selectorELNS0_4arch9wavefront6targetE1EEEvSK_.numbered_sgpr, 0
	.set _ZN7rocprim17ROCPRIM_400000_NS6detail17trampoline_kernelINS0_14default_configENS1_22reduce_config_selectorIjEEZNS1_11reduce_implILb1ES3_N6thrust23THRUST_200600_302600_NS6detail15normal_iteratorINS8_10device_ptrIjEEEEPjjNS8_4plusIjEEEE10hipError_tPvRmT1_T2_T3_mT4_P12ihipStream_tbEUlT_E0_NS1_11comp_targetILNS1_3genE10ELNS1_11target_archE1200ELNS1_3gpuE4ELNS1_3repE0EEENS1_30default_config_static_selectorELNS0_4arch9wavefront6targetE1EEEvSK_.num_named_barrier, 0
	.set _ZN7rocprim17ROCPRIM_400000_NS6detail17trampoline_kernelINS0_14default_configENS1_22reduce_config_selectorIjEEZNS1_11reduce_implILb1ES3_N6thrust23THRUST_200600_302600_NS6detail15normal_iteratorINS8_10device_ptrIjEEEEPjjNS8_4plusIjEEEE10hipError_tPvRmT1_T2_T3_mT4_P12ihipStream_tbEUlT_E0_NS1_11comp_targetILNS1_3genE10ELNS1_11target_archE1200ELNS1_3gpuE4ELNS1_3repE0EEENS1_30default_config_static_selectorELNS0_4arch9wavefront6targetE1EEEvSK_.private_seg_size, 0
	.set _ZN7rocprim17ROCPRIM_400000_NS6detail17trampoline_kernelINS0_14default_configENS1_22reduce_config_selectorIjEEZNS1_11reduce_implILb1ES3_N6thrust23THRUST_200600_302600_NS6detail15normal_iteratorINS8_10device_ptrIjEEEEPjjNS8_4plusIjEEEE10hipError_tPvRmT1_T2_T3_mT4_P12ihipStream_tbEUlT_E0_NS1_11comp_targetILNS1_3genE10ELNS1_11target_archE1200ELNS1_3gpuE4ELNS1_3repE0EEENS1_30default_config_static_selectorELNS0_4arch9wavefront6targetE1EEEvSK_.uses_vcc, 0
	.set _ZN7rocprim17ROCPRIM_400000_NS6detail17trampoline_kernelINS0_14default_configENS1_22reduce_config_selectorIjEEZNS1_11reduce_implILb1ES3_N6thrust23THRUST_200600_302600_NS6detail15normal_iteratorINS8_10device_ptrIjEEEEPjjNS8_4plusIjEEEE10hipError_tPvRmT1_T2_T3_mT4_P12ihipStream_tbEUlT_E0_NS1_11comp_targetILNS1_3genE10ELNS1_11target_archE1200ELNS1_3gpuE4ELNS1_3repE0EEENS1_30default_config_static_selectorELNS0_4arch9wavefront6targetE1EEEvSK_.uses_flat_scratch, 0
	.set _ZN7rocprim17ROCPRIM_400000_NS6detail17trampoline_kernelINS0_14default_configENS1_22reduce_config_selectorIjEEZNS1_11reduce_implILb1ES3_N6thrust23THRUST_200600_302600_NS6detail15normal_iteratorINS8_10device_ptrIjEEEEPjjNS8_4plusIjEEEE10hipError_tPvRmT1_T2_T3_mT4_P12ihipStream_tbEUlT_E0_NS1_11comp_targetILNS1_3genE10ELNS1_11target_archE1200ELNS1_3gpuE4ELNS1_3repE0EEENS1_30default_config_static_selectorELNS0_4arch9wavefront6targetE1EEEvSK_.has_dyn_sized_stack, 0
	.set _ZN7rocprim17ROCPRIM_400000_NS6detail17trampoline_kernelINS0_14default_configENS1_22reduce_config_selectorIjEEZNS1_11reduce_implILb1ES3_N6thrust23THRUST_200600_302600_NS6detail15normal_iteratorINS8_10device_ptrIjEEEEPjjNS8_4plusIjEEEE10hipError_tPvRmT1_T2_T3_mT4_P12ihipStream_tbEUlT_E0_NS1_11comp_targetILNS1_3genE10ELNS1_11target_archE1200ELNS1_3gpuE4ELNS1_3repE0EEENS1_30default_config_static_selectorELNS0_4arch9wavefront6targetE1EEEvSK_.has_recursion, 0
	.set _ZN7rocprim17ROCPRIM_400000_NS6detail17trampoline_kernelINS0_14default_configENS1_22reduce_config_selectorIjEEZNS1_11reduce_implILb1ES3_N6thrust23THRUST_200600_302600_NS6detail15normal_iteratorINS8_10device_ptrIjEEEEPjjNS8_4plusIjEEEE10hipError_tPvRmT1_T2_T3_mT4_P12ihipStream_tbEUlT_E0_NS1_11comp_targetILNS1_3genE10ELNS1_11target_archE1200ELNS1_3gpuE4ELNS1_3repE0EEENS1_30default_config_static_selectorELNS0_4arch9wavefront6targetE1EEEvSK_.has_indirect_call, 0
	.section	.AMDGPU.csdata,"",@progbits
; Kernel info:
; codeLenInByte = 0
; TotalNumSgprs: 6
; NumVgprs: 0
; NumAgprs: 0
; TotalNumVgprs: 0
; ScratchSize: 0
; MemoryBound: 0
; FloatMode: 240
; IeeeMode: 1
; LDSByteSize: 0 bytes/workgroup (compile time only)
; SGPRBlocks: 0
; VGPRBlocks: 0
; NumSGPRsForWavesPerEU: 6
; NumVGPRsForWavesPerEU: 1
; AccumOffset: 4
; Occupancy: 8
; WaveLimiterHint : 0
; COMPUTE_PGM_RSRC2:SCRATCH_EN: 0
; COMPUTE_PGM_RSRC2:USER_SGPR: 2
; COMPUTE_PGM_RSRC2:TRAP_HANDLER: 0
; COMPUTE_PGM_RSRC2:TGID_X_EN: 1
; COMPUTE_PGM_RSRC2:TGID_Y_EN: 0
; COMPUTE_PGM_RSRC2:TGID_Z_EN: 0
; COMPUTE_PGM_RSRC2:TIDIG_COMP_CNT: 0
; COMPUTE_PGM_RSRC3_GFX90A:ACCUM_OFFSET: 0
; COMPUTE_PGM_RSRC3_GFX90A:TG_SPLIT: 0
	.section	.text._ZN7rocprim17ROCPRIM_400000_NS6detail17trampoline_kernelINS0_14default_configENS1_22reduce_config_selectorIjEEZNS1_11reduce_implILb1ES3_N6thrust23THRUST_200600_302600_NS6detail15normal_iteratorINS8_10device_ptrIjEEEEPjjNS8_4plusIjEEEE10hipError_tPvRmT1_T2_T3_mT4_P12ihipStream_tbEUlT_E0_NS1_11comp_targetILNS1_3genE9ELNS1_11target_archE1100ELNS1_3gpuE3ELNS1_3repE0EEENS1_30default_config_static_selectorELNS0_4arch9wavefront6targetE1EEEvSK_,"axG",@progbits,_ZN7rocprim17ROCPRIM_400000_NS6detail17trampoline_kernelINS0_14default_configENS1_22reduce_config_selectorIjEEZNS1_11reduce_implILb1ES3_N6thrust23THRUST_200600_302600_NS6detail15normal_iteratorINS8_10device_ptrIjEEEEPjjNS8_4plusIjEEEE10hipError_tPvRmT1_T2_T3_mT4_P12ihipStream_tbEUlT_E0_NS1_11comp_targetILNS1_3genE9ELNS1_11target_archE1100ELNS1_3gpuE3ELNS1_3repE0EEENS1_30default_config_static_selectorELNS0_4arch9wavefront6targetE1EEEvSK_,comdat
	.protected	_ZN7rocprim17ROCPRIM_400000_NS6detail17trampoline_kernelINS0_14default_configENS1_22reduce_config_selectorIjEEZNS1_11reduce_implILb1ES3_N6thrust23THRUST_200600_302600_NS6detail15normal_iteratorINS8_10device_ptrIjEEEEPjjNS8_4plusIjEEEE10hipError_tPvRmT1_T2_T3_mT4_P12ihipStream_tbEUlT_E0_NS1_11comp_targetILNS1_3genE9ELNS1_11target_archE1100ELNS1_3gpuE3ELNS1_3repE0EEENS1_30default_config_static_selectorELNS0_4arch9wavefront6targetE1EEEvSK_ ; -- Begin function _ZN7rocprim17ROCPRIM_400000_NS6detail17trampoline_kernelINS0_14default_configENS1_22reduce_config_selectorIjEEZNS1_11reduce_implILb1ES3_N6thrust23THRUST_200600_302600_NS6detail15normal_iteratorINS8_10device_ptrIjEEEEPjjNS8_4plusIjEEEE10hipError_tPvRmT1_T2_T3_mT4_P12ihipStream_tbEUlT_E0_NS1_11comp_targetILNS1_3genE9ELNS1_11target_archE1100ELNS1_3gpuE3ELNS1_3repE0EEENS1_30default_config_static_selectorELNS0_4arch9wavefront6targetE1EEEvSK_
	.globl	_ZN7rocprim17ROCPRIM_400000_NS6detail17trampoline_kernelINS0_14default_configENS1_22reduce_config_selectorIjEEZNS1_11reduce_implILb1ES3_N6thrust23THRUST_200600_302600_NS6detail15normal_iteratorINS8_10device_ptrIjEEEEPjjNS8_4plusIjEEEE10hipError_tPvRmT1_T2_T3_mT4_P12ihipStream_tbEUlT_E0_NS1_11comp_targetILNS1_3genE9ELNS1_11target_archE1100ELNS1_3gpuE3ELNS1_3repE0EEENS1_30default_config_static_selectorELNS0_4arch9wavefront6targetE1EEEvSK_
	.p2align	8
	.type	_ZN7rocprim17ROCPRIM_400000_NS6detail17trampoline_kernelINS0_14default_configENS1_22reduce_config_selectorIjEEZNS1_11reduce_implILb1ES3_N6thrust23THRUST_200600_302600_NS6detail15normal_iteratorINS8_10device_ptrIjEEEEPjjNS8_4plusIjEEEE10hipError_tPvRmT1_T2_T3_mT4_P12ihipStream_tbEUlT_E0_NS1_11comp_targetILNS1_3genE9ELNS1_11target_archE1100ELNS1_3gpuE3ELNS1_3repE0EEENS1_30default_config_static_selectorELNS0_4arch9wavefront6targetE1EEEvSK_,@function
_ZN7rocprim17ROCPRIM_400000_NS6detail17trampoline_kernelINS0_14default_configENS1_22reduce_config_selectorIjEEZNS1_11reduce_implILb1ES3_N6thrust23THRUST_200600_302600_NS6detail15normal_iteratorINS8_10device_ptrIjEEEEPjjNS8_4plusIjEEEE10hipError_tPvRmT1_T2_T3_mT4_P12ihipStream_tbEUlT_E0_NS1_11comp_targetILNS1_3genE9ELNS1_11target_archE1100ELNS1_3gpuE3ELNS1_3repE0EEENS1_30default_config_static_selectorELNS0_4arch9wavefront6targetE1EEEvSK_: ; @_ZN7rocprim17ROCPRIM_400000_NS6detail17trampoline_kernelINS0_14default_configENS1_22reduce_config_selectorIjEEZNS1_11reduce_implILb1ES3_N6thrust23THRUST_200600_302600_NS6detail15normal_iteratorINS8_10device_ptrIjEEEEPjjNS8_4plusIjEEEE10hipError_tPvRmT1_T2_T3_mT4_P12ihipStream_tbEUlT_E0_NS1_11comp_targetILNS1_3genE9ELNS1_11target_archE1100ELNS1_3gpuE3ELNS1_3repE0EEENS1_30default_config_static_selectorELNS0_4arch9wavefront6targetE1EEEvSK_
; %bb.0:
	.section	.rodata,"a",@progbits
	.p2align	6, 0x0
	.amdhsa_kernel _ZN7rocprim17ROCPRIM_400000_NS6detail17trampoline_kernelINS0_14default_configENS1_22reduce_config_selectorIjEEZNS1_11reduce_implILb1ES3_N6thrust23THRUST_200600_302600_NS6detail15normal_iteratorINS8_10device_ptrIjEEEEPjjNS8_4plusIjEEEE10hipError_tPvRmT1_T2_T3_mT4_P12ihipStream_tbEUlT_E0_NS1_11comp_targetILNS1_3genE9ELNS1_11target_archE1100ELNS1_3gpuE3ELNS1_3repE0EEENS1_30default_config_static_selectorELNS0_4arch9wavefront6targetE1EEEvSK_
		.amdhsa_group_segment_fixed_size 0
		.amdhsa_private_segment_fixed_size 0
		.amdhsa_kernarg_size 56
		.amdhsa_user_sgpr_count 2
		.amdhsa_user_sgpr_dispatch_ptr 0
		.amdhsa_user_sgpr_queue_ptr 0
		.amdhsa_user_sgpr_kernarg_segment_ptr 1
		.amdhsa_user_sgpr_dispatch_id 0
		.amdhsa_user_sgpr_kernarg_preload_length 0
		.amdhsa_user_sgpr_kernarg_preload_offset 0
		.amdhsa_user_sgpr_private_segment_size 0
		.amdhsa_uses_dynamic_stack 0
		.amdhsa_enable_private_segment 0
		.amdhsa_system_sgpr_workgroup_id_x 1
		.amdhsa_system_sgpr_workgroup_id_y 0
		.amdhsa_system_sgpr_workgroup_id_z 0
		.amdhsa_system_sgpr_workgroup_info 0
		.amdhsa_system_vgpr_workitem_id 0
		.amdhsa_next_free_vgpr 1
		.amdhsa_next_free_sgpr 0
		.amdhsa_accum_offset 4
		.amdhsa_reserve_vcc 0
		.amdhsa_float_round_mode_32 0
		.amdhsa_float_round_mode_16_64 0
		.amdhsa_float_denorm_mode_32 3
		.amdhsa_float_denorm_mode_16_64 3
		.amdhsa_dx10_clamp 1
		.amdhsa_ieee_mode 1
		.amdhsa_fp16_overflow 0
		.amdhsa_tg_split 0
		.amdhsa_exception_fp_ieee_invalid_op 0
		.amdhsa_exception_fp_denorm_src 0
		.amdhsa_exception_fp_ieee_div_zero 0
		.amdhsa_exception_fp_ieee_overflow 0
		.amdhsa_exception_fp_ieee_underflow 0
		.amdhsa_exception_fp_ieee_inexact 0
		.amdhsa_exception_int_div_zero 0
	.end_amdhsa_kernel
	.section	.text._ZN7rocprim17ROCPRIM_400000_NS6detail17trampoline_kernelINS0_14default_configENS1_22reduce_config_selectorIjEEZNS1_11reduce_implILb1ES3_N6thrust23THRUST_200600_302600_NS6detail15normal_iteratorINS8_10device_ptrIjEEEEPjjNS8_4plusIjEEEE10hipError_tPvRmT1_T2_T3_mT4_P12ihipStream_tbEUlT_E0_NS1_11comp_targetILNS1_3genE9ELNS1_11target_archE1100ELNS1_3gpuE3ELNS1_3repE0EEENS1_30default_config_static_selectorELNS0_4arch9wavefront6targetE1EEEvSK_,"axG",@progbits,_ZN7rocprim17ROCPRIM_400000_NS6detail17trampoline_kernelINS0_14default_configENS1_22reduce_config_selectorIjEEZNS1_11reduce_implILb1ES3_N6thrust23THRUST_200600_302600_NS6detail15normal_iteratorINS8_10device_ptrIjEEEEPjjNS8_4plusIjEEEE10hipError_tPvRmT1_T2_T3_mT4_P12ihipStream_tbEUlT_E0_NS1_11comp_targetILNS1_3genE9ELNS1_11target_archE1100ELNS1_3gpuE3ELNS1_3repE0EEENS1_30default_config_static_selectorELNS0_4arch9wavefront6targetE1EEEvSK_,comdat
.Lfunc_end138:
	.size	_ZN7rocprim17ROCPRIM_400000_NS6detail17trampoline_kernelINS0_14default_configENS1_22reduce_config_selectorIjEEZNS1_11reduce_implILb1ES3_N6thrust23THRUST_200600_302600_NS6detail15normal_iteratorINS8_10device_ptrIjEEEEPjjNS8_4plusIjEEEE10hipError_tPvRmT1_T2_T3_mT4_P12ihipStream_tbEUlT_E0_NS1_11comp_targetILNS1_3genE9ELNS1_11target_archE1100ELNS1_3gpuE3ELNS1_3repE0EEENS1_30default_config_static_selectorELNS0_4arch9wavefront6targetE1EEEvSK_, .Lfunc_end138-_ZN7rocprim17ROCPRIM_400000_NS6detail17trampoline_kernelINS0_14default_configENS1_22reduce_config_selectorIjEEZNS1_11reduce_implILb1ES3_N6thrust23THRUST_200600_302600_NS6detail15normal_iteratorINS8_10device_ptrIjEEEEPjjNS8_4plusIjEEEE10hipError_tPvRmT1_T2_T3_mT4_P12ihipStream_tbEUlT_E0_NS1_11comp_targetILNS1_3genE9ELNS1_11target_archE1100ELNS1_3gpuE3ELNS1_3repE0EEENS1_30default_config_static_selectorELNS0_4arch9wavefront6targetE1EEEvSK_
                                        ; -- End function
	.set _ZN7rocprim17ROCPRIM_400000_NS6detail17trampoline_kernelINS0_14default_configENS1_22reduce_config_selectorIjEEZNS1_11reduce_implILb1ES3_N6thrust23THRUST_200600_302600_NS6detail15normal_iteratorINS8_10device_ptrIjEEEEPjjNS8_4plusIjEEEE10hipError_tPvRmT1_T2_T3_mT4_P12ihipStream_tbEUlT_E0_NS1_11comp_targetILNS1_3genE9ELNS1_11target_archE1100ELNS1_3gpuE3ELNS1_3repE0EEENS1_30default_config_static_selectorELNS0_4arch9wavefront6targetE1EEEvSK_.num_vgpr, 0
	.set _ZN7rocprim17ROCPRIM_400000_NS6detail17trampoline_kernelINS0_14default_configENS1_22reduce_config_selectorIjEEZNS1_11reduce_implILb1ES3_N6thrust23THRUST_200600_302600_NS6detail15normal_iteratorINS8_10device_ptrIjEEEEPjjNS8_4plusIjEEEE10hipError_tPvRmT1_T2_T3_mT4_P12ihipStream_tbEUlT_E0_NS1_11comp_targetILNS1_3genE9ELNS1_11target_archE1100ELNS1_3gpuE3ELNS1_3repE0EEENS1_30default_config_static_selectorELNS0_4arch9wavefront6targetE1EEEvSK_.num_agpr, 0
	.set _ZN7rocprim17ROCPRIM_400000_NS6detail17trampoline_kernelINS0_14default_configENS1_22reduce_config_selectorIjEEZNS1_11reduce_implILb1ES3_N6thrust23THRUST_200600_302600_NS6detail15normal_iteratorINS8_10device_ptrIjEEEEPjjNS8_4plusIjEEEE10hipError_tPvRmT1_T2_T3_mT4_P12ihipStream_tbEUlT_E0_NS1_11comp_targetILNS1_3genE9ELNS1_11target_archE1100ELNS1_3gpuE3ELNS1_3repE0EEENS1_30default_config_static_selectorELNS0_4arch9wavefront6targetE1EEEvSK_.numbered_sgpr, 0
	.set _ZN7rocprim17ROCPRIM_400000_NS6detail17trampoline_kernelINS0_14default_configENS1_22reduce_config_selectorIjEEZNS1_11reduce_implILb1ES3_N6thrust23THRUST_200600_302600_NS6detail15normal_iteratorINS8_10device_ptrIjEEEEPjjNS8_4plusIjEEEE10hipError_tPvRmT1_T2_T3_mT4_P12ihipStream_tbEUlT_E0_NS1_11comp_targetILNS1_3genE9ELNS1_11target_archE1100ELNS1_3gpuE3ELNS1_3repE0EEENS1_30default_config_static_selectorELNS0_4arch9wavefront6targetE1EEEvSK_.num_named_barrier, 0
	.set _ZN7rocprim17ROCPRIM_400000_NS6detail17trampoline_kernelINS0_14default_configENS1_22reduce_config_selectorIjEEZNS1_11reduce_implILb1ES3_N6thrust23THRUST_200600_302600_NS6detail15normal_iteratorINS8_10device_ptrIjEEEEPjjNS8_4plusIjEEEE10hipError_tPvRmT1_T2_T3_mT4_P12ihipStream_tbEUlT_E0_NS1_11comp_targetILNS1_3genE9ELNS1_11target_archE1100ELNS1_3gpuE3ELNS1_3repE0EEENS1_30default_config_static_selectorELNS0_4arch9wavefront6targetE1EEEvSK_.private_seg_size, 0
	.set _ZN7rocprim17ROCPRIM_400000_NS6detail17trampoline_kernelINS0_14default_configENS1_22reduce_config_selectorIjEEZNS1_11reduce_implILb1ES3_N6thrust23THRUST_200600_302600_NS6detail15normal_iteratorINS8_10device_ptrIjEEEEPjjNS8_4plusIjEEEE10hipError_tPvRmT1_T2_T3_mT4_P12ihipStream_tbEUlT_E0_NS1_11comp_targetILNS1_3genE9ELNS1_11target_archE1100ELNS1_3gpuE3ELNS1_3repE0EEENS1_30default_config_static_selectorELNS0_4arch9wavefront6targetE1EEEvSK_.uses_vcc, 0
	.set _ZN7rocprim17ROCPRIM_400000_NS6detail17trampoline_kernelINS0_14default_configENS1_22reduce_config_selectorIjEEZNS1_11reduce_implILb1ES3_N6thrust23THRUST_200600_302600_NS6detail15normal_iteratorINS8_10device_ptrIjEEEEPjjNS8_4plusIjEEEE10hipError_tPvRmT1_T2_T3_mT4_P12ihipStream_tbEUlT_E0_NS1_11comp_targetILNS1_3genE9ELNS1_11target_archE1100ELNS1_3gpuE3ELNS1_3repE0EEENS1_30default_config_static_selectorELNS0_4arch9wavefront6targetE1EEEvSK_.uses_flat_scratch, 0
	.set _ZN7rocprim17ROCPRIM_400000_NS6detail17trampoline_kernelINS0_14default_configENS1_22reduce_config_selectorIjEEZNS1_11reduce_implILb1ES3_N6thrust23THRUST_200600_302600_NS6detail15normal_iteratorINS8_10device_ptrIjEEEEPjjNS8_4plusIjEEEE10hipError_tPvRmT1_T2_T3_mT4_P12ihipStream_tbEUlT_E0_NS1_11comp_targetILNS1_3genE9ELNS1_11target_archE1100ELNS1_3gpuE3ELNS1_3repE0EEENS1_30default_config_static_selectorELNS0_4arch9wavefront6targetE1EEEvSK_.has_dyn_sized_stack, 0
	.set _ZN7rocprim17ROCPRIM_400000_NS6detail17trampoline_kernelINS0_14default_configENS1_22reduce_config_selectorIjEEZNS1_11reduce_implILb1ES3_N6thrust23THRUST_200600_302600_NS6detail15normal_iteratorINS8_10device_ptrIjEEEEPjjNS8_4plusIjEEEE10hipError_tPvRmT1_T2_T3_mT4_P12ihipStream_tbEUlT_E0_NS1_11comp_targetILNS1_3genE9ELNS1_11target_archE1100ELNS1_3gpuE3ELNS1_3repE0EEENS1_30default_config_static_selectorELNS0_4arch9wavefront6targetE1EEEvSK_.has_recursion, 0
	.set _ZN7rocprim17ROCPRIM_400000_NS6detail17trampoline_kernelINS0_14default_configENS1_22reduce_config_selectorIjEEZNS1_11reduce_implILb1ES3_N6thrust23THRUST_200600_302600_NS6detail15normal_iteratorINS8_10device_ptrIjEEEEPjjNS8_4plusIjEEEE10hipError_tPvRmT1_T2_T3_mT4_P12ihipStream_tbEUlT_E0_NS1_11comp_targetILNS1_3genE9ELNS1_11target_archE1100ELNS1_3gpuE3ELNS1_3repE0EEENS1_30default_config_static_selectorELNS0_4arch9wavefront6targetE1EEEvSK_.has_indirect_call, 0
	.section	.AMDGPU.csdata,"",@progbits
; Kernel info:
; codeLenInByte = 0
; TotalNumSgprs: 6
; NumVgprs: 0
; NumAgprs: 0
; TotalNumVgprs: 0
; ScratchSize: 0
; MemoryBound: 0
; FloatMode: 240
; IeeeMode: 1
; LDSByteSize: 0 bytes/workgroup (compile time only)
; SGPRBlocks: 0
; VGPRBlocks: 0
; NumSGPRsForWavesPerEU: 6
; NumVGPRsForWavesPerEU: 1
; AccumOffset: 4
; Occupancy: 8
; WaveLimiterHint : 0
; COMPUTE_PGM_RSRC2:SCRATCH_EN: 0
; COMPUTE_PGM_RSRC2:USER_SGPR: 2
; COMPUTE_PGM_RSRC2:TRAP_HANDLER: 0
; COMPUTE_PGM_RSRC2:TGID_X_EN: 1
; COMPUTE_PGM_RSRC2:TGID_Y_EN: 0
; COMPUTE_PGM_RSRC2:TGID_Z_EN: 0
; COMPUTE_PGM_RSRC2:TIDIG_COMP_CNT: 0
; COMPUTE_PGM_RSRC3_GFX90A:ACCUM_OFFSET: 0
; COMPUTE_PGM_RSRC3_GFX90A:TG_SPLIT: 0
	.section	.text._ZN7rocprim17ROCPRIM_400000_NS6detail17trampoline_kernelINS0_14default_configENS1_22reduce_config_selectorIjEEZNS1_11reduce_implILb1ES3_N6thrust23THRUST_200600_302600_NS6detail15normal_iteratorINS8_10device_ptrIjEEEEPjjNS8_4plusIjEEEE10hipError_tPvRmT1_T2_T3_mT4_P12ihipStream_tbEUlT_E0_NS1_11comp_targetILNS1_3genE8ELNS1_11target_archE1030ELNS1_3gpuE2ELNS1_3repE0EEENS1_30default_config_static_selectorELNS0_4arch9wavefront6targetE1EEEvSK_,"axG",@progbits,_ZN7rocprim17ROCPRIM_400000_NS6detail17trampoline_kernelINS0_14default_configENS1_22reduce_config_selectorIjEEZNS1_11reduce_implILb1ES3_N6thrust23THRUST_200600_302600_NS6detail15normal_iteratorINS8_10device_ptrIjEEEEPjjNS8_4plusIjEEEE10hipError_tPvRmT1_T2_T3_mT4_P12ihipStream_tbEUlT_E0_NS1_11comp_targetILNS1_3genE8ELNS1_11target_archE1030ELNS1_3gpuE2ELNS1_3repE0EEENS1_30default_config_static_selectorELNS0_4arch9wavefront6targetE1EEEvSK_,comdat
	.protected	_ZN7rocprim17ROCPRIM_400000_NS6detail17trampoline_kernelINS0_14default_configENS1_22reduce_config_selectorIjEEZNS1_11reduce_implILb1ES3_N6thrust23THRUST_200600_302600_NS6detail15normal_iteratorINS8_10device_ptrIjEEEEPjjNS8_4plusIjEEEE10hipError_tPvRmT1_T2_T3_mT4_P12ihipStream_tbEUlT_E0_NS1_11comp_targetILNS1_3genE8ELNS1_11target_archE1030ELNS1_3gpuE2ELNS1_3repE0EEENS1_30default_config_static_selectorELNS0_4arch9wavefront6targetE1EEEvSK_ ; -- Begin function _ZN7rocprim17ROCPRIM_400000_NS6detail17trampoline_kernelINS0_14default_configENS1_22reduce_config_selectorIjEEZNS1_11reduce_implILb1ES3_N6thrust23THRUST_200600_302600_NS6detail15normal_iteratorINS8_10device_ptrIjEEEEPjjNS8_4plusIjEEEE10hipError_tPvRmT1_T2_T3_mT4_P12ihipStream_tbEUlT_E0_NS1_11comp_targetILNS1_3genE8ELNS1_11target_archE1030ELNS1_3gpuE2ELNS1_3repE0EEENS1_30default_config_static_selectorELNS0_4arch9wavefront6targetE1EEEvSK_
	.globl	_ZN7rocprim17ROCPRIM_400000_NS6detail17trampoline_kernelINS0_14default_configENS1_22reduce_config_selectorIjEEZNS1_11reduce_implILb1ES3_N6thrust23THRUST_200600_302600_NS6detail15normal_iteratorINS8_10device_ptrIjEEEEPjjNS8_4plusIjEEEE10hipError_tPvRmT1_T2_T3_mT4_P12ihipStream_tbEUlT_E0_NS1_11comp_targetILNS1_3genE8ELNS1_11target_archE1030ELNS1_3gpuE2ELNS1_3repE0EEENS1_30default_config_static_selectorELNS0_4arch9wavefront6targetE1EEEvSK_
	.p2align	8
	.type	_ZN7rocprim17ROCPRIM_400000_NS6detail17trampoline_kernelINS0_14default_configENS1_22reduce_config_selectorIjEEZNS1_11reduce_implILb1ES3_N6thrust23THRUST_200600_302600_NS6detail15normal_iteratorINS8_10device_ptrIjEEEEPjjNS8_4plusIjEEEE10hipError_tPvRmT1_T2_T3_mT4_P12ihipStream_tbEUlT_E0_NS1_11comp_targetILNS1_3genE8ELNS1_11target_archE1030ELNS1_3gpuE2ELNS1_3repE0EEENS1_30default_config_static_selectorELNS0_4arch9wavefront6targetE1EEEvSK_,@function
_ZN7rocprim17ROCPRIM_400000_NS6detail17trampoline_kernelINS0_14default_configENS1_22reduce_config_selectorIjEEZNS1_11reduce_implILb1ES3_N6thrust23THRUST_200600_302600_NS6detail15normal_iteratorINS8_10device_ptrIjEEEEPjjNS8_4plusIjEEEE10hipError_tPvRmT1_T2_T3_mT4_P12ihipStream_tbEUlT_E0_NS1_11comp_targetILNS1_3genE8ELNS1_11target_archE1030ELNS1_3gpuE2ELNS1_3repE0EEENS1_30default_config_static_selectorELNS0_4arch9wavefront6targetE1EEEvSK_: ; @_ZN7rocprim17ROCPRIM_400000_NS6detail17trampoline_kernelINS0_14default_configENS1_22reduce_config_selectorIjEEZNS1_11reduce_implILb1ES3_N6thrust23THRUST_200600_302600_NS6detail15normal_iteratorINS8_10device_ptrIjEEEEPjjNS8_4plusIjEEEE10hipError_tPvRmT1_T2_T3_mT4_P12ihipStream_tbEUlT_E0_NS1_11comp_targetILNS1_3genE8ELNS1_11target_archE1030ELNS1_3gpuE2ELNS1_3repE0EEENS1_30default_config_static_selectorELNS0_4arch9wavefront6targetE1EEEvSK_
; %bb.0:
	.section	.rodata,"a",@progbits
	.p2align	6, 0x0
	.amdhsa_kernel _ZN7rocprim17ROCPRIM_400000_NS6detail17trampoline_kernelINS0_14default_configENS1_22reduce_config_selectorIjEEZNS1_11reduce_implILb1ES3_N6thrust23THRUST_200600_302600_NS6detail15normal_iteratorINS8_10device_ptrIjEEEEPjjNS8_4plusIjEEEE10hipError_tPvRmT1_T2_T3_mT4_P12ihipStream_tbEUlT_E0_NS1_11comp_targetILNS1_3genE8ELNS1_11target_archE1030ELNS1_3gpuE2ELNS1_3repE0EEENS1_30default_config_static_selectorELNS0_4arch9wavefront6targetE1EEEvSK_
		.amdhsa_group_segment_fixed_size 0
		.amdhsa_private_segment_fixed_size 0
		.amdhsa_kernarg_size 56
		.amdhsa_user_sgpr_count 2
		.amdhsa_user_sgpr_dispatch_ptr 0
		.amdhsa_user_sgpr_queue_ptr 0
		.amdhsa_user_sgpr_kernarg_segment_ptr 1
		.amdhsa_user_sgpr_dispatch_id 0
		.amdhsa_user_sgpr_kernarg_preload_length 0
		.amdhsa_user_sgpr_kernarg_preload_offset 0
		.amdhsa_user_sgpr_private_segment_size 0
		.amdhsa_uses_dynamic_stack 0
		.amdhsa_enable_private_segment 0
		.amdhsa_system_sgpr_workgroup_id_x 1
		.amdhsa_system_sgpr_workgroup_id_y 0
		.amdhsa_system_sgpr_workgroup_id_z 0
		.amdhsa_system_sgpr_workgroup_info 0
		.amdhsa_system_vgpr_workitem_id 0
		.amdhsa_next_free_vgpr 1
		.amdhsa_next_free_sgpr 0
		.amdhsa_accum_offset 4
		.amdhsa_reserve_vcc 0
		.amdhsa_float_round_mode_32 0
		.amdhsa_float_round_mode_16_64 0
		.amdhsa_float_denorm_mode_32 3
		.amdhsa_float_denorm_mode_16_64 3
		.amdhsa_dx10_clamp 1
		.amdhsa_ieee_mode 1
		.amdhsa_fp16_overflow 0
		.amdhsa_tg_split 0
		.amdhsa_exception_fp_ieee_invalid_op 0
		.amdhsa_exception_fp_denorm_src 0
		.amdhsa_exception_fp_ieee_div_zero 0
		.amdhsa_exception_fp_ieee_overflow 0
		.amdhsa_exception_fp_ieee_underflow 0
		.amdhsa_exception_fp_ieee_inexact 0
		.amdhsa_exception_int_div_zero 0
	.end_amdhsa_kernel
	.section	.text._ZN7rocprim17ROCPRIM_400000_NS6detail17trampoline_kernelINS0_14default_configENS1_22reduce_config_selectorIjEEZNS1_11reduce_implILb1ES3_N6thrust23THRUST_200600_302600_NS6detail15normal_iteratorINS8_10device_ptrIjEEEEPjjNS8_4plusIjEEEE10hipError_tPvRmT1_T2_T3_mT4_P12ihipStream_tbEUlT_E0_NS1_11comp_targetILNS1_3genE8ELNS1_11target_archE1030ELNS1_3gpuE2ELNS1_3repE0EEENS1_30default_config_static_selectorELNS0_4arch9wavefront6targetE1EEEvSK_,"axG",@progbits,_ZN7rocprim17ROCPRIM_400000_NS6detail17trampoline_kernelINS0_14default_configENS1_22reduce_config_selectorIjEEZNS1_11reduce_implILb1ES3_N6thrust23THRUST_200600_302600_NS6detail15normal_iteratorINS8_10device_ptrIjEEEEPjjNS8_4plusIjEEEE10hipError_tPvRmT1_T2_T3_mT4_P12ihipStream_tbEUlT_E0_NS1_11comp_targetILNS1_3genE8ELNS1_11target_archE1030ELNS1_3gpuE2ELNS1_3repE0EEENS1_30default_config_static_selectorELNS0_4arch9wavefront6targetE1EEEvSK_,comdat
.Lfunc_end139:
	.size	_ZN7rocprim17ROCPRIM_400000_NS6detail17trampoline_kernelINS0_14default_configENS1_22reduce_config_selectorIjEEZNS1_11reduce_implILb1ES3_N6thrust23THRUST_200600_302600_NS6detail15normal_iteratorINS8_10device_ptrIjEEEEPjjNS8_4plusIjEEEE10hipError_tPvRmT1_T2_T3_mT4_P12ihipStream_tbEUlT_E0_NS1_11comp_targetILNS1_3genE8ELNS1_11target_archE1030ELNS1_3gpuE2ELNS1_3repE0EEENS1_30default_config_static_selectorELNS0_4arch9wavefront6targetE1EEEvSK_, .Lfunc_end139-_ZN7rocprim17ROCPRIM_400000_NS6detail17trampoline_kernelINS0_14default_configENS1_22reduce_config_selectorIjEEZNS1_11reduce_implILb1ES3_N6thrust23THRUST_200600_302600_NS6detail15normal_iteratorINS8_10device_ptrIjEEEEPjjNS8_4plusIjEEEE10hipError_tPvRmT1_T2_T3_mT4_P12ihipStream_tbEUlT_E0_NS1_11comp_targetILNS1_3genE8ELNS1_11target_archE1030ELNS1_3gpuE2ELNS1_3repE0EEENS1_30default_config_static_selectorELNS0_4arch9wavefront6targetE1EEEvSK_
                                        ; -- End function
	.set _ZN7rocprim17ROCPRIM_400000_NS6detail17trampoline_kernelINS0_14default_configENS1_22reduce_config_selectorIjEEZNS1_11reduce_implILb1ES3_N6thrust23THRUST_200600_302600_NS6detail15normal_iteratorINS8_10device_ptrIjEEEEPjjNS8_4plusIjEEEE10hipError_tPvRmT1_T2_T3_mT4_P12ihipStream_tbEUlT_E0_NS1_11comp_targetILNS1_3genE8ELNS1_11target_archE1030ELNS1_3gpuE2ELNS1_3repE0EEENS1_30default_config_static_selectorELNS0_4arch9wavefront6targetE1EEEvSK_.num_vgpr, 0
	.set _ZN7rocprim17ROCPRIM_400000_NS6detail17trampoline_kernelINS0_14default_configENS1_22reduce_config_selectorIjEEZNS1_11reduce_implILb1ES3_N6thrust23THRUST_200600_302600_NS6detail15normal_iteratorINS8_10device_ptrIjEEEEPjjNS8_4plusIjEEEE10hipError_tPvRmT1_T2_T3_mT4_P12ihipStream_tbEUlT_E0_NS1_11comp_targetILNS1_3genE8ELNS1_11target_archE1030ELNS1_3gpuE2ELNS1_3repE0EEENS1_30default_config_static_selectorELNS0_4arch9wavefront6targetE1EEEvSK_.num_agpr, 0
	.set _ZN7rocprim17ROCPRIM_400000_NS6detail17trampoline_kernelINS0_14default_configENS1_22reduce_config_selectorIjEEZNS1_11reduce_implILb1ES3_N6thrust23THRUST_200600_302600_NS6detail15normal_iteratorINS8_10device_ptrIjEEEEPjjNS8_4plusIjEEEE10hipError_tPvRmT1_T2_T3_mT4_P12ihipStream_tbEUlT_E0_NS1_11comp_targetILNS1_3genE8ELNS1_11target_archE1030ELNS1_3gpuE2ELNS1_3repE0EEENS1_30default_config_static_selectorELNS0_4arch9wavefront6targetE1EEEvSK_.numbered_sgpr, 0
	.set _ZN7rocprim17ROCPRIM_400000_NS6detail17trampoline_kernelINS0_14default_configENS1_22reduce_config_selectorIjEEZNS1_11reduce_implILb1ES3_N6thrust23THRUST_200600_302600_NS6detail15normal_iteratorINS8_10device_ptrIjEEEEPjjNS8_4plusIjEEEE10hipError_tPvRmT1_T2_T3_mT4_P12ihipStream_tbEUlT_E0_NS1_11comp_targetILNS1_3genE8ELNS1_11target_archE1030ELNS1_3gpuE2ELNS1_3repE0EEENS1_30default_config_static_selectorELNS0_4arch9wavefront6targetE1EEEvSK_.num_named_barrier, 0
	.set _ZN7rocprim17ROCPRIM_400000_NS6detail17trampoline_kernelINS0_14default_configENS1_22reduce_config_selectorIjEEZNS1_11reduce_implILb1ES3_N6thrust23THRUST_200600_302600_NS6detail15normal_iteratorINS8_10device_ptrIjEEEEPjjNS8_4plusIjEEEE10hipError_tPvRmT1_T2_T3_mT4_P12ihipStream_tbEUlT_E0_NS1_11comp_targetILNS1_3genE8ELNS1_11target_archE1030ELNS1_3gpuE2ELNS1_3repE0EEENS1_30default_config_static_selectorELNS0_4arch9wavefront6targetE1EEEvSK_.private_seg_size, 0
	.set _ZN7rocprim17ROCPRIM_400000_NS6detail17trampoline_kernelINS0_14default_configENS1_22reduce_config_selectorIjEEZNS1_11reduce_implILb1ES3_N6thrust23THRUST_200600_302600_NS6detail15normal_iteratorINS8_10device_ptrIjEEEEPjjNS8_4plusIjEEEE10hipError_tPvRmT1_T2_T3_mT4_P12ihipStream_tbEUlT_E0_NS1_11comp_targetILNS1_3genE8ELNS1_11target_archE1030ELNS1_3gpuE2ELNS1_3repE0EEENS1_30default_config_static_selectorELNS0_4arch9wavefront6targetE1EEEvSK_.uses_vcc, 0
	.set _ZN7rocprim17ROCPRIM_400000_NS6detail17trampoline_kernelINS0_14default_configENS1_22reduce_config_selectorIjEEZNS1_11reduce_implILb1ES3_N6thrust23THRUST_200600_302600_NS6detail15normal_iteratorINS8_10device_ptrIjEEEEPjjNS8_4plusIjEEEE10hipError_tPvRmT1_T2_T3_mT4_P12ihipStream_tbEUlT_E0_NS1_11comp_targetILNS1_3genE8ELNS1_11target_archE1030ELNS1_3gpuE2ELNS1_3repE0EEENS1_30default_config_static_selectorELNS0_4arch9wavefront6targetE1EEEvSK_.uses_flat_scratch, 0
	.set _ZN7rocprim17ROCPRIM_400000_NS6detail17trampoline_kernelINS0_14default_configENS1_22reduce_config_selectorIjEEZNS1_11reduce_implILb1ES3_N6thrust23THRUST_200600_302600_NS6detail15normal_iteratorINS8_10device_ptrIjEEEEPjjNS8_4plusIjEEEE10hipError_tPvRmT1_T2_T3_mT4_P12ihipStream_tbEUlT_E0_NS1_11comp_targetILNS1_3genE8ELNS1_11target_archE1030ELNS1_3gpuE2ELNS1_3repE0EEENS1_30default_config_static_selectorELNS0_4arch9wavefront6targetE1EEEvSK_.has_dyn_sized_stack, 0
	.set _ZN7rocprim17ROCPRIM_400000_NS6detail17trampoline_kernelINS0_14default_configENS1_22reduce_config_selectorIjEEZNS1_11reduce_implILb1ES3_N6thrust23THRUST_200600_302600_NS6detail15normal_iteratorINS8_10device_ptrIjEEEEPjjNS8_4plusIjEEEE10hipError_tPvRmT1_T2_T3_mT4_P12ihipStream_tbEUlT_E0_NS1_11comp_targetILNS1_3genE8ELNS1_11target_archE1030ELNS1_3gpuE2ELNS1_3repE0EEENS1_30default_config_static_selectorELNS0_4arch9wavefront6targetE1EEEvSK_.has_recursion, 0
	.set _ZN7rocprim17ROCPRIM_400000_NS6detail17trampoline_kernelINS0_14default_configENS1_22reduce_config_selectorIjEEZNS1_11reduce_implILb1ES3_N6thrust23THRUST_200600_302600_NS6detail15normal_iteratorINS8_10device_ptrIjEEEEPjjNS8_4plusIjEEEE10hipError_tPvRmT1_T2_T3_mT4_P12ihipStream_tbEUlT_E0_NS1_11comp_targetILNS1_3genE8ELNS1_11target_archE1030ELNS1_3gpuE2ELNS1_3repE0EEENS1_30default_config_static_selectorELNS0_4arch9wavefront6targetE1EEEvSK_.has_indirect_call, 0
	.section	.AMDGPU.csdata,"",@progbits
; Kernel info:
; codeLenInByte = 0
; TotalNumSgprs: 6
; NumVgprs: 0
; NumAgprs: 0
; TotalNumVgprs: 0
; ScratchSize: 0
; MemoryBound: 0
; FloatMode: 240
; IeeeMode: 1
; LDSByteSize: 0 bytes/workgroup (compile time only)
; SGPRBlocks: 0
; VGPRBlocks: 0
; NumSGPRsForWavesPerEU: 6
; NumVGPRsForWavesPerEU: 1
; AccumOffset: 4
; Occupancy: 8
; WaveLimiterHint : 0
; COMPUTE_PGM_RSRC2:SCRATCH_EN: 0
; COMPUTE_PGM_RSRC2:USER_SGPR: 2
; COMPUTE_PGM_RSRC2:TRAP_HANDLER: 0
; COMPUTE_PGM_RSRC2:TGID_X_EN: 1
; COMPUTE_PGM_RSRC2:TGID_Y_EN: 0
; COMPUTE_PGM_RSRC2:TGID_Z_EN: 0
; COMPUTE_PGM_RSRC2:TIDIG_COMP_CNT: 0
; COMPUTE_PGM_RSRC3_GFX90A:ACCUM_OFFSET: 0
; COMPUTE_PGM_RSRC3_GFX90A:TG_SPLIT: 0
	.section	.text._ZN7rocprim17ROCPRIM_400000_NS6detail17trampoline_kernelINS0_14default_configENS1_22reduce_config_selectorIjEEZNS1_11reduce_implILb1ES3_N6thrust23THRUST_200600_302600_NS6detail15normal_iteratorINS8_10device_ptrIjEEEEPjjNS8_4plusIjEEEE10hipError_tPvRmT1_T2_T3_mT4_P12ihipStream_tbEUlT_E1_NS1_11comp_targetILNS1_3genE0ELNS1_11target_archE4294967295ELNS1_3gpuE0ELNS1_3repE0EEENS1_30default_config_static_selectorELNS0_4arch9wavefront6targetE1EEEvSK_,"axG",@progbits,_ZN7rocprim17ROCPRIM_400000_NS6detail17trampoline_kernelINS0_14default_configENS1_22reduce_config_selectorIjEEZNS1_11reduce_implILb1ES3_N6thrust23THRUST_200600_302600_NS6detail15normal_iteratorINS8_10device_ptrIjEEEEPjjNS8_4plusIjEEEE10hipError_tPvRmT1_T2_T3_mT4_P12ihipStream_tbEUlT_E1_NS1_11comp_targetILNS1_3genE0ELNS1_11target_archE4294967295ELNS1_3gpuE0ELNS1_3repE0EEENS1_30default_config_static_selectorELNS0_4arch9wavefront6targetE1EEEvSK_,comdat
	.protected	_ZN7rocprim17ROCPRIM_400000_NS6detail17trampoline_kernelINS0_14default_configENS1_22reduce_config_selectorIjEEZNS1_11reduce_implILb1ES3_N6thrust23THRUST_200600_302600_NS6detail15normal_iteratorINS8_10device_ptrIjEEEEPjjNS8_4plusIjEEEE10hipError_tPvRmT1_T2_T3_mT4_P12ihipStream_tbEUlT_E1_NS1_11comp_targetILNS1_3genE0ELNS1_11target_archE4294967295ELNS1_3gpuE0ELNS1_3repE0EEENS1_30default_config_static_selectorELNS0_4arch9wavefront6targetE1EEEvSK_ ; -- Begin function _ZN7rocprim17ROCPRIM_400000_NS6detail17trampoline_kernelINS0_14default_configENS1_22reduce_config_selectorIjEEZNS1_11reduce_implILb1ES3_N6thrust23THRUST_200600_302600_NS6detail15normal_iteratorINS8_10device_ptrIjEEEEPjjNS8_4plusIjEEEE10hipError_tPvRmT1_T2_T3_mT4_P12ihipStream_tbEUlT_E1_NS1_11comp_targetILNS1_3genE0ELNS1_11target_archE4294967295ELNS1_3gpuE0ELNS1_3repE0EEENS1_30default_config_static_selectorELNS0_4arch9wavefront6targetE1EEEvSK_
	.globl	_ZN7rocprim17ROCPRIM_400000_NS6detail17trampoline_kernelINS0_14default_configENS1_22reduce_config_selectorIjEEZNS1_11reduce_implILb1ES3_N6thrust23THRUST_200600_302600_NS6detail15normal_iteratorINS8_10device_ptrIjEEEEPjjNS8_4plusIjEEEE10hipError_tPvRmT1_T2_T3_mT4_P12ihipStream_tbEUlT_E1_NS1_11comp_targetILNS1_3genE0ELNS1_11target_archE4294967295ELNS1_3gpuE0ELNS1_3repE0EEENS1_30default_config_static_selectorELNS0_4arch9wavefront6targetE1EEEvSK_
	.p2align	8
	.type	_ZN7rocprim17ROCPRIM_400000_NS6detail17trampoline_kernelINS0_14default_configENS1_22reduce_config_selectorIjEEZNS1_11reduce_implILb1ES3_N6thrust23THRUST_200600_302600_NS6detail15normal_iteratorINS8_10device_ptrIjEEEEPjjNS8_4plusIjEEEE10hipError_tPvRmT1_T2_T3_mT4_P12ihipStream_tbEUlT_E1_NS1_11comp_targetILNS1_3genE0ELNS1_11target_archE4294967295ELNS1_3gpuE0ELNS1_3repE0EEENS1_30default_config_static_selectorELNS0_4arch9wavefront6targetE1EEEvSK_,@function
_ZN7rocprim17ROCPRIM_400000_NS6detail17trampoline_kernelINS0_14default_configENS1_22reduce_config_selectorIjEEZNS1_11reduce_implILb1ES3_N6thrust23THRUST_200600_302600_NS6detail15normal_iteratorINS8_10device_ptrIjEEEEPjjNS8_4plusIjEEEE10hipError_tPvRmT1_T2_T3_mT4_P12ihipStream_tbEUlT_E1_NS1_11comp_targetILNS1_3genE0ELNS1_11target_archE4294967295ELNS1_3gpuE0ELNS1_3repE0EEENS1_30default_config_static_selectorELNS0_4arch9wavefront6targetE1EEEvSK_: ; @_ZN7rocprim17ROCPRIM_400000_NS6detail17trampoline_kernelINS0_14default_configENS1_22reduce_config_selectorIjEEZNS1_11reduce_implILb1ES3_N6thrust23THRUST_200600_302600_NS6detail15normal_iteratorINS8_10device_ptrIjEEEEPjjNS8_4plusIjEEEE10hipError_tPvRmT1_T2_T3_mT4_P12ihipStream_tbEUlT_E1_NS1_11comp_targetILNS1_3genE0ELNS1_11target_archE4294967295ELNS1_3gpuE0ELNS1_3repE0EEENS1_30default_config_static_selectorELNS0_4arch9wavefront6targetE1EEEvSK_
; %bb.0:
	s_load_dword s33, s[0:1], 0x4
	s_load_dwordx4 s[68:71], s[0:1], 0x8
	s_waitcnt lgkmcnt(0)
	s_cmp_lt_i32 s33, 8
	s_cbranch_scc1 .LBB140_11
; %bb.1:
	s_cmp_gt_i32 s33, 15
	s_cbranch_scc0 .LBB140_12
; %bb.2:
	s_cmp_gt_i32 s33, 31
	s_cbranch_scc0 .LBB140_13
; %bb.3:
	s_cmp_eq_u32 s33, 32
	s_mov_b64 s[66:67], 0
	s_cbranch_scc0 .LBB140_14
; %bb.4:
	s_mov_b32 s3, 0
	s_lshl_b32 s4, s2, 13
	s_mov_b32 s5, s3
	s_lshr_b64 s[6:7], s[70:71], 13
	s_lshl_b64 s[8:9], s[4:5], 2
	s_add_u32 s72, s68, s8
	s_addc_u32 s73, s69, s9
	s_cmp_lg_u64 s[6:7], s[2:3]
	s_cbranch_scc0 .LBB140_23
; %bb.5:
	v_lshlrev_b32_e32 v2, 2, v0
	v_mov_b32_e32 v3, 0
	v_lshl_add_u64 v[4:5], s[72:73], 0, v[2:3]
	global_load_dword v1, v2, s[72:73]
	global_load_dword v8, v2, s[72:73] offset:1024
	global_load_dword v9, v2, s[72:73] offset:2048
	;; [unrolled: 1-line block ×3, first 2 shown]
	v_add_co_u32_e32 v2, vcc, 0x1000, v4
	s_waitcnt vmcnt(2)
	v_add_u32_e32 v1, v8, v1
	v_addc_co_u32_e32 v3, vcc, 0, v5, vcc
	v_add_co_u32_e32 v6, vcc, 0x2000, v4
	s_waitcnt vmcnt(0)
	v_add3_u32 v1, v1, v9, v10
	v_addc_co_u32_e32 v7, vcc, 0, v5, vcc
	global_load_dword v11, v[2:3], off
	global_load_dword v12, v[2:3], off offset:1024
	global_load_dword v13, v[2:3], off offset:2048
	global_load_dword v14, v[2:3], off offset:3072
	global_load_dword v15, v[6:7], off
	global_load_dword v16, v[6:7], off offset:1024
	global_load_dword v17, v[6:7], off offset:2048
	global_load_dword v18, v[6:7], off offset:3072
	v_add_co_u32_e32 v2, vcc, 0x3000, v4
	s_waitcnt vmcnt(6)
	v_add3_u32 v1, v1, v11, v12
	v_addc_co_u32_e32 v3, vcc, 0, v5, vcc
	v_add_co_u32_e32 v6, vcc, 0x4000, v4
	s_waitcnt vmcnt(4)
	v_add3_u32 v1, v1, v13, v14
	v_addc_co_u32_e32 v7, vcc, 0, v5, vcc
	global_load_dword v19, v[2:3], off
	global_load_dword v20, v[2:3], off offset:1024
	global_load_dword v21, v[2:3], off offset:2048
	global_load_dword v22, v[2:3], off offset:3072
	global_load_dword v23, v[6:7], off
	global_load_dword v24, v[6:7], off offset:1024
	global_load_dword v25, v[6:7], off offset:2048
	global_load_dword v26, v[6:7], off offset:3072
	v_add_co_u32_e32 v2, vcc, 0x5000, v4
	s_waitcnt vmcnt(10)
	v_add3_u32 v1, v1, v15, v16
	;; [unrolled: 16-line block ×3, first 2 shown]
	v_addc_co_u32_e32 v3, vcc, 0, v5, vcc
	global_load_dword v4, v[2:3], off
	global_load_dword v5, v[2:3], off offset:1024
	global_load_dword v6, v[2:3], off offset:2048
	;; [unrolled: 1-line block ×3, first 2 shown]
	s_waitcnt vmcnt(16)
	v_add3_u32 v1, v1, v21, v22
	s_waitcnt vmcnt(14)
	v_add3_u32 v1, v1, v23, v24
	;; [unrolled: 2-line block ×3, first 2 shown]
	v_mbcnt_lo_u32_b32 v2, -1, 0
	v_mbcnt_hi_u32_b32 v2, -1, v2
	v_lshlrev_b32_e32 v3, 2, v2
	v_cmp_eq_u32_e32 vcc, 0, v2
	s_waitcnt vmcnt(10)
	v_add3_u32 v1, v1, v27, v28
	s_waitcnt vmcnt(8)
	v_add3_u32 v1, v1, v29, v30
	s_waitcnt vmcnt(6)
	v_add3_u32 v1, v1, v31, v32
	s_waitcnt vmcnt(4)
	v_add3_u32 v1, v1, v33, v34
	s_waitcnt vmcnt(2)
	v_add3_u32 v1, v1, v4, v5
	v_or_b32_e32 v4, 0xfc, v3
	s_waitcnt vmcnt(0)
	v_add3_u32 v1, v1, v6, v7
	s_nop 1
	v_add_u32_dpp v1, v1, v1 quad_perm:[1,0,3,2] row_mask:0xf bank_mask:0xf bound_ctrl:1
	s_nop 1
	v_add_u32_dpp v1, v1, v1 quad_perm:[2,3,0,1] row_mask:0xf bank_mask:0xf bound_ctrl:1
	s_nop 1
	v_add_u32_dpp v1, v1, v1 row_ror:4 row_mask:0xf bank_mask:0xf bound_ctrl:1
	s_nop 1
	v_add_u32_dpp v1, v1, v1 row_ror:8 row_mask:0xf bank_mask:0xf bound_ctrl:1
	s_nop 1
	v_add_u32_dpp v1, v1, v1 row_bcast:15 row_mask:0xf bank_mask:0xf bound_ctrl:1
	s_nop 1
	v_add_u32_dpp v1, v1, v1 row_bcast:31 row_mask:0xf bank_mask:0xf bound_ctrl:1
	ds_bpermute_b32 v1, v4, v1
	s_and_saveexec_b64 s[6:7], vcc
	s_cbranch_execz .LBB140_7
; %bb.6:
	v_lshrrev_b32_e32 v4, 4, v0
	v_and_b32_e32 v4, 12, v4
	s_waitcnt lgkmcnt(0)
	ds_write_b32 v4, v1 offset:48
.LBB140_7:
	s_or_b64 exec, exec, s[6:7]
	v_cmp_gt_u32_e32 vcc, 64, v0
	s_waitcnt lgkmcnt(0)
	s_barrier
	s_and_saveexec_b64 s[6:7], vcc
	s_cbranch_execz .LBB140_9
; %bb.8:
	v_and_b32_e32 v1, 3, v2
	v_lshlrev_b32_e32 v4, 2, v1
	ds_read_b32 v4, v4 offset:48
	v_cmp_ne_u32_e32 vcc, 3, v1
	s_nop 1
	v_addc_co_u32_e32 v1, vcc, 0, v2, vcc
	v_lshlrev_b32_e32 v1, 2, v1
	s_waitcnt lgkmcnt(0)
	ds_bpermute_b32 v1, v1, v4
	v_or_b32_e32 v2, 8, v3
	s_waitcnt lgkmcnt(0)
	v_add_u32_e32 v1, v1, v4
	ds_bpermute_b32 v2, v2, v1
	s_waitcnt lgkmcnt(0)
	v_add_u32_e32 v1, v2, v1
.LBB140_9:
	s_or_b64 exec, exec, s[6:7]
.LBB140_10:
	v_cmp_eq_u32_e64 s[4:5], 0, v0
	s_and_b64 vcc, exec, s[66:67]
	s_cbranch_vccnz .LBB140_15
	s_branch .LBB140_93
.LBB140_11:
	s_mov_b64 s[4:5], 0
                                        ; implicit-def: $vgpr1
	s_cbranch_execnz .LBB140_166
	s_branch .LBB140_224
.LBB140_12:
	s_mov_b64 s[4:5], 0
                                        ; implicit-def: $vgpr1
	s_cbranch_execnz .LBB140_134
	s_branch .LBB140_142
.LBB140_13:
	s_mov_b64 s[66:67], -1
.LBB140_14:
	s_mov_b64 s[4:5], 0
                                        ; implicit-def: $vgpr1
	s_and_b64 vcc, exec, s[66:67]
	s_cbranch_vccz .LBB140_93
.LBB140_15:
	s_cmp_eq_u32 s33, 16
	s_cbranch_scc0 .LBB140_22
; %bb.16:
	s_mov_b32 s3, 0
	s_lshl_b32 s4, s2, 12
	s_mov_b32 s5, s3
	s_lshr_b64 s[6:7], s[70:71], 12
	s_lshl_b64 s[8:9], s[4:5], 2
	s_add_u32 s34, s68, s8
	s_addc_u32 s35, s69, s9
	s_cmp_lg_u64 s[6:7], s[2:3]
	s_cbranch_scc0 .LBB140_94
; %bb.17:
	v_lshlrev_b32_e32 v2, 2, v0
	v_mov_b32_e32 v3, 0
	v_lshl_add_u64 v[4:5], s[34:35], 0, v[2:3]
	global_load_dword v1, v2, s[34:35]
	global_load_dword v8, v2, s[34:35] offset:1024
	global_load_dword v9, v2, s[34:35] offset:2048
	;; [unrolled: 1-line block ×3, first 2 shown]
	v_add_co_u32_e32 v2, vcc, 0x1000, v4
	s_waitcnt vmcnt(2)
	v_add_u32_e32 v1, v8, v1
	v_addc_co_u32_e32 v3, vcc, 0, v5, vcc
	v_add_co_u32_e32 v6, vcc, 0x2000, v4
	s_waitcnt vmcnt(0)
	v_add3_u32 v1, v1, v9, v10
	v_addc_co_u32_e32 v7, vcc, 0, v5, vcc
	global_load_dword v11, v[2:3], off
	global_load_dword v12, v[2:3], off offset:1024
	global_load_dword v13, v[2:3], off offset:2048
	;; [unrolled: 1-line block ×3, first 2 shown]
	global_load_dword v15, v[6:7], off
	global_load_dword v16, v[6:7], off offset:1024
	global_load_dword v17, v[6:7], off offset:2048
	;; [unrolled: 1-line block ×3, first 2 shown]
	v_add_co_u32_e32 v2, vcc, 0x3000, v4
	s_waitcnt vmcnt(6)
	v_add3_u32 v1, v1, v11, v12
	v_addc_co_u32_e32 v3, vcc, 0, v5, vcc
	global_load_dword v4, v[2:3], off
	global_load_dword v5, v[2:3], off offset:1024
	global_load_dword v6, v[2:3], off offset:2048
	;; [unrolled: 1-line block ×3, first 2 shown]
	s_waitcnt vmcnt(8)
	v_add3_u32 v1, v1, v13, v14
	s_waitcnt vmcnt(6)
	v_add3_u32 v1, v1, v15, v16
	;; [unrolled: 2-line block ×3, first 2 shown]
	v_mbcnt_lo_u32_b32 v2, -1, 0
	v_mbcnt_hi_u32_b32 v2, -1, v2
	v_lshlrev_b32_e32 v3, 2, v2
	v_cmp_eq_u32_e32 vcc, 0, v2
	s_waitcnt vmcnt(2)
	v_add3_u32 v1, v1, v4, v5
	v_or_b32_e32 v4, 0xfc, v3
	s_waitcnt vmcnt(0)
	v_add3_u32 v1, v1, v6, v7
	s_nop 1
	v_add_u32_dpp v1, v1, v1 quad_perm:[1,0,3,2] row_mask:0xf bank_mask:0xf bound_ctrl:1
	s_nop 1
	v_add_u32_dpp v1, v1, v1 quad_perm:[2,3,0,1] row_mask:0xf bank_mask:0xf bound_ctrl:1
	s_nop 1
	v_add_u32_dpp v1, v1, v1 row_ror:4 row_mask:0xf bank_mask:0xf bound_ctrl:1
	s_nop 1
	v_add_u32_dpp v1, v1, v1 row_ror:8 row_mask:0xf bank_mask:0xf bound_ctrl:1
	s_nop 1
	v_add_u32_dpp v1, v1, v1 row_bcast:15 row_mask:0xf bank_mask:0xf bound_ctrl:1
	s_nop 1
	v_add_u32_dpp v1, v1, v1 row_bcast:31 row_mask:0xf bank_mask:0xf bound_ctrl:1
	ds_bpermute_b32 v1, v4, v1
	s_and_saveexec_b64 s[6:7], vcc
	s_cbranch_execz .LBB140_19
; %bb.18:
	v_lshrrev_b32_e32 v4, 4, v0
	v_and_b32_e32 v4, 12, v4
	s_waitcnt lgkmcnt(0)
	ds_write_b32 v4, v1
.LBB140_19:
	s_or_b64 exec, exec, s[6:7]
	v_cmp_gt_u32_e32 vcc, 64, v0
	s_waitcnt lgkmcnt(0)
	s_barrier
	s_and_saveexec_b64 s[6:7], vcc
	s_cbranch_execz .LBB140_21
; %bb.20:
	v_and_b32_e32 v1, 3, v2
	v_lshlrev_b32_e32 v4, 2, v1
	ds_read_b32 v4, v4
	v_cmp_ne_u32_e32 vcc, 3, v1
	s_nop 1
	v_addc_co_u32_e32 v1, vcc, 0, v2, vcc
	v_lshlrev_b32_e32 v1, 2, v1
	s_waitcnt lgkmcnt(0)
	ds_bpermute_b32 v1, v1, v4
	v_or_b32_e32 v2, 8, v3
	s_waitcnt lgkmcnt(0)
	v_add_u32_e32 v1, v1, v4
	ds_bpermute_b32 v2, v2, v1
	s_waitcnt lgkmcnt(0)
	v_add_u32_e32 v1, v2, v1
.LBB140_21:
	s_or_b64 exec, exec, s[6:7]
	s_mov_b64 s[6:7], 0
	s_branch .LBB140_95
.LBB140_22:
                                        ; implicit-def: $vgpr1
	s_branch .LBB140_142
.LBB140_23:
                                        ; implicit-def: $vgpr1
	s_cbranch_execz .LBB140_10
; %bb.24:
	s_sub_i32 s76, s70, s4
	v_mov_b32_e32 v2, 0
	v_cmp_gt_u32_e32 vcc, s76, v0
	v_mov_b32_e32 v3, v2
	v_mov_b32_e32 v4, v2
	;; [unrolled: 1-line block ×31, first 2 shown]
	s_and_saveexec_b64 s[4:5], vcc
	s_cbranch_execz .LBB140_26
; %bb.25:
	v_lshlrev_b32_e32 v1, 2, v0
	global_load_dword v4, v1, s[72:73]
	v_mov_b32_e32 v5, v2
	v_mov_b32_e32 v6, v2
	v_mov_b32_e32 v7, v2
	v_mov_b32_e32 v8, v2
	v_mov_b32_e32 v9, v2
	v_mov_b32_e32 v10, v2
	v_mov_b32_e32 v11, v2
	v_mov_b32_e32 v12, v2
	v_mov_b32_e32 v13, v2
	v_mov_b32_e32 v14, v2
	v_mov_b32_e32 v15, v2
	v_mov_b32_e32 v16, v2
	v_mov_b32_e32 v17, v2
	v_mov_b32_e32 v18, v2
	v_mov_b32_e32 v19, v2
	v_mov_b32_e32 v20, v2
	v_mov_b32_e32 v21, v2
	v_mov_b32_e32 v22, v2
	v_mov_b32_e32 v23, v2
	v_mov_b32_e32 v24, v2
	v_mov_b32_e32 v25, v2
	v_mov_b32_e32 v26, v2
	v_mov_b32_e32 v27, v2
	v_mov_b32_e32 v28, v2
	v_mov_b32_e32 v29, v2
	v_mov_b32_e32 v30, v2
	v_mov_b32_e32 v31, v2
	v_mov_b32_e32 v32, v2
	v_mov_b32_e32 v33, v2
	v_mov_b32_e32 v34, v2
	v_mov_b32_e32 v35, v2
	s_waitcnt vmcnt(0)
	v_mov_b64_e32 v[2:3], v[4:5]
	v_mov_b64_e32 v[4:5], v[6:7]
	;; [unrolled: 1-line block ×16, first 2 shown]
.LBB140_26:
	s_or_b64 exec, exec, s[4:5]
	v_or_b32_e32 v1, 0x100, v0
	v_cmp_gt_u32_e32 vcc, s76, v1
	s_and_saveexec_b64 s[4:5], vcc
	s_cbranch_execz .LBB140_28
; %bb.27:
	v_lshlrev_b32_e32 v1, 2, v0
	global_load_dword v3, v1, s[72:73] offset:1024
.LBB140_28:
	s_or_b64 exec, exec, s[4:5]
	v_or_b32_e32 v1, 0x200, v0
	v_cmp_gt_u32_e64 s[4:5], s76, v1
	s_and_saveexec_b64 s[6:7], s[4:5]
	s_cbranch_execz .LBB140_30
; %bb.29:
	v_lshlrev_b32_e32 v1, 2, v0
	global_load_dword v4, v1, s[72:73] offset:2048
.LBB140_30:
	s_or_b64 exec, exec, s[6:7]
	v_or_b32_e32 v1, 0x300, v0
	v_cmp_gt_u32_e64 s[6:7], s76, v1
	s_and_saveexec_b64 s[8:9], s[6:7]
	;; [unrolled: 9-line block ×3, first 2 shown]
	s_cbranch_execz .LBB140_34
; %bb.33:
	v_lshlrev_b32_e32 v1, 2, v1
	global_load_dword v6, v1, s[72:73]
.LBB140_34:
	s_or_b64 exec, exec, s[10:11]
	v_or_b32_e32 v1, 0x500, v0
	v_cmp_gt_u32_e64 s[10:11], s76, v1
	s_and_saveexec_b64 s[12:13], s[10:11]
	s_cbranch_execz .LBB140_36
; %bb.35:
	v_lshlrev_b32_e32 v1, 2, v1
	global_load_dword v7, v1, s[72:73]
.LBB140_36:
	s_or_b64 exec, exec, s[12:13]
	v_or_b32_e32 v1, 0x600, v0
	v_cmp_gt_u32_e64 s[12:13], s76, v1
	s_and_saveexec_b64 s[14:15], s[12:13]
	s_cbranch_execz .LBB140_38
; %bb.37:
	v_lshlrev_b32_e32 v1, 2, v1
	global_load_dword v8, v1, s[72:73]
.LBB140_38:
	s_or_b64 exec, exec, s[14:15]
	v_or_b32_e32 v1, 0x700, v0
	v_cmp_gt_u32_e64 s[14:15], s76, v1
	s_and_saveexec_b64 s[16:17], s[14:15]
	s_cbranch_execz .LBB140_40
; %bb.39:
	v_lshlrev_b32_e32 v1, 2, v1
	global_load_dword v9, v1, s[72:73]
.LBB140_40:
	s_or_b64 exec, exec, s[16:17]
	v_or_b32_e32 v1, 0x800, v0
	v_cmp_gt_u32_e64 s[16:17], s76, v1
	s_and_saveexec_b64 s[18:19], s[16:17]
	s_cbranch_execz .LBB140_42
; %bb.41:
	v_lshlrev_b32_e32 v1, 2, v1
	global_load_dword v10, v1, s[72:73]
.LBB140_42:
	s_or_b64 exec, exec, s[18:19]
	v_or_b32_e32 v1, 0x900, v0
	v_cmp_gt_u32_e64 s[18:19], s76, v1
	s_and_saveexec_b64 s[20:21], s[18:19]
	s_cbranch_execz .LBB140_44
; %bb.43:
	v_lshlrev_b32_e32 v1, 2, v1
	global_load_dword v11, v1, s[72:73]
.LBB140_44:
	s_or_b64 exec, exec, s[20:21]
	v_or_b32_e32 v1, 0xa00, v0
	v_cmp_gt_u32_e64 s[20:21], s76, v1
	s_and_saveexec_b64 s[22:23], s[20:21]
	s_cbranch_execz .LBB140_46
; %bb.45:
	v_lshlrev_b32_e32 v1, 2, v1
	global_load_dword v12, v1, s[72:73]
.LBB140_46:
	s_or_b64 exec, exec, s[22:23]
	v_or_b32_e32 v1, 0xb00, v0
	v_cmp_gt_u32_e64 s[22:23], s76, v1
	s_and_saveexec_b64 s[24:25], s[22:23]
	s_cbranch_execz .LBB140_48
; %bb.47:
	v_lshlrev_b32_e32 v1, 2, v1
	global_load_dword v13, v1, s[72:73]
.LBB140_48:
	s_or_b64 exec, exec, s[24:25]
	v_or_b32_e32 v1, 0xc00, v0
	v_cmp_gt_u32_e64 s[24:25], s76, v1
	s_and_saveexec_b64 s[26:27], s[24:25]
	s_cbranch_execz .LBB140_50
; %bb.49:
	v_lshlrev_b32_e32 v1, 2, v1
	global_load_dword v14, v1, s[72:73]
.LBB140_50:
	s_or_b64 exec, exec, s[26:27]
	v_or_b32_e32 v1, 0xd00, v0
	v_cmp_gt_u32_e64 s[26:27], s76, v1
	s_and_saveexec_b64 s[28:29], s[26:27]
	s_cbranch_execz .LBB140_52
; %bb.51:
	v_lshlrev_b32_e32 v1, 2, v1
	global_load_dword v15, v1, s[72:73]
.LBB140_52:
	s_or_b64 exec, exec, s[28:29]
	v_or_b32_e32 v1, 0xe00, v0
	v_cmp_gt_u32_e64 s[28:29], s76, v1
	s_and_saveexec_b64 s[30:31], s[28:29]
	s_cbranch_execz .LBB140_54
; %bb.53:
	v_lshlrev_b32_e32 v1, 2, v1
	global_load_dword v16, v1, s[72:73]
.LBB140_54:
	s_or_b64 exec, exec, s[30:31]
	v_or_b32_e32 v1, 0xf00, v0
	v_cmp_gt_u32_e64 s[30:31], s76, v1
	s_and_saveexec_b64 s[34:35], s[30:31]
	s_cbranch_execz .LBB140_56
; %bb.55:
	v_lshlrev_b32_e32 v1, 2, v1
	global_load_dword v17, v1, s[72:73]
.LBB140_56:
	s_or_b64 exec, exec, s[34:35]
	v_or_b32_e32 v1, 0x1000, v0
	v_cmp_gt_u32_e64 s[34:35], s76, v1
	s_and_saveexec_b64 s[36:37], s[34:35]
	s_cbranch_execz .LBB140_58
; %bb.57:
	v_lshlrev_b32_e32 v1, 2, v1
	global_load_dword v18, v1, s[72:73]
.LBB140_58:
	s_or_b64 exec, exec, s[36:37]
	v_or_b32_e32 v1, 0x1100, v0
	v_cmp_gt_u32_e64 s[36:37], s76, v1
	s_and_saveexec_b64 s[38:39], s[36:37]
	s_cbranch_execz .LBB140_60
; %bb.59:
	v_lshlrev_b32_e32 v1, 2, v1
	global_load_dword v19, v1, s[72:73]
.LBB140_60:
	s_or_b64 exec, exec, s[38:39]
	v_or_b32_e32 v1, 0x1200, v0
	v_cmp_gt_u32_e64 s[38:39], s76, v1
	s_and_saveexec_b64 s[40:41], s[38:39]
	s_cbranch_execz .LBB140_62
; %bb.61:
	v_lshlrev_b32_e32 v1, 2, v1
	global_load_dword v20, v1, s[72:73]
.LBB140_62:
	s_or_b64 exec, exec, s[40:41]
	v_or_b32_e32 v1, 0x1300, v0
	v_cmp_gt_u32_e64 s[40:41], s76, v1
	s_and_saveexec_b64 s[42:43], s[40:41]
	s_cbranch_execz .LBB140_64
; %bb.63:
	v_lshlrev_b32_e32 v1, 2, v1
	global_load_dword v21, v1, s[72:73]
.LBB140_64:
	s_or_b64 exec, exec, s[42:43]
	v_or_b32_e32 v1, 0x1400, v0
	v_cmp_gt_u32_e64 s[42:43], s76, v1
	s_and_saveexec_b64 s[44:45], s[42:43]
	s_cbranch_execz .LBB140_66
; %bb.65:
	v_lshlrev_b32_e32 v1, 2, v1
	global_load_dword v22, v1, s[72:73]
.LBB140_66:
	s_or_b64 exec, exec, s[44:45]
	v_or_b32_e32 v1, 0x1500, v0
	v_cmp_gt_u32_e64 s[44:45], s76, v1
	s_and_saveexec_b64 s[46:47], s[44:45]
	s_cbranch_execz .LBB140_68
; %bb.67:
	v_lshlrev_b32_e32 v1, 2, v1
	global_load_dword v23, v1, s[72:73]
.LBB140_68:
	s_or_b64 exec, exec, s[46:47]
	v_or_b32_e32 v1, 0x1600, v0
	v_cmp_gt_u32_e64 s[46:47], s76, v1
	s_and_saveexec_b64 s[48:49], s[46:47]
	s_cbranch_execz .LBB140_70
; %bb.69:
	v_lshlrev_b32_e32 v1, 2, v1
	global_load_dword v24, v1, s[72:73]
.LBB140_70:
	s_or_b64 exec, exec, s[48:49]
	v_or_b32_e32 v1, 0x1700, v0
	v_cmp_gt_u32_e64 s[48:49], s76, v1
	s_and_saveexec_b64 s[50:51], s[48:49]
	s_cbranch_execz .LBB140_72
; %bb.71:
	v_lshlrev_b32_e32 v1, 2, v1
	global_load_dword v25, v1, s[72:73]
.LBB140_72:
	s_or_b64 exec, exec, s[50:51]
	v_or_b32_e32 v1, 0x1800, v0
	v_cmp_gt_u32_e64 s[50:51], s76, v1
	s_and_saveexec_b64 s[52:53], s[50:51]
	s_cbranch_execz .LBB140_74
; %bb.73:
	v_lshlrev_b32_e32 v1, 2, v1
	global_load_dword v26, v1, s[72:73]
.LBB140_74:
	s_or_b64 exec, exec, s[52:53]
	v_or_b32_e32 v1, 0x1900, v0
	v_cmp_gt_u32_e64 s[52:53], s76, v1
	s_and_saveexec_b64 s[54:55], s[52:53]
	s_cbranch_execz .LBB140_76
; %bb.75:
	v_lshlrev_b32_e32 v1, 2, v1
	global_load_dword v27, v1, s[72:73]
.LBB140_76:
	s_or_b64 exec, exec, s[54:55]
	v_or_b32_e32 v1, 0x1a00, v0
	v_cmp_gt_u32_e64 s[54:55], s76, v1
	s_and_saveexec_b64 s[56:57], s[54:55]
	s_cbranch_execz .LBB140_78
; %bb.77:
	v_lshlrev_b32_e32 v1, 2, v1
	global_load_dword v28, v1, s[72:73]
.LBB140_78:
	s_or_b64 exec, exec, s[56:57]
	v_or_b32_e32 v1, 0x1b00, v0
	v_cmp_gt_u32_e64 s[56:57], s76, v1
	s_and_saveexec_b64 s[58:59], s[56:57]
	s_cbranch_execz .LBB140_80
; %bb.79:
	v_lshlrev_b32_e32 v1, 2, v1
	global_load_dword v29, v1, s[72:73]
.LBB140_80:
	s_or_b64 exec, exec, s[58:59]
	v_or_b32_e32 v1, 0x1c00, v0
	v_cmp_gt_u32_e64 s[58:59], s76, v1
	s_and_saveexec_b64 s[60:61], s[58:59]
	s_cbranch_execz .LBB140_82
; %bb.81:
	v_lshlrev_b32_e32 v1, 2, v1
	global_load_dword v30, v1, s[72:73]
.LBB140_82:
	s_or_b64 exec, exec, s[60:61]
	v_or_b32_e32 v1, 0x1d00, v0
	v_cmp_gt_u32_e64 s[60:61], s76, v1
	s_and_saveexec_b64 s[62:63], s[60:61]
	s_cbranch_execz .LBB140_84
; %bb.83:
	v_lshlrev_b32_e32 v1, 2, v1
	global_load_dword v31, v1, s[72:73]
.LBB140_84:
	s_or_b64 exec, exec, s[62:63]
	v_or_b32_e32 v1, 0x1e00, v0
	v_cmp_gt_u32_e64 s[62:63], s76, v1
	s_and_saveexec_b64 s[64:65], s[62:63]
	s_cbranch_execz .LBB140_86
; %bb.85:
	v_lshlrev_b32_e32 v1, 2, v1
	global_load_dword v32, v1, s[72:73]
.LBB140_86:
	s_or_b64 exec, exec, s[64:65]
	v_or_b32_e32 v1, 0x1f00, v0
	v_cmp_gt_u32_e64 s[64:65], s76, v1
	s_and_saveexec_b64 s[74:75], s[64:65]
	s_cbranch_execz .LBB140_88
; %bb.87:
	v_lshlrev_b32_e32 v1, 2, v1
	global_load_dword v33, v1, s[72:73]
.LBB140_88:
	s_or_b64 exec, exec, s[74:75]
	s_waitcnt vmcnt(0)
	v_cndmask_b32_e32 v1, 0, v3, vcc
	v_add_u32_e32 v1, v1, v2
	v_cndmask_b32_e64 v2, 0, v4, s[4:5]
	v_cndmask_b32_e64 v3, 0, v5, s[6:7]
	v_add3_u32 v1, v1, v2, v3
	v_cndmask_b32_e64 v2, 0, v6, s[8:9]
	v_cndmask_b32_e64 v3, 0, v7, s[10:11]
	v_add3_u32 v1, v1, v2, v3
	;; [unrolled: 3-line block ×15, first 2 shown]
	v_mbcnt_lo_u32_b32 v2, -1, 0
	v_mbcnt_hi_u32_b32 v2, -1, v2
	v_and_b32_e32 v4, 63, v2
	v_cmp_ne_u32_e32 vcc, 63, v4
	s_min_u32 s6, s76, 0x100
	v_and_b32_e32 v5, 0xc0, v0
	v_addc_co_u32_e32 v3, vcc, 0, v2, vcc
	v_lshlrev_b32_e32 v3, 2, v3
	ds_bpermute_b32 v3, v3, v1
	v_sub_u32_e64 v5, s6, v5 clamp
	v_add_u32_e32 v6, 1, v4
	v_cmp_lt_u32_e32 vcc, v6, v5
	v_add_u32_e32 v6, 2, v4
	s_waitcnt lgkmcnt(0)
	v_cndmask_b32_e32 v3, 0, v3, vcc
	v_cmp_gt_u32_e32 vcc, 62, v4
	v_add_u32_e32 v1, v1, v3
	s_nop 0
	v_cndmask_b32_e64 v3, 0, 2, vcc
	v_add_lshl_u32 v3, v3, v2, 2
	ds_bpermute_b32 v3, v3, v1
	v_cmp_lt_u32_e32 vcc, v6, v5
	v_add_u32_e32 v6, 4, v4
	s_waitcnt lgkmcnt(0)
	v_cndmask_b32_e32 v3, 0, v3, vcc
	v_cmp_gt_u32_e32 vcc, 60, v4
	v_add_u32_e32 v1, v1, v3
	s_nop 0
	v_cndmask_b32_e64 v3, 0, 4, vcc
	v_add_lshl_u32 v3, v3, v2, 2
	ds_bpermute_b32 v3, v3, v1
	;; [unrolled: 10-line block ×3, first 2 shown]
	v_cmp_lt_u32_e32 vcc, v6, v5
	v_add_u32_e32 v6, 16, v4
	s_waitcnt lgkmcnt(0)
	v_cndmask_b32_e32 v3, 0, v3, vcc
	v_cmp_gt_u32_e32 vcc, 48, v4
	v_add_u32_e32 v1, v1, v3
	v_add_u32_e32 v4, 32, v4
	v_cndmask_b32_e64 v3, 0, 16, vcc
	v_add_lshl_u32 v3, v3, v2, 2
	ds_bpermute_b32 v3, v3, v1
	v_cmp_lt_u32_e32 vcc, v6, v5
	s_waitcnt lgkmcnt(0)
	s_nop 0
	v_cndmask_b32_e32 v3, 0, v3, vcc
	v_add_u32_e32 v1, v1, v3
	v_lshlrev_b32_e32 v3, 2, v2
	v_or_b32_e32 v6, 0x80, v3
	ds_bpermute_b32 v6, v6, v1
	v_cmp_lt_u32_e32 vcc, v4, v5
	s_waitcnt lgkmcnt(0)
	s_nop 0
	v_cndmask_b32_e32 v4, 0, v6, vcc
	v_add_u32_e32 v1, v1, v4
	v_cmp_eq_u32_e32 vcc, 0, v2
	s_and_saveexec_b64 s[4:5], vcc
; %bb.89:
	v_lshrrev_b32_e32 v4, 4, v0
	v_and_b32_e32 v4, 12, v4
	ds_write_b32 v4, v1 offset:96
; %bb.90:
	s_or_b64 exec, exec, s[4:5]
	v_cmp_gt_u32_e32 vcc, 4, v0
	s_waitcnt lgkmcnt(0)
	s_barrier
	s_and_saveexec_b64 s[4:5], vcc
	s_cbranch_execz .LBB140_92
; %bb.91:
	ds_read_b32 v1, v3 offset:96
	v_and_b32_e32 v4, 3, v2
	v_cmp_ne_u32_e32 vcc, 3, v4
	s_add_i32 s6, s6, 63
	s_lshr_b32 s6, s6, 6
	v_addc_co_u32_e32 v2, vcc, 0, v2, vcc
	v_lshlrev_b32_e32 v2, 2, v2
	s_waitcnt lgkmcnt(0)
	ds_bpermute_b32 v2, v2, v1
	v_add_u32_e32 v5, 1, v4
	v_cmp_gt_u32_e32 vcc, s6, v5
	s_waitcnt lgkmcnt(0)
	s_nop 0
	v_cndmask_b32_e32 v2, 0, v2, vcc
	v_add_u32_e32 v1, v2, v1
	v_or_b32_e32 v2, 8, v3
	ds_bpermute_b32 v2, v2, v1
	v_add_u32_e32 v3, 2, v4
	v_cmp_gt_u32_e32 vcc, s6, v3
	s_waitcnt lgkmcnt(0)
	s_nop 0
	v_cndmask_b32_e32 v2, 0, v2, vcc
	v_add_u32_e32 v1, v1, v2
.LBB140_92:
	s_or_b64 exec, exec, s[4:5]
	v_cmp_eq_u32_e64 s[4:5], 0, v0
	s_and_b64 vcc, exec, s[66:67]
	s_cbranch_vccnz .LBB140_15
.LBB140_93:
	s_branch .LBB140_142
.LBB140_94:
	s_mov_b64 s[6:7], -1
                                        ; implicit-def: $vgpr1
.LBB140_95:
	s_and_b64 vcc, exec, s[6:7]
	s_cbranch_vccz .LBB140_133
; %bb.96:
	s_sub_i32 s38, s70, s4
	v_mov_b32_e32 v2, 0
	v_cmp_gt_u32_e32 vcc, s38, v0
	v_mov_b32_e32 v3, v2
	v_mov_b32_e32 v4, v2
	;; [unrolled: 1-line block ×15, first 2 shown]
	s_and_saveexec_b64 s[4:5], vcc
	s_cbranch_execz .LBB140_98
; %bb.97:
	v_lshlrev_b32_e32 v1, 2, v0
	global_load_dword v4, v1, s[34:35]
	v_mov_b32_e32 v5, v2
	v_mov_b32_e32 v6, v2
	;; [unrolled: 1-line block ×15, first 2 shown]
	s_waitcnt vmcnt(0)
	v_mov_b64_e32 v[2:3], v[4:5]
	v_mov_b64_e32 v[4:5], v[6:7]
	;; [unrolled: 1-line block ×8, first 2 shown]
.LBB140_98:
	s_or_b64 exec, exec, s[4:5]
	v_or_b32_e32 v1, 0x100, v0
	v_cmp_gt_u32_e32 vcc, s38, v1
	s_and_saveexec_b64 s[4:5], vcc
	s_cbranch_execz .LBB140_100
; %bb.99:
	v_lshlrev_b32_e32 v1, 2, v0
	global_load_dword v3, v1, s[34:35] offset:1024
.LBB140_100:
	s_or_b64 exec, exec, s[4:5]
	v_or_b32_e32 v1, 0x200, v0
	v_cmp_gt_u32_e64 s[4:5], s38, v1
	s_and_saveexec_b64 s[6:7], s[4:5]
	s_cbranch_execz .LBB140_102
; %bb.101:
	v_lshlrev_b32_e32 v1, 2, v0
	global_load_dword v4, v1, s[34:35] offset:2048
.LBB140_102:
	s_or_b64 exec, exec, s[6:7]
	v_or_b32_e32 v1, 0x300, v0
	v_cmp_gt_u32_e64 s[6:7], s38, v1
	s_and_saveexec_b64 s[8:9], s[6:7]
	;; [unrolled: 9-line block ×3, first 2 shown]
	s_cbranch_execz .LBB140_106
; %bb.105:
	v_lshlrev_b32_e32 v1, 2, v1
	global_load_dword v6, v1, s[34:35]
.LBB140_106:
	s_or_b64 exec, exec, s[10:11]
	v_or_b32_e32 v1, 0x500, v0
	v_cmp_gt_u32_e64 s[10:11], s38, v1
	s_and_saveexec_b64 s[12:13], s[10:11]
	s_cbranch_execz .LBB140_108
; %bb.107:
	v_lshlrev_b32_e32 v1, 2, v1
	global_load_dword v7, v1, s[34:35]
.LBB140_108:
	s_or_b64 exec, exec, s[12:13]
	v_or_b32_e32 v1, 0x600, v0
	v_cmp_gt_u32_e64 s[12:13], s38, v1
	s_and_saveexec_b64 s[14:15], s[12:13]
	;; [unrolled: 9-line block ×11, first 2 shown]
	s_cbranch_execz .LBB140_128
; %bb.127:
	v_lshlrev_b32_e32 v1, 2, v1
	global_load_dword v17, v1, s[34:35]
.LBB140_128:
	s_or_b64 exec, exec, s[36:37]
	s_waitcnt vmcnt(0)
	v_cndmask_b32_e32 v1, 0, v3, vcc
	v_add_u32_e32 v1, v1, v2
	v_cndmask_b32_e64 v2, 0, v4, s[4:5]
	v_cndmask_b32_e64 v3, 0, v5, s[6:7]
	v_add3_u32 v1, v1, v2, v3
	v_cndmask_b32_e64 v2, 0, v6, s[8:9]
	v_cndmask_b32_e64 v3, 0, v7, s[10:11]
	v_add3_u32 v1, v1, v2, v3
	v_cndmask_b32_e64 v2, 0, v8, s[12:13]
	v_cndmask_b32_e64 v3, 0, v9, s[14:15]
	v_add3_u32 v1, v1, v2, v3
	v_cndmask_b32_e64 v2, 0, v10, s[16:17]
	v_cndmask_b32_e64 v3, 0, v11, s[18:19]
	v_add3_u32 v1, v1, v2, v3
	v_cndmask_b32_e64 v2, 0, v12, s[20:21]
	v_cndmask_b32_e64 v3, 0, v13, s[22:23]
	v_add3_u32 v1, v1, v2, v3
	v_cndmask_b32_e64 v2, 0, v14, s[24:25]
	v_cndmask_b32_e64 v3, 0, v15, s[26:27]
	v_add3_u32 v1, v1, v2, v3
	v_cndmask_b32_e64 v2, 0, v16, s[28:29]
	v_cndmask_b32_e64 v3, 0, v17, s[30:31]
	v_add3_u32 v1, v1, v2, v3
	v_mbcnt_lo_u32_b32 v2, -1, 0
	v_mbcnt_hi_u32_b32 v2, -1, v2
	v_and_b32_e32 v4, 63, v2
	v_cmp_ne_u32_e32 vcc, 63, v4
	s_min_u32 s6, s38, 0x100
	v_and_b32_e32 v5, 0xc0, v0
	v_addc_co_u32_e32 v3, vcc, 0, v2, vcc
	v_lshlrev_b32_e32 v3, 2, v3
	ds_bpermute_b32 v3, v3, v1
	v_sub_u32_e64 v5, s6, v5 clamp
	v_add_u32_e32 v6, 1, v4
	v_cmp_lt_u32_e32 vcc, v6, v5
	v_add_u32_e32 v6, 2, v4
	s_waitcnt lgkmcnt(0)
	v_cndmask_b32_e32 v3, 0, v3, vcc
	v_cmp_gt_u32_e32 vcc, 62, v4
	v_add_u32_e32 v1, v1, v3
	s_nop 0
	v_cndmask_b32_e64 v3, 0, 2, vcc
	v_add_lshl_u32 v3, v3, v2, 2
	ds_bpermute_b32 v3, v3, v1
	v_cmp_lt_u32_e32 vcc, v6, v5
	v_add_u32_e32 v6, 4, v4
	s_waitcnt lgkmcnt(0)
	v_cndmask_b32_e32 v3, 0, v3, vcc
	v_cmp_gt_u32_e32 vcc, 60, v4
	v_add_u32_e32 v1, v1, v3
	s_nop 0
	v_cndmask_b32_e64 v3, 0, 4, vcc
	v_add_lshl_u32 v3, v3, v2, 2
	ds_bpermute_b32 v3, v3, v1
	;; [unrolled: 10-line block ×3, first 2 shown]
	v_cmp_lt_u32_e32 vcc, v6, v5
	v_add_u32_e32 v6, 16, v4
	s_waitcnt lgkmcnt(0)
	v_cndmask_b32_e32 v3, 0, v3, vcc
	v_cmp_gt_u32_e32 vcc, 48, v4
	v_add_u32_e32 v1, v1, v3
	v_add_u32_e32 v4, 32, v4
	v_cndmask_b32_e64 v3, 0, 16, vcc
	v_add_lshl_u32 v3, v3, v2, 2
	ds_bpermute_b32 v3, v3, v1
	v_cmp_lt_u32_e32 vcc, v6, v5
	s_waitcnt lgkmcnt(0)
	s_nop 0
	v_cndmask_b32_e32 v3, 0, v3, vcc
	v_add_u32_e32 v1, v1, v3
	v_lshlrev_b32_e32 v3, 2, v2
	v_or_b32_e32 v6, 0x80, v3
	ds_bpermute_b32 v6, v6, v1
	v_cmp_lt_u32_e32 vcc, v4, v5
	s_waitcnt lgkmcnt(0)
	s_nop 0
	v_cndmask_b32_e32 v4, 0, v6, vcc
	v_add_u32_e32 v1, v1, v4
	v_cmp_eq_u32_e32 vcc, 0, v2
	s_and_saveexec_b64 s[4:5], vcc
; %bb.129:
	v_lshrrev_b32_e32 v4, 4, v0
	v_and_b32_e32 v4, 12, v4
	ds_write_b32 v4, v1 offset:96
; %bb.130:
	s_or_b64 exec, exec, s[4:5]
	v_cmp_gt_u32_e32 vcc, 4, v0
	s_waitcnt lgkmcnt(0)
	s_barrier
	s_and_saveexec_b64 s[4:5], vcc
	s_cbranch_execz .LBB140_132
; %bb.131:
	ds_read_b32 v1, v3 offset:96
	v_and_b32_e32 v4, 3, v2
	v_cmp_ne_u32_e32 vcc, 3, v4
	s_add_i32 s6, s6, 63
	s_lshr_b32 s6, s6, 6
	v_addc_co_u32_e32 v2, vcc, 0, v2, vcc
	v_lshlrev_b32_e32 v2, 2, v2
	s_waitcnt lgkmcnt(0)
	ds_bpermute_b32 v2, v2, v1
	v_add_u32_e32 v5, 1, v4
	v_cmp_gt_u32_e32 vcc, s6, v5
	s_waitcnt lgkmcnt(0)
	s_nop 0
	v_cndmask_b32_e32 v2, 0, v2, vcc
	v_add_u32_e32 v1, v2, v1
	v_or_b32_e32 v2, 8, v3
	ds_bpermute_b32 v2, v2, v1
	v_add_u32_e32 v3, 2, v4
	v_cmp_gt_u32_e32 vcc, s6, v3
	s_waitcnt lgkmcnt(0)
	s_nop 0
	v_cndmask_b32_e32 v2, 0, v2, vcc
	v_add_u32_e32 v1, v1, v2
.LBB140_132:
	s_or_b64 exec, exec, s[4:5]
.LBB140_133:
	v_cmp_eq_u32_e64 s[4:5], 0, v0
	s_branch .LBB140_142
.LBB140_134:
	s_cmp_eq_u32 s33, 8
	s_cbranch_scc0 .LBB140_141
; %bb.135:
	s_mov_b32 s3, 0
	s_lshl_b32 s4, s2, 11
	s_mov_b32 s5, s3
	s_lshr_b64 s[6:7], s[70:71], 11
	s_lshl_b64 s[8:9], s[4:5], 2
	s_add_u32 s16, s68, s8
	s_addc_u32 s17, s69, s9
	s_cmp_lg_u64 s[6:7], s[2:3]
	s_cbranch_scc0 .LBB140_143
; %bb.136:
	v_lshlrev_b32_e32 v2, 2, v0
	v_mov_b32_e32 v3, 0
	v_lshl_add_u64 v[4:5], s[16:17], 0, v[2:3]
	v_add_co_u32_e32 v4, vcc, 0x1000, v4
	s_nop 1
	v_addc_co_u32_e32 v5, vcc, 0, v5, vcc
	global_load_dword v1, v2, s[16:17]
	global_load_dword v6, v2, s[16:17] offset:1024
	global_load_dword v7, v2, s[16:17] offset:2048
	;; [unrolled: 1-line block ×3, first 2 shown]
	global_load_dword v9, v[4:5], off
	global_load_dword v10, v[4:5], off offset:1024
	global_load_dword v11, v[4:5], off offset:2048
	;; [unrolled: 1-line block ×3, first 2 shown]
	v_mbcnt_lo_u32_b32 v2, -1, 0
	v_mbcnt_hi_u32_b32 v2, -1, v2
	v_lshlrev_b32_e32 v3, 2, v2
	v_or_b32_e32 v4, 0xfc, v3
	v_cmp_eq_u32_e32 vcc, 0, v2
	s_waitcnt vmcnt(6)
	v_add_u32_e32 v1, v6, v1
	s_waitcnt vmcnt(4)
	v_add3_u32 v1, v1, v7, v8
	s_waitcnt vmcnt(2)
	v_add3_u32 v1, v1, v9, v10
	;; [unrolled: 2-line block ×3, first 2 shown]
	s_nop 1
	v_add_u32_dpp v1, v1, v1 quad_perm:[1,0,3,2] row_mask:0xf bank_mask:0xf bound_ctrl:1
	s_nop 1
	v_add_u32_dpp v1, v1, v1 quad_perm:[2,3,0,1] row_mask:0xf bank_mask:0xf bound_ctrl:1
	s_nop 1
	v_add_u32_dpp v1, v1, v1 row_ror:4 row_mask:0xf bank_mask:0xf bound_ctrl:1
	s_nop 1
	v_add_u32_dpp v1, v1, v1 row_ror:8 row_mask:0xf bank_mask:0xf bound_ctrl:1
	s_nop 1
	v_add_u32_dpp v1, v1, v1 row_bcast:15 row_mask:0xf bank_mask:0xf bound_ctrl:1
	s_nop 1
	v_add_u32_dpp v1, v1, v1 row_bcast:31 row_mask:0xf bank_mask:0xf bound_ctrl:1
	ds_bpermute_b32 v1, v4, v1
	s_and_saveexec_b64 s[6:7], vcc
	s_cbranch_execz .LBB140_138
; %bb.137:
	v_lshrrev_b32_e32 v4, 4, v0
	v_and_b32_e32 v4, 12, v4
	s_waitcnt lgkmcnt(0)
	ds_write_b32 v4, v1 offset:80
.LBB140_138:
	s_or_b64 exec, exec, s[6:7]
	v_cmp_gt_u32_e32 vcc, 64, v0
	s_waitcnt lgkmcnt(0)
	s_barrier
	s_and_saveexec_b64 s[6:7], vcc
	s_cbranch_execz .LBB140_140
; %bb.139:
	v_and_b32_e32 v1, 3, v2
	v_lshlrev_b32_e32 v4, 2, v1
	ds_read_b32 v4, v4 offset:80
	v_cmp_ne_u32_e32 vcc, 3, v1
	s_nop 1
	v_addc_co_u32_e32 v1, vcc, 0, v2, vcc
	v_lshlrev_b32_e32 v1, 2, v1
	s_waitcnt lgkmcnt(0)
	ds_bpermute_b32 v1, v1, v4
	v_or_b32_e32 v2, 8, v3
	s_waitcnt lgkmcnt(0)
	v_add_u32_e32 v1, v1, v4
	ds_bpermute_b32 v2, v2, v1
	s_waitcnt lgkmcnt(0)
	v_add_u32_e32 v1, v2, v1
.LBB140_140:
	s_or_b64 exec, exec, s[6:7]
	s_branch .LBB140_165
.LBB140_141:
                                        ; implicit-def: $vgpr1
.LBB140_142:
	s_branch .LBB140_224
.LBB140_143:
                                        ; implicit-def: $vgpr1
	s_cbranch_execz .LBB140_165
; %bb.144:
	s_sub_i32 s20, s70, s4
	v_mov_b32_e32 v2, 0
	v_cmp_gt_u32_e32 vcc, s20, v0
	v_mov_b32_e32 v3, v2
	v_mov_b32_e32 v4, v2
	;; [unrolled: 1-line block ×7, first 2 shown]
	s_and_saveexec_b64 s[4:5], vcc
	s_cbranch_execz .LBB140_146
; %bb.145:
	v_lshlrev_b32_e32 v1, 2, v0
	global_load_dword v4, v1, s[16:17]
	v_mov_b32_e32 v5, v2
	v_mov_b32_e32 v6, v2
	;; [unrolled: 1-line block ×7, first 2 shown]
	s_waitcnt vmcnt(0)
	v_mov_b64_e32 v[2:3], v[4:5]
	v_mov_b64_e32 v[4:5], v[6:7]
	;; [unrolled: 1-line block ×4, first 2 shown]
.LBB140_146:
	s_or_b64 exec, exec, s[4:5]
	v_or_b32_e32 v1, 0x100, v0
	v_cmp_gt_u32_e32 vcc, s20, v1
	s_and_saveexec_b64 s[4:5], vcc
	s_cbranch_execz .LBB140_148
; %bb.147:
	v_lshlrev_b32_e32 v1, 2, v0
	global_load_dword v3, v1, s[16:17] offset:1024
.LBB140_148:
	s_or_b64 exec, exec, s[4:5]
	v_or_b32_e32 v1, 0x200, v0
	v_cmp_gt_u32_e64 s[4:5], s20, v1
	s_and_saveexec_b64 s[6:7], s[4:5]
	s_cbranch_execz .LBB140_150
; %bb.149:
	v_lshlrev_b32_e32 v1, 2, v0
	global_load_dword v4, v1, s[16:17] offset:2048
.LBB140_150:
	s_or_b64 exec, exec, s[6:7]
	v_or_b32_e32 v1, 0x300, v0
	v_cmp_gt_u32_e64 s[6:7], s20, v1
	s_and_saveexec_b64 s[8:9], s[6:7]
	;; [unrolled: 9-line block ×3, first 2 shown]
	s_cbranch_execz .LBB140_154
; %bb.153:
	v_lshlrev_b32_e32 v1, 2, v1
	global_load_dword v6, v1, s[16:17]
.LBB140_154:
	s_or_b64 exec, exec, s[10:11]
	v_or_b32_e32 v1, 0x500, v0
	v_cmp_gt_u32_e64 s[10:11], s20, v1
	s_and_saveexec_b64 s[12:13], s[10:11]
	s_cbranch_execz .LBB140_156
; %bb.155:
	v_lshlrev_b32_e32 v1, 2, v1
	global_load_dword v7, v1, s[16:17]
.LBB140_156:
	s_or_b64 exec, exec, s[12:13]
	v_or_b32_e32 v1, 0x600, v0
	v_cmp_gt_u32_e64 s[12:13], s20, v1
	s_and_saveexec_b64 s[14:15], s[12:13]
	;; [unrolled: 9-line block ×3, first 2 shown]
	s_cbranch_execz .LBB140_160
; %bb.159:
	v_lshlrev_b32_e32 v1, 2, v1
	global_load_dword v9, v1, s[16:17]
.LBB140_160:
	s_or_b64 exec, exec, s[18:19]
	s_waitcnt vmcnt(0)
	v_cndmask_b32_e32 v1, 0, v3, vcc
	v_add_u32_e32 v1, v1, v2
	v_cndmask_b32_e64 v2, 0, v4, s[4:5]
	v_cndmask_b32_e64 v3, 0, v5, s[6:7]
	v_add3_u32 v1, v1, v2, v3
	v_cndmask_b32_e64 v2, 0, v6, s[8:9]
	v_cndmask_b32_e64 v3, 0, v7, s[10:11]
	v_add3_u32 v1, v1, v2, v3
	v_cndmask_b32_e64 v2, 0, v8, s[12:13]
	v_cndmask_b32_e64 v3, 0, v9, s[14:15]
	v_add3_u32 v1, v1, v2, v3
	v_mbcnt_lo_u32_b32 v2, -1, 0
	v_mbcnt_hi_u32_b32 v2, -1, v2
	v_and_b32_e32 v4, 63, v2
	v_cmp_ne_u32_e32 vcc, 63, v4
	s_min_u32 s6, s20, 0x100
	v_and_b32_e32 v5, 0xc0, v0
	v_addc_co_u32_e32 v3, vcc, 0, v2, vcc
	v_lshlrev_b32_e32 v3, 2, v3
	ds_bpermute_b32 v3, v3, v1
	v_sub_u32_e64 v5, s6, v5 clamp
	v_add_u32_e32 v6, 1, v4
	v_cmp_lt_u32_e32 vcc, v6, v5
	v_add_u32_e32 v6, 2, v4
	s_waitcnt lgkmcnt(0)
	v_cndmask_b32_e32 v3, 0, v3, vcc
	v_cmp_gt_u32_e32 vcc, 62, v4
	v_add_u32_e32 v1, v1, v3
	s_nop 0
	v_cndmask_b32_e64 v3, 0, 2, vcc
	v_add_lshl_u32 v3, v3, v2, 2
	ds_bpermute_b32 v3, v3, v1
	v_cmp_lt_u32_e32 vcc, v6, v5
	v_add_u32_e32 v6, 4, v4
	s_waitcnt lgkmcnt(0)
	v_cndmask_b32_e32 v3, 0, v3, vcc
	v_cmp_gt_u32_e32 vcc, 60, v4
	v_add_u32_e32 v1, v1, v3
	s_nop 0
	v_cndmask_b32_e64 v3, 0, 4, vcc
	v_add_lshl_u32 v3, v3, v2, 2
	ds_bpermute_b32 v3, v3, v1
	;; [unrolled: 10-line block ×3, first 2 shown]
	v_cmp_lt_u32_e32 vcc, v6, v5
	v_add_u32_e32 v6, 16, v4
	s_waitcnt lgkmcnt(0)
	v_cndmask_b32_e32 v3, 0, v3, vcc
	v_cmp_gt_u32_e32 vcc, 48, v4
	v_add_u32_e32 v1, v1, v3
	v_add_u32_e32 v4, 32, v4
	v_cndmask_b32_e64 v3, 0, 16, vcc
	v_add_lshl_u32 v3, v3, v2, 2
	ds_bpermute_b32 v3, v3, v1
	v_cmp_lt_u32_e32 vcc, v6, v5
	s_waitcnt lgkmcnt(0)
	s_nop 0
	v_cndmask_b32_e32 v3, 0, v3, vcc
	v_add_u32_e32 v1, v1, v3
	v_lshlrev_b32_e32 v3, 2, v2
	v_or_b32_e32 v6, 0x80, v3
	ds_bpermute_b32 v6, v6, v1
	v_cmp_lt_u32_e32 vcc, v4, v5
	s_waitcnt lgkmcnt(0)
	s_nop 0
	v_cndmask_b32_e32 v4, 0, v6, vcc
	v_add_u32_e32 v1, v1, v4
	v_cmp_eq_u32_e32 vcc, 0, v2
	s_and_saveexec_b64 s[4:5], vcc
; %bb.161:
	v_lshrrev_b32_e32 v4, 4, v0
	v_and_b32_e32 v4, 12, v4
	ds_write_b32 v4, v1 offset:96
; %bb.162:
	s_or_b64 exec, exec, s[4:5]
	v_cmp_gt_u32_e32 vcc, 4, v0
	s_waitcnt lgkmcnt(0)
	s_barrier
	s_and_saveexec_b64 s[4:5], vcc
	s_cbranch_execz .LBB140_164
; %bb.163:
	ds_read_b32 v1, v3 offset:96
	v_and_b32_e32 v4, 3, v2
	v_cmp_ne_u32_e32 vcc, 3, v4
	s_add_i32 s6, s6, 63
	s_lshr_b32 s6, s6, 6
	v_addc_co_u32_e32 v2, vcc, 0, v2, vcc
	v_lshlrev_b32_e32 v2, 2, v2
	s_waitcnt lgkmcnt(0)
	ds_bpermute_b32 v2, v2, v1
	v_add_u32_e32 v5, 1, v4
	v_cmp_gt_u32_e32 vcc, s6, v5
	s_waitcnt lgkmcnt(0)
	s_nop 0
	v_cndmask_b32_e32 v2, 0, v2, vcc
	v_add_u32_e32 v1, v2, v1
	v_or_b32_e32 v2, 8, v3
	ds_bpermute_b32 v2, v2, v1
	v_add_u32_e32 v3, 2, v4
	v_cmp_gt_u32_e32 vcc, s6, v3
	s_waitcnt lgkmcnt(0)
	s_nop 0
	v_cndmask_b32_e32 v2, 0, v2, vcc
	v_add_u32_e32 v1, v1, v2
.LBB140_164:
	s_or_b64 exec, exec, s[4:5]
.LBB140_165:
	v_cmp_eq_u32_e64 s[4:5], 0, v0
	s_branch .LBB140_224
.LBB140_166:
	s_cmp_gt_i32 s33, 1
	s_cbranch_scc0 .LBB140_175
; %bb.167:
	s_cmp_gt_i32 s33, 3
	s_cbranch_scc0 .LBB140_176
; %bb.168:
	s_cmp_eq_u32 s33, 4
	s_cbranch_scc0 .LBB140_177
; %bb.169:
	s_mov_b32 s3, 0
	s_lshl_b32 s4, s2, 10
	s_mov_b32 s5, s3
	s_lshr_b64 s[6:7], s[70:71], 10
	s_lshl_b64 s[8:9], s[4:5], 2
	s_add_u32 s8, s68, s8
	s_addc_u32 s9, s69, s9
	s_cmp_lg_u64 s[6:7], s[2:3]
	s_cbranch_scc0 .LBB140_179
; %bb.170:
	v_lshlrev_b32_e32 v1, 2, v0
	global_load_dword v4, v1, s[8:9]
	global_load_dword v5, v1, s[8:9] offset:1024
	global_load_dword v6, v1, s[8:9] offset:2048
	;; [unrolled: 1-line block ×3, first 2 shown]
	v_mbcnt_lo_u32_b32 v1, -1, 0
	v_mbcnt_hi_u32_b32 v2, -1, v1
	v_lshlrev_b32_e32 v3, 2, v2
	v_cmp_eq_u32_e32 vcc, 0, v2
	s_waitcnt vmcnt(2)
	v_add_u32_e32 v1, v5, v4
	v_or_b32_e32 v4, 0xfc, v3
	s_waitcnt vmcnt(0)
	v_add3_u32 v1, v1, v6, v7
	s_nop 1
	v_add_u32_dpp v1, v1, v1 quad_perm:[1,0,3,2] row_mask:0xf bank_mask:0xf bound_ctrl:1
	s_nop 1
	v_add_u32_dpp v1, v1, v1 quad_perm:[2,3,0,1] row_mask:0xf bank_mask:0xf bound_ctrl:1
	s_nop 1
	v_add_u32_dpp v1, v1, v1 row_ror:4 row_mask:0xf bank_mask:0xf bound_ctrl:1
	s_nop 1
	v_add_u32_dpp v1, v1, v1 row_ror:8 row_mask:0xf bank_mask:0xf bound_ctrl:1
	s_nop 1
	v_add_u32_dpp v1, v1, v1 row_bcast:15 row_mask:0xf bank_mask:0xf bound_ctrl:1
	s_nop 1
	v_add_u32_dpp v1, v1, v1 row_bcast:31 row_mask:0xf bank_mask:0xf bound_ctrl:1
	ds_bpermute_b32 v1, v4, v1
	s_and_saveexec_b64 s[6:7], vcc
	s_cbranch_execz .LBB140_172
; %bb.171:
	v_lshrrev_b32_e32 v4, 4, v0
	v_and_b32_e32 v4, 12, v4
	s_waitcnt lgkmcnt(0)
	ds_write_b32 v4, v1 offset:64
.LBB140_172:
	s_or_b64 exec, exec, s[6:7]
	v_cmp_gt_u32_e32 vcc, 64, v0
	s_waitcnt lgkmcnt(0)
	s_barrier
	s_and_saveexec_b64 s[6:7], vcc
	s_cbranch_execz .LBB140_174
; %bb.173:
	v_and_b32_e32 v1, 3, v2
	v_lshlrev_b32_e32 v4, 2, v1
	ds_read_b32 v4, v4 offset:64
	v_cmp_ne_u32_e32 vcc, 3, v1
	s_nop 1
	v_addc_co_u32_e32 v1, vcc, 0, v2, vcc
	v_lshlrev_b32_e32 v1, 2, v1
	s_waitcnt lgkmcnt(0)
	ds_bpermute_b32 v1, v1, v4
	v_or_b32_e32 v2, 8, v3
	s_waitcnt lgkmcnt(0)
	v_add_u32_e32 v1, v1, v4
	ds_bpermute_b32 v2, v2, v1
	s_waitcnt lgkmcnt(0)
	v_add_u32_e32 v1, v2, v1
.LBB140_174:
	s_or_b64 exec, exec, s[6:7]
	s_mov_b64 s[6:7], 0
	s_branch .LBB140_180
.LBB140_175:
                                        ; implicit-def: $vgpr1
	s_cbranch_execnz .LBB140_215
	s_branch .LBB140_224
.LBB140_176:
                                        ; implicit-def: $vgpr1
	s_cbranch_execz .LBB140_178
	s_branch .LBB140_195
.LBB140_177:
                                        ; implicit-def: $vgpr1
.LBB140_178:
	s_branch .LBB140_224
.LBB140_179:
	s_mov_b64 s[6:7], -1
                                        ; implicit-def: $vgpr1
.LBB140_180:
	s_and_b64 vcc, exec, s[6:7]
	s_cbranch_vccz .LBB140_194
; %bb.181:
	s_sub_i32 s12, s70, s4
	v_mov_b32_e32 v2, 0
	v_cmp_gt_u32_e32 vcc, s12, v0
	v_mov_b32_e32 v3, v2
	v_mov_b32_e32 v4, v2
	;; [unrolled: 1-line block ×3, first 2 shown]
	s_and_saveexec_b64 s[4:5], vcc
	s_cbranch_execz .LBB140_183
; %bb.182:
	v_lshlrev_b32_e32 v1, 2, v0
	global_load_dword v4, v1, s[8:9]
	v_mov_b32_e32 v5, v2
	v_mov_b32_e32 v6, v2
	;; [unrolled: 1-line block ×3, first 2 shown]
	s_waitcnt vmcnt(0)
	v_mov_b64_e32 v[2:3], v[4:5]
	v_mov_b64_e32 v[4:5], v[6:7]
.LBB140_183:
	s_or_b64 exec, exec, s[4:5]
	v_or_b32_e32 v1, 0x100, v0
	v_cmp_gt_u32_e32 vcc, s12, v1
	s_and_saveexec_b64 s[4:5], vcc
	s_cbranch_execz .LBB140_185
; %bb.184:
	v_lshlrev_b32_e32 v1, 2, v0
	global_load_dword v3, v1, s[8:9] offset:1024
.LBB140_185:
	s_or_b64 exec, exec, s[4:5]
	v_or_b32_e32 v1, 0x200, v0
	v_cmp_gt_u32_e64 s[4:5], s12, v1
	s_and_saveexec_b64 s[6:7], s[4:5]
	s_cbranch_execz .LBB140_187
; %bb.186:
	v_lshlrev_b32_e32 v1, 2, v0
	global_load_dword v4, v1, s[8:9] offset:2048
.LBB140_187:
	s_or_b64 exec, exec, s[6:7]
	v_or_b32_e32 v1, 0x300, v0
	v_cmp_gt_u32_e64 s[6:7], s12, v1
	s_and_saveexec_b64 s[10:11], s[6:7]
	s_cbranch_execz .LBB140_189
; %bb.188:
	v_lshlrev_b32_e32 v1, 2, v0
	global_load_dword v5, v1, s[8:9] offset:3072
.LBB140_189:
	s_or_b64 exec, exec, s[10:11]
	s_waitcnt vmcnt(0)
	v_cndmask_b32_e32 v1, 0, v3, vcc
	v_add_u32_e32 v1, v1, v2
	v_cndmask_b32_e64 v2, 0, v4, s[4:5]
	v_cndmask_b32_e64 v3, 0, v5, s[6:7]
	v_add3_u32 v1, v1, v2, v3
	v_mbcnt_lo_u32_b32 v2, -1, 0
	v_mbcnt_hi_u32_b32 v2, -1, v2
	v_and_b32_e32 v4, 63, v2
	v_cmp_ne_u32_e32 vcc, 63, v4
	s_min_u32 s6, s12, 0x100
	v_and_b32_e32 v5, 0xc0, v0
	v_addc_co_u32_e32 v3, vcc, 0, v2, vcc
	v_lshlrev_b32_e32 v3, 2, v3
	ds_bpermute_b32 v3, v3, v1
	v_sub_u32_e64 v5, s6, v5 clamp
	v_add_u32_e32 v6, 1, v4
	v_cmp_lt_u32_e32 vcc, v6, v5
	v_add_u32_e32 v6, 2, v4
	s_waitcnt lgkmcnt(0)
	v_cndmask_b32_e32 v3, 0, v3, vcc
	v_cmp_gt_u32_e32 vcc, 62, v4
	v_add_u32_e32 v1, v3, v1
	s_nop 0
	v_cndmask_b32_e64 v3, 0, 2, vcc
	v_add_lshl_u32 v3, v3, v2, 2
	ds_bpermute_b32 v3, v3, v1
	v_cmp_lt_u32_e32 vcc, v6, v5
	v_add_u32_e32 v6, 4, v4
	s_waitcnt lgkmcnt(0)
	v_cndmask_b32_e32 v3, 0, v3, vcc
	v_cmp_gt_u32_e32 vcc, 60, v4
	v_add_u32_e32 v1, v1, v3
	s_nop 0
	v_cndmask_b32_e64 v3, 0, 4, vcc
	v_add_lshl_u32 v3, v3, v2, 2
	ds_bpermute_b32 v3, v3, v1
	;; [unrolled: 10-line block ×3, first 2 shown]
	v_cmp_lt_u32_e32 vcc, v6, v5
	v_add_u32_e32 v6, 16, v4
	s_waitcnt lgkmcnt(0)
	v_cndmask_b32_e32 v3, 0, v3, vcc
	v_cmp_gt_u32_e32 vcc, 48, v4
	v_add_u32_e32 v1, v1, v3
	v_add_u32_e32 v4, 32, v4
	v_cndmask_b32_e64 v3, 0, 16, vcc
	v_add_lshl_u32 v3, v3, v2, 2
	ds_bpermute_b32 v3, v3, v1
	v_cmp_lt_u32_e32 vcc, v6, v5
	s_waitcnt lgkmcnt(0)
	s_nop 0
	v_cndmask_b32_e32 v3, 0, v3, vcc
	v_add_u32_e32 v1, v1, v3
	v_lshlrev_b32_e32 v3, 2, v2
	v_or_b32_e32 v6, 0x80, v3
	ds_bpermute_b32 v6, v6, v1
	v_cmp_lt_u32_e32 vcc, v4, v5
	s_waitcnt lgkmcnt(0)
	s_nop 0
	v_cndmask_b32_e32 v4, 0, v6, vcc
	v_add_u32_e32 v1, v1, v4
	v_cmp_eq_u32_e32 vcc, 0, v2
	s_and_saveexec_b64 s[4:5], vcc
; %bb.190:
	v_lshrrev_b32_e32 v4, 4, v0
	v_and_b32_e32 v4, 12, v4
	ds_write_b32 v4, v1 offset:96
; %bb.191:
	s_or_b64 exec, exec, s[4:5]
	v_cmp_gt_u32_e32 vcc, 4, v0
	s_waitcnt lgkmcnt(0)
	s_barrier
	s_and_saveexec_b64 s[4:5], vcc
	s_cbranch_execz .LBB140_193
; %bb.192:
	ds_read_b32 v1, v3 offset:96
	v_and_b32_e32 v4, 3, v2
	v_cmp_ne_u32_e32 vcc, 3, v4
	s_add_i32 s6, s6, 63
	s_lshr_b32 s6, s6, 6
	v_addc_co_u32_e32 v2, vcc, 0, v2, vcc
	v_lshlrev_b32_e32 v2, 2, v2
	s_waitcnt lgkmcnt(0)
	ds_bpermute_b32 v2, v2, v1
	v_add_u32_e32 v5, 1, v4
	v_cmp_gt_u32_e32 vcc, s6, v5
	s_waitcnt lgkmcnt(0)
	s_nop 0
	v_cndmask_b32_e32 v2, 0, v2, vcc
	v_add_u32_e32 v1, v2, v1
	v_or_b32_e32 v2, 8, v3
	ds_bpermute_b32 v2, v2, v1
	v_add_u32_e32 v3, 2, v4
	v_cmp_gt_u32_e32 vcc, s6, v3
	s_waitcnt lgkmcnt(0)
	s_nop 0
	v_cndmask_b32_e32 v2, 0, v2, vcc
	v_add_u32_e32 v1, v1, v2
.LBB140_193:
	s_or_b64 exec, exec, s[4:5]
.LBB140_194:
	v_cmp_eq_u32_e64 s[4:5], 0, v0
	s_branch .LBB140_178
.LBB140_195:
	s_cmp_eq_u32 s33, 2
	s_cbranch_scc0 .LBB140_202
; %bb.196:
	s_mov_b32 s3, 0
	s_lshl_b32 s6, s2, 9
	s_mov_b32 s7, s3
	s_lshr_b64 s[8:9], s[70:71], 9
	s_lshl_b64 s[4:5], s[6:7], 2
	s_add_u32 s4, s68, s4
	s_addc_u32 s5, s69, s5
	s_cmp_lg_u64 s[8:9], s[2:3]
	s_cbranch_scc0 .LBB140_203
; %bb.197:
	v_lshlrev_b32_e32 v1, 2, v0
	global_load_dword v4, v1, s[4:5]
	global_load_dword v5, v1, s[4:5] offset:1024
	v_mbcnt_lo_u32_b32 v1, -1, 0
	v_mbcnt_hi_u32_b32 v2, -1, v1
	v_lshlrev_b32_e32 v3, 2, v2
	v_cmp_eq_u32_e32 vcc, 0, v2
	s_waitcnt vmcnt(0)
	v_add_u32_e32 v1, v5, v4
	s_nop 1
	v_add_u32_dpp v1, v1, v1 quad_perm:[1,0,3,2] row_mask:0xf bank_mask:0xf bound_ctrl:1
	v_or_b32_e32 v4, 0xfc, v3
	s_nop 0
	v_add_u32_dpp v1, v1, v1 quad_perm:[2,3,0,1] row_mask:0xf bank_mask:0xf bound_ctrl:1
	s_nop 1
	v_add_u32_dpp v1, v1, v1 row_ror:4 row_mask:0xf bank_mask:0xf bound_ctrl:1
	s_nop 1
	v_add_u32_dpp v1, v1, v1 row_ror:8 row_mask:0xf bank_mask:0xf bound_ctrl:1
	s_nop 1
	v_add_u32_dpp v1, v1, v1 row_bcast:15 row_mask:0xf bank_mask:0xf bound_ctrl:1
	s_nop 1
	v_add_u32_dpp v1, v1, v1 row_bcast:31 row_mask:0xf bank_mask:0xf bound_ctrl:1
	ds_bpermute_b32 v1, v4, v1
	s_and_saveexec_b64 s[8:9], vcc
	s_cbranch_execz .LBB140_199
; %bb.198:
	v_lshrrev_b32_e32 v4, 4, v0
	v_and_b32_e32 v4, 12, v4
	s_waitcnt lgkmcnt(0)
	ds_write_b32 v4, v1 offset:32
.LBB140_199:
	s_or_b64 exec, exec, s[8:9]
	v_cmp_gt_u32_e32 vcc, 64, v0
	s_waitcnt lgkmcnt(0)
	s_barrier
	s_and_saveexec_b64 s[8:9], vcc
	s_cbranch_execz .LBB140_201
; %bb.200:
	v_and_b32_e32 v1, 3, v2
	v_lshlrev_b32_e32 v4, 2, v1
	ds_read_b32 v4, v4 offset:32
	v_cmp_ne_u32_e32 vcc, 3, v1
	s_nop 1
	v_addc_co_u32_e32 v1, vcc, 0, v2, vcc
	v_lshlrev_b32_e32 v1, 2, v1
	s_waitcnt lgkmcnt(0)
	ds_bpermute_b32 v1, v1, v4
	v_or_b32_e32 v2, 8, v3
	s_waitcnt lgkmcnt(0)
	v_add_u32_e32 v1, v1, v4
	ds_bpermute_b32 v2, v2, v1
	s_waitcnt lgkmcnt(0)
	v_add_u32_e32 v1, v2, v1
.LBB140_201:
	s_or_b64 exec, exec, s[8:9]
	s_mov_b64 s[8:9], 0
	s_branch .LBB140_204
.LBB140_202:
                                        ; implicit-def: $vgpr1
	s_branch .LBB140_224
.LBB140_203:
	s_mov_b64 s[8:9], -1
                                        ; implicit-def: $vgpr1
.LBB140_204:
	s_and_b64 vcc, exec, s[8:9]
	s_cbranch_vccz .LBB140_214
; %bb.205:
	s_sub_i32 s8, s70, s6
	v_mov_b32_e32 v2, 0
	v_cmp_gt_u32_e32 vcc, s8, v0
	v_mov_b32_e32 v3, v2
	s_and_saveexec_b64 s[6:7], vcc
	s_cbranch_execz .LBB140_207
; %bb.206:
	v_lshlrev_b32_e32 v1, 2, v0
	global_load_dword v4, v1, s[4:5]
	v_mov_b32_e32 v5, v2
	s_waitcnt vmcnt(0)
	v_mov_b64_e32 v[2:3], v[4:5]
.LBB140_207:
	s_or_b64 exec, exec, s[6:7]
	v_or_b32_e32 v1, 0x100, v0
	v_cmp_gt_u32_e32 vcc, s8, v1
	s_and_saveexec_b64 s[6:7], vcc
	s_cbranch_execz .LBB140_209
; %bb.208:
	v_lshlrev_b32_e32 v1, 2, v0
	global_load_dword v3, v1, s[4:5] offset:1024
.LBB140_209:
	s_or_b64 exec, exec, s[6:7]
	s_waitcnt vmcnt(0)
	v_cndmask_b32_e32 v1, 0, v3, vcc
	v_add_u32_e32 v1, v1, v2
	v_mbcnt_lo_u32_b32 v2, -1, 0
	v_mbcnt_hi_u32_b32 v2, -1, v2
	v_and_b32_e32 v4, 63, v2
	v_cmp_ne_u32_e32 vcc, 63, v4
	s_min_u32 s6, s8, 0x100
	v_and_b32_e32 v5, 0xc0, v0
	v_addc_co_u32_e32 v3, vcc, 0, v2, vcc
	v_lshlrev_b32_e32 v3, 2, v3
	ds_bpermute_b32 v3, v3, v1
	v_sub_u32_e64 v5, s6, v5 clamp
	v_add_u32_e32 v6, 1, v4
	v_cmp_lt_u32_e32 vcc, v6, v5
	v_add_u32_e32 v6, 2, v4
	s_waitcnt lgkmcnt(0)
	v_cndmask_b32_e32 v3, 0, v3, vcc
	v_cmp_gt_u32_e32 vcc, 62, v4
	v_add_u32_e32 v1, v3, v1
	s_nop 0
	v_cndmask_b32_e64 v3, 0, 2, vcc
	v_add_lshl_u32 v3, v3, v2, 2
	ds_bpermute_b32 v3, v3, v1
	v_cmp_lt_u32_e32 vcc, v6, v5
	v_add_u32_e32 v6, 4, v4
	s_waitcnt lgkmcnt(0)
	v_cndmask_b32_e32 v3, 0, v3, vcc
	v_cmp_gt_u32_e32 vcc, 60, v4
	v_add_u32_e32 v1, v1, v3
	s_nop 0
	v_cndmask_b32_e64 v3, 0, 4, vcc
	v_add_lshl_u32 v3, v3, v2, 2
	ds_bpermute_b32 v3, v3, v1
	;; [unrolled: 10-line block ×3, first 2 shown]
	v_cmp_lt_u32_e32 vcc, v6, v5
	v_add_u32_e32 v6, 16, v4
	s_waitcnt lgkmcnt(0)
	v_cndmask_b32_e32 v3, 0, v3, vcc
	v_cmp_gt_u32_e32 vcc, 48, v4
	v_add_u32_e32 v1, v1, v3
	v_add_u32_e32 v4, 32, v4
	v_cndmask_b32_e64 v3, 0, 16, vcc
	v_add_lshl_u32 v3, v3, v2, 2
	ds_bpermute_b32 v3, v3, v1
	v_cmp_lt_u32_e32 vcc, v6, v5
	s_waitcnt lgkmcnt(0)
	s_nop 0
	v_cndmask_b32_e32 v3, 0, v3, vcc
	v_add_u32_e32 v1, v1, v3
	v_lshlrev_b32_e32 v3, 2, v2
	v_or_b32_e32 v6, 0x80, v3
	ds_bpermute_b32 v6, v6, v1
	v_cmp_lt_u32_e32 vcc, v4, v5
	s_waitcnt lgkmcnt(0)
	s_nop 0
	v_cndmask_b32_e32 v4, 0, v6, vcc
	v_add_u32_e32 v1, v1, v4
	v_cmp_eq_u32_e32 vcc, 0, v2
	s_and_saveexec_b64 s[4:5], vcc
; %bb.210:
	v_lshrrev_b32_e32 v4, 4, v0
	v_and_b32_e32 v4, 12, v4
	ds_write_b32 v4, v1 offset:96
; %bb.211:
	s_or_b64 exec, exec, s[4:5]
	v_cmp_gt_u32_e32 vcc, 4, v0
	s_waitcnt lgkmcnt(0)
	s_barrier
	s_and_saveexec_b64 s[4:5], vcc
	s_cbranch_execz .LBB140_213
; %bb.212:
	ds_read_b32 v1, v3 offset:96
	v_and_b32_e32 v4, 3, v2
	v_cmp_ne_u32_e32 vcc, 3, v4
	s_add_i32 s6, s6, 63
	s_lshr_b32 s6, s6, 6
	v_addc_co_u32_e32 v2, vcc, 0, v2, vcc
	v_lshlrev_b32_e32 v2, 2, v2
	s_waitcnt lgkmcnt(0)
	ds_bpermute_b32 v2, v2, v1
	v_add_u32_e32 v5, 1, v4
	v_cmp_gt_u32_e32 vcc, s6, v5
	s_waitcnt lgkmcnt(0)
	s_nop 0
	v_cndmask_b32_e32 v2, 0, v2, vcc
	v_add_u32_e32 v1, v2, v1
	v_or_b32_e32 v2, 8, v3
	ds_bpermute_b32 v2, v2, v1
	v_add_u32_e32 v3, 2, v4
	v_cmp_gt_u32_e32 vcc, s6, v3
	s_waitcnt lgkmcnt(0)
	s_nop 0
	v_cndmask_b32_e32 v2, 0, v2, vcc
	v_add_u32_e32 v1, v1, v2
.LBB140_213:
	s_or_b64 exec, exec, s[4:5]
.LBB140_214:
	v_cmp_eq_u32_e64 s[4:5], 0, v0
	s_branch .LBB140_224
.LBB140_215:
	s_cmp_eq_u32 s33, 1
	s_cbranch_scc0 .LBB140_223
; %bb.216:
	s_mov_b32 s5, 0
	s_lshl_b32 s4, s2, 8
	s_mov_b32 s3, s5
	s_lshr_b64 s[6:7], s[70:71], 8
	s_cmp_lg_u64 s[6:7], s[2:3]
	v_mbcnt_lo_u32_b32 v2, -1, 0
	s_cbranch_scc0 .LBB140_227
; %bb.217:
	s_lshl_b64 s[6:7], s[4:5], 2
	s_add_u32 s6, s68, s6
	s_addc_u32 s7, s69, s7
	v_lshlrev_b32_e32 v1, 2, v0
	global_load_dword v1, v1, s[6:7]
	v_mbcnt_hi_u32_b32 v3, -1, v2
	v_lshlrev_b32_e32 v4, 2, v3
	v_or_b32_e32 v5, 0xfc, v4
	v_cmp_eq_u32_e32 vcc, 0, v3
	s_waitcnt vmcnt(0)
	v_add_u32_dpp v1, v1, v1 quad_perm:[1,0,3,2] row_mask:0xf bank_mask:0xf bound_ctrl:1
	s_nop 1
	v_add_u32_dpp v1, v1, v1 quad_perm:[2,3,0,1] row_mask:0xf bank_mask:0xf bound_ctrl:1
	s_nop 1
	v_add_u32_dpp v1, v1, v1 row_ror:4 row_mask:0xf bank_mask:0xf bound_ctrl:1
	s_nop 1
	v_add_u32_dpp v1, v1, v1 row_ror:8 row_mask:0xf bank_mask:0xf bound_ctrl:1
	s_nop 1
	v_add_u32_dpp v1, v1, v1 row_bcast:15 row_mask:0xf bank_mask:0xf bound_ctrl:1
	s_nop 1
	v_add_u32_dpp v1, v1, v1 row_bcast:31 row_mask:0xf bank_mask:0xf bound_ctrl:1
	ds_bpermute_b32 v1, v5, v1
	s_and_saveexec_b64 s[6:7], vcc
	s_cbranch_execz .LBB140_219
; %bb.218:
	v_lshrrev_b32_e32 v5, 4, v0
	v_and_b32_e32 v5, 12, v5
	s_waitcnt lgkmcnt(0)
	ds_write_b32 v5, v1 offset:16
.LBB140_219:
	s_or_b64 exec, exec, s[6:7]
	v_cmp_gt_u32_e32 vcc, 64, v0
	s_waitcnt lgkmcnt(0)
	s_barrier
	s_and_saveexec_b64 s[6:7], vcc
	s_cbranch_execz .LBB140_221
; %bb.220:
	v_and_b32_e32 v1, 3, v3
	v_lshlrev_b32_e32 v5, 2, v1
	ds_read_b32 v5, v5 offset:16
	v_cmp_ne_u32_e32 vcc, 3, v1
	s_nop 1
	v_addc_co_u32_e32 v1, vcc, 0, v3, vcc
	v_lshlrev_b32_e32 v1, 2, v1
	s_waitcnt lgkmcnt(0)
	ds_bpermute_b32 v1, v1, v5
	v_or_b32_e32 v3, 8, v4
	s_waitcnt lgkmcnt(0)
	v_add_u32_e32 v1, v1, v5
	ds_bpermute_b32 v3, v3, v1
	s_waitcnt lgkmcnt(0)
	v_add_u32_e32 v1, v3, v1
.LBB140_221:
	s_or_b64 exec, exec, s[6:7]
.LBB140_222:
	v_cmp_eq_u32_e64 s[4:5], 0, v0
	s_and_saveexec_b64 s[6:7], s[4:5]
	s_cbranch_execnz .LBB140_225
	s_branch .LBB140_226
.LBB140_223:
                                        ; implicit-def: $vgpr1
                                        ; implicit-def: $sgpr2_sgpr3
.LBB140_224:
	s_and_saveexec_b64 s[6:7], s[4:5]
	s_cbranch_execz .LBB140_226
.LBB140_225:
	s_load_dwordx2 s[4:5], s[0:1], 0x18
	s_load_dword s6, s[0:1], 0x20
	s_lshl_b64 s[0:1], s[2:3], 2
	v_mov_b32_e32 v0, 0
	s_waitcnt lgkmcnt(0)
	s_add_u32 s0, s4, s0
	s_addc_u32 s1, s5, s1
	s_cmp_lg_u64 s[70:71], 0
	s_cselect_b64 vcc, -1, 0
	v_cndmask_b32_e32 v1, 0, v1, vcc
	v_add_u32_e32 v1, s6, v1
	global_store_dword v0, v1, s[0:1]
.LBB140_226:
	s_endpgm
.LBB140_227:
                                        ; implicit-def: $vgpr1
	s_cbranch_execz .LBB140_222
; %bb.228:
	s_sub_i32 s8, s70, s4
	v_cmp_gt_u32_e32 vcc, s8, v0
                                        ; implicit-def: $vgpr1
	s_and_saveexec_b64 s[6:7], vcc
	s_cbranch_execz .LBB140_230
; %bb.229:
	s_lshl_b64 s[4:5], s[4:5], 2
	s_add_u32 s4, s68, s4
	s_addc_u32 s5, s69, s5
	v_lshlrev_b32_e32 v1, 2, v0
	global_load_dword v1, v1, s[4:5]
.LBB140_230:
	s_or_b64 exec, exec, s[6:7]
	v_mbcnt_hi_u32_b32 v2, -1, v2
	v_and_b32_e32 v4, 63, v2
	v_cmp_ne_u32_e32 vcc, 63, v4
	s_min_u32 s6, s8, 0x100
	v_and_b32_e32 v5, 0xc0, v0
	v_addc_co_u32_e32 v3, vcc, 0, v2, vcc
	v_lshlrev_b32_e32 v3, 2, v3
	s_waitcnt vmcnt(0)
	ds_bpermute_b32 v3, v3, v1
	v_sub_u32_e64 v5, s6, v5 clamp
	v_add_u32_e32 v6, 1, v4
	v_cmp_lt_u32_e32 vcc, v6, v5
	v_add_u32_e32 v6, 2, v4
	s_waitcnt lgkmcnt(0)
	v_cndmask_b32_e32 v3, 0, v3, vcc
	v_cmp_gt_u32_e32 vcc, 62, v4
	v_add_u32_e32 v1, v3, v1
	s_nop 0
	v_cndmask_b32_e64 v3, 0, 2, vcc
	v_add_lshl_u32 v3, v3, v2, 2
	ds_bpermute_b32 v3, v3, v1
	v_cmp_lt_u32_e32 vcc, v6, v5
	v_add_u32_e32 v6, 4, v4
	s_waitcnt lgkmcnt(0)
	v_cndmask_b32_e32 v3, 0, v3, vcc
	v_cmp_gt_u32_e32 vcc, 60, v4
	v_add_u32_e32 v1, v1, v3
	s_nop 0
	v_cndmask_b32_e64 v3, 0, 4, vcc
	v_add_lshl_u32 v3, v3, v2, 2
	ds_bpermute_b32 v3, v3, v1
	;; [unrolled: 10-line block ×3, first 2 shown]
	v_cmp_lt_u32_e32 vcc, v6, v5
	v_add_u32_e32 v6, 16, v4
	s_waitcnt lgkmcnt(0)
	v_cndmask_b32_e32 v3, 0, v3, vcc
	v_cmp_gt_u32_e32 vcc, 48, v4
	v_add_u32_e32 v1, v1, v3
	v_add_u32_e32 v4, 32, v4
	v_cndmask_b32_e64 v3, 0, 16, vcc
	v_add_lshl_u32 v3, v3, v2, 2
	ds_bpermute_b32 v3, v3, v1
	v_cmp_lt_u32_e32 vcc, v6, v5
	s_waitcnt lgkmcnt(0)
	s_nop 0
	v_cndmask_b32_e32 v3, 0, v3, vcc
	v_add_u32_e32 v1, v1, v3
	v_lshlrev_b32_e32 v3, 2, v2
	v_or_b32_e32 v6, 0x80, v3
	ds_bpermute_b32 v6, v6, v1
	v_cmp_lt_u32_e32 vcc, v4, v5
	s_waitcnt lgkmcnt(0)
	s_nop 0
	v_cndmask_b32_e32 v4, 0, v6, vcc
	v_add_u32_e32 v1, v1, v4
	v_cmp_eq_u32_e32 vcc, 0, v2
	s_and_saveexec_b64 s[4:5], vcc
; %bb.231:
	v_lshrrev_b32_e32 v4, 4, v0
	v_and_b32_e32 v4, 12, v4
	ds_write_b32 v4, v1 offset:96
; %bb.232:
	s_or_b64 exec, exec, s[4:5]
	v_cmp_gt_u32_e32 vcc, 4, v0
	s_waitcnt lgkmcnt(0)
	s_barrier
	s_and_saveexec_b64 s[4:5], vcc
	s_cbranch_execz .LBB140_234
; %bb.233:
	ds_read_b32 v1, v3 offset:96
	v_and_b32_e32 v4, 3, v2
	v_cmp_ne_u32_e32 vcc, 3, v4
	s_add_i32 s6, s6, 63
	s_lshr_b32 s6, s6, 6
	v_addc_co_u32_e32 v2, vcc, 0, v2, vcc
	v_lshlrev_b32_e32 v2, 2, v2
	s_waitcnt lgkmcnt(0)
	ds_bpermute_b32 v2, v2, v1
	v_add_u32_e32 v5, 1, v4
	v_cmp_gt_u32_e32 vcc, s6, v5
	s_waitcnt lgkmcnt(0)
	s_nop 0
	v_cndmask_b32_e32 v2, 0, v2, vcc
	v_add_u32_e32 v1, v2, v1
	v_or_b32_e32 v2, 8, v3
	ds_bpermute_b32 v2, v2, v1
	v_add_u32_e32 v3, 2, v4
	v_cmp_gt_u32_e32 vcc, s6, v3
	s_waitcnt lgkmcnt(0)
	s_nop 0
	v_cndmask_b32_e32 v2, 0, v2, vcc
	v_add_u32_e32 v1, v1, v2
.LBB140_234:
	s_or_b64 exec, exec, s[4:5]
	v_cmp_eq_u32_e64 s[4:5], 0, v0
	s_and_saveexec_b64 s[6:7], s[4:5]
	s_cbranch_execnz .LBB140_225
	s_branch .LBB140_226
	.section	.rodata,"a",@progbits
	.p2align	6, 0x0
	.amdhsa_kernel _ZN7rocprim17ROCPRIM_400000_NS6detail17trampoline_kernelINS0_14default_configENS1_22reduce_config_selectorIjEEZNS1_11reduce_implILb1ES3_N6thrust23THRUST_200600_302600_NS6detail15normal_iteratorINS8_10device_ptrIjEEEEPjjNS8_4plusIjEEEE10hipError_tPvRmT1_T2_T3_mT4_P12ihipStream_tbEUlT_E1_NS1_11comp_targetILNS1_3genE0ELNS1_11target_archE4294967295ELNS1_3gpuE0ELNS1_3repE0EEENS1_30default_config_static_selectorELNS0_4arch9wavefront6targetE1EEEvSK_
		.amdhsa_group_segment_fixed_size 112
		.amdhsa_private_segment_fixed_size 0
		.amdhsa_kernarg_size 40
		.amdhsa_user_sgpr_count 2
		.amdhsa_user_sgpr_dispatch_ptr 0
		.amdhsa_user_sgpr_queue_ptr 0
		.amdhsa_user_sgpr_kernarg_segment_ptr 1
		.amdhsa_user_sgpr_dispatch_id 0
		.amdhsa_user_sgpr_kernarg_preload_length 0
		.amdhsa_user_sgpr_kernarg_preload_offset 0
		.amdhsa_user_sgpr_private_segment_size 0
		.amdhsa_uses_dynamic_stack 0
		.amdhsa_enable_private_segment 0
		.amdhsa_system_sgpr_workgroup_id_x 1
		.amdhsa_system_sgpr_workgroup_id_y 0
		.amdhsa_system_sgpr_workgroup_id_z 0
		.amdhsa_system_sgpr_workgroup_info 0
		.amdhsa_system_vgpr_workitem_id 0
		.amdhsa_next_free_vgpr 36
		.amdhsa_next_free_sgpr 77
		.amdhsa_accum_offset 36
		.amdhsa_reserve_vcc 1
		.amdhsa_float_round_mode_32 0
		.amdhsa_float_round_mode_16_64 0
		.amdhsa_float_denorm_mode_32 3
		.amdhsa_float_denorm_mode_16_64 3
		.amdhsa_dx10_clamp 1
		.amdhsa_ieee_mode 1
		.amdhsa_fp16_overflow 0
		.amdhsa_tg_split 0
		.amdhsa_exception_fp_ieee_invalid_op 0
		.amdhsa_exception_fp_denorm_src 0
		.amdhsa_exception_fp_ieee_div_zero 0
		.amdhsa_exception_fp_ieee_overflow 0
		.amdhsa_exception_fp_ieee_underflow 0
		.amdhsa_exception_fp_ieee_inexact 0
		.amdhsa_exception_int_div_zero 0
	.end_amdhsa_kernel
	.section	.text._ZN7rocprim17ROCPRIM_400000_NS6detail17trampoline_kernelINS0_14default_configENS1_22reduce_config_selectorIjEEZNS1_11reduce_implILb1ES3_N6thrust23THRUST_200600_302600_NS6detail15normal_iteratorINS8_10device_ptrIjEEEEPjjNS8_4plusIjEEEE10hipError_tPvRmT1_T2_T3_mT4_P12ihipStream_tbEUlT_E1_NS1_11comp_targetILNS1_3genE0ELNS1_11target_archE4294967295ELNS1_3gpuE0ELNS1_3repE0EEENS1_30default_config_static_selectorELNS0_4arch9wavefront6targetE1EEEvSK_,"axG",@progbits,_ZN7rocprim17ROCPRIM_400000_NS6detail17trampoline_kernelINS0_14default_configENS1_22reduce_config_selectorIjEEZNS1_11reduce_implILb1ES3_N6thrust23THRUST_200600_302600_NS6detail15normal_iteratorINS8_10device_ptrIjEEEEPjjNS8_4plusIjEEEE10hipError_tPvRmT1_T2_T3_mT4_P12ihipStream_tbEUlT_E1_NS1_11comp_targetILNS1_3genE0ELNS1_11target_archE4294967295ELNS1_3gpuE0ELNS1_3repE0EEENS1_30default_config_static_selectorELNS0_4arch9wavefront6targetE1EEEvSK_,comdat
.Lfunc_end140:
	.size	_ZN7rocprim17ROCPRIM_400000_NS6detail17trampoline_kernelINS0_14default_configENS1_22reduce_config_selectorIjEEZNS1_11reduce_implILb1ES3_N6thrust23THRUST_200600_302600_NS6detail15normal_iteratorINS8_10device_ptrIjEEEEPjjNS8_4plusIjEEEE10hipError_tPvRmT1_T2_T3_mT4_P12ihipStream_tbEUlT_E1_NS1_11comp_targetILNS1_3genE0ELNS1_11target_archE4294967295ELNS1_3gpuE0ELNS1_3repE0EEENS1_30default_config_static_selectorELNS0_4arch9wavefront6targetE1EEEvSK_, .Lfunc_end140-_ZN7rocprim17ROCPRIM_400000_NS6detail17trampoline_kernelINS0_14default_configENS1_22reduce_config_selectorIjEEZNS1_11reduce_implILb1ES3_N6thrust23THRUST_200600_302600_NS6detail15normal_iteratorINS8_10device_ptrIjEEEEPjjNS8_4plusIjEEEE10hipError_tPvRmT1_T2_T3_mT4_P12ihipStream_tbEUlT_E1_NS1_11comp_targetILNS1_3genE0ELNS1_11target_archE4294967295ELNS1_3gpuE0ELNS1_3repE0EEENS1_30default_config_static_selectorELNS0_4arch9wavefront6targetE1EEEvSK_
                                        ; -- End function
	.set _ZN7rocprim17ROCPRIM_400000_NS6detail17trampoline_kernelINS0_14default_configENS1_22reduce_config_selectorIjEEZNS1_11reduce_implILb1ES3_N6thrust23THRUST_200600_302600_NS6detail15normal_iteratorINS8_10device_ptrIjEEEEPjjNS8_4plusIjEEEE10hipError_tPvRmT1_T2_T3_mT4_P12ihipStream_tbEUlT_E1_NS1_11comp_targetILNS1_3genE0ELNS1_11target_archE4294967295ELNS1_3gpuE0ELNS1_3repE0EEENS1_30default_config_static_selectorELNS0_4arch9wavefront6targetE1EEEvSK_.num_vgpr, 36
	.set _ZN7rocprim17ROCPRIM_400000_NS6detail17trampoline_kernelINS0_14default_configENS1_22reduce_config_selectorIjEEZNS1_11reduce_implILb1ES3_N6thrust23THRUST_200600_302600_NS6detail15normal_iteratorINS8_10device_ptrIjEEEEPjjNS8_4plusIjEEEE10hipError_tPvRmT1_T2_T3_mT4_P12ihipStream_tbEUlT_E1_NS1_11comp_targetILNS1_3genE0ELNS1_11target_archE4294967295ELNS1_3gpuE0ELNS1_3repE0EEENS1_30default_config_static_selectorELNS0_4arch9wavefront6targetE1EEEvSK_.num_agpr, 0
	.set _ZN7rocprim17ROCPRIM_400000_NS6detail17trampoline_kernelINS0_14default_configENS1_22reduce_config_selectorIjEEZNS1_11reduce_implILb1ES3_N6thrust23THRUST_200600_302600_NS6detail15normal_iteratorINS8_10device_ptrIjEEEEPjjNS8_4plusIjEEEE10hipError_tPvRmT1_T2_T3_mT4_P12ihipStream_tbEUlT_E1_NS1_11comp_targetILNS1_3genE0ELNS1_11target_archE4294967295ELNS1_3gpuE0ELNS1_3repE0EEENS1_30default_config_static_selectorELNS0_4arch9wavefront6targetE1EEEvSK_.numbered_sgpr, 77
	.set _ZN7rocprim17ROCPRIM_400000_NS6detail17trampoline_kernelINS0_14default_configENS1_22reduce_config_selectorIjEEZNS1_11reduce_implILb1ES3_N6thrust23THRUST_200600_302600_NS6detail15normal_iteratorINS8_10device_ptrIjEEEEPjjNS8_4plusIjEEEE10hipError_tPvRmT1_T2_T3_mT4_P12ihipStream_tbEUlT_E1_NS1_11comp_targetILNS1_3genE0ELNS1_11target_archE4294967295ELNS1_3gpuE0ELNS1_3repE0EEENS1_30default_config_static_selectorELNS0_4arch9wavefront6targetE1EEEvSK_.num_named_barrier, 0
	.set _ZN7rocprim17ROCPRIM_400000_NS6detail17trampoline_kernelINS0_14default_configENS1_22reduce_config_selectorIjEEZNS1_11reduce_implILb1ES3_N6thrust23THRUST_200600_302600_NS6detail15normal_iteratorINS8_10device_ptrIjEEEEPjjNS8_4plusIjEEEE10hipError_tPvRmT1_T2_T3_mT4_P12ihipStream_tbEUlT_E1_NS1_11comp_targetILNS1_3genE0ELNS1_11target_archE4294967295ELNS1_3gpuE0ELNS1_3repE0EEENS1_30default_config_static_selectorELNS0_4arch9wavefront6targetE1EEEvSK_.private_seg_size, 0
	.set _ZN7rocprim17ROCPRIM_400000_NS6detail17trampoline_kernelINS0_14default_configENS1_22reduce_config_selectorIjEEZNS1_11reduce_implILb1ES3_N6thrust23THRUST_200600_302600_NS6detail15normal_iteratorINS8_10device_ptrIjEEEEPjjNS8_4plusIjEEEE10hipError_tPvRmT1_T2_T3_mT4_P12ihipStream_tbEUlT_E1_NS1_11comp_targetILNS1_3genE0ELNS1_11target_archE4294967295ELNS1_3gpuE0ELNS1_3repE0EEENS1_30default_config_static_selectorELNS0_4arch9wavefront6targetE1EEEvSK_.uses_vcc, 1
	.set _ZN7rocprim17ROCPRIM_400000_NS6detail17trampoline_kernelINS0_14default_configENS1_22reduce_config_selectorIjEEZNS1_11reduce_implILb1ES3_N6thrust23THRUST_200600_302600_NS6detail15normal_iteratorINS8_10device_ptrIjEEEEPjjNS8_4plusIjEEEE10hipError_tPvRmT1_T2_T3_mT4_P12ihipStream_tbEUlT_E1_NS1_11comp_targetILNS1_3genE0ELNS1_11target_archE4294967295ELNS1_3gpuE0ELNS1_3repE0EEENS1_30default_config_static_selectorELNS0_4arch9wavefront6targetE1EEEvSK_.uses_flat_scratch, 0
	.set _ZN7rocprim17ROCPRIM_400000_NS6detail17trampoline_kernelINS0_14default_configENS1_22reduce_config_selectorIjEEZNS1_11reduce_implILb1ES3_N6thrust23THRUST_200600_302600_NS6detail15normal_iteratorINS8_10device_ptrIjEEEEPjjNS8_4plusIjEEEE10hipError_tPvRmT1_T2_T3_mT4_P12ihipStream_tbEUlT_E1_NS1_11comp_targetILNS1_3genE0ELNS1_11target_archE4294967295ELNS1_3gpuE0ELNS1_3repE0EEENS1_30default_config_static_selectorELNS0_4arch9wavefront6targetE1EEEvSK_.has_dyn_sized_stack, 0
	.set _ZN7rocprim17ROCPRIM_400000_NS6detail17trampoline_kernelINS0_14default_configENS1_22reduce_config_selectorIjEEZNS1_11reduce_implILb1ES3_N6thrust23THRUST_200600_302600_NS6detail15normal_iteratorINS8_10device_ptrIjEEEEPjjNS8_4plusIjEEEE10hipError_tPvRmT1_T2_T3_mT4_P12ihipStream_tbEUlT_E1_NS1_11comp_targetILNS1_3genE0ELNS1_11target_archE4294967295ELNS1_3gpuE0ELNS1_3repE0EEENS1_30default_config_static_selectorELNS0_4arch9wavefront6targetE1EEEvSK_.has_recursion, 0
	.set _ZN7rocprim17ROCPRIM_400000_NS6detail17trampoline_kernelINS0_14default_configENS1_22reduce_config_selectorIjEEZNS1_11reduce_implILb1ES3_N6thrust23THRUST_200600_302600_NS6detail15normal_iteratorINS8_10device_ptrIjEEEEPjjNS8_4plusIjEEEE10hipError_tPvRmT1_T2_T3_mT4_P12ihipStream_tbEUlT_E1_NS1_11comp_targetILNS1_3genE0ELNS1_11target_archE4294967295ELNS1_3gpuE0ELNS1_3repE0EEENS1_30default_config_static_selectorELNS0_4arch9wavefront6targetE1EEEvSK_.has_indirect_call, 0
	.section	.AMDGPU.csdata,"",@progbits
; Kernel info:
; codeLenInByte = 9884
; TotalNumSgprs: 83
; NumVgprs: 36
; NumAgprs: 0
; TotalNumVgprs: 36
; ScratchSize: 0
; MemoryBound: 0
; FloatMode: 240
; IeeeMode: 1
; LDSByteSize: 112 bytes/workgroup (compile time only)
; SGPRBlocks: 10
; VGPRBlocks: 4
; NumSGPRsForWavesPerEU: 83
; NumVGPRsForWavesPerEU: 36
; AccumOffset: 36
; Occupancy: 8
; WaveLimiterHint : 1
; COMPUTE_PGM_RSRC2:SCRATCH_EN: 0
; COMPUTE_PGM_RSRC2:USER_SGPR: 2
; COMPUTE_PGM_RSRC2:TRAP_HANDLER: 0
; COMPUTE_PGM_RSRC2:TGID_X_EN: 1
; COMPUTE_PGM_RSRC2:TGID_Y_EN: 0
; COMPUTE_PGM_RSRC2:TGID_Z_EN: 0
; COMPUTE_PGM_RSRC2:TIDIG_COMP_CNT: 0
; COMPUTE_PGM_RSRC3_GFX90A:ACCUM_OFFSET: 8
; COMPUTE_PGM_RSRC3_GFX90A:TG_SPLIT: 0
	.section	.text._ZN7rocprim17ROCPRIM_400000_NS6detail17trampoline_kernelINS0_14default_configENS1_22reduce_config_selectorIjEEZNS1_11reduce_implILb1ES3_N6thrust23THRUST_200600_302600_NS6detail15normal_iteratorINS8_10device_ptrIjEEEEPjjNS8_4plusIjEEEE10hipError_tPvRmT1_T2_T3_mT4_P12ihipStream_tbEUlT_E1_NS1_11comp_targetILNS1_3genE5ELNS1_11target_archE942ELNS1_3gpuE9ELNS1_3repE0EEENS1_30default_config_static_selectorELNS0_4arch9wavefront6targetE1EEEvSK_,"axG",@progbits,_ZN7rocprim17ROCPRIM_400000_NS6detail17trampoline_kernelINS0_14default_configENS1_22reduce_config_selectorIjEEZNS1_11reduce_implILb1ES3_N6thrust23THRUST_200600_302600_NS6detail15normal_iteratorINS8_10device_ptrIjEEEEPjjNS8_4plusIjEEEE10hipError_tPvRmT1_T2_T3_mT4_P12ihipStream_tbEUlT_E1_NS1_11comp_targetILNS1_3genE5ELNS1_11target_archE942ELNS1_3gpuE9ELNS1_3repE0EEENS1_30default_config_static_selectorELNS0_4arch9wavefront6targetE1EEEvSK_,comdat
	.protected	_ZN7rocprim17ROCPRIM_400000_NS6detail17trampoline_kernelINS0_14default_configENS1_22reduce_config_selectorIjEEZNS1_11reduce_implILb1ES3_N6thrust23THRUST_200600_302600_NS6detail15normal_iteratorINS8_10device_ptrIjEEEEPjjNS8_4plusIjEEEE10hipError_tPvRmT1_T2_T3_mT4_P12ihipStream_tbEUlT_E1_NS1_11comp_targetILNS1_3genE5ELNS1_11target_archE942ELNS1_3gpuE9ELNS1_3repE0EEENS1_30default_config_static_selectorELNS0_4arch9wavefront6targetE1EEEvSK_ ; -- Begin function _ZN7rocprim17ROCPRIM_400000_NS6detail17trampoline_kernelINS0_14default_configENS1_22reduce_config_selectorIjEEZNS1_11reduce_implILb1ES3_N6thrust23THRUST_200600_302600_NS6detail15normal_iteratorINS8_10device_ptrIjEEEEPjjNS8_4plusIjEEEE10hipError_tPvRmT1_T2_T3_mT4_P12ihipStream_tbEUlT_E1_NS1_11comp_targetILNS1_3genE5ELNS1_11target_archE942ELNS1_3gpuE9ELNS1_3repE0EEENS1_30default_config_static_selectorELNS0_4arch9wavefront6targetE1EEEvSK_
	.globl	_ZN7rocprim17ROCPRIM_400000_NS6detail17trampoline_kernelINS0_14default_configENS1_22reduce_config_selectorIjEEZNS1_11reduce_implILb1ES3_N6thrust23THRUST_200600_302600_NS6detail15normal_iteratorINS8_10device_ptrIjEEEEPjjNS8_4plusIjEEEE10hipError_tPvRmT1_T2_T3_mT4_P12ihipStream_tbEUlT_E1_NS1_11comp_targetILNS1_3genE5ELNS1_11target_archE942ELNS1_3gpuE9ELNS1_3repE0EEENS1_30default_config_static_selectorELNS0_4arch9wavefront6targetE1EEEvSK_
	.p2align	8
	.type	_ZN7rocprim17ROCPRIM_400000_NS6detail17trampoline_kernelINS0_14default_configENS1_22reduce_config_selectorIjEEZNS1_11reduce_implILb1ES3_N6thrust23THRUST_200600_302600_NS6detail15normal_iteratorINS8_10device_ptrIjEEEEPjjNS8_4plusIjEEEE10hipError_tPvRmT1_T2_T3_mT4_P12ihipStream_tbEUlT_E1_NS1_11comp_targetILNS1_3genE5ELNS1_11target_archE942ELNS1_3gpuE9ELNS1_3repE0EEENS1_30default_config_static_selectorELNS0_4arch9wavefront6targetE1EEEvSK_,@function
_ZN7rocprim17ROCPRIM_400000_NS6detail17trampoline_kernelINS0_14default_configENS1_22reduce_config_selectorIjEEZNS1_11reduce_implILb1ES3_N6thrust23THRUST_200600_302600_NS6detail15normal_iteratorINS8_10device_ptrIjEEEEPjjNS8_4plusIjEEEE10hipError_tPvRmT1_T2_T3_mT4_P12ihipStream_tbEUlT_E1_NS1_11comp_targetILNS1_3genE5ELNS1_11target_archE942ELNS1_3gpuE9ELNS1_3repE0EEENS1_30default_config_static_selectorELNS0_4arch9wavefront6targetE1EEEvSK_: ; @_ZN7rocprim17ROCPRIM_400000_NS6detail17trampoline_kernelINS0_14default_configENS1_22reduce_config_selectorIjEEZNS1_11reduce_implILb1ES3_N6thrust23THRUST_200600_302600_NS6detail15normal_iteratorINS8_10device_ptrIjEEEEPjjNS8_4plusIjEEEE10hipError_tPvRmT1_T2_T3_mT4_P12ihipStream_tbEUlT_E1_NS1_11comp_targetILNS1_3genE5ELNS1_11target_archE942ELNS1_3gpuE9ELNS1_3repE0EEENS1_30default_config_static_selectorELNS0_4arch9wavefront6targetE1EEEvSK_
; %bb.0:
	.section	.rodata,"a",@progbits
	.p2align	6, 0x0
	.amdhsa_kernel _ZN7rocprim17ROCPRIM_400000_NS6detail17trampoline_kernelINS0_14default_configENS1_22reduce_config_selectorIjEEZNS1_11reduce_implILb1ES3_N6thrust23THRUST_200600_302600_NS6detail15normal_iteratorINS8_10device_ptrIjEEEEPjjNS8_4plusIjEEEE10hipError_tPvRmT1_T2_T3_mT4_P12ihipStream_tbEUlT_E1_NS1_11comp_targetILNS1_3genE5ELNS1_11target_archE942ELNS1_3gpuE9ELNS1_3repE0EEENS1_30default_config_static_selectorELNS0_4arch9wavefront6targetE1EEEvSK_
		.amdhsa_group_segment_fixed_size 0
		.amdhsa_private_segment_fixed_size 0
		.amdhsa_kernarg_size 40
		.amdhsa_user_sgpr_count 2
		.amdhsa_user_sgpr_dispatch_ptr 0
		.amdhsa_user_sgpr_queue_ptr 0
		.amdhsa_user_sgpr_kernarg_segment_ptr 1
		.amdhsa_user_sgpr_dispatch_id 0
		.amdhsa_user_sgpr_kernarg_preload_length 0
		.amdhsa_user_sgpr_kernarg_preload_offset 0
		.amdhsa_user_sgpr_private_segment_size 0
		.amdhsa_uses_dynamic_stack 0
		.amdhsa_enable_private_segment 0
		.amdhsa_system_sgpr_workgroup_id_x 1
		.amdhsa_system_sgpr_workgroup_id_y 0
		.amdhsa_system_sgpr_workgroup_id_z 0
		.amdhsa_system_sgpr_workgroup_info 0
		.amdhsa_system_vgpr_workitem_id 0
		.amdhsa_next_free_vgpr 1
		.amdhsa_next_free_sgpr 0
		.amdhsa_accum_offset 4
		.amdhsa_reserve_vcc 0
		.amdhsa_float_round_mode_32 0
		.amdhsa_float_round_mode_16_64 0
		.amdhsa_float_denorm_mode_32 3
		.amdhsa_float_denorm_mode_16_64 3
		.amdhsa_dx10_clamp 1
		.amdhsa_ieee_mode 1
		.amdhsa_fp16_overflow 0
		.amdhsa_tg_split 0
		.amdhsa_exception_fp_ieee_invalid_op 0
		.amdhsa_exception_fp_denorm_src 0
		.amdhsa_exception_fp_ieee_div_zero 0
		.amdhsa_exception_fp_ieee_overflow 0
		.amdhsa_exception_fp_ieee_underflow 0
		.amdhsa_exception_fp_ieee_inexact 0
		.amdhsa_exception_int_div_zero 0
	.end_amdhsa_kernel
	.section	.text._ZN7rocprim17ROCPRIM_400000_NS6detail17trampoline_kernelINS0_14default_configENS1_22reduce_config_selectorIjEEZNS1_11reduce_implILb1ES3_N6thrust23THRUST_200600_302600_NS6detail15normal_iteratorINS8_10device_ptrIjEEEEPjjNS8_4plusIjEEEE10hipError_tPvRmT1_T2_T3_mT4_P12ihipStream_tbEUlT_E1_NS1_11comp_targetILNS1_3genE5ELNS1_11target_archE942ELNS1_3gpuE9ELNS1_3repE0EEENS1_30default_config_static_selectorELNS0_4arch9wavefront6targetE1EEEvSK_,"axG",@progbits,_ZN7rocprim17ROCPRIM_400000_NS6detail17trampoline_kernelINS0_14default_configENS1_22reduce_config_selectorIjEEZNS1_11reduce_implILb1ES3_N6thrust23THRUST_200600_302600_NS6detail15normal_iteratorINS8_10device_ptrIjEEEEPjjNS8_4plusIjEEEE10hipError_tPvRmT1_T2_T3_mT4_P12ihipStream_tbEUlT_E1_NS1_11comp_targetILNS1_3genE5ELNS1_11target_archE942ELNS1_3gpuE9ELNS1_3repE0EEENS1_30default_config_static_selectorELNS0_4arch9wavefront6targetE1EEEvSK_,comdat
.Lfunc_end141:
	.size	_ZN7rocprim17ROCPRIM_400000_NS6detail17trampoline_kernelINS0_14default_configENS1_22reduce_config_selectorIjEEZNS1_11reduce_implILb1ES3_N6thrust23THRUST_200600_302600_NS6detail15normal_iteratorINS8_10device_ptrIjEEEEPjjNS8_4plusIjEEEE10hipError_tPvRmT1_T2_T3_mT4_P12ihipStream_tbEUlT_E1_NS1_11comp_targetILNS1_3genE5ELNS1_11target_archE942ELNS1_3gpuE9ELNS1_3repE0EEENS1_30default_config_static_selectorELNS0_4arch9wavefront6targetE1EEEvSK_, .Lfunc_end141-_ZN7rocprim17ROCPRIM_400000_NS6detail17trampoline_kernelINS0_14default_configENS1_22reduce_config_selectorIjEEZNS1_11reduce_implILb1ES3_N6thrust23THRUST_200600_302600_NS6detail15normal_iteratorINS8_10device_ptrIjEEEEPjjNS8_4plusIjEEEE10hipError_tPvRmT1_T2_T3_mT4_P12ihipStream_tbEUlT_E1_NS1_11comp_targetILNS1_3genE5ELNS1_11target_archE942ELNS1_3gpuE9ELNS1_3repE0EEENS1_30default_config_static_selectorELNS0_4arch9wavefront6targetE1EEEvSK_
                                        ; -- End function
	.set _ZN7rocprim17ROCPRIM_400000_NS6detail17trampoline_kernelINS0_14default_configENS1_22reduce_config_selectorIjEEZNS1_11reduce_implILb1ES3_N6thrust23THRUST_200600_302600_NS6detail15normal_iteratorINS8_10device_ptrIjEEEEPjjNS8_4plusIjEEEE10hipError_tPvRmT1_T2_T3_mT4_P12ihipStream_tbEUlT_E1_NS1_11comp_targetILNS1_3genE5ELNS1_11target_archE942ELNS1_3gpuE9ELNS1_3repE0EEENS1_30default_config_static_selectorELNS0_4arch9wavefront6targetE1EEEvSK_.num_vgpr, 0
	.set _ZN7rocprim17ROCPRIM_400000_NS6detail17trampoline_kernelINS0_14default_configENS1_22reduce_config_selectorIjEEZNS1_11reduce_implILb1ES3_N6thrust23THRUST_200600_302600_NS6detail15normal_iteratorINS8_10device_ptrIjEEEEPjjNS8_4plusIjEEEE10hipError_tPvRmT1_T2_T3_mT4_P12ihipStream_tbEUlT_E1_NS1_11comp_targetILNS1_3genE5ELNS1_11target_archE942ELNS1_3gpuE9ELNS1_3repE0EEENS1_30default_config_static_selectorELNS0_4arch9wavefront6targetE1EEEvSK_.num_agpr, 0
	.set _ZN7rocprim17ROCPRIM_400000_NS6detail17trampoline_kernelINS0_14default_configENS1_22reduce_config_selectorIjEEZNS1_11reduce_implILb1ES3_N6thrust23THRUST_200600_302600_NS6detail15normal_iteratorINS8_10device_ptrIjEEEEPjjNS8_4plusIjEEEE10hipError_tPvRmT1_T2_T3_mT4_P12ihipStream_tbEUlT_E1_NS1_11comp_targetILNS1_3genE5ELNS1_11target_archE942ELNS1_3gpuE9ELNS1_3repE0EEENS1_30default_config_static_selectorELNS0_4arch9wavefront6targetE1EEEvSK_.numbered_sgpr, 0
	.set _ZN7rocprim17ROCPRIM_400000_NS6detail17trampoline_kernelINS0_14default_configENS1_22reduce_config_selectorIjEEZNS1_11reduce_implILb1ES3_N6thrust23THRUST_200600_302600_NS6detail15normal_iteratorINS8_10device_ptrIjEEEEPjjNS8_4plusIjEEEE10hipError_tPvRmT1_T2_T3_mT4_P12ihipStream_tbEUlT_E1_NS1_11comp_targetILNS1_3genE5ELNS1_11target_archE942ELNS1_3gpuE9ELNS1_3repE0EEENS1_30default_config_static_selectorELNS0_4arch9wavefront6targetE1EEEvSK_.num_named_barrier, 0
	.set _ZN7rocprim17ROCPRIM_400000_NS6detail17trampoline_kernelINS0_14default_configENS1_22reduce_config_selectorIjEEZNS1_11reduce_implILb1ES3_N6thrust23THRUST_200600_302600_NS6detail15normal_iteratorINS8_10device_ptrIjEEEEPjjNS8_4plusIjEEEE10hipError_tPvRmT1_T2_T3_mT4_P12ihipStream_tbEUlT_E1_NS1_11comp_targetILNS1_3genE5ELNS1_11target_archE942ELNS1_3gpuE9ELNS1_3repE0EEENS1_30default_config_static_selectorELNS0_4arch9wavefront6targetE1EEEvSK_.private_seg_size, 0
	.set _ZN7rocprim17ROCPRIM_400000_NS6detail17trampoline_kernelINS0_14default_configENS1_22reduce_config_selectorIjEEZNS1_11reduce_implILb1ES3_N6thrust23THRUST_200600_302600_NS6detail15normal_iteratorINS8_10device_ptrIjEEEEPjjNS8_4plusIjEEEE10hipError_tPvRmT1_T2_T3_mT4_P12ihipStream_tbEUlT_E1_NS1_11comp_targetILNS1_3genE5ELNS1_11target_archE942ELNS1_3gpuE9ELNS1_3repE0EEENS1_30default_config_static_selectorELNS0_4arch9wavefront6targetE1EEEvSK_.uses_vcc, 0
	.set _ZN7rocprim17ROCPRIM_400000_NS6detail17trampoline_kernelINS0_14default_configENS1_22reduce_config_selectorIjEEZNS1_11reduce_implILb1ES3_N6thrust23THRUST_200600_302600_NS6detail15normal_iteratorINS8_10device_ptrIjEEEEPjjNS8_4plusIjEEEE10hipError_tPvRmT1_T2_T3_mT4_P12ihipStream_tbEUlT_E1_NS1_11comp_targetILNS1_3genE5ELNS1_11target_archE942ELNS1_3gpuE9ELNS1_3repE0EEENS1_30default_config_static_selectorELNS0_4arch9wavefront6targetE1EEEvSK_.uses_flat_scratch, 0
	.set _ZN7rocprim17ROCPRIM_400000_NS6detail17trampoline_kernelINS0_14default_configENS1_22reduce_config_selectorIjEEZNS1_11reduce_implILb1ES3_N6thrust23THRUST_200600_302600_NS6detail15normal_iteratorINS8_10device_ptrIjEEEEPjjNS8_4plusIjEEEE10hipError_tPvRmT1_T2_T3_mT4_P12ihipStream_tbEUlT_E1_NS1_11comp_targetILNS1_3genE5ELNS1_11target_archE942ELNS1_3gpuE9ELNS1_3repE0EEENS1_30default_config_static_selectorELNS0_4arch9wavefront6targetE1EEEvSK_.has_dyn_sized_stack, 0
	.set _ZN7rocprim17ROCPRIM_400000_NS6detail17trampoline_kernelINS0_14default_configENS1_22reduce_config_selectorIjEEZNS1_11reduce_implILb1ES3_N6thrust23THRUST_200600_302600_NS6detail15normal_iteratorINS8_10device_ptrIjEEEEPjjNS8_4plusIjEEEE10hipError_tPvRmT1_T2_T3_mT4_P12ihipStream_tbEUlT_E1_NS1_11comp_targetILNS1_3genE5ELNS1_11target_archE942ELNS1_3gpuE9ELNS1_3repE0EEENS1_30default_config_static_selectorELNS0_4arch9wavefront6targetE1EEEvSK_.has_recursion, 0
	.set _ZN7rocprim17ROCPRIM_400000_NS6detail17trampoline_kernelINS0_14default_configENS1_22reduce_config_selectorIjEEZNS1_11reduce_implILb1ES3_N6thrust23THRUST_200600_302600_NS6detail15normal_iteratorINS8_10device_ptrIjEEEEPjjNS8_4plusIjEEEE10hipError_tPvRmT1_T2_T3_mT4_P12ihipStream_tbEUlT_E1_NS1_11comp_targetILNS1_3genE5ELNS1_11target_archE942ELNS1_3gpuE9ELNS1_3repE0EEENS1_30default_config_static_selectorELNS0_4arch9wavefront6targetE1EEEvSK_.has_indirect_call, 0
	.section	.AMDGPU.csdata,"",@progbits
; Kernel info:
; codeLenInByte = 0
; TotalNumSgprs: 6
; NumVgprs: 0
; NumAgprs: 0
; TotalNumVgprs: 0
; ScratchSize: 0
; MemoryBound: 0
; FloatMode: 240
; IeeeMode: 1
; LDSByteSize: 0 bytes/workgroup (compile time only)
; SGPRBlocks: 0
; VGPRBlocks: 0
; NumSGPRsForWavesPerEU: 6
; NumVGPRsForWavesPerEU: 1
; AccumOffset: 4
; Occupancy: 8
; WaveLimiterHint : 0
; COMPUTE_PGM_RSRC2:SCRATCH_EN: 0
; COMPUTE_PGM_RSRC2:USER_SGPR: 2
; COMPUTE_PGM_RSRC2:TRAP_HANDLER: 0
; COMPUTE_PGM_RSRC2:TGID_X_EN: 1
; COMPUTE_PGM_RSRC2:TGID_Y_EN: 0
; COMPUTE_PGM_RSRC2:TGID_Z_EN: 0
; COMPUTE_PGM_RSRC2:TIDIG_COMP_CNT: 0
; COMPUTE_PGM_RSRC3_GFX90A:ACCUM_OFFSET: 0
; COMPUTE_PGM_RSRC3_GFX90A:TG_SPLIT: 0
	.section	.text._ZN7rocprim17ROCPRIM_400000_NS6detail17trampoline_kernelINS0_14default_configENS1_22reduce_config_selectorIjEEZNS1_11reduce_implILb1ES3_N6thrust23THRUST_200600_302600_NS6detail15normal_iteratorINS8_10device_ptrIjEEEEPjjNS8_4plusIjEEEE10hipError_tPvRmT1_T2_T3_mT4_P12ihipStream_tbEUlT_E1_NS1_11comp_targetILNS1_3genE4ELNS1_11target_archE910ELNS1_3gpuE8ELNS1_3repE0EEENS1_30default_config_static_selectorELNS0_4arch9wavefront6targetE1EEEvSK_,"axG",@progbits,_ZN7rocprim17ROCPRIM_400000_NS6detail17trampoline_kernelINS0_14default_configENS1_22reduce_config_selectorIjEEZNS1_11reduce_implILb1ES3_N6thrust23THRUST_200600_302600_NS6detail15normal_iteratorINS8_10device_ptrIjEEEEPjjNS8_4plusIjEEEE10hipError_tPvRmT1_T2_T3_mT4_P12ihipStream_tbEUlT_E1_NS1_11comp_targetILNS1_3genE4ELNS1_11target_archE910ELNS1_3gpuE8ELNS1_3repE0EEENS1_30default_config_static_selectorELNS0_4arch9wavefront6targetE1EEEvSK_,comdat
	.protected	_ZN7rocprim17ROCPRIM_400000_NS6detail17trampoline_kernelINS0_14default_configENS1_22reduce_config_selectorIjEEZNS1_11reduce_implILb1ES3_N6thrust23THRUST_200600_302600_NS6detail15normal_iteratorINS8_10device_ptrIjEEEEPjjNS8_4plusIjEEEE10hipError_tPvRmT1_T2_T3_mT4_P12ihipStream_tbEUlT_E1_NS1_11comp_targetILNS1_3genE4ELNS1_11target_archE910ELNS1_3gpuE8ELNS1_3repE0EEENS1_30default_config_static_selectorELNS0_4arch9wavefront6targetE1EEEvSK_ ; -- Begin function _ZN7rocprim17ROCPRIM_400000_NS6detail17trampoline_kernelINS0_14default_configENS1_22reduce_config_selectorIjEEZNS1_11reduce_implILb1ES3_N6thrust23THRUST_200600_302600_NS6detail15normal_iteratorINS8_10device_ptrIjEEEEPjjNS8_4plusIjEEEE10hipError_tPvRmT1_T2_T3_mT4_P12ihipStream_tbEUlT_E1_NS1_11comp_targetILNS1_3genE4ELNS1_11target_archE910ELNS1_3gpuE8ELNS1_3repE0EEENS1_30default_config_static_selectorELNS0_4arch9wavefront6targetE1EEEvSK_
	.globl	_ZN7rocprim17ROCPRIM_400000_NS6detail17trampoline_kernelINS0_14default_configENS1_22reduce_config_selectorIjEEZNS1_11reduce_implILb1ES3_N6thrust23THRUST_200600_302600_NS6detail15normal_iteratorINS8_10device_ptrIjEEEEPjjNS8_4plusIjEEEE10hipError_tPvRmT1_T2_T3_mT4_P12ihipStream_tbEUlT_E1_NS1_11comp_targetILNS1_3genE4ELNS1_11target_archE910ELNS1_3gpuE8ELNS1_3repE0EEENS1_30default_config_static_selectorELNS0_4arch9wavefront6targetE1EEEvSK_
	.p2align	8
	.type	_ZN7rocprim17ROCPRIM_400000_NS6detail17trampoline_kernelINS0_14default_configENS1_22reduce_config_selectorIjEEZNS1_11reduce_implILb1ES3_N6thrust23THRUST_200600_302600_NS6detail15normal_iteratorINS8_10device_ptrIjEEEEPjjNS8_4plusIjEEEE10hipError_tPvRmT1_T2_T3_mT4_P12ihipStream_tbEUlT_E1_NS1_11comp_targetILNS1_3genE4ELNS1_11target_archE910ELNS1_3gpuE8ELNS1_3repE0EEENS1_30default_config_static_selectorELNS0_4arch9wavefront6targetE1EEEvSK_,@function
_ZN7rocprim17ROCPRIM_400000_NS6detail17trampoline_kernelINS0_14default_configENS1_22reduce_config_selectorIjEEZNS1_11reduce_implILb1ES3_N6thrust23THRUST_200600_302600_NS6detail15normal_iteratorINS8_10device_ptrIjEEEEPjjNS8_4plusIjEEEE10hipError_tPvRmT1_T2_T3_mT4_P12ihipStream_tbEUlT_E1_NS1_11comp_targetILNS1_3genE4ELNS1_11target_archE910ELNS1_3gpuE8ELNS1_3repE0EEENS1_30default_config_static_selectorELNS0_4arch9wavefront6targetE1EEEvSK_: ; @_ZN7rocprim17ROCPRIM_400000_NS6detail17trampoline_kernelINS0_14default_configENS1_22reduce_config_selectorIjEEZNS1_11reduce_implILb1ES3_N6thrust23THRUST_200600_302600_NS6detail15normal_iteratorINS8_10device_ptrIjEEEEPjjNS8_4plusIjEEEE10hipError_tPvRmT1_T2_T3_mT4_P12ihipStream_tbEUlT_E1_NS1_11comp_targetILNS1_3genE4ELNS1_11target_archE910ELNS1_3gpuE8ELNS1_3repE0EEENS1_30default_config_static_selectorELNS0_4arch9wavefront6targetE1EEEvSK_
; %bb.0:
	.section	.rodata,"a",@progbits
	.p2align	6, 0x0
	.amdhsa_kernel _ZN7rocprim17ROCPRIM_400000_NS6detail17trampoline_kernelINS0_14default_configENS1_22reduce_config_selectorIjEEZNS1_11reduce_implILb1ES3_N6thrust23THRUST_200600_302600_NS6detail15normal_iteratorINS8_10device_ptrIjEEEEPjjNS8_4plusIjEEEE10hipError_tPvRmT1_T2_T3_mT4_P12ihipStream_tbEUlT_E1_NS1_11comp_targetILNS1_3genE4ELNS1_11target_archE910ELNS1_3gpuE8ELNS1_3repE0EEENS1_30default_config_static_selectorELNS0_4arch9wavefront6targetE1EEEvSK_
		.amdhsa_group_segment_fixed_size 0
		.amdhsa_private_segment_fixed_size 0
		.amdhsa_kernarg_size 40
		.amdhsa_user_sgpr_count 2
		.amdhsa_user_sgpr_dispatch_ptr 0
		.amdhsa_user_sgpr_queue_ptr 0
		.amdhsa_user_sgpr_kernarg_segment_ptr 1
		.amdhsa_user_sgpr_dispatch_id 0
		.amdhsa_user_sgpr_kernarg_preload_length 0
		.amdhsa_user_sgpr_kernarg_preload_offset 0
		.amdhsa_user_sgpr_private_segment_size 0
		.amdhsa_uses_dynamic_stack 0
		.amdhsa_enable_private_segment 0
		.amdhsa_system_sgpr_workgroup_id_x 1
		.amdhsa_system_sgpr_workgroup_id_y 0
		.amdhsa_system_sgpr_workgroup_id_z 0
		.amdhsa_system_sgpr_workgroup_info 0
		.amdhsa_system_vgpr_workitem_id 0
		.amdhsa_next_free_vgpr 1
		.amdhsa_next_free_sgpr 0
		.amdhsa_accum_offset 4
		.amdhsa_reserve_vcc 0
		.amdhsa_float_round_mode_32 0
		.amdhsa_float_round_mode_16_64 0
		.amdhsa_float_denorm_mode_32 3
		.amdhsa_float_denorm_mode_16_64 3
		.amdhsa_dx10_clamp 1
		.amdhsa_ieee_mode 1
		.amdhsa_fp16_overflow 0
		.amdhsa_tg_split 0
		.amdhsa_exception_fp_ieee_invalid_op 0
		.amdhsa_exception_fp_denorm_src 0
		.amdhsa_exception_fp_ieee_div_zero 0
		.amdhsa_exception_fp_ieee_overflow 0
		.amdhsa_exception_fp_ieee_underflow 0
		.amdhsa_exception_fp_ieee_inexact 0
		.amdhsa_exception_int_div_zero 0
	.end_amdhsa_kernel
	.section	.text._ZN7rocprim17ROCPRIM_400000_NS6detail17trampoline_kernelINS0_14default_configENS1_22reduce_config_selectorIjEEZNS1_11reduce_implILb1ES3_N6thrust23THRUST_200600_302600_NS6detail15normal_iteratorINS8_10device_ptrIjEEEEPjjNS8_4plusIjEEEE10hipError_tPvRmT1_T2_T3_mT4_P12ihipStream_tbEUlT_E1_NS1_11comp_targetILNS1_3genE4ELNS1_11target_archE910ELNS1_3gpuE8ELNS1_3repE0EEENS1_30default_config_static_selectorELNS0_4arch9wavefront6targetE1EEEvSK_,"axG",@progbits,_ZN7rocprim17ROCPRIM_400000_NS6detail17trampoline_kernelINS0_14default_configENS1_22reduce_config_selectorIjEEZNS1_11reduce_implILb1ES3_N6thrust23THRUST_200600_302600_NS6detail15normal_iteratorINS8_10device_ptrIjEEEEPjjNS8_4plusIjEEEE10hipError_tPvRmT1_T2_T3_mT4_P12ihipStream_tbEUlT_E1_NS1_11comp_targetILNS1_3genE4ELNS1_11target_archE910ELNS1_3gpuE8ELNS1_3repE0EEENS1_30default_config_static_selectorELNS0_4arch9wavefront6targetE1EEEvSK_,comdat
.Lfunc_end142:
	.size	_ZN7rocprim17ROCPRIM_400000_NS6detail17trampoline_kernelINS0_14default_configENS1_22reduce_config_selectorIjEEZNS1_11reduce_implILb1ES3_N6thrust23THRUST_200600_302600_NS6detail15normal_iteratorINS8_10device_ptrIjEEEEPjjNS8_4plusIjEEEE10hipError_tPvRmT1_T2_T3_mT4_P12ihipStream_tbEUlT_E1_NS1_11comp_targetILNS1_3genE4ELNS1_11target_archE910ELNS1_3gpuE8ELNS1_3repE0EEENS1_30default_config_static_selectorELNS0_4arch9wavefront6targetE1EEEvSK_, .Lfunc_end142-_ZN7rocprim17ROCPRIM_400000_NS6detail17trampoline_kernelINS0_14default_configENS1_22reduce_config_selectorIjEEZNS1_11reduce_implILb1ES3_N6thrust23THRUST_200600_302600_NS6detail15normal_iteratorINS8_10device_ptrIjEEEEPjjNS8_4plusIjEEEE10hipError_tPvRmT1_T2_T3_mT4_P12ihipStream_tbEUlT_E1_NS1_11comp_targetILNS1_3genE4ELNS1_11target_archE910ELNS1_3gpuE8ELNS1_3repE0EEENS1_30default_config_static_selectorELNS0_4arch9wavefront6targetE1EEEvSK_
                                        ; -- End function
	.set _ZN7rocprim17ROCPRIM_400000_NS6detail17trampoline_kernelINS0_14default_configENS1_22reduce_config_selectorIjEEZNS1_11reduce_implILb1ES3_N6thrust23THRUST_200600_302600_NS6detail15normal_iteratorINS8_10device_ptrIjEEEEPjjNS8_4plusIjEEEE10hipError_tPvRmT1_T2_T3_mT4_P12ihipStream_tbEUlT_E1_NS1_11comp_targetILNS1_3genE4ELNS1_11target_archE910ELNS1_3gpuE8ELNS1_3repE0EEENS1_30default_config_static_selectorELNS0_4arch9wavefront6targetE1EEEvSK_.num_vgpr, 0
	.set _ZN7rocprim17ROCPRIM_400000_NS6detail17trampoline_kernelINS0_14default_configENS1_22reduce_config_selectorIjEEZNS1_11reduce_implILb1ES3_N6thrust23THRUST_200600_302600_NS6detail15normal_iteratorINS8_10device_ptrIjEEEEPjjNS8_4plusIjEEEE10hipError_tPvRmT1_T2_T3_mT4_P12ihipStream_tbEUlT_E1_NS1_11comp_targetILNS1_3genE4ELNS1_11target_archE910ELNS1_3gpuE8ELNS1_3repE0EEENS1_30default_config_static_selectorELNS0_4arch9wavefront6targetE1EEEvSK_.num_agpr, 0
	.set _ZN7rocprim17ROCPRIM_400000_NS6detail17trampoline_kernelINS0_14default_configENS1_22reduce_config_selectorIjEEZNS1_11reduce_implILb1ES3_N6thrust23THRUST_200600_302600_NS6detail15normal_iteratorINS8_10device_ptrIjEEEEPjjNS8_4plusIjEEEE10hipError_tPvRmT1_T2_T3_mT4_P12ihipStream_tbEUlT_E1_NS1_11comp_targetILNS1_3genE4ELNS1_11target_archE910ELNS1_3gpuE8ELNS1_3repE0EEENS1_30default_config_static_selectorELNS0_4arch9wavefront6targetE1EEEvSK_.numbered_sgpr, 0
	.set _ZN7rocprim17ROCPRIM_400000_NS6detail17trampoline_kernelINS0_14default_configENS1_22reduce_config_selectorIjEEZNS1_11reduce_implILb1ES3_N6thrust23THRUST_200600_302600_NS6detail15normal_iteratorINS8_10device_ptrIjEEEEPjjNS8_4plusIjEEEE10hipError_tPvRmT1_T2_T3_mT4_P12ihipStream_tbEUlT_E1_NS1_11comp_targetILNS1_3genE4ELNS1_11target_archE910ELNS1_3gpuE8ELNS1_3repE0EEENS1_30default_config_static_selectorELNS0_4arch9wavefront6targetE1EEEvSK_.num_named_barrier, 0
	.set _ZN7rocprim17ROCPRIM_400000_NS6detail17trampoline_kernelINS0_14default_configENS1_22reduce_config_selectorIjEEZNS1_11reduce_implILb1ES3_N6thrust23THRUST_200600_302600_NS6detail15normal_iteratorINS8_10device_ptrIjEEEEPjjNS8_4plusIjEEEE10hipError_tPvRmT1_T2_T3_mT4_P12ihipStream_tbEUlT_E1_NS1_11comp_targetILNS1_3genE4ELNS1_11target_archE910ELNS1_3gpuE8ELNS1_3repE0EEENS1_30default_config_static_selectorELNS0_4arch9wavefront6targetE1EEEvSK_.private_seg_size, 0
	.set _ZN7rocprim17ROCPRIM_400000_NS6detail17trampoline_kernelINS0_14default_configENS1_22reduce_config_selectorIjEEZNS1_11reduce_implILb1ES3_N6thrust23THRUST_200600_302600_NS6detail15normal_iteratorINS8_10device_ptrIjEEEEPjjNS8_4plusIjEEEE10hipError_tPvRmT1_T2_T3_mT4_P12ihipStream_tbEUlT_E1_NS1_11comp_targetILNS1_3genE4ELNS1_11target_archE910ELNS1_3gpuE8ELNS1_3repE0EEENS1_30default_config_static_selectorELNS0_4arch9wavefront6targetE1EEEvSK_.uses_vcc, 0
	.set _ZN7rocprim17ROCPRIM_400000_NS6detail17trampoline_kernelINS0_14default_configENS1_22reduce_config_selectorIjEEZNS1_11reduce_implILb1ES3_N6thrust23THRUST_200600_302600_NS6detail15normal_iteratorINS8_10device_ptrIjEEEEPjjNS8_4plusIjEEEE10hipError_tPvRmT1_T2_T3_mT4_P12ihipStream_tbEUlT_E1_NS1_11comp_targetILNS1_3genE4ELNS1_11target_archE910ELNS1_3gpuE8ELNS1_3repE0EEENS1_30default_config_static_selectorELNS0_4arch9wavefront6targetE1EEEvSK_.uses_flat_scratch, 0
	.set _ZN7rocprim17ROCPRIM_400000_NS6detail17trampoline_kernelINS0_14default_configENS1_22reduce_config_selectorIjEEZNS1_11reduce_implILb1ES3_N6thrust23THRUST_200600_302600_NS6detail15normal_iteratorINS8_10device_ptrIjEEEEPjjNS8_4plusIjEEEE10hipError_tPvRmT1_T2_T3_mT4_P12ihipStream_tbEUlT_E1_NS1_11comp_targetILNS1_3genE4ELNS1_11target_archE910ELNS1_3gpuE8ELNS1_3repE0EEENS1_30default_config_static_selectorELNS0_4arch9wavefront6targetE1EEEvSK_.has_dyn_sized_stack, 0
	.set _ZN7rocprim17ROCPRIM_400000_NS6detail17trampoline_kernelINS0_14default_configENS1_22reduce_config_selectorIjEEZNS1_11reduce_implILb1ES3_N6thrust23THRUST_200600_302600_NS6detail15normal_iteratorINS8_10device_ptrIjEEEEPjjNS8_4plusIjEEEE10hipError_tPvRmT1_T2_T3_mT4_P12ihipStream_tbEUlT_E1_NS1_11comp_targetILNS1_3genE4ELNS1_11target_archE910ELNS1_3gpuE8ELNS1_3repE0EEENS1_30default_config_static_selectorELNS0_4arch9wavefront6targetE1EEEvSK_.has_recursion, 0
	.set _ZN7rocprim17ROCPRIM_400000_NS6detail17trampoline_kernelINS0_14default_configENS1_22reduce_config_selectorIjEEZNS1_11reduce_implILb1ES3_N6thrust23THRUST_200600_302600_NS6detail15normal_iteratorINS8_10device_ptrIjEEEEPjjNS8_4plusIjEEEE10hipError_tPvRmT1_T2_T3_mT4_P12ihipStream_tbEUlT_E1_NS1_11comp_targetILNS1_3genE4ELNS1_11target_archE910ELNS1_3gpuE8ELNS1_3repE0EEENS1_30default_config_static_selectorELNS0_4arch9wavefront6targetE1EEEvSK_.has_indirect_call, 0
	.section	.AMDGPU.csdata,"",@progbits
; Kernel info:
; codeLenInByte = 0
; TotalNumSgprs: 6
; NumVgprs: 0
; NumAgprs: 0
; TotalNumVgprs: 0
; ScratchSize: 0
; MemoryBound: 0
; FloatMode: 240
; IeeeMode: 1
; LDSByteSize: 0 bytes/workgroup (compile time only)
; SGPRBlocks: 0
; VGPRBlocks: 0
; NumSGPRsForWavesPerEU: 6
; NumVGPRsForWavesPerEU: 1
; AccumOffset: 4
; Occupancy: 8
; WaveLimiterHint : 0
; COMPUTE_PGM_RSRC2:SCRATCH_EN: 0
; COMPUTE_PGM_RSRC2:USER_SGPR: 2
; COMPUTE_PGM_RSRC2:TRAP_HANDLER: 0
; COMPUTE_PGM_RSRC2:TGID_X_EN: 1
; COMPUTE_PGM_RSRC2:TGID_Y_EN: 0
; COMPUTE_PGM_RSRC2:TGID_Z_EN: 0
; COMPUTE_PGM_RSRC2:TIDIG_COMP_CNT: 0
; COMPUTE_PGM_RSRC3_GFX90A:ACCUM_OFFSET: 0
; COMPUTE_PGM_RSRC3_GFX90A:TG_SPLIT: 0
	.section	.text._ZN7rocprim17ROCPRIM_400000_NS6detail17trampoline_kernelINS0_14default_configENS1_22reduce_config_selectorIjEEZNS1_11reduce_implILb1ES3_N6thrust23THRUST_200600_302600_NS6detail15normal_iteratorINS8_10device_ptrIjEEEEPjjNS8_4plusIjEEEE10hipError_tPvRmT1_T2_T3_mT4_P12ihipStream_tbEUlT_E1_NS1_11comp_targetILNS1_3genE3ELNS1_11target_archE908ELNS1_3gpuE7ELNS1_3repE0EEENS1_30default_config_static_selectorELNS0_4arch9wavefront6targetE1EEEvSK_,"axG",@progbits,_ZN7rocprim17ROCPRIM_400000_NS6detail17trampoline_kernelINS0_14default_configENS1_22reduce_config_selectorIjEEZNS1_11reduce_implILb1ES3_N6thrust23THRUST_200600_302600_NS6detail15normal_iteratorINS8_10device_ptrIjEEEEPjjNS8_4plusIjEEEE10hipError_tPvRmT1_T2_T3_mT4_P12ihipStream_tbEUlT_E1_NS1_11comp_targetILNS1_3genE3ELNS1_11target_archE908ELNS1_3gpuE7ELNS1_3repE0EEENS1_30default_config_static_selectorELNS0_4arch9wavefront6targetE1EEEvSK_,comdat
	.protected	_ZN7rocprim17ROCPRIM_400000_NS6detail17trampoline_kernelINS0_14default_configENS1_22reduce_config_selectorIjEEZNS1_11reduce_implILb1ES3_N6thrust23THRUST_200600_302600_NS6detail15normal_iteratorINS8_10device_ptrIjEEEEPjjNS8_4plusIjEEEE10hipError_tPvRmT1_T2_T3_mT4_P12ihipStream_tbEUlT_E1_NS1_11comp_targetILNS1_3genE3ELNS1_11target_archE908ELNS1_3gpuE7ELNS1_3repE0EEENS1_30default_config_static_selectorELNS0_4arch9wavefront6targetE1EEEvSK_ ; -- Begin function _ZN7rocprim17ROCPRIM_400000_NS6detail17trampoline_kernelINS0_14default_configENS1_22reduce_config_selectorIjEEZNS1_11reduce_implILb1ES3_N6thrust23THRUST_200600_302600_NS6detail15normal_iteratorINS8_10device_ptrIjEEEEPjjNS8_4plusIjEEEE10hipError_tPvRmT1_T2_T3_mT4_P12ihipStream_tbEUlT_E1_NS1_11comp_targetILNS1_3genE3ELNS1_11target_archE908ELNS1_3gpuE7ELNS1_3repE0EEENS1_30default_config_static_selectorELNS0_4arch9wavefront6targetE1EEEvSK_
	.globl	_ZN7rocprim17ROCPRIM_400000_NS6detail17trampoline_kernelINS0_14default_configENS1_22reduce_config_selectorIjEEZNS1_11reduce_implILb1ES3_N6thrust23THRUST_200600_302600_NS6detail15normal_iteratorINS8_10device_ptrIjEEEEPjjNS8_4plusIjEEEE10hipError_tPvRmT1_T2_T3_mT4_P12ihipStream_tbEUlT_E1_NS1_11comp_targetILNS1_3genE3ELNS1_11target_archE908ELNS1_3gpuE7ELNS1_3repE0EEENS1_30default_config_static_selectorELNS0_4arch9wavefront6targetE1EEEvSK_
	.p2align	8
	.type	_ZN7rocprim17ROCPRIM_400000_NS6detail17trampoline_kernelINS0_14default_configENS1_22reduce_config_selectorIjEEZNS1_11reduce_implILb1ES3_N6thrust23THRUST_200600_302600_NS6detail15normal_iteratorINS8_10device_ptrIjEEEEPjjNS8_4plusIjEEEE10hipError_tPvRmT1_T2_T3_mT4_P12ihipStream_tbEUlT_E1_NS1_11comp_targetILNS1_3genE3ELNS1_11target_archE908ELNS1_3gpuE7ELNS1_3repE0EEENS1_30default_config_static_selectorELNS0_4arch9wavefront6targetE1EEEvSK_,@function
_ZN7rocprim17ROCPRIM_400000_NS6detail17trampoline_kernelINS0_14default_configENS1_22reduce_config_selectorIjEEZNS1_11reduce_implILb1ES3_N6thrust23THRUST_200600_302600_NS6detail15normal_iteratorINS8_10device_ptrIjEEEEPjjNS8_4plusIjEEEE10hipError_tPvRmT1_T2_T3_mT4_P12ihipStream_tbEUlT_E1_NS1_11comp_targetILNS1_3genE3ELNS1_11target_archE908ELNS1_3gpuE7ELNS1_3repE0EEENS1_30default_config_static_selectorELNS0_4arch9wavefront6targetE1EEEvSK_: ; @_ZN7rocprim17ROCPRIM_400000_NS6detail17trampoline_kernelINS0_14default_configENS1_22reduce_config_selectorIjEEZNS1_11reduce_implILb1ES3_N6thrust23THRUST_200600_302600_NS6detail15normal_iteratorINS8_10device_ptrIjEEEEPjjNS8_4plusIjEEEE10hipError_tPvRmT1_T2_T3_mT4_P12ihipStream_tbEUlT_E1_NS1_11comp_targetILNS1_3genE3ELNS1_11target_archE908ELNS1_3gpuE7ELNS1_3repE0EEENS1_30default_config_static_selectorELNS0_4arch9wavefront6targetE1EEEvSK_
; %bb.0:
	.section	.rodata,"a",@progbits
	.p2align	6, 0x0
	.amdhsa_kernel _ZN7rocprim17ROCPRIM_400000_NS6detail17trampoline_kernelINS0_14default_configENS1_22reduce_config_selectorIjEEZNS1_11reduce_implILb1ES3_N6thrust23THRUST_200600_302600_NS6detail15normal_iteratorINS8_10device_ptrIjEEEEPjjNS8_4plusIjEEEE10hipError_tPvRmT1_T2_T3_mT4_P12ihipStream_tbEUlT_E1_NS1_11comp_targetILNS1_3genE3ELNS1_11target_archE908ELNS1_3gpuE7ELNS1_3repE0EEENS1_30default_config_static_selectorELNS0_4arch9wavefront6targetE1EEEvSK_
		.amdhsa_group_segment_fixed_size 0
		.amdhsa_private_segment_fixed_size 0
		.amdhsa_kernarg_size 40
		.amdhsa_user_sgpr_count 2
		.amdhsa_user_sgpr_dispatch_ptr 0
		.amdhsa_user_sgpr_queue_ptr 0
		.amdhsa_user_sgpr_kernarg_segment_ptr 1
		.amdhsa_user_sgpr_dispatch_id 0
		.amdhsa_user_sgpr_kernarg_preload_length 0
		.amdhsa_user_sgpr_kernarg_preload_offset 0
		.amdhsa_user_sgpr_private_segment_size 0
		.amdhsa_uses_dynamic_stack 0
		.amdhsa_enable_private_segment 0
		.amdhsa_system_sgpr_workgroup_id_x 1
		.amdhsa_system_sgpr_workgroup_id_y 0
		.amdhsa_system_sgpr_workgroup_id_z 0
		.amdhsa_system_sgpr_workgroup_info 0
		.amdhsa_system_vgpr_workitem_id 0
		.amdhsa_next_free_vgpr 1
		.amdhsa_next_free_sgpr 0
		.amdhsa_accum_offset 4
		.amdhsa_reserve_vcc 0
		.amdhsa_float_round_mode_32 0
		.amdhsa_float_round_mode_16_64 0
		.amdhsa_float_denorm_mode_32 3
		.amdhsa_float_denorm_mode_16_64 3
		.amdhsa_dx10_clamp 1
		.amdhsa_ieee_mode 1
		.amdhsa_fp16_overflow 0
		.amdhsa_tg_split 0
		.amdhsa_exception_fp_ieee_invalid_op 0
		.amdhsa_exception_fp_denorm_src 0
		.amdhsa_exception_fp_ieee_div_zero 0
		.amdhsa_exception_fp_ieee_overflow 0
		.amdhsa_exception_fp_ieee_underflow 0
		.amdhsa_exception_fp_ieee_inexact 0
		.amdhsa_exception_int_div_zero 0
	.end_amdhsa_kernel
	.section	.text._ZN7rocprim17ROCPRIM_400000_NS6detail17trampoline_kernelINS0_14default_configENS1_22reduce_config_selectorIjEEZNS1_11reduce_implILb1ES3_N6thrust23THRUST_200600_302600_NS6detail15normal_iteratorINS8_10device_ptrIjEEEEPjjNS8_4plusIjEEEE10hipError_tPvRmT1_T2_T3_mT4_P12ihipStream_tbEUlT_E1_NS1_11comp_targetILNS1_3genE3ELNS1_11target_archE908ELNS1_3gpuE7ELNS1_3repE0EEENS1_30default_config_static_selectorELNS0_4arch9wavefront6targetE1EEEvSK_,"axG",@progbits,_ZN7rocprim17ROCPRIM_400000_NS6detail17trampoline_kernelINS0_14default_configENS1_22reduce_config_selectorIjEEZNS1_11reduce_implILb1ES3_N6thrust23THRUST_200600_302600_NS6detail15normal_iteratorINS8_10device_ptrIjEEEEPjjNS8_4plusIjEEEE10hipError_tPvRmT1_T2_T3_mT4_P12ihipStream_tbEUlT_E1_NS1_11comp_targetILNS1_3genE3ELNS1_11target_archE908ELNS1_3gpuE7ELNS1_3repE0EEENS1_30default_config_static_selectorELNS0_4arch9wavefront6targetE1EEEvSK_,comdat
.Lfunc_end143:
	.size	_ZN7rocprim17ROCPRIM_400000_NS6detail17trampoline_kernelINS0_14default_configENS1_22reduce_config_selectorIjEEZNS1_11reduce_implILb1ES3_N6thrust23THRUST_200600_302600_NS6detail15normal_iteratorINS8_10device_ptrIjEEEEPjjNS8_4plusIjEEEE10hipError_tPvRmT1_T2_T3_mT4_P12ihipStream_tbEUlT_E1_NS1_11comp_targetILNS1_3genE3ELNS1_11target_archE908ELNS1_3gpuE7ELNS1_3repE0EEENS1_30default_config_static_selectorELNS0_4arch9wavefront6targetE1EEEvSK_, .Lfunc_end143-_ZN7rocprim17ROCPRIM_400000_NS6detail17trampoline_kernelINS0_14default_configENS1_22reduce_config_selectorIjEEZNS1_11reduce_implILb1ES3_N6thrust23THRUST_200600_302600_NS6detail15normal_iteratorINS8_10device_ptrIjEEEEPjjNS8_4plusIjEEEE10hipError_tPvRmT1_T2_T3_mT4_P12ihipStream_tbEUlT_E1_NS1_11comp_targetILNS1_3genE3ELNS1_11target_archE908ELNS1_3gpuE7ELNS1_3repE0EEENS1_30default_config_static_selectorELNS0_4arch9wavefront6targetE1EEEvSK_
                                        ; -- End function
	.set _ZN7rocprim17ROCPRIM_400000_NS6detail17trampoline_kernelINS0_14default_configENS1_22reduce_config_selectorIjEEZNS1_11reduce_implILb1ES3_N6thrust23THRUST_200600_302600_NS6detail15normal_iteratorINS8_10device_ptrIjEEEEPjjNS8_4plusIjEEEE10hipError_tPvRmT1_T2_T3_mT4_P12ihipStream_tbEUlT_E1_NS1_11comp_targetILNS1_3genE3ELNS1_11target_archE908ELNS1_3gpuE7ELNS1_3repE0EEENS1_30default_config_static_selectorELNS0_4arch9wavefront6targetE1EEEvSK_.num_vgpr, 0
	.set _ZN7rocprim17ROCPRIM_400000_NS6detail17trampoline_kernelINS0_14default_configENS1_22reduce_config_selectorIjEEZNS1_11reduce_implILb1ES3_N6thrust23THRUST_200600_302600_NS6detail15normal_iteratorINS8_10device_ptrIjEEEEPjjNS8_4plusIjEEEE10hipError_tPvRmT1_T2_T3_mT4_P12ihipStream_tbEUlT_E1_NS1_11comp_targetILNS1_3genE3ELNS1_11target_archE908ELNS1_3gpuE7ELNS1_3repE0EEENS1_30default_config_static_selectorELNS0_4arch9wavefront6targetE1EEEvSK_.num_agpr, 0
	.set _ZN7rocprim17ROCPRIM_400000_NS6detail17trampoline_kernelINS0_14default_configENS1_22reduce_config_selectorIjEEZNS1_11reduce_implILb1ES3_N6thrust23THRUST_200600_302600_NS6detail15normal_iteratorINS8_10device_ptrIjEEEEPjjNS8_4plusIjEEEE10hipError_tPvRmT1_T2_T3_mT4_P12ihipStream_tbEUlT_E1_NS1_11comp_targetILNS1_3genE3ELNS1_11target_archE908ELNS1_3gpuE7ELNS1_3repE0EEENS1_30default_config_static_selectorELNS0_4arch9wavefront6targetE1EEEvSK_.numbered_sgpr, 0
	.set _ZN7rocprim17ROCPRIM_400000_NS6detail17trampoline_kernelINS0_14default_configENS1_22reduce_config_selectorIjEEZNS1_11reduce_implILb1ES3_N6thrust23THRUST_200600_302600_NS6detail15normal_iteratorINS8_10device_ptrIjEEEEPjjNS8_4plusIjEEEE10hipError_tPvRmT1_T2_T3_mT4_P12ihipStream_tbEUlT_E1_NS1_11comp_targetILNS1_3genE3ELNS1_11target_archE908ELNS1_3gpuE7ELNS1_3repE0EEENS1_30default_config_static_selectorELNS0_4arch9wavefront6targetE1EEEvSK_.num_named_barrier, 0
	.set _ZN7rocprim17ROCPRIM_400000_NS6detail17trampoline_kernelINS0_14default_configENS1_22reduce_config_selectorIjEEZNS1_11reduce_implILb1ES3_N6thrust23THRUST_200600_302600_NS6detail15normal_iteratorINS8_10device_ptrIjEEEEPjjNS8_4plusIjEEEE10hipError_tPvRmT1_T2_T3_mT4_P12ihipStream_tbEUlT_E1_NS1_11comp_targetILNS1_3genE3ELNS1_11target_archE908ELNS1_3gpuE7ELNS1_3repE0EEENS1_30default_config_static_selectorELNS0_4arch9wavefront6targetE1EEEvSK_.private_seg_size, 0
	.set _ZN7rocprim17ROCPRIM_400000_NS6detail17trampoline_kernelINS0_14default_configENS1_22reduce_config_selectorIjEEZNS1_11reduce_implILb1ES3_N6thrust23THRUST_200600_302600_NS6detail15normal_iteratorINS8_10device_ptrIjEEEEPjjNS8_4plusIjEEEE10hipError_tPvRmT1_T2_T3_mT4_P12ihipStream_tbEUlT_E1_NS1_11comp_targetILNS1_3genE3ELNS1_11target_archE908ELNS1_3gpuE7ELNS1_3repE0EEENS1_30default_config_static_selectorELNS0_4arch9wavefront6targetE1EEEvSK_.uses_vcc, 0
	.set _ZN7rocprim17ROCPRIM_400000_NS6detail17trampoline_kernelINS0_14default_configENS1_22reduce_config_selectorIjEEZNS1_11reduce_implILb1ES3_N6thrust23THRUST_200600_302600_NS6detail15normal_iteratorINS8_10device_ptrIjEEEEPjjNS8_4plusIjEEEE10hipError_tPvRmT1_T2_T3_mT4_P12ihipStream_tbEUlT_E1_NS1_11comp_targetILNS1_3genE3ELNS1_11target_archE908ELNS1_3gpuE7ELNS1_3repE0EEENS1_30default_config_static_selectorELNS0_4arch9wavefront6targetE1EEEvSK_.uses_flat_scratch, 0
	.set _ZN7rocprim17ROCPRIM_400000_NS6detail17trampoline_kernelINS0_14default_configENS1_22reduce_config_selectorIjEEZNS1_11reduce_implILb1ES3_N6thrust23THRUST_200600_302600_NS6detail15normal_iteratorINS8_10device_ptrIjEEEEPjjNS8_4plusIjEEEE10hipError_tPvRmT1_T2_T3_mT4_P12ihipStream_tbEUlT_E1_NS1_11comp_targetILNS1_3genE3ELNS1_11target_archE908ELNS1_3gpuE7ELNS1_3repE0EEENS1_30default_config_static_selectorELNS0_4arch9wavefront6targetE1EEEvSK_.has_dyn_sized_stack, 0
	.set _ZN7rocprim17ROCPRIM_400000_NS6detail17trampoline_kernelINS0_14default_configENS1_22reduce_config_selectorIjEEZNS1_11reduce_implILb1ES3_N6thrust23THRUST_200600_302600_NS6detail15normal_iteratorINS8_10device_ptrIjEEEEPjjNS8_4plusIjEEEE10hipError_tPvRmT1_T2_T3_mT4_P12ihipStream_tbEUlT_E1_NS1_11comp_targetILNS1_3genE3ELNS1_11target_archE908ELNS1_3gpuE7ELNS1_3repE0EEENS1_30default_config_static_selectorELNS0_4arch9wavefront6targetE1EEEvSK_.has_recursion, 0
	.set _ZN7rocprim17ROCPRIM_400000_NS6detail17trampoline_kernelINS0_14default_configENS1_22reduce_config_selectorIjEEZNS1_11reduce_implILb1ES3_N6thrust23THRUST_200600_302600_NS6detail15normal_iteratorINS8_10device_ptrIjEEEEPjjNS8_4plusIjEEEE10hipError_tPvRmT1_T2_T3_mT4_P12ihipStream_tbEUlT_E1_NS1_11comp_targetILNS1_3genE3ELNS1_11target_archE908ELNS1_3gpuE7ELNS1_3repE0EEENS1_30default_config_static_selectorELNS0_4arch9wavefront6targetE1EEEvSK_.has_indirect_call, 0
	.section	.AMDGPU.csdata,"",@progbits
; Kernel info:
; codeLenInByte = 0
; TotalNumSgprs: 6
; NumVgprs: 0
; NumAgprs: 0
; TotalNumVgprs: 0
; ScratchSize: 0
; MemoryBound: 0
; FloatMode: 240
; IeeeMode: 1
; LDSByteSize: 0 bytes/workgroup (compile time only)
; SGPRBlocks: 0
; VGPRBlocks: 0
; NumSGPRsForWavesPerEU: 6
; NumVGPRsForWavesPerEU: 1
; AccumOffset: 4
; Occupancy: 8
; WaveLimiterHint : 0
; COMPUTE_PGM_RSRC2:SCRATCH_EN: 0
; COMPUTE_PGM_RSRC2:USER_SGPR: 2
; COMPUTE_PGM_RSRC2:TRAP_HANDLER: 0
; COMPUTE_PGM_RSRC2:TGID_X_EN: 1
; COMPUTE_PGM_RSRC2:TGID_Y_EN: 0
; COMPUTE_PGM_RSRC2:TGID_Z_EN: 0
; COMPUTE_PGM_RSRC2:TIDIG_COMP_CNT: 0
; COMPUTE_PGM_RSRC3_GFX90A:ACCUM_OFFSET: 0
; COMPUTE_PGM_RSRC3_GFX90A:TG_SPLIT: 0
	.section	.text._ZN7rocprim17ROCPRIM_400000_NS6detail17trampoline_kernelINS0_14default_configENS1_22reduce_config_selectorIjEEZNS1_11reduce_implILb1ES3_N6thrust23THRUST_200600_302600_NS6detail15normal_iteratorINS8_10device_ptrIjEEEEPjjNS8_4plusIjEEEE10hipError_tPvRmT1_T2_T3_mT4_P12ihipStream_tbEUlT_E1_NS1_11comp_targetILNS1_3genE2ELNS1_11target_archE906ELNS1_3gpuE6ELNS1_3repE0EEENS1_30default_config_static_selectorELNS0_4arch9wavefront6targetE1EEEvSK_,"axG",@progbits,_ZN7rocprim17ROCPRIM_400000_NS6detail17trampoline_kernelINS0_14default_configENS1_22reduce_config_selectorIjEEZNS1_11reduce_implILb1ES3_N6thrust23THRUST_200600_302600_NS6detail15normal_iteratorINS8_10device_ptrIjEEEEPjjNS8_4plusIjEEEE10hipError_tPvRmT1_T2_T3_mT4_P12ihipStream_tbEUlT_E1_NS1_11comp_targetILNS1_3genE2ELNS1_11target_archE906ELNS1_3gpuE6ELNS1_3repE0EEENS1_30default_config_static_selectorELNS0_4arch9wavefront6targetE1EEEvSK_,comdat
	.protected	_ZN7rocprim17ROCPRIM_400000_NS6detail17trampoline_kernelINS0_14default_configENS1_22reduce_config_selectorIjEEZNS1_11reduce_implILb1ES3_N6thrust23THRUST_200600_302600_NS6detail15normal_iteratorINS8_10device_ptrIjEEEEPjjNS8_4plusIjEEEE10hipError_tPvRmT1_T2_T3_mT4_P12ihipStream_tbEUlT_E1_NS1_11comp_targetILNS1_3genE2ELNS1_11target_archE906ELNS1_3gpuE6ELNS1_3repE0EEENS1_30default_config_static_selectorELNS0_4arch9wavefront6targetE1EEEvSK_ ; -- Begin function _ZN7rocprim17ROCPRIM_400000_NS6detail17trampoline_kernelINS0_14default_configENS1_22reduce_config_selectorIjEEZNS1_11reduce_implILb1ES3_N6thrust23THRUST_200600_302600_NS6detail15normal_iteratorINS8_10device_ptrIjEEEEPjjNS8_4plusIjEEEE10hipError_tPvRmT1_T2_T3_mT4_P12ihipStream_tbEUlT_E1_NS1_11comp_targetILNS1_3genE2ELNS1_11target_archE906ELNS1_3gpuE6ELNS1_3repE0EEENS1_30default_config_static_selectorELNS0_4arch9wavefront6targetE1EEEvSK_
	.globl	_ZN7rocprim17ROCPRIM_400000_NS6detail17trampoline_kernelINS0_14default_configENS1_22reduce_config_selectorIjEEZNS1_11reduce_implILb1ES3_N6thrust23THRUST_200600_302600_NS6detail15normal_iteratorINS8_10device_ptrIjEEEEPjjNS8_4plusIjEEEE10hipError_tPvRmT1_T2_T3_mT4_P12ihipStream_tbEUlT_E1_NS1_11comp_targetILNS1_3genE2ELNS1_11target_archE906ELNS1_3gpuE6ELNS1_3repE0EEENS1_30default_config_static_selectorELNS0_4arch9wavefront6targetE1EEEvSK_
	.p2align	8
	.type	_ZN7rocprim17ROCPRIM_400000_NS6detail17trampoline_kernelINS0_14default_configENS1_22reduce_config_selectorIjEEZNS1_11reduce_implILb1ES3_N6thrust23THRUST_200600_302600_NS6detail15normal_iteratorINS8_10device_ptrIjEEEEPjjNS8_4plusIjEEEE10hipError_tPvRmT1_T2_T3_mT4_P12ihipStream_tbEUlT_E1_NS1_11comp_targetILNS1_3genE2ELNS1_11target_archE906ELNS1_3gpuE6ELNS1_3repE0EEENS1_30default_config_static_selectorELNS0_4arch9wavefront6targetE1EEEvSK_,@function
_ZN7rocprim17ROCPRIM_400000_NS6detail17trampoline_kernelINS0_14default_configENS1_22reduce_config_selectorIjEEZNS1_11reduce_implILb1ES3_N6thrust23THRUST_200600_302600_NS6detail15normal_iteratorINS8_10device_ptrIjEEEEPjjNS8_4plusIjEEEE10hipError_tPvRmT1_T2_T3_mT4_P12ihipStream_tbEUlT_E1_NS1_11comp_targetILNS1_3genE2ELNS1_11target_archE906ELNS1_3gpuE6ELNS1_3repE0EEENS1_30default_config_static_selectorELNS0_4arch9wavefront6targetE1EEEvSK_: ; @_ZN7rocprim17ROCPRIM_400000_NS6detail17trampoline_kernelINS0_14default_configENS1_22reduce_config_selectorIjEEZNS1_11reduce_implILb1ES3_N6thrust23THRUST_200600_302600_NS6detail15normal_iteratorINS8_10device_ptrIjEEEEPjjNS8_4plusIjEEEE10hipError_tPvRmT1_T2_T3_mT4_P12ihipStream_tbEUlT_E1_NS1_11comp_targetILNS1_3genE2ELNS1_11target_archE906ELNS1_3gpuE6ELNS1_3repE0EEENS1_30default_config_static_selectorELNS0_4arch9wavefront6targetE1EEEvSK_
; %bb.0:
	.section	.rodata,"a",@progbits
	.p2align	6, 0x0
	.amdhsa_kernel _ZN7rocprim17ROCPRIM_400000_NS6detail17trampoline_kernelINS0_14default_configENS1_22reduce_config_selectorIjEEZNS1_11reduce_implILb1ES3_N6thrust23THRUST_200600_302600_NS6detail15normal_iteratorINS8_10device_ptrIjEEEEPjjNS8_4plusIjEEEE10hipError_tPvRmT1_T2_T3_mT4_P12ihipStream_tbEUlT_E1_NS1_11comp_targetILNS1_3genE2ELNS1_11target_archE906ELNS1_3gpuE6ELNS1_3repE0EEENS1_30default_config_static_selectorELNS0_4arch9wavefront6targetE1EEEvSK_
		.amdhsa_group_segment_fixed_size 0
		.amdhsa_private_segment_fixed_size 0
		.amdhsa_kernarg_size 40
		.amdhsa_user_sgpr_count 2
		.amdhsa_user_sgpr_dispatch_ptr 0
		.amdhsa_user_sgpr_queue_ptr 0
		.amdhsa_user_sgpr_kernarg_segment_ptr 1
		.amdhsa_user_sgpr_dispatch_id 0
		.amdhsa_user_sgpr_kernarg_preload_length 0
		.amdhsa_user_sgpr_kernarg_preload_offset 0
		.amdhsa_user_sgpr_private_segment_size 0
		.amdhsa_uses_dynamic_stack 0
		.amdhsa_enable_private_segment 0
		.amdhsa_system_sgpr_workgroup_id_x 1
		.amdhsa_system_sgpr_workgroup_id_y 0
		.amdhsa_system_sgpr_workgroup_id_z 0
		.amdhsa_system_sgpr_workgroup_info 0
		.amdhsa_system_vgpr_workitem_id 0
		.amdhsa_next_free_vgpr 1
		.amdhsa_next_free_sgpr 0
		.amdhsa_accum_offset 4
		.amdhsa_reserve_vcc 0
		.amdhsa_float_round_mode_32 0
		.amdhsa_float_round_mode_16_64 0
		.amdhsa_float_denorm_mode_32 3
		.amdhsa_float_denorm_mode_16_64 3
		.amdhsa_dx10_clamp 1
		.amdhsa_ieee_mode 1
		.amdhsa_fp16_overflow 0
		.amdhsa_tg_split 0
		.amdhsa_exception_fp_ieee_invalid_op 0
		.amdhsa_exception_fp_denorm_src 0
		.amdhsa_exception_fp_ieee_div_zero 0
		.amdhsa_exception_fp_ieee_overflow 0
		.amdhsa_exception_fp_ieee_underflow 0
		.amdhsa_exception_fp_ieee_inexact 0
		.amdhsa_exception_int_div_zero 0
	.end_amdhsa_kernel
	.section	.text._ZN7rocprim17ROCPRIM_400000_NS6detail17trampoline_kernelINS0_14default_configENS1_22reduce_config_selectorIjEEZNS1_11reduce_implILb1ES3_N6thrust23THRUST_200600_302600_NS6detail15normal_iteratorINS8_10device_ptrIjEEEEPjjNS8_4plusIjEEEE10hipError_tPvRmT1_T2_T3_mT4_P12ihipStream_tbEUlT_E1_NS1_11comp_targetILNS1_3genE2ELNS1_11target_archE906ELNS1_3gpuE6ELNS1_3repE0EEENS1_30default_config_static_selectorELNS0_4arch9wavefront6targetE1EEEvSK_,"axG",@progbits,_ZN7rocprim17ROCPRIM_400000_NS6detail17trampoline_kernelINS0_14default_configENS1_22reduce_config_selectorIjEEZNS1_11reduce_implILb1ES3_N6thrust23THRUST_200600_302600_NS6detail15normal_iteratorINS8_10device_ptrIjEEEEPjjNS8_4plusIjEEEE10hipError_tPvRmT1_T2_T3_mT4_P12ihipStream_tbEUlT_E1_NS1_11comp_targetILNS1_3genE2ELNS1_11target_archE906ELNS1_3gpuE6ELNS1_3repE0EEENS1_30default_config_static_selectorELNS0_4arch9wavefront6targetE1EEEvSK_,comdat
.Lfunc_end144:
	.size	_ZN7rocprim17ROCPRIM_400000_NS6detail17trampoline_kernelINS0_14default_configENS1_22reduce_config_selectorIjEEZNS1_11reduce_implILb1ES3_N6thrust23THRUST_200600_302600_NS6detail15normal_iteratorINS8_10device_ptrIjEEEEPjjNS8_4plusIjEEEE10hipError_tPvRmT1_T2_T3_mT4_P12ihipStream_tbEUlT_E1_NS1_11comp_targetILNS1_3genE2ELNS1_11target_archE906ELNS1_3gpuE6ELNS1_3repE0EEENS1_30default_config_static_selectorELNS0_4arch9wavefront6targetE1EEEvSK_, .Lfunc_end144-_ZN7rocprim17ROCPRIM_400000_NS6detail17trampoline_kernelINS0_14default_configENS1_22reduce_config_selectorIjEEZNS1_11reduce_implILb1ES3_N6thrust23THRUST_200600_302600_NS6detail15normal_iteratorINS8_10device_ptrIjEEEEPjjNS8_4plusIjEEEE10hipError_tPvRmT1_T2_T3_mT4_P12ihipStream_tbEUlT_E1_NS1_11comp_targetILNS1_3genE2ELNS1_11target_archE906ELNS1_3gpuE6ELNS1_3repE0EEENS1_30default_config_static_selectorELNS0_4arch9wavefront6targetE1EEEvSK_
                                        ; -- End function
	.set _ZN7rocprim17ROCPRIM_400000_NS6detail17trampoline_kernelINS0_14default_configENS1_22reduce_config_selectorIjEEZNS1_11reduce_implILb1ES3_N6thrust23THRUST_200600_302600_NS6detail15normal_iteratorINS8_10device_ptrIjEEEEPjjNS8_4plusIjEEEE10hipError_tPvRmT1_T2_T3_mT4_P12ihipStream_tbEUlT_E1_NS1_11comp_targetILNS1_3genE2ELNS1_11target_archE906ELNS1_3gpuE6ELNS1_3repE0EEENS1_30default_config_static_selectorELNS0_4arch9wavefront6targetE1EEEvSK_.num_vgpr, 0
	.set _ZN7rocprim17ROCPRIM_400000_NS6detail17trampoline_kernelINS0_14default_configENS1_22reduce_config_selectorIjEEZNS1_11reduce_implILb1ES3_N6thrust23THRUST_200600_302600_NS6detail15normal_iteratorINS8_10device_ptrIjEEEEPjjNS8_4plusIjEEEE10hipError_tPvRmT1_T2_T3_mT4_P12ihipStream_tbEUlT_E1_NS1_11comp_targetILNS1_3genE2ELNS1_11target_archE906ELNS1_3gpuE6ELNS1_3repE0EEENS1_30default_config_static_selectorELNS0_4arch9wavefront6targetE1EEEvSK_.num_agpr, 0
	.set _ZN7rocprim17ROCPRIM_400000_NS6detail17trampoline_kernelINS0_14default_configENS1_22reduce_config_selectorIjEEZNS1_11reduce_implILb1ES3_N6thrust23THRUST_200600_302600_NS6detail15normal_iteratorINS8_10device_ptrIjEEEEPjjNS8_4plusIjEEEE10hipError_tPvRmT1_T2_T3_mT4_P12ihipStream_tbEUlT_E1_NS1_11comp_targetILNS1_3genE2ELNS1_11target_archE906ELNS1_3gpuE6ELNS1_3repE0EEENS1_30default_config_static_selectorELNS0_4arch9wavefront6targetE1EEEvSK_.numbered_sgpr, 0
	.set _ZN7rocprim17ROCPRIM_400000_NS6detail17trampoline_kernelINS0_14default_configENS1_22reduce_config_selectorIjEEZNS1_11reduce_implILb1ES3_N6thrust23THRUST_200600_302600_NS6detail15normal_iteratorINS8_10device_ptrIjEEEEPjjNS8_4plusIjEEEE10hipError_tPvRmT1_T2_T3_mT4_P12ihipStream_tbEUlT_E1_NS1_11comp_targetILNS1_3genE2ELNS1_11target_archE906ELNS1_3gpuE6ELNS1_3repE0EEENS1_30default_config_static_selectorELNS0_4arch9wavefront6targetE1EEEvSK_.num_named_barrier, 0
	.set _ZN7rocprim17ROCPRIM_400000_NS6detail17trampoline_kernelINS0_14default_configENS1_22reduce_config_selectorIjEEZNS1_11reduce_implILb1ES3_N6thrust23THRUST_200600_302600_NS6detail15normal_iteratorINS8_10device_ptrIjEEEEPjjNS8_4plusIjEEEE10hipError_tPvRmT1_T2_T3_mT4_P12ihipStream_tbEUlT_E1_NS1_11comp_targetILNS1_3genE2ELNS1_11target_archE906ELNS1_3gpuE6ELNS1_3repE0EEENS1_30default_config_static_selectorELNS0_4arch9wavefront6targetE1EEEvSK_.private_seg_size, 0
	.set _ZN7rocprim17ROCPRIM_400000_NS6detail17trampoline_kernelINS0_14default_configENS1_22reduce_config_selectorIjEEZNS1_11reduce_implILb1ES3_N6thrust23THRUST_200600_302600_NS6detail15normal_iteratorINS8_10device_ptrIjEEEEPjjNS8_4plusIjEEEE10hipError_tPvRmT1_T2_T3_mT4_P12ihipStream_tbEUlT_E1_NS1_11comp_targetILNS1_3genE2ELNS1_11target_archE906ELNS1_3gpuE6ELNS1_3repE0EEENS1_30default_config_static_selectorELNS0_4arch9wavefront6targetE1EEEvSK_.uses_vcc, 0
	.set _ZN7rocprim17ROCPRIM_400000_NS6detail17trampoline_kernelINS0_14default_configENS1_22reduce_config_selectorIjEEZNS1_11reduce_implILb1ES3_N6thrust23THRUST_200600_302600_NS6detail15normal_iteratorINS8_10device_ptrIjEEEEPjjNS8_4plusIjEEEE10hipError_tPvRmT1_T2_T3_mT4_P12ihipStream_tbEUlT_E1_NS1_11comp_targetILNS1_3genE2ELNS1_11target_archE906ELNS1_3gpuE6ELNS1_3repE0EEENS1_30default_config_static_selectorELNS0_4arch9wavefront6targetE1EEEvSK_.uses_flat_scratch, 0
	.set _ZN7rocprim17ROCPRIM_400000_NS6detail17trampoline_kernelINS0_14default_configENS1_22reduce_config_selectorIjEEZNS1_11reduce_implILb1ES3_N6thrust23THRUST_200600_302600_NS6detail15normal_iteratorINS8_10device_ptrIjEEEEPjjNS8_4plusIjEEEE10hipError_tPvRmT1_T2_T3_mT4_P12ihipStream_tbEUlT_E1_NS1_11comp_targetILNS1_3genE2ELNS1_11target_archE906ELNS1_3gpuE6ELNS1_3repE0EEENS1_30default_config_static_selectorELNS0_4arch9wavefront6targetE1EEEvSK_.has_dyn_sized_stack, 0
	.set _ZN7rocprim17ROCPRIM_400000_NS6detail17trampoline_kernelINS0_14default_configENS1_22reduce_config_selectorIjEEZNS1_11reduce_implILb1ES3_N6thrust23THRUST_200600_302600_NS6detail15normal_iteratorINS8_10device_ptrIjEEEEPjjNS8_4plusIjEEEE10hipError_tPvRmT1_T2_T3_mT4_P12ihipStream_tbEUlT_E1_NS1_11comp_targetILNS1_3genE2ELNS1_11target_archE906ELNS1_3gpuE6ELNS1_3repE0EEENS1_30default_config_static_selectorELNS0_4arch9wavefront6targetE1EEEvSK_.has_recursion, 0
	.set _ZN7rocprim17ROCPRIM_400000_NS6detail17trampoline_kernelINS0_14default_configENS1_22reduce_config_selectorIjEEZNS1_11reduce_implILb1ES3_N6thrust23THRUST_200600_302600_NS6detail15normal_iteratorINS8_10device_ptrIjEEEEPjjNS8_4plusIjEEEE10hipError_tPvRmT1_T2_T3_mT4_P12ihipStream_tbEUlT_E1_NS1_11comp_targetILNS1_3genE2ELNS1_11target_archE906ELNS1_3gpuE6ELNS1_3repE0EEENS1_30default_config_static_selectorELNS0_4arch9wavefront6targetE1EEEvSK_.has_indirect_call, 0
	.section	.AMDGPU.csdata,"",@progbits
; Kernel info:
; codeLenInByte = 0
; TotalNumSgprs: 6
; NumVgprs: 0
; NumAgprs: 0
; TotalNumVgprs: 0
; ScratchSize: 0
; MemoryBound: 0
; FloatMode: 240
; IeeeMode: 1
; LDSByteSize: 0 bytes/workgroup (compile time only)
; SGPRBlocks: 0
; VGPRBlocks: 0
; NumSGPRsForWavesPerEU: 6
; NumVGPRsForWavesPerEU: 1
; AccumOffset: 4
; Occupancy: 8
; WaveLimiterHint : 0
; COMPUTE_PGM_RSRC2:SCRATCH_EN: 0
; COMPUTE_PGM_RSRC2:USER_SGPR: 2
; COMPUTE_PGM_RSRC2:TRAP_HANDLER: 0
; COMPUTE_PGM_RSRC2:TGID_X_EN: 1
; COMPUTE_PGM_RSRC2:TGID_Y_EN: 0
; COMPUTE_PGM_RSRC2:TGID_Z_EN: 0
; COMPUTE_PGM_RSRC2:TIDIG_COMP_CNT: 0
; COMPUTE_PGM_RSRC3_GFX90A:ACCUM_OFFSET: 0
; COMPUTE_PGM_RSRC3_GFX90A:TG_SPLIT: 0
	.section	.text._ZN7rocprim17ROCPRIM_400000_NS6detail17trampoline_kernelINS0_14default_configENS1_22reduce_config_selectorIjEEZNS1_11reduce_implILb1ES3_N6thrust23THRUST_200600_302600_NS6detail15normal_iteratorINS8_10device_ptrIjEEEEPjjNS8_4plusIjEEEE10hipError_tPvRmT1_T2_T3_mT4_P12ihipStream_tbEUlT_E1_NS1_11comp_targetILNS1_3genE10ELNS1_11target_archE1201ELNS1_3gpuE5ELNS1_3repE0EEENS1_30default_config_static_selectorELNS0_4arch9wavefront6targetE1EEEvSK_,"axG",@progbits,_ZN7rocprim17ROCPRIM_400000_NS6detail17trampoline_kernelINS0_14default_configENS1_22reduce_config_selectorIjEEZNS1_11reduce_implILb1ES3_N6thrust23THRUST_200600_302600_NS6detail15normal_iteratorINS8_10device_ptrIjEEEEPjjNS8_4plusIjEEEE10hipError_tPvRmT1_T2_T3_mT4_P12ihipStream_tbEUlT_E1_NS1_11comp_targetILNS1_3genE10ELNS1_11target_archE1201ELNS1_3gpuE5ELNS1_3repE0EEENS1_30default_config_static_selectorELNS0_4arch9wavefront6targetE1EEEvSK_,comdat
	.protected	_ZN7rocprim17ROCPRIM_400000_NS6detail17trampoline_kernelINS0_14default_configENS1_22reduce_config_selectorIjEEZNS1_11reduce_implILb1ES3_N6thrust23THRUST_200600_302600_NS6detail15normal_iteratorINS8_10device_ptrIjEEEEPjjNS8_4plusIjEEEE10hipError_tPvRmT1_T2_T3_mT4_P12ihipStream_tbEUlT_E1_NS1_11comp_targetILNS1_3genE10ELNS1_11target_archE1201ELNS1_3gpuE5ELNS1_3repE0EEENS1_30default_config_static_selectorELNS0_4arch9wavefront6targetE1EEEvSK_ ; -- Begin function _ZN7rocprim17ROCPRIM_400000_NS6detail17trampoline_kernelINS0_14default_configENS1_22reduce_config_selectorIjEEZNS1_11reduce_implILb1ES3_N6thrust23THRUST_200600_302600_NS6detail15normal_iteratorINS8_10device_ptrIjEEEEPjjNS8_4plusIjEEEE10hipError_tPvRmT1_T2_T3_mT4_P12ihipStream_tbEUlT_E1_NS1_11comp_targetILNS1_3genE10ELNS1_11target_archE1201ELNS1_3gpuE5ELNS1_3repE0EEENS1_30default_config_static_selectorELNS0_4arch9wavefront6targetE1EEEvSK_
	.globl	_ZN7rocprim17ROCPRIM_400000_NS6detail17trampoline_kernelINS0_14default_configENS1_22reduce_config_selectorIjEEZNS1_11reduce_implILb1ES3_N6thrust23THRUST_200600_302600_NS6detail15normal_iteratorINS8_10device_ptrIjEEEEPjjNS8_4plusIjEEEE10hipError_tPvRmT1_T2_T3_mT4_P12ihipStream_tbEUlT_E1_NS1_11comp_targetILNS1_3genE10ELNS1_11target_archE1201ELNS1_3gpuE5ELNS1_3repE0EEENS1_30default_config_static_selectorELNS0_4arch9wavefront6targetE1EEEvSK_
	.p2align	8
	.type	_ZN7rocprim17ROCPRIM_400000_NS6detail17trampoline_kernelINS0_14default_configENS1_22reduce_config_selectorIjEEZNS1_11reduce_implILb1ES3_N6thrust23THRUST_200600_302600_NS6detail15normal_iteratorINS8_10device_ptrIjEEEEPjjNS8_4plusIjEEEE10hipError_tPvRmT1_T2_T3_mT4_P12ihipStream_tbEUlT_E1_NS1_11comp_targetILNS1_3genE10ELNS1_11target_archE1201ELNS1_3gpuE5ELNS1_3repE0EEENS1_30default_config_static_selectorELNS0_4arch9wavefront6targetE1EEEvSK_,@function
_ZN7rocprim17ROCPRIM_400000_NS6detail17trampoline_kernelINS0_14default_configENS1_22reduce_config_selectorIjEEZNS1_11reduce_implILb1ES3_N6thrust23THRUST_200600_302600_NS6detail15normal_iteratorINS8_10device_ptrIjEEEEPjjNS8_4plusIjEEEE10hipError_tPvRmT1_T2_T3_mT4_P12ihipStream_tbEUlT_E1_NS1_11comp_targetILNS1_3genE10ELNS1_11target_archE1201ELNS1_3gpuE5ELNS1_3repE0EEENS1_30default_config_static_selectorELNS0_4arch9wavefront6targetE1EEEvSK_: ; @_ZN7rocprim17ROCPRIM_400000_NS6detail17trampoline_kernelINS0_14default_configENS1_22reduce_config_selectorIjEEZNS1_11reduce_implILb1ES3_N6thrust23THRUST_200600_302600_NS6detail15normal_iteratorINS8_10device_ptrIjEEEEPjjNS8_4plusIjEEEE10hipError_tPvRmT1_T2_T3_mT4_P12ihipStream_tbEUlT_E1_NS1_11comp_targetILNS1_3genE10ELNS1_11target_archE1201ELNS1_3gpuE5ELNS1_3repE0EEENS1_30default_config_static_selectorELNS0_4arch9wavefront6targetE1EEEvSK_
; %bb.0:
	.section	.rodata,"a",@progbits
	.p2align	6, 0x0
	.amdhsa_kernel _ZN7rocprim17ROCPRIM_400000_NS6detail17trampoline_kernelINS0_14default_configENS1_22reduce_config_selectorIjEEZNS1_11reduce_implILb1ES3_N6thrust23THRUST_200600_302600_NS6detail15normal_iteratorINS8_10device_ptrIjEEEEPjjNS8_4plusIjEEEE10hipError_tPvRmT1_T2_T3_mT4_P12ihipStream_tbEUlT_E1_NS1_11comp_targetILNS1_3genE10ELNS1_11target_archE1201ELNS1_3gpuE5ELNS1_3repE0EEENS1_30default_config_static_selectorELNS0_4arch9wavefront6targetE1EEEvSK_
		.amdhsa_group_segment_fixed_size 0
		.amdhsa_private_segment_fixed_size 0
		.amdhsa_kernarg_size 40
		.amdhsa_user_sgpr_count 2
		.amdhsa_user_sgpr_dispatch_ptr 0
		.amdhsa_user_sgpr_queue_ptr 0
		.amdhsa_user_sgpr_kernarg_segment_ptr 1
		.amdhsa_user_sgpr_dispatch_id 0
		.amdhsa_user_sgpr_kernarg_preload_length 0
		.amdhsa_user_sgpr_kernarg_preload_offset 0
		.amdhsa_user_sgpr_private_segment_size 0
		.amdhsa_uses_dynamic_stack 0
		.amdhsa_enable_private_segment 0
		.amdhsa_system_sgpr_workgroup_id_x 1
		.amdhsa_system_sgpr_workgroup_id_y 0
		.amdhsa_system_sgpr_workgroup_id_z 0
		.amdhsa_system_sgpr_workgroup_info 0
		.amdhsa_system_vgpr_workitem_id 0
		.amdhsa_next_free_vgpr 1
		.amdhsa_next_free_sgpr 0
		.amdhsa_accum_offset 4
		.amdhsa_reserve_vcc 0
		.amdhsa_float_round_mode_32 0
		.amdhsa_float_round_mode_16_64 0
		.amdhsa_float_denorm_mode_32 3
		.amdhsa_float_denorm_mode_16_64 3
		.amdhsa_dx10_clamp 1
		.amdhsa_ieee_mode 1
		.amdhsa_fp16_overflow 0
		.amdhsa_tg_split 0
		.amdhsa_exception_fp_ieee_invalid_op 0
		.amdhsa_exception_fp_denorm_src 0
		.amdhsa_exception_fp_ieee_div_zero 0
		.amdhsa_exception_fp_ieee_overflow 0
		.amdhsa_exception_fp_ieee_underflow 0
		.amdhsa_exception_fp_ieee_inexact 0
		.amdhsa_exception_int_div_zero 0
	.end_amdhsa_kernel
	.section	.text._ZN7rocprim17ROCPRIM_400000_NS6detail17trampoline_kernelINS0_14default_configENS1_22reduce_config_selectorIjEEZNS1_11reduce_implILb1ES3_N6thrust23THRUST_200600_302600_NS6detail15normal_iteratorINS8_10device_ptrIjEEEEPjjNS8_4plusIjEEEE10hipError_tPvRmT1_T2_T3_mT4_P12ihipStream_tbEUlT_E1_NS1_11comp_targetILNS1_3genE10ELNS1_11target_archE1201ELNS1_3gpuE5ELNS1_3repE0EEENS1_30default_config_static_selectorELNS0_4arch9wavefront6targetE1EEEvSK_,"axG",@progbits,_ZN7rocprim17ROCPRIM_400000_NS6detail17trampoline_kernelINS0_14default_configENS1_22reduce_config_selectorIjEEZNS1_11reduce_implILb1ES3_N6thrust23THRUST_200600_302600_NS6detail15normal_iteratorINS8_10device_ptrIjEEEEPjjNS8_4plusIjEEEE10hipError_tPvRmT1_T2_T3_mT4_P12ihipStream_tbEUlT_E1_NS1_11comp_targetILNS1_3genE10ELNS1_11target_archE1201ELNS1_3gpuE5ELNS1_3repE0EEENS1_30default_config_static_selectorELNS0_4arch9wavefront6targetE1EEEvSK_,comdat
.Lfunc_end145:
	.size	_ZN7rocprim17ROCPRIM_400000_NS6detail17trampoline_kernelINS0_14default_configENS1_22reduce_config_selectorIjEEZNS1_11reduce_implILb1ES3_N6thrust23THRUST_200600_302600_NS6detail15normal_iteratorINS8_10device_ptrIjEEEEPjjNS8_4plusIjEEEE10hipError_tPvRmT1_T2_T3_mT4_P12ihipStream_tbEUlT_E1_NS1_11comp_targetILNS1_3genE10ELNS1_11target_archE1201ELNS1_3gpuE5ELNS1_3repE0EEENS1_30default_config_static_selectorELNS0_4arch9wavefront6targetE1EEEvSK_, .Lfunc_end145-_ZN7rocprim17ROCPRIM_400000_NS6detail17trampoline_kernelINS0_14default_configENS1_22reduce_config_selectorIjEEZNS1_11reduce_implILb1ES3_N6thrust23THRUST_200600_302600_NS6detail15normal_iteratorINS8_10device_ptrIjEEEEPjjNS8_4plusIjEEEE10hipError_tPvRmT1_T2_T3_mT4_P12ihipStream_tbEUlT_E1_NS1_11comp_targetILNS1_3genE10ELNS1_11target_archE1201ELNS1_3gpuE5ELNS1_3repE0EEENS1_30default_config_static_selectorELNS0_4arch9wavefront6targetE1EEEvSK_
                                        ; -- End function
	.set _ZN7rocprim17ROCPRIM_400000_NS6detail17trampoline_kernelINS0_14default_configENS1_22reduce_config_selectorIjEEZNS1_11reduce_implILb1ES3_N6thrust23THRUST_200600_302600_NS6detail15normal_iteratorINS8_10device_ptrIjEEEEPjjNS8_4plusIjEEEE10hipError_tPvRmT1_T2_T3_mT4_P12ihipStream_tbEUlT_E1_NS1_11comp_targetILNS1_3genE10ELNS1_11target_archE1201ELNS1_3gpuE5ELNS1_3repE0EEENS1_30default_config_static_selectorELNS0_4arch9wavefront6targetE1EEEvSK_.num_vgpr, 0
	.set _ZN7rocprim17ROCPRIM_400000_NS6detail17trampoline_kernelINS0_14default_configENS1_22reduce_config_selectorIjEEZNS1_11reduce_implILb1ES3_N6thrust23THRUST_200600_302600_NS6detail15normal_iteratorINS8_10device_ptrIjEEEEPjjNS8_4plusIjEEEE10hipError_tPvRmT1_T2_T3_mT4_P12ihipStream_tbEUlT_E1_NS1_11comp_targetILNS1_3genE10ELNS1_11target_archE1201ELNS1_3gpuE5ELNS1_3repE0EEENS1_30default_config_static_selectorELNS0_4arch9wavefront6targetE1EEEvSK_.num_agpr, 0
	.set _ZN7rocprim17ROCPRIM_400000_NS6detail17trampoline_kernelINS0_14default_configENS1_22reduce_config_selectorIjEEZNS1_11reduce_implILb1ES3_N6thrust23THRUST_200600_302600_NS6detail15normal_iteratorINS8_10device_ptrIjEEEEPjjNS8_4plusIjEEEE10hipError_tPvRmT1_T2_T3_mT4_P12ihipStream_tbEUlT_E1_NS1_11comp_targetILNS1_3genE10ELNS1_11target_archE1201ELNS1_3gpuE5ELNS1_3repE0EEENS1_30default_config_static_selectorELNS0_4arch9wavefront6targetE1EEEvSK_.numbered_sgpr, 0
	.set _ZN7rocprim17ROCPRIM_400000_NS6detail17trampoline_kernelINS0_14default_configENS1_22reduce_config_selectorIjEEZNS1_11reduce_implILb1ES3_N6thrust23THRUST_200600_302600_NS6detail15normal_iteratorINS8_10device_ptrIjEEEEPjjNS8_4plusIjEEEE10hipError_tPvRmT1_T2_T3_mT4_P12ihipStream_tbEUlT_E1_NS1_11comp_targetILNS1_3genE10ELNS1_11target_archE1201ELNS1_3gpuE5ELNS1_3repE0EEENS1_30default_config_static_selectorELNS0_4arch9wavefront6targetE1EEEvSK_.num_named_barrier, 0
	.set _ZN7rocprim17ROCPRIM_400000_NS6detail17trampoline_kernelINS0_14default_configENS1_22reduce_config_selectorIjEEZNS1_11reduce_implILb1ES3_N6thrust23THRUST_200600_302600_NS6detail15normal_iteratorINS8_10device_ptrIjEEEEPjjNS8_4plusIjEEEE10hipError_tPvRmT1_T2_T3_mT4_P12ihipStream_tbEUlT_E1_NS1_11comp_targetILNS1_3genE10ELNS1_11target_archE1201ELNS1_3gpuE5ELNS1_3repE0EEENS1_30default_config_static_selectorELNS0_4arch9wavefront6targetE1EEEvSK_.private_seg_size, 0
	.set _ZN7rocprim17ROCPRIM_400000_NS6detail17trampoline_kernelINS0_14default_configENS1_22reduce_config_selectorIjEEZNS1_11reduce_implILb1ES3_N6thrust23THRUST_200600_302600_NS6detail15normal_iteratorINS8_10device_ptrIjEEEEPjjNS8_4plusIjEEEE10hipError_tPvRmT1_T2_T3_mT4_P12ihipStream_tbEUlT_E1_NS1_11comp_targetILNS1_3genE10ELNS1_11target_archE1201ELNS1_3gpuE5ELNS1_3repE0EEENS1_30default_config_static_selectorELNS0_4arch9wavefront6targetE1EEEvSK_.uses_vcc, 0
	.set _ZN7rocprim17ROCPRIM_400000_NS6detail17trampoline_kernelINS0_14default_configENS1_22reduce_config_selectorIjEEZNS1_11reduce_implILb1ES3_N6thrust23THRUST_200600_302600_NS6detail15normal_iteratorINS8_10device_ptrIjEEEEPjjNS8_4plusIjEEEE10hipError_tPvRmT1_T2_T3_mT4_P12ihipStream_tbEUlT_E1_NS1_11comp_targetILNS1_3genE10ELNS1_11target_archE1201ELNS1_3gpuE5ELNS1_3repE0EEENS1_30default_config_static_selectorELNS0_4arch9wavefront6targetE1EEEvSK_.uses_flat_scratch, 0
	.set _ZN7rocprim17ROCPRIM_400000_NS6detail17trampoline_kernelINS0_14default_configENS1_22reduce_config_selectorIjEEZNS1_11reduce_implILb1ES3_N6thrust23THRUST_200600_302600_NS6detail15normal_iteratorINS8_10device_ptrIjEEEEPjjNS8_4plusIjEEEE10hipError_tPvRmT1_T2_T3_mT4_P12ihipStream_tbEUlT_E1_NS1_11comp_targetILNS1_3genE10ELNS1_11target_archE1201ELNS1_3gpuE5ELNS1_3repE0EEENS1_30default_config_static_selectorELNS0_4arch9wavefront6targetE1EEEvSK_.has_dyn_sized_stack, 0
	.set _ZN7rocprim17ROCPRIM_400000_NS6detail17trampoline_kernelINS0_14default_configENS1_22reduce_config_selectorIjEEZNS1_11reduce_implILb1ES3_N6thrust23THRUST_200600_302600_NS6detail15normal_iteratorINS8_10device_ptrIjEEEEPjjNS8_4plusIjEEEE10hipError_tPvRmT1_T2_T3_mT4_P12ihipStream_tbEUlT_E1_NS1_11comp_targetILNS1_3genE10ELNS1_11target_archE1201ELNS1_3gpuE5ELNS1_3repE0EEENS1_30default_config_static_selectorELNS0_4arch9wavefront6targetE1EEEvSK_.has_recursion, 0
	.set _ZN7rocprim17ROCPRIM_400000_NS6detail17trampoline_kernelINS0_14default_configENS1_22reduce_config_selectorIjEEZNS1_11reduce_implILb1ES3_N6thrust23THRUST_200600_302600_NS6detail15normal_iteratorINS8_10device_ptrIjEEEEPjjNS8_4plusIjEEEE10hipError_tPvRmT1_T2_T3_mT4_P12ihipStream_tbEUlT_E1_NS1_11comp_targetILNS1_3genE10ELNS1_11target_archE1201ELNS1_3gpuE5ELNS1_3repE0EEENS1_30default_config_static_selectorELNS0_4arch9wavefront6targetE1EEEvSK_.has_indirect_call, 0
	.section	.AMDGPU.csdata,"",@progbits
; Kernel info:
; codeLenInByte = 0
; TotalNumSgprs: 6
; NumVgprs: 0
; NumAgprs: 0
; TotalNumVgprs: 0
; ScratchSize: 0
; MemoryBound: 0
; FloatMode: 240
; IeeeMode: 1
; LDSByteSize: 0 bytes/workgroup (compile time only)
; SGPRBlocks: 0
; VGPRBlocks: 0
; NumSGPRsForWavesPerEU: 6
; NumVGPRsForWavesPerEU: 1
; AccumOffset: 4
; Occupancy: 8
; WaveLimiterHint : 0
; COMPUTE_PGM_RSRC2:SCRATCH_EN: 0
; COMPUTE_PGM_RSRC2:USER_SGPR: 2
; COMPUTE_PGM_RSRC2:TRAP_HANDLER: 0
; COMPUTE_PGM_RSRC2:TGID_X_EN: 1
; COMPUTE_PGM_RSRC2:TGID_Y_EN: 0
; COMPUTE_PGM_RSRC2:TGID_Z_EN: 0
; COMPUTE_PGM_RSRC2:TIDIG_COMP_CNT: 0
; COMPUTE_PGM_RSRC3_GFX90A:ACCUM_OFFSET: 0
; COMPUTE_PGM_RSRC3_GFX90A:TG_SPLIT: 0
	.section	.text._ZN7rocprim17ROCPRIM_400000_NS6detail17trampoline_kernelINS0_14default_configENS1_22reduce_config_selectorIjEEZNS1_11reduce_implILb1ES3_N6thrust23THRUST_200600_302600_NS6detail15normal_iteratorINS8_10device_ptrIjEEEEPjjNS8_4plusIjEEEE10hipError_tPvRmT1_T2_T3_mT4_P12ihipStream_tbEUlT_E1_NS1_11comp_targetILNS1_3genE10ELNS1_11target_archE1200ELNS1_3gpuE4ELNS1_3repE0EEENS1_30default_config_static_selectorELNS0_4arch9wavefront6targetE1EEEvSK_,"axG",@progbits,_ZN7rocprim17ROCPRIM_400000_NS6detail17trampoline_kernelINS0_14default_configENS1_22reduce_config_selectorIjEEZNS1_11reduce_implILb1ES3_N6thrust23THRUST_200600_302600_NS6detail15normal_iteratorINS8_10device_ptrIjEEEEPjjNS8_4plusIjEEEE10hipError_tPvRmT1_T2_T3_mT4_P12ihipStream_tbEUlT_E1_NS1_11comp_targetILNS1_3genE10ELNS1_11target_archE1200ELNS1_3gpuE4ELNS1_3repE0EEENS1_30default_config_static_selectorELNS0_4arch9wavefront6targetE1EEEvSK_,comdat
	.protected	_ZN7rocprim17ROCPRIM_400000_NS6detail17trampoline_kernelINS0_14default_configENS1_22reduce_config_selectorIjEEZNS1_11reduce_implILb1ES3_N6thrust23THRUST_200600_302600_NS6detail15normal_iteratorINS8_10device_ptrIjEEEEPjjNS8_4plusIjEEEE10hipError_tPvRmT1_T2_T3_mT4_P12ihipStream_tbEUlT_E1_NS1_11comp_targetILNS1_3genE10ELNS1_11target_archE1200ELNS1_3gpuE4ELNS1_3repE0EEENS1_30default_config_static_selectorELNS0_4arch9wavefront6targetE1EEEvSK_ ; -- Begin function _ZN7rocprim17ROCPRIM_400000_NS6detail17trampoline_kernelINS0_14default_configENS1_22reduce_config_selectorIjEEZNS1_11reduce_implILb1ES3_N6thrust23THRUST_200600_302600_NS6detail15normal_iteratorINS8_10device_ptrIjEEEEPjjNS8_4plusIjEEEE10hipError_tPvRmT1_T2_T3_mT4_P12ihipStream_tbEUlT_E1_NS1_11comp_targetILNS1_3genE10ELNS1_11target_archE1200ELNS1_3gpuE4ELNS1_3repE0EEENS1_30default_config_static_selectorELNS0_4arch9wavefront6targetE1EEEvSK_
	.globl	_ZN7rocprim17ROCPRIM_400000_NS6detail17trampoline_kernelINS0_14default_configENS1_22reduce_config_selectorIjEEZNS1_11reduce_implILb1ES3_N6thrust23THRUST_200600_302600_NS6detail15normal_iteratorINS8_10device_ptrIjEEEEPjjNS8_4plusIjEEEE10hipError_tPvRmT1_T2_T3_mT4_P12ihipStream_tbEUlT_E1_NS1_11comp_targetILNS1_3genE10ELNS1_11target_archE1200ELNS1_3gpuE4ELNS1_3repE0EEENS1_30default_config_static_selectorELNS0_4arch9wavefront6targetE1EEEvSK_
	.p2align	8
	.type	_ZN7rocprim17ROCPRIM_400000_NS6detail17trampoline_kernelINS0_14default_configENS1_22reduce_config_selectorIjEEZNS1_11reduce_implILb1ES3_N6thrust23THRUST_200600_302600_NS6detail15normal_iteratorINS8_10device_ptrIjEEEEPjjNS8_4plusIjEEEE10hipError_tPvRmT1_T2_T3_mT4_P12ihipStream_tbEUlT_E1_NS1_11comp_targetILNS1_3genE10ELNS1_11target_archE1200ELNS1_3gpuE4ELNS1_3repE0EEENS1_30default_config_static_selectorELNS0_4arch9wavefront6targetE1EEEvSK_,@function
_ZN7rocprim17ROCPRIM_400000_NS6detail17trampoline_kernelINS0_14default_configENS1_22reduce_config_selectorIjEEZNS1_11reduce_implILb1ES3_N6thrust23THRUST_200600_302600_NS6detail15normal_iteratorINS8_10device_ptrIjEEEEPjjNS8_4plusIjEEEE10hipError_tPvRmT1_T2_T3_mT4_P12ihipStream_tbEUlT_E1_NS1_11comp_targetILNS1_3genE10ELNS1_11target_archE1200ELNS1_3gpuE4ELNS1_3repE0EEENS1_30default_config_static_selectorELNS0_4arch9wavefront6targetE1EEEvSK_: ; @_ZN7rocprim17ROCPRIM_400000_NS6detail17trampoline_kernelINS0_14default_configENS1_22reduce_config_selectorIjEEZNS1_11reduce_implILb1ES3_N6thrust23THRUST_200600_302600_NS6detail15normal_iteratorINS8_10device_ptrIjEEEEPjjNS8_4plusIjEEEE10hipError_tPvRmT1_T2_T3_mT4_P12ihipStream_tbEUlT_E1_NS1_11comp_targetILNS1_3genE10ELNS1_11target_archE1200ELNS1_3gpuE4ELNS1_3repE0EEENS1_30default_config_static_selectorELNS0_4arch9wavefront6targetE1EEEvSK_
; %bb.0:
	.section	.rodata,"a",@progbits
	.p2align	6, 0x0
	.amdhsa_kernel _ZN7rocprim17ROCPRIM_400000_NS6detail17trampoline_kernelINS0_14default_configENS1_22reduce_config_selectorIjEEZNS1_11reduce_implILb1ES3_N6thrust23THRUST_200600_302600_NS6detail15normal_iteratorINS8_10device_ptrIjEEEEPjjNS8_4plusIjEEEE10hipError_tPvRmT1_T2_T3_mT4_P12ihipStream_tbEUlT_E1_NS1_11comp_targetILNS1_3genE10ELNS1_11target_archE1200ELNS1_3gpuE4ELNS1_3repE0EEENS1_30default_config_static_selectorELNS0_4arch9wavefront6targetE1EEEvSK_
		.amdhsa_group_segment_fixed_size 0
		.amdhsa_private_segment_fixed_size 0
		.amdhsa_kernarg_size 40
		.amdhsa_user_sgpr_count 2
		.amdhsa_user_sgpr_dispatch_ptr 0
		.amdhsa_user_sgpr_queue_ptr 0
		.amdhsa_user_sgpr_kernarg_segment_ptr 1
		.amdhsa_user_sgpr_dispatch_id 0
		.amdhsa_user_sgpr_kernarg_preload_length 0
		.amdhsa_user_sgpr_kernarg_preload_offset 0
		.amdhsa_user_sgpr_private_segment_size 0
		.amdhsa_uses_dynamic_stack 0
		.amdhsa_enable_private_segment 0
		.amdhsa_system_sgpr_workgroup_id_x 1
		.amdhsa_system_sgpr_workgroup_id_y 0
		.amdhsa_system_sgpr_workgroup_id_z 0
		.amdhsa_system_sgpr_workgroup_info 0
		.amdhsa_system_vgpr_workitem_id 0
		.amdhsa_next_free_vgpr 1
		.amdhsa_next_free_sgpr 0
		.amdhsa_accum_offset 4
		.amdhsa_reserve_vcc 0
		.amdhsa_float_round_mode_32 0
		.amdhsa_float_round_mode_16_64 0
		.amdhsa_float_denorm_mode_32 3
		.amdhsa_float_denorm_mode_16_64 3
		.amdhsa_dx10_clamp 1
		.amdhsa_ieee_mode 1
		.amdhsa_fp16_overflow 0
		.amdhsa_tg_split 0
		.amdhsa_exception_fp_ieee_invalid_op 0
		.amdhsa_exception_fp_denorm_src 0
		.amdhsa_exception_fp_ieee_div_zero 0
		.amdhsa_exception_fp_ieee_overflow 0
		.amdhsa_exception_fp_ieee_underflow 0
		.amdhsa_exception_fp_ieee_inexact 0
		.amdhsa_exception_int_div_zero 0
	.end_amdhsa_kernel
	.section	.text._ZN7rocprim17ROCPRIM_400000_NS6detail17trampoline_kernelINS0_14default_configENS1_22reduce_config_selectorIjEEZNS1_11reduce_implILb1ES3_N6thrust23THRUST_200600_302600_NS6detail15normal_iteratorINS8_10device_ptrIjEEEEPjjNS8_4plusIjEEEE10hipError_tPvRmT1_T2_T3_mT4_P12ihipStream_tbEUlT_E1_NS1_11comp_targetILNS1_3genE10ELNS1_11target_archE1200ELNS1_3gpuE4ELNS1_3repE0EEENS1_30default_config_static_selectorELNS0_4arch9wavefront6targetE1EEEvSK_,"axG",@progbits,_ZN7rocprim17ROCPRIM_400000_NS6detail17trampoline_kernelINS0_14default_configENS1_22reduce_config_selectorIjEEZNS1_11reduce_implILb1ES3_N6thrust23THRUST_200600_302600_NS6detail15normal_iteratorINS8_10device_ptrIjEEEEPjjNS8_4plusIjEEEE10hipError_tPvRmT1_T2_T3_mT4_P12ihipStream_tbEUlT_E1_NS1_11comp_targetILNS1_3genE10ELNS1_11target_archE1200ELNS1_3gpuE4ELNS1_3repE0EEENS1_30default_config_static_selectorELNS0_4arch9wavefront6targetE1EEEvSK_,comdat
.Lfunc_end146:
	.size	_ZN7rocprim17ROCPRIM_400000_NS6detail17trampoline_kernelINS0_14default_configENS1_22reduce_config_selectorIjEEZNS1_11reduce_implILb1ES3_N6thrust23THRUST_200600_302600_NS6detail15normal_iteratorINS8_10device_ptrIjEEEEPjjNS8_4plusIjEEEE10hipError_tPvRmT1_T2_T3_mT4_P12ihipStream_tbEUlT_E1_NS1_11comp_targetILNS1_3genE10ELNS1_11target_archE1200ELNS1_3gpuE4ELNS1_3repE0EEENS1_30default_config_static_selectorELNS0_4arch9wavefront6targetE1EEEvSK_, .Lfunc_end146-_ZN7rocprim17ROCPRIM_400000_NS6detail17trampoline_kernelINS0_14default_configENS1_22reduce_config_selectorIjEEZNS1_11reduce_implILb1ES3_N6thrust23THRUST_200600_302600_NS6detail15normal_iteratorINS8_10device_ptrIjEEEEPjjNS8_4plusIjEEEE10hipError_tPvRmT1_T2_T3_mT4_P12ihipStream_tbEUlT_E1_NS1_11comp_targetILNS1_3genE10ELNS1_11target_archE1200ELNS1_3gpuE4ELNS1_3repE0EEENS1_30default_config_static_selectorELNS0_4arch9wavefront6targetE1EEEvSK_
                                        ; -- End function
	.set _ZN7rocprim17ROCPRIM_400000_NS6detail17trampoline_kernelINS0_14default_configENS1_22reduce_config_selectorIjEEZNS1_11reduce_implILb1ES3_N6thrust23THRUST_200600_302600_NS6detail15normal_iteratorINS8_10device_ptrIjEEEEPjjNS8_4plusIjEEEE10hipError_tPvRmT1_T2_T3_mT4_P12ihipStream_tbEUlT_E1_NS1_11comp_targetILNS1_3genE10ELNS1_11target_archE1200ELNS1_3gpuE4ELNS1_3repE0EEENS1_30default_config_static_selectorELNS0_4arch9wavefront6targetE1EEEvSK_.num_vgpr, 0
	.set _ZN7rocprim17ROCPRIM_400000_NS6detail17trampoline_kernelINS0_14default_configENS1_22reduce_config_selectorIjEEZNS1_11reduce_implILb1ES3_N6thrust23THRUST_200600_302600_NS6detail15normal_iteratorINS8_10device_ptrIjEEEEPjjNS8_4plusIjEEEE10hipError_tPvRmT1_T2_T3_mT4_P12ihipStream_tbEUlT_E1_NS1_11comp_targetILNS1_3genE10ELNS1_11target_archE1200ELNS1_3gpuE4ELNS1_3repE0EEENS1_30default_config_static_selectorELNS0_4arch9wavefront6targetE1EEEvSK_.num_agpr, 0
	.set _ZN7rocprim17ROCPRIM_400000_NS6detail17trampoline_kernelINS0_14default_configENS1_22reduce_config_selectorIjEEZNS1_11reduce_implILb1ES3_N6thrust23THRUST_200600_302600_NS6detail15normal_iteratorINS8_10device_ptrIjEEEEPjjNS8_4plusIjEEEE10hipError_tPvRmT1_T2_T3_mT4_P12ihipStream_tbEUlT_E1_NS1_11comp_targetILNS1_3genE10ELNS1_11target_archE1200ELNS1_3gpuE4ELNS1_3repE0EEENS1_30default_config_static_selectorELNS0_4arch9wavefront6targetE1EEEvSK_.numbered_sgpr, 0
	.set _ZN7rocprim17ROCPRIM_400000_NS6detail17trampoline_kernelINS0_14default_configENS1_22reduce_config_selectorIjEEZNS1_11reduce_implILb1ES3_N6thrust23THRUST_200600_302600_NS6detail15normal_iteratorINS8_10device_ptrIjEEEEPjjNS8_4plusIjEEEE10hipError_tPvRmT1_T2_T3_mT4_P12ihipStream_tbEUlT_E1_NS1_11comp_targetILNS1_3genE10ELNS1_11target_archE1200ELNS1_3gpuE4ELNS1_3repE0EEENS1_30default_config_static_selectorELNS0_4arch9wavefront6targetE1EEEvSK_.num_named_barrier, 0
	.set _ZN7rocprim17ROCPRIM_400000_NS6detail17trampoline_kernelINS0_14default_configENS1_22reduce_config_selectorIjEEZNS1_11reduce_implILb1ES3_N6thrust23THRUST_200600_302600_NS6detail15normal_iteratorINS8_10device_ptrIjEEEEPjjNS8_4plusIjEEEE10hipError_tPvRmT1_T2_T3_mT4_P12ihipStream_tbEUlT_E1_NS1_11comp_targetILNS1_3genE10ELNS1_11target_archE1200ELNS1_3gpuE4ELNS1_3repE0EEENS1_30default_config_static_selectorELNS0_4arch9wavefront6targetE1EEEvSK_.private_seg_size, 0
	.set _ZN7rocprim17ROCPRIM_400000_NS6detail17trampoline_kernelINS0_14default_configENS1_22reduce_config_selectorIjEEZNS1_11reduce_implILb1ES3_N6thrust23THRUST_200600_302600_NS6detail15normal_iteratorINS8_10device_ptrIjEEEEPjjNS8_4plusIjEEEE10hipError_tPvRmT1_T2_T3_mT4_P12ihipStream_tbEUlT_E1_NS1_11comp_targetILNS1_3genE10ELNS1_11target_archE1200ELNS1_3gpuE4ELNS1_3repE0EEENS1_30default_config_static_selectorELNS0_4arch9wavefront6targetE1EEEvSK_.uses_vcc, 0
	.set _ZN7rocprim17ROCPRIM_400000_NS6detail17trampoline_kernelINS0_14default_configENS1_22reduce_config_selectorIjEEZNS1_11reduce_implILb1ES3_N6thrust23THRUST_200600_302600_NS6detail15normal_iteratorINS8_10device_ptrIjEEEEPjjNS8_4plusIjEEEE10hipError_tPvRmT1_T2_T3_mT4_P12ihipStream_tbEUlT_E1_NS1_11comp_targetILNS1_3genE10ELNS1_11target_archE1200ELNS1_3gpuE4ELNS1_3repE0EEENS1_30default_config_static_selectorELNS0_4arch9wavefront6targetE1EEEvSK_.uses_flat_scratch, 0
	.set _ZN7rocprim17ROCPRIM_400000_NS6detail17trampoline_kernelINS0_14default_configENS1_22reduce_config_selectorIjEEZNS1_11reduce_implILb1ES3_N6thrust23THRUST_200600_302600_NS6detail15normal_iteratorINS8_10device_ptrIjEEEEPjjNS8_4plusIjEEEE10hipError_tPvRmT1_T2_T3_mT4_P12ihipStream_tbEUlT_E1_NS1_11comp_targetILNS1_3genE10ELNS1_11target_archE1200ELNS1_3gpuE4ELNS1_3repE0EEENS1_30default_config_static_selectorELNS0_4arch9wavefront6targetE1EEEvSK_.has_dyn_sized_stack, 0
	.set _ZN7rocprim17ROCPRIM_400000_NS6detail17trampoline_kernelINS0_14default_configENS1_22reduce_config_selectorIjEEZNS1_11reduce_implILb1ES3_N6thrust23THRUST_200600_302600_NS6detail15normal_iteratorINS8_10device_ptrIjEEEEPjjNS8_4plusIjEEEE10hipError_tPvRmT1_T2_T3_mT4_P12ihipStream_tbEUlT_E1_NS1_11comp_targetILNS1_3genE10ELNS1_11target_archE1200ELNS1_3gpuE4ELNS1_3repE0EEENS1_30default_config_static_selectorELNS0_4arch9wavefront6targetE1EEEvSK_.has_recursion, 0
	.set _ZN7rocprim17ROCPRIM_400000_NS6detail17trampoline_kernelINS0_14default_configENS1_22reduce_config_selectorIjEEZNS1_11reduce_implILb1ES3_N6thrust23THRUST_200600_302600_NS6detail15normal_iteratorINS8_10device_ptrIjEEEEPjjNS8_4plusIjEEEE10hipError_tPvRmT1_T2_T3_mT4_P12ihipStream_tbEUlT_E1_NS1_11comp_targetILNS1_3genE10ELNS1_11target_archE1200ELNS1_3gpuE4ELNS1_3repE0EEENS1_30default_config_static_selectorELNS0_4arch9wavefront6targetE1EEEvSK_.has_indirect_call, 0
	.section	.AMDGPU.csdata,"",@progbits
; Kernel info:
; codeLenInByte = 0
; TotalNumSgprs: 6
; NumVgprs: 0
; NumAgprs: 0
; TotalNumVgprs: 0
; ScratchSize: 0
; MemoryBound: 0
; FloatMode: 240
; IeeeMode: 1
; LDSByteSize: 0 bytes/workgroup (compile time only)
; SGPRBlocks: 0
; VGPRBlocks: 0
; NumSGPRsForWavesPerEU: 6
; NumVGPRsForWavesPerEU: 1
; AccumOffset: 4
; Occupancy: 8
; WaveLimiterHint : 0
; COMPUTE_PGM_RSRC2:SCRATCH_EN: 0
; COMPUTE_PGM_RSRC2:USER_SGPR: 2
; COMPUTE_PGM_RSRC2:TRAP_HANDLER: 0
; COMPUTE_PGM_RSRC2:TGID_X_EN: 1
; COMPUTE_PGM_RSRC2:TGID_Y_EN: 0
; COMPUTE_PGM_RSRC2:TGID_Z_EN: 0
; COMPUTE_PGM_RSRC2:TIDIG_COMP_CNT: 0
; COMPUTE_PGM_RSRC3_GFX90A:ACCUM_OFFSET: 0
; COMPUTE_PGM_RSRC3_GFX90A:TG_SPLIT: 0
	.section	.text._ZN7rocprim17ROCPRIM_400000_NS6detail17trampoline_kernelINS0_14default_configENS1_22reduce_config_selectorIjEEZNS1_11reduce_implILb1ES3_N6thrust23THRUST_200600_302600_NS6detail15normal_iteratorINS8_10device_ptrIjEEEEPjjNS8_4plusIjEEEE10hipError_tPvRmT1_T2_T3_mT4_P12ihipStream_tbEUlT_E1_NS1_11comp_targetILNS1_3genE9ELNS1_11target_archE1100ELNS1_3gpuE3ELNS1_3repE0EEENS1_30default_config_static_selectorELNS0_4arch9wavefront6targetE1EEEvSK_,"axG",@progbits,_ZN7rocprim17ROCPRIM_400000_NS6detail17trampoline_kernelINS0_14default_configENS1_22reduce_config_selectorIjEEZNS1_11reduce_implILb1ES3_N6thrust23THRUST_200600_302600_NS6detail15normal_iteratorINS8_10device_ptrIjEEEEPjjNS8_4plusIjEEEE10hipError_tPvRmT1_T2_T3_mT4_P12ihipStream_tbEUlT_E1_NS1_11comp_targetILNS1_3genE9ELNS1_11target_archE1100ELNS1_3gpuE3ELNS1_3repE0EEENS1_30default_config_static_selectorELNS0_4arch9wavefront6targetE1EEEvSK_,comdat
	.protected	_ZN7rocprim17ROCPRIM_400000_NS6detail17trampoline_kernelINS0_14default_configENS1_22reduce_config_selectorIjEEZNS1_11reduce_implILb1ES3_N6thrust23THRUST_200600_302600_NS6detail15normal_iteratorINS8_10device_ptrIjEEEEPjjNS8_4plusIjEEEE10hipError_tPvRmT1_T2_T3_mT4_P12ihipStream_tbEUlT_E1_NS1_11comp_targetILNS1_3genE9ELNS1_11target_archE1100ELNS1_3gpuE3ELNS1_3repE0EEENS1_30default_config_static_selectorELNS0_4arch9wavefront6targetE1EEEvSK_ ; -- Begin function _ZN7rocprim17ROCPRIM_400000_NS6detail17trampoline_kernelINS0_14default_configENS1_22reduce_config_selectorIjEEZNS1_11reduce_implILb1ES3_N6thrust23THRUST_200600_302600_NS6detail15normal_iteratorINS8_10device_ptrIjEEEEPjjNS8_4plusIjEEEE10hipError_tPvRmT1_T2_T3_mT4_P12ihipStream_tbEUlT_E1_NS1_11comp_targetILNS1_3genE9ELNS1_11target_archE1100ELNS1_3gpuE3ELNS1_3repE0EEENS1_30default_config_static_selectorELNS0_4arch9wavefront6targetE1EEEvSK_
	.globl	_ZN7rocprim17ROCPRIM_400000_NS6detail17trampoline_kernelINS0_14default_configENS1_22reduce_config_selectorIjEEZNS1_11reduce_implILb1ES3_N6thrust23THRUST_200600_302600_NS6detail15normal_iteratorINS8_10device_ptrIjEEEEPjjNS8_4plusIjEEEE10hipError_tPvRmT1_T2_T3_mT4_P12ihipStream_tbEUlT_E1_NS1_11comp_targetILNS1_3genE9ELNS1_11target_archE1100ELNS1_3gpuE3ELNS1_3repE0EEENS1_30default_config_static_selectorELNS0_4arch9wavefront6targetE1EEEvSK_
	.p2align	8
	.type	_ZN7rocprim17ROCPRIM_400000_NS6detail17trampoline_kernelINS0_14default_configENS1_22reduce_config_selectorIjEEZNS1_11reduce_implILb1ES3_N6thrust23THRUST_200600_302600_NS6detail15normal_iteratorINS8_10device_ptrIjEEEEPjjNS8_4plusIjEEEE10hipError_tPvRmT1_T2_T3_mT4_P12ihipStream_tbEUlT_E1_NS1_11comp_targetILNS1_3genE9ELNS1_11target_archE1100ELNS1_3gpuE3ELNS1_3repE0EEENS1_30default_config_static_selectorELNS0_4arch9wavefront6targetE1EEEvSK_,@function
_ZN7rocprim17ROCPRIM_400000_NS6detail17trampoline_kernelINS0_14default_configENS1_22reduce_config_selectorIjEEZNS1_11reduce_implILb1ES3_N6thrust23THRUST_200600_302600_NS6detail15normal_iteratorINS8_10device_ptrIjEEEEPjjNS8_4plusIjEEEE10hipError_tPvRmT1_T2_T3_mT4_P12ihipStream_tbEUlT_E1_NS1_11comp_targetILNS1_3genE9ELNS1_11target_archE1100ELNS1_3gpuE3ELNS1_3repE0EEENS1_30default_config_static_selectorELNS0_4arch9wavefront6targetE1EEEvSK_: ; @_ZN7rocprim17ROCPRIM_400000_NS6detail17trampoline_kernelINS0_14default_configENS1_22reduce_config_selectorIjEEZNS1_11reduce_implILb1ES3_N6thrust23THRUST_200600_302600_NS6detail15normal_iteratorINS8_10device_ptrIjEEEEPjjNS8_4plusIjEEEE10hipError_tPvRmT1_T2_T3_mT4_P12ihipStream_tbEUlT_E1_NS1_11comp_targetILNS1_3genE9ELNS1_11target_archE1100ELNS1_3gpuE3ELNS1_3repE0EEENS1_30default_config_static_selectorELNS0_4arch9wavefront6targetE1EEEvSK_
; %bb.0:
	.section	.rodata,"a",@progbits
	.p2align	6, 0x0
	.amdhsa_kernel _ZN7rocprim17ROCPRIM_400000_NS6detail17trampoline_kernelINS0_14default_configENS1_22reduce_config_selectorIjEEZNS1_11reduce_implILb1ES3_N6thrust23THRUST_200600_302600_NS6detail15normal_iteratorINS8_10device_ptrIjEEEEPjjNS8_4plusIjEEEE10hipError_tPvRmT1_T2_T3_mT4_P12ihipStream_tbEUlT_E1_NS1_11comp_targetILNS1_3genE9ELNS1_11target_archE1100ELNS1_3gpuE3ELNS1_3repE0EEENS1_30default_config_static_selectorELNS0_4arch9wavefront6targetE1EEEvSK_
		.amdhsa_group_segment_fixed_size 0
		.amdhsa_private_segment_fixed_size 0
		.amdhsa_kernarg_size 40
		.amdhsa_user_sgpr_count 2
		.amdhsa_user_sgpr_dispatch_ptr 0
		.amdhsa_user_sgpr_queue_ptr 0
		.amdhsa_user_sgpr_kernarg_segment_ptr 1
		.amdhsa_user_sgpr_dispatch_id 0
		.amdhsa_user_sgpr_kernarg_preload_length 0
		.amdhsa_user_sgpr_kernarg_preload_offset 0
		.amdhsa_user_sgpr_private_segment_size 0
		.amdhsa_uses_dynamic_stack 0
		.amdhsa_enable_private_segment 0
		.amdhsa_system_sgpr_workgroup_id_x 1
		.amdhsa_system_sgpr_workgroup_id_y 0
		.amdhsa_system_sgpr_workgroup_id_z 0
		.amdhsa_system_sgpr_workgroup_info 0
		.amdhsa_system_vgpr_workitem_id 0
		.amdhsa_next_free_vgpr 1
		.amdhsa_next_free_sgpr 0
		.amdhsa_accum_offset 4
		.amdhsa_reserve_vcc 0
		.amdhsa_float_round_mode_32 0
		.amdhsa_float_round_mode_16_64 0
		.amdhsa_float_denorm_mode_32 3
		.amdhsa_float_denorm_mode_16_64 3
		.amdhsa_dx10_clamp 1
		.amdhsa_ieee_mode 1
		.amdhsa_fp16_overflow 0
		.amdhsa_tg_split 0
		.amdhsa_exception_fp_ieee_invalid_op 0
		.amdhsa_exception_fp_denorm_src 0
		.amdhsa_exception_fp_ieee_div_zero 0
		.amdhsa_exception_fp_ieee_overflow 0
		.amdhsa_exception_fp_ieee_underflow 0
		.amdhsa_exception_fp_ieee_inexact 0
		.amdhsa_exception_int_div_zero 0
	.end_amdhsa_kernel
	.section	.text._ZN7rocprim17ROCPRIM_400000_NS6detail17trampoline_kernelINS0_14default_configENS1_22reduce_config_selectorIjEEZNS1_11reduce_implILb1ES3_N6thrust23THRUST_200600_302600_NS6detail15normal_iteratorINS8_10device_ptrIjEEEEPjjNS8_4plusIjEEEE10hipError_tPvRmT1_T2_T3_mT4_P12ihipStream_tbEUlT_E1_NS1_11comp_targetILNS1_3genE9ELNS1_11target_archE1100ELNS1_3gpuE3ELNS1_3repE0EEENS1_30default_config_static_selectorELNS0_4arch9wavefront6targetE1EEEvSK_,"axG",@progbits,_ZN7rocprim17ROCPRIM_400000_NS6detail17trampoline_kernelINS0_14default_configENS1_22reduce_config_selectorIjEEZNS1_11reduce_implILb1ES3_N6thrust23THRUST_200600_302600_NS6detail15normal_iteratorINS8_10device_ptrIjEEEEPjjNS8_4plusIjEEEE10hipError_tPvRmT1_T2_T3_mT4_P12ihipStream_tbEUlT_E1_NS1_11comp_targetILNS1_3genE9ELNS1_11target_archE1100ELNS1_3gpuE3ELNS1_3repE0EEENS1_30default_config_static_selectorELNS0_4arch9wavefront6targetE1EEEvSK_,comdat
.Lfunc_end147:
	.size	_ZN7rocprim17ROCPRIM_400000_NS6detail17trampoline_kernelINS0_14default_configENS1_22reduce_config_selectorIjEEZNS1_11reduce_implILb1ES3_N6thrust23THRUST_200600_302600_NS6detail15normal_iteratorINS8_10device_ptrIjEEEEPjjNS8_4plusIjEEEE10hipError_tPvRmT1_T2_T3_mT4_P12ihipStream_tbEUlT_E1_NS1_11comp_targetILNS1_3genE9ELNS1_11target_archE1100ELNS1_3gpuE3ELNS1_3repE0EEENS1_30default_config_static_selectorELNS0_4arch9wavefront6targetE1EEEvSK_, .Lfunc_end147-_ZN7rocprim17ROCPRIM_400000_NS6detail17trampoline_kernelINS0_14default_configENS1_22reduce_config_selectorIjEEZNS1_11reduce_implILb1ES3_N6thrust23THRUST_200600_302600_NS6detail15normal_iteratorINS8_10device_ptrIjEEEEPjjNS8_4plusIjEEEE10hipError_tPvRmT1_T2_T3_mT4_P12ihipStream_tbEUlT_E1_NS1_11comp_targetILNS1_3genE9ELNS1_11target_archE1100ELNS1_3gpuE3ELNS1_3repE0EEENS1_30default_config_static_selectorELNS0_4arch9wavefront6targetE1EEEvSK_
                                        ; -- End function
	.set _ZN7rocprim17ROCPRIM_400000_NS6detail17trampoline_kernelINS0_14default_configENS1_22reduce_config_selectorIjEEZNS1_11reduce_implILb1ES3_N6thrust23THRUST_200600_302600_NS6detail15normal_iteratorINS8_10device_ptrIjEEEEPjjNS8_4plusIjEEEE10hipError_tPvRmT1_T2_T3_mT4_P12ihipStream_tbEUlT_E1_NS1_11comp_targetILNS1_3genE9ELNS1_11target_archE1100ELNS1_3gpuE3ELNS1_3repE0EEENS1_30default_config_static_selectorELNS0_4arch9wavefront6targetE1EEEvSK_.num_vgpr, 0
	.set _ZN7rocprim17ROCPRIM_400000_NS6detail17trampoline_kernelINS0_14default_configENS1_22reduce_config_selectorIjEEZNS1_11reduce_implILb1ES3_N6thrust23THRUST_200600_302600_NS6detail15normal_iteratorINS8_10device_ptrIjEEEEPjjNS8_4plusIjEEEE10hipError_tPvRmT1_T2_T3_mT4_P12ihipStream_tbEUlT_E1_NS1_11comp_targetILNS1_3genE9ELNS1_11target_archE1100ELNS1_3gpuE3ELNS1_3repE0EEENS1_30default_config_static_selectorELNS0_4arch9wavefront6targetE1EEEvSK_.num_agpr, 0
	.set _ZN7rocprim17ROCPRIM_400000_NS6detail17trampoline_kernelINS0_14default_configENS1_22reduce_config_selectorIjEEZNS1_11reduce_implILb1ES3_N6thrust23THRUST_200600_302600_NS6detail15normal_iteratorINS8_10device_ptrIjEEEEPjjNS8_4plusIjEEEE10hipError_tPvRmT1_T2_T3_mT4_P12ihipStream_tbEUlT_E1_NS1_11comp_targetILNS1_3genE9ELNS1_11target_archE1100ELNS1_3gpuE3ELNS1_3repE0EEENS1_30default_config_static_selectorELNS0_4arch9wavefront6targetE1EEEvSK_.numbered_sgpr, 0
	.set _ZN7rocprim17ROCPRIM_400000_NS6detail17trampoline_kernelINS0_14default_configENS1_22reduce_config_selectorIjEEZNS1_11reduce_implILb1ES3_N6thrust23THRUST_200600_302600_NS6detail15normal_iteratorINS8_10device_ptrIjEEEEPjjNS8_4plusIjEEEE10hipError_tPvRmT1_T2_T3_mT4_P12ihipStream_tbEUlT_E1_NS1_11comp_targetILNS1_3genE9ELNS1_11target_archE1100ELNS1_3gpuE3ELNS1_3repE0EEENS1_30default_config_static_selectorELNS0_4arch9wavefront6targetE1EEEvSK_.num_named_barrier, 0
	.set _ZN7rocprim17ROCPRIM_400000_NS6detail17trampoline_kernelINS0_14default_configENS1_22reduce_config_selectorIjEEZNS1_11reduce_implILb1ES3_N6thrust23THRUST_200600_302600_NS6detail15normal_iteratorINS8_10device_ptrIjEEEEPjjNS8_4plusIjEEEE10hipError_tPvRmT1_T2_T3_mT4_P12ihipStream_tbEUlT_E1_NS1_11comp_targetILNS1_3genE9ELNS1_11target_archE1100ELNS1_3gpuE3ELNS1_3repE0EEENS1_30default_config_static_selectorELNS0_4arch9wavefront6targetE1EEEvSK_.private_seg_size, 0
	.set _ZN7rocprim17ROCPRIM_400000_NS6detail17trampoline_kernelINS0_14default_configENS1_22reduce_config_selectorIjEEZNS1_11reduce_implILb1ES3_N6thrust23THRUST_200600_302600_NS6detail15normal_iteratorINS8_10device_ptrIjEEEEPjjNS8_4plusIjEEEE10hipError_tPvRmT1_T2_T3_mT4_P12ihipStream_tbEUlT_E1_NS1_11comp_targetILNS1_3genE9ELNS1_11target_archE1100ELNS1_3gpuE3ELNS1_3repE0EEENS1_30default_config_static_selectorELNS0_4arch9wavefront6targetE1EEEvSK_.uses_vcc, 0
	.set _ZN7rocprim17ROCPRIM_400000_NS6detail17trampoline_kernelINS0_14default_configENS1_22reduce_config_selectorIjEEZNS1_11reduce_implILb1ES3_N6thrust23THRUST_200600_302600_NS6detail15normal_iteratorINS8_10device_ptrIjEEEEPjjNS8_4plusIjEEEE10hipError_tPvRmT1_T2_T3_mT4_P12ihipStream_tbEUlT_E1_NS1_11comp_targetILNS1_3genE9ELNS1_11target_archE1100ELNS1_3gpuE3ELNS1_3repE0EEENS1_30default_config_static_selectorELNS0_4arch9wavefront6targetE1EEEvSK_.uses_flat_scratch, 0
	.set _ZN7rocprim17ROCPRIM_400000_NS6detail17trampoline_kernelINS0_14default_configENS1_22reduce_config_selectorIjEEZNS1_11reduce_implILb1ES3_N6thrust23THRUST_200600_302600_NS6detail15normal_iteratorINS8_10device_ptrIjEEEEPjjNS8_4plusIjEEEE10hipError_tPvRmT1_T2_T3_mT4_P12ihipStream_tbEUlT_E1_NS1_11comp_targetILNS1_3genE9ELNS1_11target_archE1100ELNS1_3gpuE3ELNS1_3repE0EEENS1_30default_config_static_selectorELNS0_4arch9wavefront6targetE1EEEvSK_.has_dyn_sized_stack, 0
	.set _ZN7rocprim17ROCPRIM_400000_NS6detail17trampoline_kernelINS0_14default_configENS1_22reduce_config_selectorIjEEZNS1_11reduce_implILb1ES3_N6thrust23THRUST_200600_302600_NS6detail15normal_iteratorINS8_10device_ptrIjEEEEPjjNS8_4plusIjEEEE10hipError_tPvRmT1_T2_T3_mT4_P12ihipStream_tbEUlT_E1_NS1_11comp_targetILNS1_3genE9ELNS1_11target_archE1100ELNS1_3gpuE3ELNS1_3repE0EEENS1_30default_config_static_selectorELNS0_4arch9wavefront6targetE1EEEvSK_.has_recursion, 0
	.set _ZN7rocprim17ROCPRIM_400000_NS6detail17trampoline_kernelINS0_14default_configENS1_22reduce_config_selectorIjEEZNS1_11reduce_implILb1ES3_N6thrust23THRUST_200600_302600_NS6detail15normal_iteratorINS8_10device_ptrIjEEEEPjjNS8_4plusIjEEEE10hipError_tPvRmT1_T2_T3_mT4_P12ihipStream_tbEUlT_E1_NS1_11comp_targetILNS1_3genE9ELNS1_11target_archE1100ELNS1_3gpuE3ELNS1_3repE0EEENS1_30default_config_static_selectorELNS0_4arch9wavefront6targetE1EEEvSK_.has_indirect_call, 0
	.section	.AMDGPU.csdata,"",@progbits
; Kernel info:
; codeLenInByte = 0
; TotalNumSgprs: 6
; NumVgprs: 0
; NumAgprs: 0
; TotalNumVgprs: 0
; ScratchSize: 0
; MemoryBound: 0
; FloatMode: 240
; IeeeMode: 1
; LDSByteSize: 0 bytes/workgroup (compile time only)
; SGPRBlocks: 0
; VGPRBlocks: 0
; NumSGPRsForWavesPerEU: 6
; NumVGPRsForWavesPerEU: 1
; AccumOffset: 4
; Occupancy: 8
; WaveLimiterHint : 0
; COMPUTE_PGM_RSRC2:SCRATCH_EN: 0
; COMPUTE_PGM_RSRC2:USER_SGPR: 2
; COMPUTE_PGM_RSRC2:TRAP_HANDLER: 0
; COMPUTE_PGM_RSRC2:TGID_X_EN: 1
; COMPUTE_PGM_RSRC2:TGID_Y_EN: 0
; COMPUTE_PGM_RSRC2:TGID_Z_EN: 0
; COMPUTE_PGM_RSRC2:TIDIG_COMP_CNT: 0
; COMPUTE_PGM_RSRC3_GFX90A:ACCUM_OFFSET: 0
; COMPUTE_PGM_RSRC3_GFX90A:TG_SPLIT: 0
	.section	.text._ZN7rocprim17ROCPRIM_400000_NS6detail17trampoline_kernelINS0_14default_configENS1_22reduce_config_selectorIjEEZNS1_11reduce_implILb1ES3_N6thrust23THRUST_200600_302600_NS6detail15normal_iteratorINS8_10device_ptrIjEEEEPjjNS8_4plusIjEEEE10hipError_tPvRmT1_T2_T3_mT4_P12ihipStream_tbEUlT_E1_NS1_11comp_targetILNS1_3genE8ELNS1_11target_archE1030ELNS1_3gpuE2ELNS1_3repE0EEENS1_30default_config_static_selectorELNS0_4arch9wavefront6targetE1EEEvSK_,"axG",@progbits,_ZN7rocprim17ROCPRIM_400000_NS6detail17trampoline_kernelINS0_14default_configENS1_22reduce_config_selectorIjEEZNS1_11reduce_implILb1ES3_N6thrust23THRUST_200600_302600_NS6detail15normal_iteratorINS8_10device_ptrIjEEEEPjjNS8_4plusIjEEEE10hipError_tPvRmT1_T2_T3_mT4_P12ihipStream_tbEUlT_E1_NS1_11comp_targetILNS1_3genE8ELNS1_11target_archE1030ELNS1_3gpuE2ELNS1_3repE0EEENS1_30default_config_static_selectorELNS0_4arch9wavefront6targetE1EEEvSK_,comdat
	.protected	_ZN7rocprim17ROCPRIM_400000_NS6detail17trampoline_kernelINS0_14default_configENS1_22reduce_config_selectorIjEEZNS1_11reduce_implILb1ES3_N6thrust23THRUST_200600_302600_NS6detail15normal_iteratorINS8_10device_ptrIjEEEEPjjNS8_4plusIjEEEE10hipError_tPvRmT1_T2_T3_mT4_P12ihipStream_tbEUlT_E1_NS1_11comp_targetILNS1_3genE8ELNS1_11target_archE1030ELNS1_3gpuE2ELNS1_3repE0EEENS1_30default_config_static_selectorELNS0_4arch9wavefront6targetE1EEEvSK_ ; -- Begin function _ZN7rocprim17ROCPRIM_400000_NS6detail17trampoline_kernelINS0_14default_configENS1_22reduce_config_selectorIjEEZNS1_11reduce_implILb1ES3_N6thrust23THRUST_200600_302600_NS6detail15normal_iteratorINS8_10device_ptrIjEEEEPjjNS8_4plusIjEEEE10hipError_tPvRmT1_T2_T3_mT4_P12ihipStream_tbEUlT_E1_NS1_11comp_targetILNS1_3genE8ELNS1_11target_archE1030ELNS1_3gpuE2ELNS1_3repE0EEENS1_30default_config_static_selectorELNS0_4arch9wavefront6targetE1EEEvSK_
	.globl	_ZN7rocprim17ROCPRIM_400000_NS6detail17trampoline_kernelINS0_14default_configENS1_22reduce_config_selectorIjEEZNS1_11reduce_implILb1ES3_N6thrust23THRUST_200600_302600_NS6detail15normal_iteratorINS8_10device_ptrIjEEEEPjjNS8_4plusIjEEEE10hipError_tPvRmT1_T2_T3_mT4_P12ihipStream_tbEUlT_E1_NS1_11comp_targetILNS1_3genE8ELNS1_11target_archE1030ELNS1_3gpuE2ELNS1_3repE0EEENS1_30default_config_static_selectorELNS0_4arch9wavefront6targetE1EEEvSK_
	.p2align	8
	.type	_ZN7rocprim17ROCPRIM_400000_NS6detail17trampoline_kernelINS0_14default_configENS1_22reduce_config_selectorIjEEZNS1_11reduce_implILb1ES3_N6thrust23THRUST_200600_302600_NS6detail15normal_iteratorINS8_10device_ptrIjEEEEPjjNS8_4plusIjEEEE10hipError_tPvRmT1_T2_T3_mT4_P12ihipStream_tbEUlT_E1_NS1_11comp_targetILNS1_3genE8ELNS1_11target_archE1030ELNS1_3gpuE2ELNS1_3repE0EEENS1_30default_config_static_selectorELNS0_4arch9wavefront6targetE1EEEvSK_,@function
_ZN7rocprim17ROCPRIM_400000_NS6detail17trampoline_kernelINS0_14default_configENS1_22reduce_config_selectorIjEEZNS1_11reduce_implILb1ES3_N6thrust23THRUST_200600_302600_NS6detail15normal_iteratorINS8_10device_ptrIjEEEEPjjNS8_4plusIjEEEE10hipError_tPvRmT1_T2_T3_mT4_P12ihipStream_tbEUlT_E1_NS1_11comp_targetILNS1_3genE8ELNS1_11target_archE1030ELNS1_3gpuE2ELNS1_3repE0EEENS1_30default_config_static_selectorELNS0_4arch9wavefront6targetE1EEEvSK_: ; @_ZN7rocprim17ROCPRIM_400000_NS6detail17trampoline_kernelINS0_14default_configENS1_22reduce_config_selectorIjEEZNS1_11reduce_implILb1ES3_N6thrust23THRUST_200600_302600_NS6detail15normal_iteratorINS8_10device_ptrIjEEEEPjjNS8_4plusIjEEEE10hipError_tPvRmT1_T2_T3_mT4_P12ihipStream_tbEUlT_E1_NS1_11comp_targetILNS1_3genE8ELNS1_11target_archE1030ELNS1_3gpuE2ELNS1_3repE0EEENS1_30default_config_static_selectorELNS0_4arch9wavefront6targetE1EEEvSK_
; %bb.0:
	.section	.rodata,"a",@progbits
	.p2align	6, 0x0
	.amdhsa_kernel _ZN7rocprim17ROCPRIM_400000_NS6detail17trampoline_kernelINS0_14default_configENS1_22reduce_config_selectorIjEEZNS1_11reduce_implILb1ES3_N6thrust23THRUST_200600_302600_NS6detail15normal_iteratorINS8_10device_ptrIjEEEEPjjNS8_4plusIjEEEE10hipError_tPvRmT1_T2_T3_mT4_P12ihipStream_tbEUlT_E1_NS1_11comp_targetILNS1_3genE8ELNS1_11target_archE1030ELNS1_3gpuE2ELNS1_3repE0EEENS1_30default_config_static_selectorELNS0_4arch9wavefront6targetE1EEEvSK_
		.amdhsa_group_segment_fixed_size 0
		.amdhsa_private_segment_fixed_size 0
		.amdhsa_kernarg_size 40
		.amdhsa_user_sgpr_count 2
		.amdhsa_user_sgpr_dispatch_ptr 0
		.amdhsa_user_sgpr_queue_ptr 0
		.amdhsa_user_sgpr_kernarg_segment_ptr 1
		.amdhsa_user_sgpr_dispatch_id 0
		.amdhsa_user_sgpr_kernarg_preload_length 0
		.amdhsa_user_sgpr_kernarg_preload_offset 0
		.amdhsa_user_sgpr_private_segment_size 0
		.amdhsa_uses_dynamic_stack 0
		.amdhsa_enable_private_segment 0
		.amdhsa_system_sgpr_workgroup_id_x 1
		.amdhsa_system_sgpr_workgroup_id_y 0
		.amdhsa_system_sgpr_workgroup_id_z 0
		.amdhsa_system_sgpr_workgroup_info 0
		.amdhsa_system_vgpr_workitem_id 0
		.amdhsa_next_free_vgpr 1
		.amdhsa_next_free_sgpr 0
		.amdhsa_accum_offset 4
		.amdhsa_reserve_vcc 0
		.amdhsa_float_round_mode_32 0
		.amdhsa_float_round_mode_16_64 0
		.amdhsa_float_denorm_mode_32 3
		.amdhsa_float_denorm_mode_16_64 3
		.amdhsa_dx10_clamp 1
		.amdhsa_ieee_mode 1
		.amdhsa_fp16_overflow 0
		.amdhsa_tg_split 0
		.amdhsa_exception_fp_ieee_invalid_op 0
		.amdhsa_exception_fp_denorm_src 0
		.amdhsa_exception_fp_ieee_div_zero 0
		.amdhsa_exception_fp_ieee_overflow 0
		.amdhsa_exception_fp_ieee_underflow 0
		.amdhsa_exception_fp_ieee_inexact 0
		.amdhsa_exception_int_div_zero 0
	.end_amdhsa_kernel
	.section	.text._ZN7rocprim17ROCPRIM_400000_NS6detail17trampoline_kernelINS0_14default_configENS1_22reduce_config_selectorIjEEZNS1_11reduce_implILb1ES3_N6thrust23THRUST_200600_302600_NS6detail15normal_iteratorINS8_10device_ptrIjEEEEPjjNS8_4plusIjEEEE10hipError_tPvRmT1_T2_T3_mT4_P12ihipStream_tbEUlT_E1_NS1_11comp_targetILNS1_3genE8ELNS1_11target_archE1030ELNS1_3gpuE2ELNS1_3repE0EEENS1_30default_config_static_selectorELNS0_4arch9wavefront6targetE1EEEvSK_,"axG",@progbits,_ZN7rocprim17ROCPRIM_400000_NS6detail17trampoline_kernelINS0_14default_configENS1_22reduce_config_selectorIjEEZNS1_11reduce_implILb1ES3_N6thrust23THRUST_200600_302600_NS6detail15normal_iteratorINS8_10device_ptrIjEEEEPjjNS8_4plusIjEEEE10hipError_tPvRmT1_T2_T3_mT4_P12ihipStream_tbEUlT_E1_NS1_11comp_targetILNS1_3genE8ELNS1_11target_archE1030ELNS1_3gpuE2ELNS1_3repE0EEENS1_30default_config_static_selectorELNS0_4arch9wavefront6targetE1EEEvSK_,comdat
.Lfunc_end148:
	.size	_ZN7rocprim17ROCPRIM_400000_NS6detail17trampoline_kernelINS0_14default_configENS1_22reduce_config_selectorIjEEZNS1_11reduce_implILb1ES3_N6thrust23THRUST_200600_302600_NS6detail15normal_iteratorINS8_10device_ptrIjEEEEPjjNS8_4plusIjEEEE10hipError_tPvRmT1_T2_T3_mT4_P12ihipStream_tbEUlT_E1_NS1_11comp_targetILNS1_3genE8ELNS1_11target_archE1030ELNS1_3gpuE2ELNS1_3repE0EEENS1_30default_config_static_selectorELNS0_4arch9wavefront6targetE1EEEvSK_, .Lfunc_end148-_ZN7rocprim17ROCPRIM_400000_NS6detail17trampoline_kernelINS0_14default_configENS1_22reduce_config_selectorIjEEZNS1_11reduce_implILb1ES3_N6thrust23THRUST_200600_302600_NS6detail15normal_iteratorINS8_10device_ptrIjEEEEPjjNS8_4plusIjEEEE10hipError_tPvRmT1_T2_T3_mT4_P12ihipStream_tbEUlT_E1_NS1_11comp_targetILNS1_3genE8ELNS1_11target_archE1030ELNS1_3gpuE2ELNS1_3repE0EEENS1_30default_config_static_selectorELNS0_4arch9wavefront6targetE1EEEvSK_
                                        ; -- End function
	.set _ZN7rocprim17ROCPRIM_400000_NS6detail17trampoline_kernelINS0_14default_configENS1_22reduce_config_selectorIjEEZNS1_11reduce_implILb1ES3_N6thrust23THRUST_200600_302600_NS6detail15normal_iteratorINS8_10device_ptrIjEEEEPjjNS8_4plusIjEEEE10hipError_tPvRmT1_T2_T3_mT4_P12ihipStream_tbEUlT_E1_NS1_11comp_targetILNS1_3genE8ELNS1_11target_archE1030ELNS1_3gpuE2ELNS1_3repE0EEENS1_30default_config_static_selectorELNS0_4arch9wavefront6targetE1EEEvSK_.num_vgpr, 0
	.set _ZN7rocprim17ROCPRIM_400000_NS6detail17trampoline_kernelINS0_14default_configENS1_22reduce_config_selectorIjEEZNS1_11reduce_implILb1ES3_N6thrust23THRUST_200600_302600_NS6detail15normal_iteratorINS8_10device_ptrIjEEEEPjjNS8_4plusIjEEEE10hipError_tPvRmT1_T2_T3_mT4_P12ihipStream_tbEUlT_E1_NS1_11comp_targetILNS1_3genE8ELNS1_11target_archE1030ELNS1_3gpuE2ELNS1_3repE0EEENS1_30default_config_static_selectorELNS0_4arch9wavefront6targetE1EEEvSK_.num_agpr, 0
	.set _ZN7rocprim17ROCPRIM_400000_NS6detail17trampoline_kernelINS0_14default_configENS1_22reduce_config_selectorIjEEZNS1_11reduce_implILb1ES3_N6thrust23THRUST_200600_302600_NS6detail15normal_iteratorINS8_10device_ptrIjEEEEPjjNS8_4plusIjEEEE10hipError_tPvRmT1_T2_T3_mT4_P12ihipStream_tbEUlT_E1_NS1_11comp_targetILNS1_3genE8ELNS1_11target_archE1030ELNS1_3gpuE2ELNS1_3repE0EEENS1_30default_config_static_selectorELNS0_4arch9wavefront6targetE1EEEvSK_.numbered_sgpr, 0
	.set _ZN7rocprim17ROCPRIM_400000_NS6detail17trampoline_kernelINS0_14default_configENS1_22reduce_config_selectorIjEEZNS1_11reduce_implILb1ES3_N6thrust23THRUST_200600_302600_NS6detail15normal_iteratorINS8_10device_ptrIjEEEEPjjNS8_4plusIjEEEE10hipError_tPvRmT1_T2_T3_mT4_P12ihipStream_tbEUlT_E1_NS1_11comp_targetILNS1_3genE8ELNS1_11target_archE1030ELNS1_3gpuE2ELNS1_3repE0EEENS1_30default_config_static_selectorELNS0_4arch9wavefront6targetE1EEEvSK_.num_named_barrier, 0
	.set _ZN7rocprim17ROCPRIM_400000_NS6detail17trampoline_kernelINS0_14default_configENS1_22reduce_config_selectorIjEEZNS1_11reduce_implILb1ES3_N6thrust23THRUST_200600_302600_NS6detail15normal_iteratorINS8_10device_ptrIjEEEEPjjNS8_4plusIjEEEE10hipError_tPvRmT1_T2_T3_mT4_P12ihipStream_tbEUlT_E1_NS1_11comp_targetILNS1_3genE8ELNS1_11target_archE1030ELNS1_3gpuE2ELNS1_3repE0EEENS1_30default_config_static_selectorELNS0_4arch9wavefront6targetE1EEEvSK_.private_seg_size, 0
	.set _ZN7rocprim17ROCPRIM_400000_NS6detail17trampoline_kernelINS0_14default_configENS1_22reduce_config_selectorIjEEZNS1_11reduce_implILb1ES3_N6thrust23THRUST_200600_302600_NS6detail15normal_iteratorINS8_10device_ptrIjEEEEPjjNS8_4plusIjEEEE10hipError_tPvRmT1_T2_T3_mT4_P12ihipStream_tbEUlT_E1_NS1_11comp_targetILNS1_3genE8ELNS1_11target_archE1030ELNS1_3gpuE2ELNS1_3repE0EEENS1_30default_config_static_selectorELNS0_4arch9wavefront6targetE1EEEvSK_.uses_vcc, 0
	.set _ZN7rocprim17ROCPRIM_400000_NS6detail17trampoline_kernelINS0_14default_configENS1_22reduce_config_selectorIjEEZNS1_11reduce_implILb1ES3_N6thrust23THRUST_200600_302600_NS6detail15normal_iteratorINS8_10device_ptrIjEEEEPjjNS8_4plusIjEEEE10hipError_tPvRmT1_T2_T3_mT4_P12ihipStream_tbEUlT_E1_NS1_11comp_targetILNS1_3genE8ELNS1_11target_archE1030ELNS1_3gpuE2ELNS1_3repE0EEENS1_30default_config_static_selectorELNS0_4arch9wavefront6targetE1EEEvSK_.uses_flat_scratch, 0
	.set _ZN7rocprim17ROCPRIM_400000_NS6detail17trampoline_kernelINS0_14default_configENS1_22reduce_config_selectorIjEEZNS1_11reduce_implILb1ES3_N6thrust23THRUST_200600_302600_NS6detail15normal_iteratorINS8_10device_ptrIjEEEEPjjNS8_4plusIjEEEE10hipError_tPvRmT1_T2_T3_mT4_P12ihipStream_tbEUlT_E1_NS1_11comp_targetILNS1_3genE8ELNS1_11target_archE1030ELNS1_3gpuE2ELNS1_3repE0EEENS1_30default_config_static_selectorELNS0_4arch9wavefront6targetE1EEEvSK_.has_dyn_sized_stack, 0
	.set _ZN7rocprim17ROCPRIM_400000_NS6detail17trampoline_kernelINS0_14default_configENS1_22reduce_config_selectorIjEEZNS1_11reduce_implILb1ES3_N6thrust23THRUST_200600_302600_NS6detail15normal_iteratorINS8_10device_ptrIjEEEEPjjNS8_4plusIjEEEE10hipError_tPvRmT1_T2_T3_mT4_P12ihipStream_tbEUlT_E1_NS1_11comp_targetILNS1_3genE8ELNS1_11target_archE1030ELNS1_3gpuE2ELNS1_3repE0EEENS1_30default_config_static_selectorELNS0_4arch9wavefront6targetE1EEEvSK_.has_recursion, 0
	.set _ZN7rocprim17ROCPRIM_400000_NS6detail17trampoline_kernelINS0_14default_configENS1_22reduce_config_selectorIjEEZNS1_11reduce_implILb1ES3_N6thrust23THRUST_200600_302600_NS6detail15normal_iteratorINS8_10device_ptrIjEEEEPjjNS8_4plusIjEEEE10hipError_tPvRmT1_T2_T3_mT4_P12ihipStream_tbEUlT_E1_NS1_11comp_targetILNS1_3genE8ELNS1_11target_archE1030ELNS1_3gpuE2ELNS1_3repE0EEENS1_30default_config_static_selectorELNS0_4arch9wavefront6targetE1EEEvSK_.has_indirect_call, 0
	.section	.AMDGPU.csdata,"",@progbits
; Kernel info:
; codeLenInByte = 0
; TotalNumSgprs: 6
; NumVgprs: 0
; NumAgprs: 0
; TotalNumVgprs: 0
; ScratchSize: 0
; MemoryBound: 0
; FloatMode: 240
; IeeeMode: 1
; LDSByteSize: 0 bytes/workgroup (compile time only)
; SGPRBlocks: 0
; VGPRBlocks: 0
; NumSGPRsForWavesPerEU: 6
; NumVGPRsForWavesPerEU: 1
; AccumOffset: 4
; Occupancy: 8
; WaveLimiterHint : 0
; COMPUTE_PGM_RSRC2:SCRATCH_EN: 0
; COMPUTE_PGM_RSRC2:USER_SGPR: 2
; COMPUTE_PGM_RSRC2:TRAP_HANDLER: 0
; COMPUTE_PGM_RSRC2:TGID_X_EN: 1
; COMPUTE_PGM_RSRC2:TGID_Y_EN: 0
; COMPUTE_PGM_RSRC2:TGID_Z_EN: 0
; COMPUTE_PGM_RSRC2:TIDIG_COMP_CNT: 0
; COMPUTE_PGM_RSRC3_GFX90A:ACCUM_OFFSET: 0
; COMPUTE_PGM_RSRC3_GFX90A:TG_SPLIT: 0
	.section	.text._ZN6thrust23THRUST_200600_302600_NS11hip_rocprim14__parallel_for6kernelILj256ENS1_20__uninitialized_fill7functorINS0_10device_ptrItEEtEEmLj1EEEvT0_T1_SA_,"axG",@progbits,_ZN6thrust23THRUST_200600_302600_NS11hip_rocprim14__parallel_for6kernelILj256ENS1_20__uninitialized_fill7functorINS0_10device_ptrItEEtEEmLj1EEEvT0_T1_SA_,comdat
	.protected	_ZN6thrust23THRUST_200600_302600_NS11hip_rocprim14__parallel_for6kernelILj256ENS1_20__uninitialized_fill7functorINS0_10device_ptrItEEtEEmLj1EEEvT0_T1_SA_ ; -- Begin function _ZN6thrust23THRUST_200600_302600_NS11hip_rocprim14__parallel_for6kernelILj256ENS1_20__uninitialized_fill7functorINS0_10device_ptrItEEtEEmLj1EEEvT0_T1_SA_
	.globl	_ZN6thrust23THRUST_200600_302600_NS11hip_rocprim14__parallel_for6kernelILj256ENS1_20__uninitialized_fill7functorINS0_10device_ptrItEEtEEmLj1EEEvT0_T1_SA_
	.p2align	8
	.type	_ZN6thrust23THRUST_200600_302600_NS11hip_rocprim14__parallel_for6kernelILj256ENS1_20__uninitialized_fill7functorINS0_10device_ptrItEEtEEmLj1EEEvT0_T1_SA_,@function
_ZN6thrust23THRUST_200600_302600_NS11hip_rocprim14__parallel_for6kernelILj256ENS1_20__uninitialized_fill7functorINS0_10device_ptrItEEtEEmLj1EEEvT0_T1_SA_: ; @_ZN6thrust23THRUST_200600_302600_NS11hip_rocprim14__parallel_for6kernelILj256ENS1_20__uninitialized_fill7functorINS0_10device_ptrItEEtEEmLj1EEEvT0_T1_SA_
; %bb.0:
	s_load_dwordx4 s[12:15], s[0:1], 0x10
	s_load_dwordx2 s[4:5], s[0:1], 0x0
	s_load_dword s8, s[0:1], 0x8
	s_lshl_b32 s0, s2, 8
	v_mov_b64_e32 v[2:3], 0xff
	s_waitcnt lgkmcnt(0)
	s_add_u32 s0, s14, s0
	s_addc_u32 s1, s15, 0
	s_sub_u32 s2, s12, s0
	s_subb_u32 s3, s13, s1
	v_cmp_gt_u64_e32 vcc, s[2:3], v[2:3]
	s_mov_b64 s[6:7], -1
	s_cbranch_vccz .LBB149_3
; %bb.1:
	s_andn2_b64 vcc, exec, s[6:7]
	s_cbranch_vccz .LBB149_6
.LBB149_2:
	s_endpgm
.LBB149_3:
	v_cmp_gt_u32_e32 vcc, s2, v0
	s_and_saveexec_b64 s[2:3], vcc
	s_cbranch_execz .LBB149_5
; %bb.4:
	s_lshl_b64 s[6:7], s[0:1], 1
	s_add_u32 s6, s4, s6
	s_addc_u32 s7, s5, s7
	v_lshlrev_b32_e32 v2, 1, v0
	v_mov_b32_e32 v3, 0
	v_lshl_add_u64 v[2:3], s[6:7], 0, v[2:3]
	v_mov_b32_e32 v1, s8
	flat_store_short v[2:3], v1
.LBB149_5:
	s_or_b64 exec, exec, s[2:3]
	s_cbranch_execnz .LBB149_2
.LBB149_6:
	s_lshl_b64 s[0:1], s[0:1], 1
	s_add_u32 s0, s4, s0
	s_addc_u32 s1, s5, s1
	v_lshlrev_b32_e32 v0, 1, v0
	v_mov_b32_e32 v1, 0
	v_lshl_add_u64 v[0:1], s[0:1], 0, v[0:1]
	v_mov_b32_e32 v2, s8
	flat_store_short v[0:1], v2
	s_endpgm
	.section	.rodata,"a",@progbits
	.p2align	6, 0x0
	.amdhsa_kernel _ZN6thrust23THRUST_200600_302600_NS11hip_rocprim14__parallel_for6kernelILj256ENS1_20__uninitialized_fill7functorINS0_10device_ptrItEEtEEmLj1EEEvT0_T1_SA_
		.amdhsa_group_segment_fixed_size 0
		.amdhsa_private_segment_fixed_size 0
		.amdhsa_kernarg_size 32
		.amdhsa_user_sgpr_count 2
		.amdhsa_user_sgpr_dispatch_ptr 0
		.amdhsa_user_sgpr_queue_ptr 0
		.amdhsa_user_sgpr_kernarg_segment_ptr 1
		.amdhsa_user_sgpr_dispatch_id 0
		.amdhsa_user_sgpr_kernarg_preload_length 0
		.amdhsa_user_sgpr_kernarg_preload_offset 0
		.amdhsa_user_sgpr_private_segment_size 0
		.amdhsa_uses_dynamic_stack 0
		.amdhsa_enable_private_segment 0
		.amdhsa_system_sgpr_workgroup_id_x 1
		.amdhsa_system_sgpr_workgroup_id_y 0
		.amdhsa_system_sgpr_workgroup_id_z 0
		.amdhsa_system_sgpr_workgroup_info 0
		.amdhsa_system_vgpr_workitem_id 0
		.amdhsa_next_free_vgpr 4
		.amdhsa_next_free_sgpr 16
		.amdhsa_accum_offset 4
		.amdhsa_reserve_vcc 1
		.amdhsa_float_round_mode_32 0
		.amdhsa_float_round_mode_16_64 0
		.amdhsa_float_denorm_mode_32 3
		.amdhsa_float_denorm_mode_16_64 3
		.amdhsa_dx10_clamp 1
		.amdhsa_ieee_mode 1
		.amdhsa_fp16_overflow 0
		.amdhsa_tg_split 0
		.amdhsa_exception_fp_ieee_invalid_op 0
		.amdhsa_exception_fp_denorm_src 0
		.amdhsa_exception_fp_ieee_div_zero 0
		.amdhsa_exception_fp_ieee_overflow 0
		.amdhsa_exception_fp_ieee_underflow 0
		.amdhsa_exception_fp_ieee_inexact 0
		.amdhsa_exception_int_div_zero 0
	.end_amdhsa_kernel
	.section	.text._ZN6thrust23THRUST_200600_302600_NS11hip_rocprim14__parallel_for6kernelILj256ENS1_20__uninitialized_fill7functorINS0_10device_ptrItEEtEEmLj1EEEvT0_T1_SA_,"axG",@progbits,_ZN6thrust23THRUST_200600_302600_NS11hip_rocprim14__parallel_for6kernelILj256ENS1_20__uninitialized_fill7functorINS0_10device_ptrItEEtEEmLj1EEEvT0_T1_SA_,comdat
.Lfunc_end149:
	.size	_ZN6thrust23THRUST_200600_302600_NS11hip_rocprim14__parallel_for6kernelILj256ENS1_20__uninitialized_fill7functorINS0_10device_ptrItEEtEEmLj1EEEvT0_T1_SA_, .Lfunc_end149-_ZN6thrust23THRUST_200600_302600_NS11hip_rocprim14__parallel_for6kernelILj256ENS1_20__uninitialized_fill7functorINS0_10device_ptrItEEtEEmLj1EEEvT0_T1_SA_
                                        ; -- End function
	.set _ZN6thrust23THRUST_200600_302600_NS11hip_rocprim14__parallel_for6kernelILj256ENS1_20__uninitialized_fill7functorINS0_10device_ptrItEEtEEmLj1EEEvT0_T1_SA_.num_vgpr, 4
	.set _ZN6thrust23THRUST_200600_302600_NS11hip_rocprim14__parallel_for6kernelILj256ENS1_20__uninitialized_fill7functorINS0_10device_ptrItEEtEEmLj1EEEvT0_T1_SA_.num_agpr, 0
	.set _ZN6thrust23THRUST_200600_302600_NS11hip_rocprim14__parallel_for6kernelILj256ENS1_20__uninitialized_fill7functorINS0_10device_ptrItEEtEEmLj1EEEvT0_T1_SA_.numbered_sgpr, 16
	.set _ZN6thrust23THRUST_200600_302600_NS11hip_rocprim14__parallel_for6kernelILj256ENS1_20__uninitialized_fill7functorINS0_10device_ptrItEEtEEmLj1EEEvT0_T1_SA_.num_named_barrier, 0
	.set _ZN6thrust23THRUST_200600_302600_NS11hip_rocprim14__parallel_for6kernelILj256ENS1_20__uninitialized_fill7functorINS0_10device_ptrItEEtEEmLj1EEEvT0_T1_SA_.private_seg_size, 0
	.set _ZN6thrust23THRUST_200600_302600_NS11hip_rocprim14__parallel_for6kernelILj256ENS1_20__uninitialized_fill7functorINS0_10device_ptrItEEtEEmLj1EEEvT0_T1_SA_.uses_vcc, 1
	.set _ZN6thrust23THRUST_200600_302600_NS11hip_rocprim14__parallel_for6kernelILj256ENS1_20__uninitialized_fill7functorINS0_10device_ptrItEEtEEmLj1EEEvT0_T1_SA_.uses_flat_scratch, 0
	.set _ZN6thrust23THRUST_200600_302600_NS11hip_rocprim14__parallel_for6kernelILj256ENS1_20__uninitialized_fill7functorINS0_10device_ptrItEEtEEmLj1EEEvT0_T1_SA_.has_dyn_sized_stack, 0
	.set _ZN6thrust23THRUST_200600_302600_NS11hip_rocprim14__parallel_for6kernelILj256ENS1_20__uninitialized_fill7functorINS0_10device_ptrItEEtEEmLj1EEEvT0_T1_SA_.has_recursion, 0
	.set _ZN6thrust23THRUST_200600_302600_NS11hip_rocprim14__parallel_for6kernelILj256ENS1_20__uninitialized_fill7functorINS0_10device_ptrItEEtEEmLj1EEEvT0_T1_SA_.has_indirect_call, 0
	.section	.AMDGPU.csdata,"",@progbits
; Kernel info:
; codeLenInByte = 184
; TotalNumSgprs: 22
; NumVgprs: 4
; NumAgprs: 0
; TotalNumVgprs: 4
; ScratchSize: 0
; MemoryBound: 0
; FloatMode: 240
; IeeeMode: 1
; LDSByteSize: 0 bytes/workgroup (compile time only)
; SGPRBlocks: 2
; VGPRBlocks: 0
; NumSGPRsForWavesPerEU: 22
; NumVGPRsForWavesPerEU: 4
; AccumOffset: 4
; Occupancy: 8
; WaveLimiterHint : 0
; COMPUTE_PGM_RSRC2:SCRATCH_EN: 0
; COMPUTE_PGM_RSRC2:USER_SGPR: 2
; COMPUTE_PGM_RSRC2:TRAP_HANDLER: 0
; COMPUTE_PGM_RSRC2:TGID_X_EN: 1
; COMPUTE_PGM_RSRC2:TGID_Y_EN: 0
; COMPUTE_PGM_RSRC2:TGID_Z_EN: 0
; COMPUTE_PGM_RSRC2:TIDIG_COMP_CNT: 0
; COMPUTE_PGM_RSRC3_GFX90A:ACCUM_OFFSET: 0
; COMPUTE_PGM_RSRC3_GFX90A:TG_SPLIT: 0
	.section	.text._ZN7rocprim17ROCPRIM_400000_NS6detail17trampoline_kernelINS0_14default_configENS1_22reduce_config_selectorItEEZNS1_11reduce_implILb1ES3_PtS7_tN6thrust23THRUST_200600_302600_NS4plusItEEEE10hipError_tPvRmT1_T2_T3_mT4_P12ihipStream_tbEUlT_E0_NS1_11comp_targetILNS1_3genE0ELNS1_11target_archE4294967295ELNS1_3gpuE0ELNS1_3repE0EEENS1_30default_config_static_selectorELNS0_4arch9wavefront6targetE1EEEvSF_,"axG",@progbits,_ZN7rocprim17ROCPRIM_400000_NS6detail17trampoline_kernelINS0_14default_configENS1_22reduce_config_selectorItEEZNS1_11reduce_implILb1ES3_PtS7_tN6thrust23THRUST_200600_302600_NS4plusItEEEE10hipError_tPvRmT1_T2_T3_mT4_P12ihipStream_tbEUlT_E0_NS1_11comp_targetILNS1_3genE0ELNS1_11target_archE4294967295ELNS1_3gpuE0ELNS1_3repE0EEENS1_30default_config_static_selectorELNS0_4arch9wavefront6targetE1EEEvSF_,comdat
	.protected	_ZN7rocprim17ROCPRIM_400000_NS6detail17trampoline_kernelINS0_14default_configENS1_22reduce_config_selectorItEEZNS1_11reduce_implILb1ES3_PtS7_tN6thrust23THRUST_200600_302600_NS4plusItEEEE10hipError_tPvRmT1_T2_T3_mT4_P12ihipStream_tbEUlT_E0_NS1_11comp_targetILNS1_3genE0ELNS1_11target_archE4294967295ELNS1_3gpuE0ELNS1_3repE0EEENS1_30default_config_static_selectorELNS0_4arch9wavefront6targetE1EEEvSF_ ; -- Begin function _ZN7rocprim17ROCPRIM_400000_NS6detail17trampoline_kernelINS0_14default_configENS1_22reduce_config_selectorItEEZNS1_11reduce_implILb1ES3_PtS7_tN6thrust23THRUST_200600_302600_NS4plusItEEEE10hipError_tPvRmT1_T2_T3_mT4_P12ihipStream_tbEUlT_E0_NS1_11comp_targetILNS1_3genE0ELNS1_11target_archE4294967295ELNS1_3gpuE0ELNS1_3repE0EEENS1_30default_config_static_selectorELNS0_4arch9wavefront6targetE1EEEvSF_
	.globl	_ZN7rocprim17ROCPRIM_400000_NS6detail17trampoline_kernelINS0_14default_configENS1_22reduce_config_selectorItEEZNS1_11reduce_implILb1ES3_PtS7_tN6thrust23THRUST_200600_302600_NS4plusItEEEE10hipError_tPvRmT1_T2_T3_mT4_P12ihipStream_tbEUlT_E0_NS1_11comp_targetILNS1_3genE0ELNS1_11target_archE4294967295ELNS1_3gpuE0ELNS1_3repE0EEENS1_30default_config_static_selectorELNS0_4arch9wavefront6targetE1EEEvSF_
	.p2align	8
	.type	_ZN7rocprim17ROCPRIM_400000_NS6detail17trampoline_kernelINS0_14default_configENS1_22reduce_config_selectorItEEZNS1_11reduce_implILb1ES3_PtS7_tN6thrust23THRUST_200600_302600_NS4plusItEEEE10hipError_tPvRmT1_T2_T3_mT4_P12ihipStream_tbEUlT_E0_NS1_11comp_targetILNS1_3genE0ELNS1_11target_archE4294967295ELNS1_3gpuE0ELNS1_3repE0EEENS1_30default_config_static_selectorELNS0_4arch9wavefront6targetE1EEEvSF_,@function
_ZN7rocprim17ROCPRIM_400000_NS6detail17trampoline_kernelINS0_14default_configENS1_22reduce_config_selectorItEEZNS1_11reduce_implILb1ES3_PtS7_tN6thrust23THRUST_200600_302600_NS4plusItEEEE10hipError_tPvRmT1_T2_T3_mT4_P12ihipStream_tbEUlT_E0_NS1_11comp_targetILNS1_3genE0ELNS1_11target_archE4294967295ELNS1_3gpuE0ELNS1_3repE0EEENS1_30default_config_static_selectorELNS0_4arch9wavefront6targetE1EEEvSF_: ; @_ZN7rocprim17ROCPRIM_400000_NS6detail17trampoline_kernelINS0_14default_configENS1_22reduce_config_selectorItEEZNS1_11reduce_implILb1ES3_PtS7_tN6thrust23THRUST_200600_302600_NS4plusItEEEE10hipError_tPvRmT1_T2_T3_mT4_P12ihipStream_tbEUlT_E0_NS1_11comp_targetILNS1_3genE0ELNS1_11target_archE4294967295ELNS1_3gpuE0ELNS1_3repE0EEENS1_30default_config_static_selectorELNS0_4arch9wavefront6targetE1EEEvSF_
; %bb.0:
	s_load_dwordx8 s[12:19], s[0:1], 0x0
	s_load_dwordx4 s[20:23], s[0:1], 0x20
	v_lshlrev_b32_e32 v6, 1, v0
	v_mbcnt_lo_u32_b32 v1, -1, 0
	s_waitcnt lgkmcnt(0)
	s_lshl_b64 s[4:5], s[14:15], 1
	s_add_u32 s10, s12, s4
	s_addc_u32 s11, s13, s5
	s_lshl_b32 s4, s2, 10
	s_mov_b32 s5, 0
	s_lshr_b64 s[6:7], s[16:17], 10
	s_lshl_b64 s[8:9], s[4:5], 1
	s_add_u32 s14, s10, s8
	s_mov_b32 s3, s5
	s_addc_u32 s15, s11, s9
	s_cmp_lg_u64 s[6:7], s[2:3]
	s_cbranch_scc0 .LBB150_6
; %bb.1:
	global_load_ushort v2, v6, s[14:15]
	global_load_ushort v5, v6, s[14:15] offset:256
	global_load_ushort v7, v6, s[14:15] offset:512
	;; [unrolled: 1-line block ×7, first 2 shown]
	v_mbcnt_hi_u32_b32 v3, -1, v1
	v_lshlrev_b32_e32 v4, 2, v3
	v_cmp_eq_u32_e32 vcc, 0, v3
	s_waitcnt vmcnt(6)
	v_add_u16_e32 v2, v5, v2
	s_waitcnt vmcnt(5)
	v_add_u16_e32 v2, v2, v7
	;; [unrolled: 2-line block ×7, first 2 shown]
	v_or_b32_e32 v5, 0xfc, v4
	s_nop 0
	v_add_u16_dpp v2, v2, v2 quad_perm:[1,0,3,2] row_mask:0xf bank_mask:0xf bound_ctrl:1
	s_nop 1
	v_add_u16_dpp v2, v2, v2 quad_perm:[2,3,0,1] row_mask:0xf bank_mask:0xf bound_ctrl:1
	s_nop 1
	v_add_u16_dpp v2, v2, v2 row_ror:4 row_mask:0xf bank_mask:0xf bound_ctrl:1
	s_nop 1
	v_add_u16_dpp v2, v2, v2 row_ror:8 row_mask:0xf bank_mask:0xf bound_ctrl:1
	s_nop 1
	v_add_u16_dpp v2, v2, v2 row_bcast:15 row_mask:0xf bank_mask:0xf bound_ctrl:1
	s_nop 1
	v_add_u16_dpp v2, v2, v2 row_bcast:31 row_mask:0xf bank_mask:0xf bound_ctrl:1
	ds_bpermute_b32 v2, v5, v2
	s_and_saveexec_b64 s[6:7], vcc
	s_cbranch_execz .LBB150_3
; %bb.2:
	v_lshrrev_b32_e32 v5, 5, v0
	v_and_b32_e32 v5, 2, v5
	s_waitcnt lgkmcnt(0)
	ds_write_b16 v5, v2
.LBB150_3:
	s_or_b64 exec, exec, s[6:7]
	v_cmp_gt_u32_e32 vcc, 64, v0
	s_waitcnt lgkmcnt(0)
	s_barrier
	s_and_saveexec_b64 s[6:7], vcc
	s_cbranch_execz .LBB150_5
; %bb.4:
	v_and_b32_e32 v2, 1, v3
	v_lshlrev_b32_e32 v2, 1, v2
	ds_read_u16 v2, v2
	v_or_b32_e32 v3, 4, v4
	s_waitcnt lgkmcnt(0)
	v_and_b32_e32 v4, 0xffff, v2
	ds_bpermute_b32 v3, v3, v4
	s_waitcnt lgkmcnt(0)
	v_add_u16_e32 v2, v2, v3
.LBB150_5:
	s_or_b64 exec, exec, s[6:7]
	s_load_dword s26, s[0:1], 0x30
	s_branch .LBB150_28
.LBB150_6:
                                        ; implicit-def: $vgpr2
	s_load_dword s26, s[0:1], 0x30
	s_cbranch_execz .LBB150_28
; %bb.7:
	s_sub_i32 s27, s16, s4
	v_mov_b32_e32 v2, 0
	v_cmp_gt_u32_e32 vcc, s27, v0
	v_mov_b32_e32 v3, v2
	v_mov_b32_e32 v4, v2
	;; [unrolled: 1-line block ×3, first 2 shown]
	s_and_saveexec_b64 s[0:1], vcc
	s_cbranch_execz .LBB150_9
; %bb.8:
	global_load_ushort v3, v6, s[14:15]
	v_mov_b32_e32 v9, v2
	v_mov_b32_e32 v10, v2
	v_mov_b32_e32 v11, v2
	s_waitcnt vmcnt(0)
	v_and_b32_e32 v8, 0xffff, v3
	v_mov_b64_e32 v[2:3], v[8:9]
	v_mov_b64_e32 v[4:5], v[10:11]
.LBB150_9:
	s_or_b64 exec, exec, s[0:1]
	v_or_b32_e32 v7, 0x80, v0
	v_cmp_gt_u32_e32 vcc, s27, v7
	s_and_saveexec_b64 s[0:1], vcc
	s_cbranch_execz .LBB150_11
; %bb.10:
	global_load_ushort v7, v6, s[14:15] offset:256
	s_mov_b32 s4, 0x5040100
	s_waitcnt vmcnt(0)
	v_perm_b32 v2, v7, v2, s4
.LBB150_11:
	s_or_b64 exec, exec, s[0:1]
	v_or_b32_e32 v7, 0x100, v0
	v_cmp_gt_u32_e64 s[0:1], s27, v7
	s_and_saveexec_b64 s[4:5], s[0:1]
	s_cbranch_execz .LBB150_13
; %bb.12:
	global_load_ushort v7, v6, s[14:15] offset:512
	s_mov_b32 s6, 0xffff
	s_waitcnt vmcnt(0)
	v_bfi_b32 v3, s6, v7, v3
.LBB150_13:
	s_or_b64 exec, exec, s[4:5]
	v_or_b32_e32 v7, 0x180, v0
	v_cmp_gt_u32_e64 s[4:5], s27, v7
	s_and_saveexec_b64 s[6:7], s[4:5]
	s_cbranch_execz .LBB150_15
; %bb.14:
	global_load_ushort v7, v6, s[14:15] offset:768
	s_mov_b32 s8, 0x5040100
	s_waitcnt vmcnt(0)
	v_perm_b32 v3, v7, v3, s8
.LBB150_15:
	s_or_b64 exec, exec, s[6:7]
	v_or_b32_e32 v7, 0x200, v0
	v_cmp_gt_u32_e64 s[6:7], s27, v7
	s_and_saveexec_b64 s[8:9], s[6:7]
	s_cbranch_execz .LBB150_17
; %bb.16:
	global_load_ushort v7, v6, s[14:15] offset:1024
	s_mov_b32 s10, 0xffff
	s_waitcnt vmcnt(0)
	v_bfi_b32 v4, s10, v7, v4
.LBB150_17:
	s_or_b64 exec, exec, s[8:9]
	v_or_b32_e32 v7, 0x280, v0
	v_cmp_gt_u32_e64 s[8:9], s27, v7
	s_and_saveexec_b64 s[10:11], s[8:9]
	;; [unrolled: 22-line block ×3, first 2 shown]
	s_cbranch_execz .LBB150_23
; %bb.22:
	global_load_ushort v6, v6, s[14:15] offset:1792
	s_mov_b32 s14, 0x5040100
	s_waitcnt vmcnt(0)
	v_perm_b32 v5, v6, v5, s14
.LBB150_23:
	s_or_b64 exec, exec, s[24:25]
	v_mov_b32_e32 v6, 0
	v_cndmask_b32_sdwa v6, v6, v2, vcc dst_sel:DWORD dst_unused:UNUSED_PAD src0_sel:DWORD src1_sel:WORD_1
	v_add_u16_e32 v2, v6, v2
	v_cndmask_b32_e64 v6, 0, v3, s[0:1]
	v_lshrrev_b32_e32 v3, 16, v3
	v_add_u16_e32 v2, v2, v6
	v_cndmask_b32_e64 v3, 0, v3, s[4:5]
	v_add_u16_e32 v2, v2, v3
	v_cndmask_b32_e64 v3, 0, v4, s[6:7]
	v_add_u16_e32 v2, v2, v3
	v_lshrrev_b32_e32 v3, 16, v4
	v_cndmask_b32_e64 v3, 0, v3, s[8:9]
	v_add_u16_e32 v2, v2, v3
	v_cndmask_b32_e64 v3, 0, v5, s[10:11]
	v_mbcnt_hi_u32_b32 v1, -1, v1
	v_add_u16_e32 v2, v2, v3
	v_lshrrev_b32_e32 v3, 16, v5
	v_and_b32_e32 v4, 63, v1
	v_cndmask_b32_e64 v3, 0, v3, s[12:13]
	v_cmp_ne_u32_e32 vcc, 63, v4
	v_add_u16_e32 v2, v2, v3
	s_min_u32 s4, s27, 0x80
	v_addc_co_u32_e32 v3, vcc, 0, v1, vcc
	v_lshlrev_b32_e32 v3, 2, v3
	ds_bpermute_b32 v3, v3, v2
	v_and_b32_e32 v5, 64, v0
	v_sub_u32_e64 v5, s4, v5 clamp
	v_add_u32_e32 v6, 1, v4
	v_cmp_gt_u32_e64 s[0:1], 62, v4
	s_waitcnt lgkmcnt(0)
	v_add_u16_e32 v3, v2, v3
	v_cmp_lt_u32_e32 vcc, v6, v5
	v_cndmask_b32_e64 v6, 0, 2, s[0:1]
	v_add_lshl_u32 v6, v6, v1, 2
	v_cndmask_b32_e32 v3, v2, v3, vcc
	ds_bpermute_b32 v6, v6, v3
	v_add_u32_e32 v7, 2, v4
	v_cmp_lt_u32_e64 s[0:1], v7, v5
	v_add_u32_e32 v7, 4, v4
	s_waitcnt lgkmcnt(0)
	v_add_u16_e32 v6, v3, v6
	v_cndmask_b32_e64 v3, v3, v6, s[0:1]
	v_cmp_gt_u32_e64 s[0:1], 60, v4
	s_nop 1
	v_cndmask_b32_e64 v6, 0, 4, s[0:1]
	v_add_lshl_u32 v6, v6, v1, 2
	ds_bpermute_b32 v6, v6, v3
	v_cmp_lt_u32_e64 s[0:1], v7, v5
	v_add_u32_e32 v7, 8, v4
	s_waitcnt lgkmcnt(0)
	v_add_u16_e32 v6, v3, v6
	v_cndmask_b32_e64 v3, v3, v6, s[0:1]
	v_cmp_gt_u32_e64 s[0:1], 56, v4
	s_nop 1
	v_cndmask_b32_e64 v6, 0, 8, s[0:1]
	v_add_lshl_u32 v6, v6, v1, 2
	ds_bpermute_b32 v6, v6, v3
	v_cmp_lt_u32_e64 s[0:1], v7, v5
	v_add_u32_e32 v7, 16, v4
	s_waitcnt lgkmcnt(0)
	v_add_u16_e32 v6, v3, v6
	v_cndmask_b32_e64 v3, v3, v6, s[0:1]
	v_cmp_gt_u32_e64 s[0:1], 48, v4
	v_add_u32_e32 v4, 32, v4
	s_nop 0
	v_cndmask_b32_e64 v6, 0, 16, s[0:1]
	v_add_lshl_u32 v6, v6, v1, 2
	ds_bpermute_b32 v6, v6, v3
	v_cmp_lt_u32_e64 s[0:1], v7, v5
	s_waitcnt lgkmcnt(0)
	v_add_u16_e32 v6, v3, v6
	v_cndmask_b32_e64 v6, v3, v6, s[0:1]
	v_lshlrev_b32_e32 v3, 2, v1
	v_or_b32_e32 v7, 0x80, v3
	ds_bpermute_b32 v7, v7, v6
	v_cmp_lt_u32_e64 s[0:1], v4, v5
	s_waitcnt lgkmcnt(0)
	s_nop 0
	v_cndmask_b32_e64 v4, 0, v7, s[0:1]
	v_add_u16_e32 v4, v6, v4
	v_cndmask_b32_e32 v2, v2, v4, vcc
	v_cmp_eq_u32_e32 vcc, 0, v1
	s_and_saveexec_b64 s[0:1], vcc
; %bb.24:
	v_lshrrev_b32_e32 v4, 5, v0
	v_and_b32_e32 v4, 2, v4
	ds_write_b16 v4, v2 offset:4
; %bb.25:
	s_or_b64 exec, exec, s[0:1]
	v_cmp_gt_u32_e32 vcc, 2, v0
	s_waitcnt lgkmcnt(0)
	s_barrier
	s_and_saveexec_b64 s[0:1], vcc
	s_cbranch_execz .LBB150_27
; %bb.26:
	v_lshlrev_b32_e32 v2, 1, v1
	ds_read_u16 v2, v2 offset:4
	v_or_b32_e32 v3, 4, v3
	s_add_i32 s4, s4, 63
	v_and_b32_e32 v1, 1, v1
	s_lshr_b32 s4, s4, 6
	s_waitcnt lgkmcnt(0)
	v_and_b32_e32 v4, 0xffff, v2
	ds_bpermute_b32 v3, v3, v4
	v_add_u32_e32 v1, 1, v1
	v_cmp_gt_u32_e32 vcc, s4, v1
	s_waitcnt lgkmcnt(0)
	s_nop 0
	v_cndmask_b32_e32 v1, 0, v3, vcc
	v_add_u16_e32 v2, v1, v2
.LBB150_27:
	s_or_b64 exec, exec, s[0:1]
.LBB150_28:
	v_cmp_eq_u32_e32 vcc, 0, v0
	s_and_saveexec_b64 s[0:1], vcc
	s_cbranch_execnz .LBB150_30
; %bb.29:
	s_endpgm
.LBB150_30:
	s_mul_i32 s0, s22, s21
	s_mul_hi_u32 s1, s22, s20
	s_add_i32 s0, s1, s0
	s_mul_i32 s1, s23, s20
	s_add_i32 s1, s0, s1
	s_mul_i32 s0, s22, s20
	s_lshl_b64 s[0:1], s[0:1], 1
	s_add_u32 s4, s18, s0
	s_addc_u32 s5, s19, s1
	s_cmp_eq_u64 s[16:17], 0
	s_cselect_b64 vcc, -1, 0
	s_lshl_b64 s[0:1], s[2:3], 1
	s_waitcnt lgkmcnt(0)
	v_mov_b32_e32 v0, s26
	s_add_u32 s0, s4, s0
	v_cndmask_b32_e32 v0, v2, v0, vcc
	s_addc_u32 s1, s5, s1
	v_mov_b32_e32 v1, 0
	global_store_short v1, v0, s[0:1]
	s_endpgm
	.section	.rodata,"a",@progbits
	.p2align	6, 0x0
	.amdhsa_kernel _ZN7rocprim17ROCPRIM_400000_NS6detail17trampoline_kernelINS0_14default_configENS1_22reduce_config_selectorItEEZNS1_11reduce_implILb1ES3_PtS7_tN6thrust23THRUST_200600_302600_NS4plusItEEEE10hipError_tPvRmT1_T2_T3_mT4_P12ihipStream_tbEUlT_E0_NS1_11comp_targetILNS1_3genE0ELNS1_11target_archE4294967295ELNS1_3gpuE0ELNS1_3repE0EEENS1_30default_config_static_selectorELNS0_4arch9wavefront6targetE1EEEvSF_
		.amdhsa_group_segment_fixed_size 8
		.amdhsa_private_segment_fixed_size 0
		.amdhsa_kernarg_size 56
		.amdhsa_user_sgpr_count 2
		.amdhsa_user_sgpr_dispatch_ptr 0
		.amdhsa_user_sgpr_queue_ptr 0
		.amdhsa_user_sgpr_kernarg_segment_ptr 1
		.amdhsa_user_sgpr_dispatch_id 0
		.amdhsa_user_sgpr_kernarg_preload_length 0
		.amdhsa_user_sgpr_kernarg_preload_offset 0
		.amdhsa_user_sgpr_private_segment_size 0
		.amdhsa_uses_dynamic_stack 0
		.amdhsa_enable_private_segment 0
		.amdhsa_system_sgpr_workgroup_id_x 1
		.amdhsa_system_sgpr_workgroup_id_y 0
		.amdhsa_system_sgpr_workgroup_id_z 0
		.amdhsa_system_sgpr_workgroup_info 0
		.amdhsa_system_vgpr_workitem_id 0
		.amdhsa_next_free_vgpr 13
		.amdhsa_next_free_sgpr 28
		.amdhsa_accum_offset 16
		.amdhsa_reserve_vcc 1
		.amdhsa_float_round_mode_32 0
		.amdhsa_float_round_mode_16_64 0
		.amdhsa_float_denorm_mode_32 3
		.amdhsa_float_denorm_mode_16_64 3
		.amdhsa_dx10_clamp 1
		.amdhsa_ieee_mode 1
		.amdhsa_fp16_overflow 0
		.amdhsa_tg_split 0
		.amdhsa_exception_fp_ieee_invalid_op 0
		.amdhsa_exception_fp_denorm_src 0
		.amdhsa_exception_fp_ieee_div_zero 0
		.amdhsa_exception_fp_ieee_overflow 0
		.amdhsa_exception_fp_ieee_underflow 0
		.amdhsa_exception_fp_ieee_inexact 0
		.amdhsa_exception_int_div_zero 0
	.end_amdhsa_kernel
	.section	.text._ZN7rocprim17ROCPRIM_400000_NS6detail17trampoline_kernelINS0_14default_configENS1_22reduce_config_selectorItEEZNS1_11reduce_implILb1ES3_PtS7_tN6thrust23THRUST_200600_302600_NS4plusItEEEE10hipError_tPvRmT1_T2_T3_mT4_P12ihipStream_tbEUlT_E0_NS1_11comp_targetILNS1_3genE0ELNS1_11target_archE4294967295ELNS1_3gpuE0ELNS1_3repE0EEENS1_30default_config_static_selectorELNS0_4arch9wavefront6targetE1EEEvSF_,"axG",@progbits,_ZN7rocprim17ROCPRIM_400000_NS6detail17trampoline_kernelINS0_14default_configENS1_22reduce_config_selectorItEEZNS1_11reduce_implILb1ES3_PtS7_tN6thrust23THRUST_200600_302600_NS4plusItEEEE10hipError_tPvRmT1_T2_T3_mT4_P12ihipStream_tbEUlT_E0_NS1_11comp_targetILNS1_3genE0ELNS1_11target_archE4294967295ELNS1_3gpuE0ELNS1_3repE0EEENS1_30default_config_static_selectorELNS0_4arch9wavefront6targetE1EEEvSF_,comdat
.Lfunc_end150:
	.size	_ZN7rocprim17ROCPRIM_400000_NS6detail17trampoline_kernelINS0_14default_configENS1_22reduce_config_selectorItEEZNS1_11reduce_implILb1ES3_PtS7_tN6thrust23THRUST_200600_302600_NS4plusItEEEE10hipError_tPvRmT1_T2_T3_mT4_P12ihipStream_tbEUlT_E0_NS1_11comp_targetILNS1_3genE0ELNS1_11target_archE4294967295ELNS1_3gpuE0ELNS1_3repE0EEENS1_30default_config_static_selectorELNS0_4arch9wavefront6targetE1EEEvSF_, .Lfunc_end150-_ZN7rocprim17ROCPRIM_400000_NS6detail17trampoline_kernelINS0_14default_configENS1_22reduce_config_selectorItEEZNS1_11reduce_implILb1ES3_PtS7_tN6thrust23THRUST_200600_302600_NS4plusItEEEE10hipError_tPvRmT1_T2_T3_mT4_P12ihipStream_tbEUlT_E0_NS1_11comp_targetILNS1_3genE0ELNS1_11target_archE4294967295ELNS1_3gpuE0ELNS1_3repE0EEENS1_30default_config_static_selectorELNS0_4arch9wavefront6targetE1EEEvSF_
                                        ; -- End function
	.set _ZN7rocprim17ROCPRIM_400000_NS6detail17trampoline_kernelINS0_14default_configENS1_22reduce_config_selectorItEEZNS1_11reduce_implILb1ES3_PtS7_tN6thrust23THRUST_200600_302600_NS4plusItEEEE10hipError_tPvRmT1_T2_T3_mT4_P12ihipStream_tbEUlT_E0_NS1_11comp_targetILNS1_3genE0ELNS1_11target_archE4294967295ELNS1_3gpuE0ELNS1_3repE0EEENS1_30default_config_static_selectorELNS0_4arch9wavefront6targetE1EEEvSF_.num_vgpr, 13
	.set _ZN7rocprim17ROCPRIM_400000_NS6detail17trampoline_kernelINS0_14default_configENS1_22reduce_config_selectorItEEZNS1_11reduce_implILb1ES3_PtS7_tN6thrust23THRUST_200600_302600_NS4plusItEEEE10hipError_tPvRmT1_T2_T3_mT4_P12ihipStream_tbEUlT_E0_NS1_11comp_targetILNS1_3genE0ELNS1_11target_archE4294967295ELNS1_3gpuE0ELNS1_3repE0EEENS1_30default_config_static_selectorELNS0_4arch9wavefront6targetE1EEEvSF_.num_agpr, 0
	.set _ZN7rocprim17ROCPRIM_400000_NS6detail17trampoline_kernelINS0_14default_configENS1_22reduce_config_selectorItEEZNS1_11reduce_implILb1ES3_PtS7_tN6thrust23THRUST_200600_302600_NS4plusItEEEE10hipError_tPvRmT1_T2_T3_mT4_P12ihipStream_tbEUlT_E0_NS1_11comp_targetILNS1_3genE0ELNS1_11target_archE4294967295ELNS1_3gpuE0ELNS1_3repE0EEENS1_30default_config_static_selectorELNS0_4arch9wavefront6targetE1EEEvSF_.numbered_sgpr, 28
	.set _ZN7rocprim17ROCPRIM_400000_NS6detail17trampoline_kernelINS0_14default_configENS1_22reduce_config_selectorItEEZNS1_11reduce_implILb1ES3_PtS7_tN6thrust23THRUST_200600_302600_NS4plusItEEEE10hipError_tPvRmT1_T2_T3_mT4_P12ihipStream_tbEUlT_E0_NS1_11comp_targetILNS1_3genE0ELNS1_11target_archE4294967295ELNS1_3gpuE0ELNS1_3repE0EEENS1_30default_config_static_selectorELNS0_4arch9wavefront6targetE1EEEvSF_.num_named_barrier, 0
	.set _ZN7rocprim17ROCPRIM_400000_NS6detail17trampoline_kernelINS0_14default_configENS1_22reduce_config_selectorItEEZNS1_11reduce_implILb1ES3_PtS7_tN6thrust23THRUST_200600_302600_NS4plusItEEEE10hipError_tPvRmT1_T2_T3_mT4_P12ihipStream_tbEUlT_E0_NS1_11comp_targetILNS1_3genE0ELNS1_11target_archE4294967295ELNS1_3gpuE0ELNS1_3repE0EEENS1_30default_config_static_selectorELNS0_4arch9wavefront6targetE1EEEvSF_.private_seg_size, 0
	.set _ZN7rocprim17ROCPRIM_400000_NS6detail17trampoline_kernelINS0_14default_configENS1_22reduce_config_selectorItEEZNS1_11reduce_implILb1ES3_PtS7_tN6thrust23THRUST_200600_302600_NS4plusItEEEE10hipError_tPvRmT1_T2_T3_mT4_P12ihipStream_tbEUlT_E0_NS1_11comp_targetILNS1_3genE0ELNS1_11target_archE4294967295ELNS1_3gpuE0ELNS1_3repE0EEENS1_30default_config_static_selectorELNS0_4arch9wavefront6targetE1EEEvSF_.uses_vcc, 1
	.set _ZN7rocprim17ROCPRIM_400000_NS6detail17trampoline_kernelINS0_14default_configENS1_22reduce_config_selectorItEEZNS1_11reduce_implILb1ES3_PtS7_tN6thrust23THRUST_200600_302600_NS4plusItEEEE10hipError_tPvRmT1_T2_T3_mT4_P12ihipStream_tbEUlT_E0_NS1_11comp_targetILNS1_3genE0ELNS1_11target_archE4294967295ELNS1_3gpuE0ELNS1_3repE0EEENS1_30default_config_static_selectorELNS0_4arch9wavefront6targetE1EEEvSF_.uses_flat_scratch, 0
	.set _ZN7rocprim17ROCPRIM_400000_NS6detail17trampoline_kernelINS0_14default_configENS1_22reduce_config_selectorItEEZNS1_11reduce_implILb1ES3_PtS7_tN6thrust23THRUST_200600_302600_NS4plusItEEEE10hipError_tPvRmT1_T2_T3_mT4_P12ihipStream_tbEUlT_E0_NS1_11comp_targetILNS1_3genE0ELNS1_11target_archE4294967295ELNS1_3gpuE0ELNS1_3repE0EEENS1_30default_config_static_selectorELNS0_4arch9wavefront6targetE1EEEvSF_.has_dyn_sized_stack, 0
	.set _ZN7rocprim17ROCPRIM_400000_NS6detail17trampoline_kernelINS0_14default_configENS1_22reduce_config_selectorItEEZNS1_11reduce_implILb1ES3_PtS7_tN6thrust23THRUST_200600_302600_NS4plusItEEEE10hipError_tPvRmT1_T2_T3_mT4_P12ihipStream_tbEUlT_E0_NS1_11comp_targetILNS1_3genE0ELNS1_11target_archE4294967295ELNS1_3gpuE0ELNS1_3repE0EEENS1_30default_config_static_selectorELNS0_4arch9wavefront6targetE1EEEvSF_.has_recursion, 0
	.set _ZN7rocprim17ROCPRIM_400000_NS6detail17trampoline_kernelINS0_14default_configENS1_22reduce_config_selectorItEEZNS1_11reduce_implILb1ES3_PtS7_tN6thrust23THRUST_200600_302600_NS4plusItEEEE10hipError_tPvRmT1_T2_T3_mT4_P12ihipStream_tbEUlT_E0_NS1_11comp_targetILNS1_3genE0ELNS1_11target_archE4294967295ELNS1_3gpuE0ELNS1_3repE0EEENS1_30default_config_static_selectorELNS0_4arch9wavefront6targetE1EEEvSF_.has_indirect_call, 0
	.section	.AMDGPU.csdata,"",@progbits
; Kernel info:
; codeLenInByte = 1600
; TotalNumSgprs: 34
; NumVgprs: 13
; NumAgprs: 0
; TotalNumVgprs: 13
; ScratchSize: 0
; MemoryBound: 0
; FloatMode: 240
; IeeeMode: 1
; LDSByteSize: 8 bytes/workgroup (compile time only)
; SGPRBlocks: 4
; VGPRBlocks: 1
; NumSGPRsForWavesPerEU: 34
; NumVGPRsForWavesPerEU: 13
; AccumOffset: 16
; Occupancy: 8
; WaveLimiterHint : 1
; COMPUTE_PGM_RSRC2:SCRATCH_EN: 0
; COMPUTE_PGM_RSRC2:USER_SGPR: 2
; COMPUTE_PGM_RSRC2:TRAP_HANDLER: 0
; COMPUTE_PGM_RSRC2:TGID_X_EN: 1
; COMPUTE_PGM_RSRC2:TGID_Y_EN: 0
; COMPUTE_PGM_RSRC2:TGID_Z_EN: 0
; COMPUTE_PGM_RSRC2:TIDIG_COMP_CNT: 0
; COMPUTE_PGM_RSRC3_GFX90A:ACCUM_OFFSET: 3
; COMPUTE_PGM_RSRC3_GFX90A:TG_SPLIT: 0
	.section	.text._ZN7rocprim17ROCPRIM_400000_NS6detail17trampoline_kernelINS0_14default_configENS1_22reduce_config_selectorItEEZNS1_11reduce_implILb1ES3_PtS7_tN6thrust23THRUST_200600_302600_NS4plusItEEEE10hipError_tPvRmT1_T2_T3_mT4_P12ihipStream_tbEUlT_E0_NS1_11comp_targetILNS1_3genE5ELNS1_11target_archE942ELNS1_3gpuE9ELNS1_3repE0EEENS1_30default_config_static_selectorELNS0_4arch9wavefront6targetE1EEEvSF_,"axG",@progbits,_ZN7rocprim17ROCPRIM_400000_NS6detail17trampoline_kernelINS0_14default_configENS1_22reduce_config_selectorItEEZNS1_11reduce_implILb1ES3_PtS7_tN6thrust23THRUST_200600_302600_NS4plusItEEEE10hipError_tPvRmT1_T2_T3_mT4_P12ihipStream_tbEUlT_E0_NS1_11comp_targetILNS1_3genE5ELNS1_11target_archE942ELNS1_3gpuE9ELNS1_3repE0EEENS1_30default_config_static_selectorELNS0_4arch9wavefront6targetE1EEEvSF_,comdat
	.protected	_ZN7rocprim17ROCPRIM_400000_NS6detail17trampoline_kernelINS0_14default_configENS1_22reduce_config_selectorItEEZNS1_11reduce_implILb1ES3_PtS7_tN6thrust23THRUST_200600_302600_NS4plusItEEEE10hipError_tPvRmT1_T2_T3_mT4_P12ihipStream_tbEUlT_E0_NS1_11comp_targetILNS1_3genE5ELNS1_11target_archE942ELNS1_3gpuE9ELNS1_3repE0EEENS1_30default_config_static_selectorELNS0_4arch9wavefront6targetE1EEEvSF_ ; -- Begin function _ZN7rocprim17ROCPRIM_400000_NS6detail17trampoline_kernelINS0_14default_configENS1_22reduce_config_selectorItEEZNS1_11reduce_implILb1ES3_PtS7_tN6thrust23THRUST_200600_302600_NS4plusItEEEE10hipError_tPvRmT1_T2_T3_mT4_P12ihipStream_tbEUlT_E0_NS1_11comp_targetILNS1_3genE5ELNS1_11target_archE942ELNS1_3gpuE9ELNS1_3repE0EEENS1_30default_config_static_selectorELNS0_4arch9wavefront6targetE1EEEvSF_
	.globl	_ZN7rocprim17ROCPRIM_400000_NS6detail17trampoline_kernelINS0_14default_configENS1_22reduce_config_selectorItEEZNS1_11reduce_implILb1ES3_PtS7_tN6thrust23THRUST_200600_302600_NS4plusItEEEE10hipError_tPvRmT1_T2_T3_mT4_P12ihipStream_tbEUlT_E0_NS1_11comp_targetILNS1_3genE5ELNS1_11target_archE942ELNS1_3gpuE9ELNS1_3repE0EEENS1_30default_config_static_selectorELNS0_4arch9wavefront6targetE1EEEvSF_
	.p2align	8
	.type	_ZN7rocprim17ROCPRIM_400000_NS6detail17trampoline_kernelINS0_14default_configENS1_22reduce_config_selectorItEEZNS1_11reduce_implILb1ES3_PtS7_tN6thrust23THRUST_200600_302600_NS4plusItEEEE10hipError_tPvRmT1_T2_T3_mT4_P12ihipStream_tbEUlT_E0_NS1_11comp_targetILNS1_3genE5ELNS1_11target_archE942ELNS1_3gpuE9ELNS1_3repE0EEENS1_30default_config_static_selectorELNS0_4arch9wavefront6targetE1EEEvSF_,@function
_ZN7rocprim17ROCPRIM_400000_NS6detail17trampoline_kernelINS0_14default_configENS1_22reduce_config_selectorItEEZNS1_11reduce_implILb1ES3_PtS7_tN6thrust23THRUST_200600_302600_NS4plusItEEEE10hipError_tPvRmT1_T2_T3_mT4_P12ihipStream_tbEUlT_E0_NS1_11comp_targetILNS1_3genE5ELNS1_11target_archE942ELNS1_3gpuE9ELNS1_3repE0EEENS1_30default_config_static_selectorELNS0_4arch9wavefront6targetE1EEEvSF_: ; @_ZN7rocprim17ROCPRIM_400000_NS6detail17trampoline_kernelINS0_14default_configENS1_22reduce_config_selectorItEEZNS1_11reduce_implILb1ES3_PtS7_tN6thrust23THRUST_200600_302600_NS4plusItEEEE10hipError_tPvRmT1_T2_T3_mT4_P12ihipStream_tbEUlT_E0_NS1_11comp_targetILNS1_3genE5ELNS1_11target_archE942ELNS1_3gpuE9ELNS1_3repE0EEENS1_30default_config_static_selectorELNS0_4arch9wavefront6targetE1EEEvSF_
; %bb.0:
	.section	.rodata,"a",@progbits
	.p2align	6, 0x0
	.amdhsa_kernel _ZN7rocprim17ROCPRIM_400000_NS6detail17trampoline_kernelINS0_14default_configENS1_22reduce_config_selectorItEEZNS1_11reduce_implILb1ES3_PtS7_tN6thrust23THRUST_200600_302600_NS4plusItEEEE10hipError_tPvRmT1_T2_T3_mT4_P12ihipStream_tbEUlT_E0_NS1_11comp_targetILNS1_3genE5ELNS1_11target_archE942ELNS1_3gpuE9ELNS1_3repE0EEENS1_30default_config_static_selectorELNS0_4arch9wavefront6targetE1EEEvSF_
		.amdhsa_group_segment_fixed_size 0
		.amdhsa_private_segment_fixed_size 0
		.amdhsa_kernarg_size 56
		.amdhsa_user_sgpr_count 2
		.amdhsa_user_sgpr_dispatch_ptr 0
		.amdhsa_user_sgpr_queue_ptr 0
		.amdhsa_user_sgpr_kernarg_segment_ptr 1
		.amdhsa_user_sgpr_dispatch_id 0
		.amdhsa_user_sgpr_kernarg_preload_length 0
		.amdhsa_user_sgpr_kernarg_preload_offset 0
		.amdhsa_user_sgpr_private_segment_size 0
		.amdhsa_uses_dynamic_stack 0
		.amdhsa_enable_private_segment 0
		.amdhsa_system_sgpr_workgroup_id_x 1
		.amdhsa_system_sgpr_workgroup_id_y 0
		.amdhsa_system_sgpr_workgroup_id_z 0
		.amdhsa_system_sgpr_workgroup_info 0
		.amdhsa_system_vgpr_workitem_id 0
		.amdhsa_next_free_vgpr 1
		.amdhsa_next_free_sgpr 0
		.amdhsa_accum_offset 4
		.amdhsa_reserve_vcc 0
		.amdhsa_float_round_mode_32 0
		.amdhsa_float_round_mode_16_64 0
		.amdhsa_float_denorm_mode_32 3
		.amdhsa_float_denorm_mode_16_64 3
		.amdhsa_dx10_clamp 1
		.amdhsa_ieee_mode 1
		.amdhsa_fp16_overflow 0
		.amdhsa_tg_split 0
		.amdhsa_exception_fp_ieee_invalid_op 0
		.amdhsa_exception_fp_denorm_src 0
		.amdhsa_exception_fp_ieee_div_zero 0
		.amdhsa_exception_fp_ieee_overflow 0
		.amdhsa_exception_fp_ieee_underflow 0
		.amdhsa_exception_fp_ieee_inexact 0
		.amdhsa_exception_int_div_zero 0
	.end_amdhsa_kernel
	.section	.text._ZN7rocprim17ROCPRIM_400000_NS6detail17trampoline_kernelINS0_14default_configENS1_22reduce_config_selectorItEEZNS1_11reduce_implILb1ES3_PtS7_tN6thrust23THRUST_200600_302600_NS4plusItEEEE10hipError_tPvRmT1_T2_T3_mT4_P12ihipStream_tbEUlT_E0_NS1_11comp_targetILNS1_3genE5ELNS1_11target_archE942ELNS1_3gpuE9ELNS1_3repE0EEENS1_30default_config_static_selectorELNS0_4arch9wavefront6targetE1EEEvSF_,"axG",@progbits,_ZN7rocprim17ROCPRIM_400000_NS6detail17trampoline_kernelINS0_14default_configENS1_22reduce_config_selectorItEEZNS1_11reduce_implILb1ES3_PtS7_tN6thrust23THRUST_200600_302600_NS4plusItEEEE10hipError_tPvRmT1_T2_T3_mT4_P12ihipStream_tbEUlT_E0_NS1_11comp_targetILNS1_3genE5ELNS1_11target_archE942ELNS1_3gpuE9ELNS1_3repE0EEENS1_30default_config_static_selectorELNS0_4arch9wavefront6targetE1EEEvSF_,comdat
.Lfunc_end151:
	.size	_ZN7rocprim17ROCPRIM_400000_NS6detail17trampoline_kernelINS0_14default_configENS1_22reduce_config_selectorItEEZNS1_11reduce_implILb1ES3_PtS7_tN6thrust23THRUST_200600_302600_NS4plusItEEEE10hipError_tPvRmT1_T2_T3_mT4_P12ihipStream_tbEUlT_E0_NS1_11comp_targetILNS1_3genE5ELNS1_11target_archE942ELNS1_3gpuE9ELNS1_3repE0EEENS1_30default_config_static_selectorELNS0_4arch9wavefront6targetE1EEEvSF_, .Lfunc_end151-_ZN7rocprim17ROCPRIM_400000_NS6detail17trampoline_kernelINS0_14default_configENS1_22reduce_config_selectorItEEZNS1_11reduce_implILb1ES3_PtS7_tN6thrust23THRUST_200600_302600_NS4plusItEEEE10hipError_tPvRmT1_T2_T3_mT4_P12ihipStream_tbEUlT_E0_NS1_11comp_targetILNS1_3genE5ELNS1_11target_archE942ELNS1_3gpuE9ELNS1_3repE0EEENS1_30default_config_static_selectorELNS0_4arch9wavefront6targetE1EEEvSF_
                                        ; -- End function
	.set _ZN7rocprim17ROCPRIM_400000_NS6detail17trampoline_kernelINS0_14default_configENS1_22reduce_config_selectorItEEZNS1_11reduce_implILb1ES3_PtS7_tN6thrust23THRUST_200600_302600_NS4plusItEEEE10hipError_tPvRmT1_T2_T3_mT4_P12ihipStream_tbEUlT_E0_NS1_11comp_targetILNS1_3genE5ELNS1_11target_archE942ELNS1_3gpuE9ELNS1_3repE0EEENS1_30default_config_static_selectorELNS0_4arch9wavefront6targetE1EEEvSF_.num_vgpr, 0
	.set _ZN7rocprim17ROCPRIM_400000_NS6detail17trampoline_kernelINS0_14default_configENS1_22reduce_config_selectorItEEZNS1_11reduce_implILb1ES3_PtS7_tN6thrust23THRUST_200600_302600_NS4plusItEEEE10hipError_tPvRmT1_T2_T3_mT4_P12ihipStream_tbEUlT_E0_NS1_11comp_targetILNS1_3genE5ELNS1_11target_archE942ELNS1_3gpuE9ELNS1_3repE0EEENS1_30default_config_static_selectorELNS0_4arch9wavefront6targetE1EEEvSF_.num_agpr, 0
	.set _ZN7rocprim17ROCPRIM_400000_NS6detail17trampoline_kernelINS0_14default_configENS1_22reduce_config_selectorItEEZNS1_11reduce_implILb1ES3_PtS7_tN6thrust23THRUST_200600_302600_NS4plusItEEEE10hipError_tPvRmT1_T2_T3_mT4_P12ihipStream_tbEUlT_E0_NS1_11comp_targetILNS1_3genE5ELNS1_11target_archE942ELNS1_3gpuE9ELNS1_3repE0EEENS1_30default_config_static_selectorELNS0_4arch9wavefront6targetE1EEEvSF_.numbered_sgpr, 0
	.set _ZN7rocprim17ROCPRIM_400000_NS6detail17trampoline_kernelINS0_14default_configENS1_22reduce_config_selectorItEEZNS1_11reduce_implILb1ES3_PtS7_tN6thrust23THRUST_200600_302600_NS4plusItEEEE10hipError_tPvRmT1_T2_T3_mT4_P12ihipStream_tbEUlT_E0_NS1_11comp_targetILNS1_3genE5ELNS1_11target_archE942ELNS1_3gpuE9ELNS1_3repE0EEENS1_30default_config_static_selectorELNS0_4arch9wavefront6targetE1EEEvSF_.num_named_barrier, 0
	.set _ZN7rocprim17ROCPRIM_400000_NS6detail17trampoline_kernelINS0_14default_configENS1_22reduce_config_selectorItEEZNS1_11reduce_implILb1ES3_PtS7_tN6thrust23THRUST_200600_302600_NS4plusItEEEE10hipError_tPvRmT1_T2_T3_mT4_P12ihipStream_tbEUlT_E0_NS1_11comp_targetILNS1_3genE5ELNS1_11target_archE942ELNS1_3gpuE9ELNS1_3repE0EEENS1_30default_config_static_selectorELNS0_4arch9wavefront6targetE1EEEvSF_.private_seg_size, 0
	.set _ZN7rocprim17ROCPRIM_400000_NS6detail17trampoline_kernelINS0_14default_configENS1_22reduce_config_selectorItEEZNS1_11reduce_implILb1ES3_PtS7_tN6thrust23THRUST_200600_302600_NS4plusItEEEE10hipError_tPvRmT1_T2_T3_mT4_P12ihipStream_tbEUlT_E0_NS1_11comp_targetILNS1_3genE5ELNS1_11target_archE942ELNS1_3gpuE9ELNS1_3repE0EEENS1_30default_config_static_selectorELNS0_4arch9wavefront6targetE1EEEvSF_.uses_vcc, 0
	.set _ZN7rocprim17ROCPRIM_400000_NS6detail17trampoline_kernelINS0_14default_configENS1_22reduce_config_selectorItEEZNS1_11reduce_implILb1ES3_PtS7_tN6thrust23THRUST_200600_302600_NS4plusItEEEE10hipError_tPvRmT1_T2_T3_mT4_P12ihipStream_tbEUlT_E0_NS1_11comp_targetILNS1_3genE5ELNS1_11target_archE942ELNS1_3gpuE9ELNS1_3repE0EEENS1_30default_config_static_selectorELNS0_4arch9wavefront6targetE1EEEvSF_.uses_flat_scratch, 0
	.set _ZN7rocprim17ROCPRIM_400000_NS6detail17trampoline_kernelINS0_14default_configENS1_22reduce_config_selectorItEEZNS1_11reduce_implILb1ES3_PtS7_tN6thrust23THRUST_200600_302600_NS4plusItEEEE10hipError_tPvRmT1_T2_T3_mT4_P12ihipStream_tbEUlT_E0_NS1_11comp_targetILNS1_3genE5ELNS1_11target_archE942ELNS1_3gpuE9ELNS1_3repE0EEENS1_30default_config_static_selectorELNS0_4arch9wavefront6targetE1EEEvSF_.has_dyn_sized_stack, 0
	.set _ZN7rocprim17ROCPRIM_400000_NS6detail17trampoline_kernelINS0_14default_configENS1_22reduce_config_selectorItEEZNS1_11reduce_implILb1ES3_PtS7_tN6thrust23THRUST_200600_302600_NS4plusItEEEE10hipError_tPvRmT1_T2_T3_mT4_P12ihipStream_tbEUlT_E0_NS1_11comp_targetILNS1_3genE5ELNS1_11target_archE942ELNS1_3gpuE9ELNS1_3repE0EEENS1_30default_config_static_selectorELNS0_4arch9wavefront6targetE1EEEvSF_.has_recursion, 0
	.set _ZN7rocprim17ROCPRIM_400000_NS6detail17trampoline_kernelINS0_14default_configENS1_22reduce_config_selectorItEEZNS1_11reduce_implILb1ES3_PtS7_tN6thrust23THRUST_200600_302600_NS4plusItEEEE10hipError_tPvRmT1_T2_T3_mT4_P12ihipStream_tbEUlT_E0_NS1_11comp_targetILNS1_3genE5ELNS1_11target_archE942ELNS1_3gpuE9ELNS1_3repE0EEENS1_30default_config_static_selectorELNS0_4arch9wavefront6targetE1EEEvSF_.has_indirect_call, 0
	.section	.AMDGPU.csdata,"",@progbits
; Kernel info:
; codeLenInByte = 0
; TotalNumSgprs: 6
; NumVgprs: 0
; NumAgprs: 0
; TotalNumVgprs: 0
; ScratchSize: 0
; MemoryBound: 0
; FloatMode: 240
; IeeeMode: 1
; LDSByteSize: 0 bytes/workgroup (compile time only)
; SGPRBlocks: 0
; VGPRBlocks: 0
; NumSGPRsForWavesPerEU: 6
; NumVGPRsForWavesPerEU: 1
; AccumOffset: 4
; Occupancy: 8
; WaveLimiterHint : 0
; COMPUTE_PGM_RSRC2:SCRATCH_EN: 0
; COMPUTE_PGM_RSRC2:USER_SGPR: 2
; COMPUTE_PGM_RSRC2:TRAP_HANDLER: 0
; COMPUTE_PGM_RSRC2:TGID_X_EN: 1
; COMPUTE_PGM_RSRC2:TGID_Y_EN: 0
; COMPUTE_PGM_RSRC2:TGID_Z_EN: 0
; COMPUTE_PGM_RSRC2:TIDIG_COMP_CNT: 0
; COMPUTE_PGM_RSRC3_GFX90A:ACCUM_OFFSET: 0
; COMPUTE_PGM_RSRC3_GFX90A:TG_SPLIT: 0
	.section	.text._ZN7rocprim17ROCPRIM_400000_NS6detail17trampoline_kernelINS0_14default_configENS1_22reduce_config_selectorItEEZNS1_11reduce_implILb1ES3_PtS7_tN6thrust23THRUST_200600_302600_NS4plusItEEEE10hipError_tPvRmT1_T2_T3_mT4_P12ihipStream_tbEUlT_E0_NS1_11comp_targetILNS1_3genE4ELNS1_11target_archE910ELNS1_3gpuE8ELNS1_3repE0EEENS1_30default_config_static_selectorELNS0_4arch9wavefront6targetE1EEEvSF_,"axG",@progbits,_ZN7rocprim17ROCPRIM_400000_NS6detail17trampoline_kernelINS0_14default_configENS1_22reduce_config_selectorItEEZNS1_11reduce_implILb1ES3_PtS7_tN6thrust23THRUST_200600_302600_NS4plusItEEEE10hipError_tPvRmT1_T2_T3_mT4_P12ihipStream_tbEUlT_E0_NS1_11comp_targetILNS1_3genE4ELNS1_11target_archE910ELNS1_3gpuE8ELNS1_3repE0EEENS1_30default_config_static_selectorELNS0_4arch9wavefront6targetE1EEEvSF_,comdat
	.protected	_ZN7rocprim17ROCPRIM_400000_NS6detail17trampoline_kernelINS0_14default_configENS1_22reduce_config_selectorItEEZNS1_11reduce_implILb1ES3_PtS7_tN6thrust23THRUST_200600_302600_NS4plusItEEEE10hipError_tPvRmT1_T2_T3_mT4_P12ihipStream_tbEUlT_E0_NS1_11comp_targetILNS1_3genE4ELNS1_11target_archE910ELNS1_3gpuE8ELNS1_3repE0EEENS1_30default_config_static_selectorELNS0_4arch9wavefront6targetE1EEEvSF_ ; -- Begin function _ZN7rocprim17ROCPRIM_400000_NS6detail17trampoline_kernelINS0_14default_configENS1_22reduce_config_selectorItEEZNS1_11reduce_implILb1ES3_PtS7_tN6thrust23THRUST_200600_302600_NS4plusItEEEE10hipError_tPvRmT1_T2_T3_mT4_P12ihipStream_tbEUlT_E0_NS1_11comp_targetILNS1_3genE4ELNS1_11target_archE910ELNS1_3gpuE8ELNS1_3repE0EEENS1_30default_config_static_selectorELNS0_4arch9wavefront6targetE1EEEvSF_
	.globl	_ZN7rocprim17ROCPRIM_400000_NS6detail17trampoline_kernelINS0_14default_configENS1_22reduce_config_selectorItEEZNS1_11reduce_implILb1ES3_PtS7_tN6thrust23THRUST_200600_302600_NS4plusItEEEE10hipError_tPvRmT1_T2_T3_mT4_P12ihipStream_tbEUlT_E0_NS1_11comp_targetILNS1_3genE4ELNS1_11target_archE910ELNS1_3gpuE8ELNS1_3repE0EEENS1_30default_config_static_selectorELNS0_4arch9wavefront6targetE1EEEvSF_
	.p2align	8
	.type	_ZN7rocprim17ROCPRIM_400000_NS6detail17trampoline_kernelINS0_14default_configENS1_22reduce_config_selectorItEEZNS1_11reduce_implILb1ES3_PtS7_tN6thrust23THRUST_200600_302600_NS4plusItEEEE10hipError_tPvRmT1_T2_T3_mT4_P12ihipStream_tbEUlT_E0_NS1_11comp_targetILNS1_3genE4ELNS1_11target_archE910ELNS1_3gpuE8ELNS1_3repE0EEENS1_30default_config_static_selectorELNS0_4arch9wavefront6targetE1EEEvSF_,@function
_ZN7rocprim17ROCPRIM_400000_NS6detail17trampoline_kernelINS0_14default_configENS1_22reduce_config_selectorItEEZNS1_11reduce_implILb1ES3_PtS7_tN6thrust23THRUST_200600_302600_NS4plusItEEEE10hipError_tPvRmT1_T2_T3_mT4_P12ihipStream_tbEUlT_E0_NS1_11comp_targetILNS1_3genE4ELNS1_11target_archE910ELNS1_3gpuE8ELNS1_3repE0EEENS1_30default_config_static_selectorELNS0_4arch9wavefront6targetE1EEEvSF_: ; @_ZN7rocprim17ROCPRIM_400000_NS6detail17trampoline_kernelINS0_14default_configENS1_22reduce_config_selectorItEEZNS1_11reduce_implILb1ES3_PtS7_tN6thrust23THRUST_200600_302600_NS4plusItEEEE10hipError_tPvRmT1_T2_T3_mT4_P12ihipStream_tbEUlT_E0_NS1_11comp_targetILNS1_3genE4ELNS1_11target_archE910ELNS1_3gpuE8ELNS1_3repE0EEENS1_30default_config_static_selectorELNS0_4arch9wavefront6targetE1EEEvSF_
; %bb.0:
	.section	.rodata,"a",@progbits
	.p2align	6, 0x0
	.amdhsa_kernel _ZN7rocprim17ROCPRIM_400000_NS6detail17trampoline_kernelINS0_14default_configENS1_22reduce_config_selectorItEEZNS1_11reduce_implILb1ES3_PtS7_tN6thrust23THRUST_200600_302600_NS4plusItEEEE10hipError_tPvRmT1_T2_T3_mT4_P12ihipStream_tbEUlT_E0_NS1_11comp_targetILNS1_3genE4ELNS1_11target_archE910ELNS1_3gpuE8ELNS1_3repE0EEENS1_30default_config_static_selectorELNS0_4arch9wavefront6targetE1EEEvSF_
		.amdhsa_group_segment_fixed_size 0
		.amdhsa_private_segment_fixed_size 0
		.amdhsa_kernarg_size 56
		.amdhsa_user_sgpr_count 2
		.amdhsa_user_sgpr_dispatch_ptr 0
		.amdhsa_user_sgpr_queue_ptr 0
		.amdhsa_user_sgpr_kernarg_segment_ptr 1
		.amdhsa_user_sgpr_dispatch_id 0
		.amdhsa_user_sgpr_kernarg_preload_length 0
		.amdhsa_user_sgpr_kernarg_preload_offset 0
		.amdhsa_user_sgpr_private_segment_size 0
		.amdhsa_uses_dynamic_stack 0
		.amdhsa_enable_private_segment 0
		.amdhsa_system_sgpr_workgroup_id_x 1
		.amdhsa_system_sgpr_workgroup_id_y 0
		.amdhsa_system_sgpr_workgroup_id_z 0
		.amdhsa_system_sgpr_workgroup_info 0
		.amdhsa_system_vgpr_workitem_id 0
		.amdhsa_next_free_vgpr 1
		.amdhsa_next_free_sgpr 0
		.amdhsa_accum_offset 4
		.amdhsa_reserve_vcc 0
		.amdhsa_float_round_mode_32 0
		.amdhsa_float_round_mode_16_64 0
		.amdhsa_float_denorm_mode_32 3
		.amdhsa_float_denorm_mode_16_64 3
		.amdhsa_dx10_clamp 1
		.amdhsa_ieee_mode 1
		.amdhsa_fp16_overflow 0
		.amdhsa_tg_split 0
		.amdhsa_exception_fp_ieee_invalid_op 0
		.amdhsa_exception_fp_denorm_src 0
		.amdhsa_exception_fp_ieee_div_zero 0
		.amdhsa_exception_fp_ieee_overflow 0
		.amdhsa_exception_fp_ieee_underflow 0
		.amdhsa_exception_fp_ieee_inexact 0
		.amdhsa_exception_int_div_zero 0
	.end_amdhsa_kernel
	.section	.text._ZN7rocprim17ROCPRIM_400000_NS6detail17trampoline_kernelINS0_14default_configENS1_22reduce_config_selectorItEEZNS1_11reduce_implILb1ES3_PtS7_tN6thrust23THRUST_200600_302600_NS4plusItEEEE10hipError_tPvRmT1_T2_T3_mT4_P12ihipStream_tbEUlT_E0_NS1_11comp_targetILNS1_3genE4ELNS1_11target_archE910ELNS1_3gpuE8ELNS1_3repE0EEENS1_30default_config_static_selectorELNS0_4arch9wavefront6targetE1EEEvSF_,"axG",@progbits,_ZN7rocprim17ROCPRIM_400000_NS6detail17trampoline_kernelINS0_14default_configENS1_22reduce_config_selectorItEEZNS1_11reduce_implILb1ES3_PtS7_tN6thrust23THRUST_200600_302600_NS4plusItEEEE10hipError_tPvRmT1_T2_T3_mT4_P12ihipStream_tbEUlT_E0_NS1_11comp_targetILNS1_3genE4ELNS1_11target_archE910ELNS1_3gpuE8ELNS1_3repE0EEENS1_30default_config_static_selectorELNS0_4arch9wavefront6targetE1EEEvSF_,comdat
.Lfunc_end152:
	.size	_ZN7rocprim17ROCPRIM_400000_NS6detail17trampoline_kernelINS0_14default_configENS1_22reduce_config_selectorItEEZNS1_11reduce_implILb1ES3_PtS7_tN6thrust23THRUST_200600_302600_NS4plusItEEEE10hipError_tPvRmT1_T2_T3_mT4_P12ihipStream_tbEUlT_E0_NS1_11comp_targetILNS1_3genE4ELNS1_11target_archE910ELNS1_3gpuE8ELNS1_3repE0EEENS1_30default_config_static_selectorELNS0_4arch9wavefront6targetE1EEEvSF_, .Lfunc_end152-_ZN7rocprim17ROCPRIM_400000_NS6detail17trampoline_kernelINS0_14default_configENS1_22reduce_config_selectorItEEZNS1_11reduce_implILb1ES3_PtS7_tN6thrust23THRUST_200600_302600_NS4plusItEEEE10hipError_tPvRmT1_T2_T3_mT4_P12ihipStream_tbEUlT_E0_NS1_11comp_targetILNS1_3genE4ELNS1_11target_archE910ELNS1_3gpuE8ELNS1_3repE0EEENS1_30default_config_static_selectorELNS0_4arch9wavefront6targetE1EEEvSF_
                                        ; -- End function
	.set _ZN7rocprim17ROCPRIM_400000_NS6detail17trampoline_kernelINS0_14default_configENS1_22reduce_config_selectorItEEZNS1_11reduce_implILb1ES3_PtS7_tN6thrust23THRUST_200600_302600_NS4plusItEEEE10hipError_tPvRmT1_T2_T3_mT4_P12ihipStream_tbEUlT_E0_NS1_11comp_targetILNS1_3genE4ELNS1_11target_archE910ELNS1_3gpuE8ELNS1_3repE0EEENS1_30default_config_static_selectorELNS0_4arch9wavefront6targetE1EEEvSF_.num_vgpr, 0
	.set _ZN7rocprim17ROCPRIM_400000_NS6detail17trampoline_kernelINS0_14default_configENS1_22reduce_config_selectorItEEZNS1_11reduce_implILb1ES3_PtS7_tN6thrust23THRUST_200600_302600_NS4plusItEEEE10hipError_tPvRmT1_T2_T3_mT4_P12ihipStream_tbEUlT_E0_NS1_11comp_targetILNS1_3genE4ELNS1_11target_archE910ELNS1_3gpuE8ELNS1_3repE0EEENS1_30default_config_static_selectorELNS0_4arch9wavefront6targetE1EEEvSF_.num_agpr, 0
	.set _ZN7rocprim17ROCPRIM_400000_NS6detail17trampoline_kernelINS0_14default_configENS1_22reduce_config_selectorItEEZNS1_11reduce_implILb1ES3_PtS7_tN6thrust23THRUST_200600_302600_NS4plusItEEEE10hipError_tPvRmT1_T2_T3_mT4_P12ihipStream_tbEUlT_E0_NS1_11comp_targetILNS1_3genE4ELNS1_11target_archE910ELNS1_3gpuE8ELNS1_3repE0EEENS1_30default_config_static_selectorELNS0_4arch9wavefront6targetE1EEEvSF_.numbered_sgpr, 0
	.set _ZN7rocprim17ROCPRIM_400000_NS6detail17trampoline_kernelINS0_14default_configENS1_22reduce_config_selectorItEEZNS1_11reduce_implILb1ES3_PtS7_tN6thrust23THRUST_200600_302600_NS4plusItEEEE10hipError_tPvRmT1_T2_T3_mT4_P12ihipStream_tbEUlT_E0_NS1_11comp_targetILNS1_3genE4ELNS1_11target_archE910ELNS1_3gpuE8ELNS1_3repE0EEENS1_30default_config_static_selectorELNS0_4arch9wavefront6targetE1EEEvSF_.num_named_barrier, 0
	.set _ZN7rocprim17ROCPRIM_400000_NS6detail17trampoline_kernelINS0_14default_configENS1_22reduce_config_selectorItEEZNS1_11reduce_implILb1ES3_PtS7_tN6thrust23THRUST_200600_302600_NS4plusItEEEE10hipError_tPvRmT1_T2_T3_mT4_P12ihipStream_tbEUlT_E0_NS1_11comp_targetILNS1_3genE4ELNS1_11target_archE910ELNS1_3gpuE8ELNS1_3repE0EEENS1_30default_config_static_selectorELNS0_4arch9wavefront6targetE1EEEvSF_.private_seg_size, 0
	.set _ZN7rocprim17ROCPRIM_400000_NS6detail17trampoline_kernelINS0_14default_configENS1_22reduce_config_selectorItEEZNS1_11reduce_implILb1ES3_PtS7_tN6thrust23THRUST_200600_302600_NS4plusItEEEE10hipError_tPvRmT1_T2_T3_mT4_P12ihipStream_tbEUlT_E0_NS1_11comp_targetILNS1_3genE4ELNS1_11target_archE910ELNS1_3gpuE8ELNS1_3repE0EEENS1_30default_config_static_selectorELNS0_4arch9wavefront6targetE1EEEvSF_.uses_vcc, 0
	.set _ZN7rocprim17ROCPRIM_400000_NS6detail17trampoline_kernelINS0_14default_configENS1_22reduce_config_selectorItEEZNS1_11reduce_implILb1ES3_PtS7_tN6thrust23THRUST_200600_302600_NS4plusItEEEE10hipError_tPvRmT1_T2_T3_mT4_P12ihipStream_tbEUlT_E0_NS1_11comp_targetILNS1_3genE4ELNS1_11target_archE910ELNS1_3gpuE8ELNS1_3repE0EEENS1_30default_config_static_selectorELNS0_4arch9wavefront6targetE1EEEvSF_.uses_flat_scratch, 0
	.set _ZN7rocprim17ROCPRIM_400000_NS6detail17trampoline_kernelINS0_14default_configENS1_22reduce_config_selectorItEEZNS1_11reduce_implILb1ES3_PtS7_tN6thrust23THRUST_200600_302600_NS4plusItEEEE10hipError_tPvRmT1_T2_T3_mT4_P12ihipStream_tbEUlT_E0_NS1_11comp_targetILNS1_3genE4ELNS1_11target_archE910ELNS1_3gpuE8ELNS1_3repE0EEENS1_30default_config_static_selectorELNS0_4arch9wavefront6targetE1EEEvSF_.has_dyn_sized_stack, 0
	.set _ZN7rocprim17ROCPRIM_400000_NS6detail17trampoline_kernelINS0_14default_configENS1_22reduce_config_selectorItEEZNS1_11reduce_implILb1ES3_PtS7_tN6thrust23THRUST_200600_302600_NS4plusItEEEE10hipError_tPvRmT1_T2_T3_mT4_P12ihipStream_tbEUlT_E0_NS1_11comp_targetILNS1_3genE4ELNS1_11target_archE910ELNS1_3gpuE8ELNS1_3repE0EEENS1_30default_config_static_selectorELNS0_4arch9wavefront6targetE1EEEvSF_.has_recursion, 0
	.set _ZN7rocprim17ROCPRIM_400000_NS6detail17trampoline_kernelINS0_14default_configENS1_22reduce_config_selectorItEEZNS1_11reduce_implILb1ES3_PtS7_tN6thrust23THRUST_200600_302600_NS4plusItEEEE10hipError_tPvRmT1_T2_T3_mT4_P12ihipStream_tbEUlT_E0_NS1_11comp_targetILNS1_3genE4ELNS1_11target_archE910ELNS1_3gpuE8ELNS1_3repE0EEENS1_30default_config_static_selectorELNS0_4arch9wavefront6targetE1EEEvSF_.has_indirect_call, 0
	.section	.AMDGPU.csdata,"",@progbits
; Kernel info:
; codeLenInByte = 0
; TotalNumSgprs: 6
; NumVgprs: 0
; NumAgprs: 0
; TotalNumVgprs: 0
; ScratchSize: 0
; MemoryBound: 0
; FloatMode: 240
; IeeeMode: 1
; LDSByteSize: 0 bytes/workgroup (compile time only)
; SGPRBlocks: 0
; VGPRBlocks: 0
; NumSGPRsForWavesPerEU: 6
; NumVGPRsForWavesPerEU: 1
; AccumOffset: 4
; Occupancy: 8
; WaveLimiterHint : 0
; COMPUTE_PGM_RSRC2:SCRATCH_EN: 0
; COMPUTE_PGM_RSRC2:USER_SGPR: 2
; COMPUTE_PGM_RSRC2:TRAP_HANDLER: 0
; COMPUTE_PGM_RSRC2:TGID_X_EN: 1
; COMPUTE_PGM_RSRC2:TGID_Y_EN: 0
; COMPUTE_PGM_RSRC2:TGID_Z_EN: 0
; COMPUTE_PGM_RSRC2:TIDIG_COMP_CNT: 0
; COMPUTE_PGM_RSRC3_GFX90A:ACCUM_OFFSET: 0
; COMPUTE_PGM_RSRC3_GFX90A:TG_SPLIT: 0
	.section	.text._ZN7rocprim17ROCPRIM_400000_NS6detail17trampoline_kernelINS0_14default_configENS1_22reduce_config_selectorItEEZNS1_11reduce_implILb1ES3_PtS7_tN6thrust23THRUST_200600_302600_NS4plusItEEEE10hipError_tPvRmT1_T2_T3_mT4_P12ihipStream_tbEUlT_E0_NS1_11comp_targetILNS1_3genE3ELNS1_11target_archE908ELNS1_3gpuE7ELNS1_3repE0EEENS1_30default_config_static_selectorELNS0_4arch9wavefront6targetE1EEEvSF_,"axG",@progbits,_ZN7rocprim17ROCPRIM_400000_NS6detail17trampoline_kernelINS0_14default_configENS1_22reduce_config_selectorItEEZNS1_11reduce_implILb1ES3_PtS7_tN6thrust23THRUST_200600_302600_NS4plusItEEEE10hipError_tPvRmT1_T2_T3_mT4_P12ihipStream_tbEUlT_E0_NS1_11comp_targetILNS1_3genE3ELNS1_11target_archE908ELNS1_3gpuE7ELNS1_3repE0EEENS1_30default_config_static_selectorELNS0_4arch9wavefront6targetE1EEEvSF_,comdat
	.protected	_ZN7rocprim17ROCPRIM_400000_NS6detail17trampoline_kernelINS0_14default_configENS1_22reduce_config_selectorItEEZNS1_11reduce_implILb1ES3_PtS7_tN6thrust23THRUST_200600_302600_NS4plusItEEEE10hipError_tPvRmT1_T2_T3_mT4_P12ihipStream_tbEUlT_E0_NS1_11comp_targetILNS1_3genE3ELNS1_11target_archE908ELNS1_3gpuE7ELNS1_3repE0EEENS1_30default_config_static_selectorELNS0_4arch9wavefront6targetE1EEEvSF_ ; -- Begin function _ZN7rocprim17ROCPRIM_400000_NS6detail17trampoline_kernelINS0_14default_configENS1_22reduce_config_selectorItEEZNS1_11reduce_implILb1ES3_PtS7_tN6thrust23THRUST_200600_302600_NS4plusItEEEE10hipError_tPvRmT1_T2_T3_mT4_P12ihipStream_tbEUlT_E0_NS1_11comp_targetILNS1_3genE3ELNS1_11target_archE908ELNS1_3gpuE7ELNS1_3repE0EEENS1_30default_config_static_selectorELNS0_4arch9wavefront6targetE1EEEvSF_
	.globl	_ZN7rocprim17ROCPRIM_400000_NS6detail17trampoline_kernelINS0_14default_configENS1_22reduce_config_selectorItEEZNS1_11reduce_implILb1ES3_PtS7_tN6thrust23THRUST_200600_302600_NS4plusItEEEE10hipError_tPvRmT1_T2_T3_mT4_P12ihipStream_tbEUlT_E0_NS1_11comp_targetILNS1_3genE3ELNS1_11target_archE908ELNS1_3gpuE7ELNS1_3repE0EEENS1_30default_config_static_selectorELNS0_4arch9wavefront6targetE1EEEvSF_
	.p2align	8
	.type	_ZN7rocprim17ROCPRIM_400000_NS6detail17trampoline_kernelINS0_14default_configENS1_22reduce_config_selectorItEEZNS1_11reduce_implILb1ES3_PtS7_tN6thrust23THRUST_200600_302600_NS4plusItEEEE10hipError_tPvRmT1_T2_T3_mT4_P12ihipStream_tbEUlT_E0_NS1_11comp_targetILNS1_3genE3ELNS1_11target_archE908ELNS1_3gpuE7ELNS1_3repE0EEENS1_30default_config_static_selectorELNS0_4arch9wavefront6targetE1EEEvSF_,@function
_ZN7rocprim17ROCPRIM_400000_NS6detail17trampoline_kernelINS0_14default_configENS1_22reduce_config_selectorItEEZNS1_11reduce_implILb1ES3_PtS7_tN6thrust23THRUST_200600_302600_NS4plusItEEEE10hipError_tPvRmT1_T2_T3_mT4_P12ihipStream_tbEUlT_E0_NS1_11comp_targetILNS1_3genE3ELNS1_11target_archE908ELNS1_3gpuE7ELNS1_3repE0EEENS1_30default_config_static_selectorELNS0_4arch9wavefront6targetE1EEEvSF_: ; @_ZN7rocprim17ROCPRIM_400000_NS6detail17trampoline_kernelINS0_14default_configENS1_22reduce_config_selectorItEEZNS1_11reduce_implILb1ES3_PtS7_tN6thrust23THRUST_200600_302600_NS4plusItEEEE10hipError_tPvRmT1_T2_T3_mT4_P12ihipStream_tbEUlT_E0_NS1_11comp_targetILNS1_3genE3ELNS1_11target_archE908ELNS1_3gpuE7ELNS1_3repE0EEENS1_30default_config_static_selectorELNS0_4arch9wavefront6targetE1EEEvSF_
; %bb.0:
	.section	.rodata,"a",@progbits
	.p2align	6, 0x0
	.amdhsa_kernel _ZN7rocprim17ROCPRIM_400000_NS6detail17trampoline_kernelINS0_14default_configENS1_22reduce_config_selectorItEEZNS1_11reduce_implILb1ES3_PtS7_tN6thrust23THRUST_200600_302600_NS4plusItEEEE10hipError_tPvRmT1_T2_T3_mT4_P12ihipStream_tbEUlT_E0_NS1_11comp_targetILNS1_3genE3ELNS1_11target_archE908ELNS1_3gpuE7ELNS1_3repE0EEENS1_30default_config_static_selectorELNS0_4arch9wavefront6targetE1EEEvSF_
		.amdhsa_group_segment_fixed_size 0
		.amdhsa_private_segment_fixed_size 0
		.amdhsa_kernarg_size 56
		.amdhsa_user_sgpr_count 2
		.amdhsa_user_sgpr_dispatch_ptr 0
		.amdhsa_user_sgpr_queue_ptr 0
		.amdhsa_user_sgpr_kernarg_segment_ptr 1
		.amdhsa_user_sgpr_dispatch_id 0
		.amdhsa_user_sgpr_kernarg_preload_length 0
		.amdhsa_user_sgpr_kernarg_preload_offset 0
		.amdhsa_user_sgpr_private_segment_size 0
		.amdhsa_uses_dynamic_stack 0
		.amdhsa_enable_private_segment 0
		.amdhsa_system_sgpr_workgroup_id_x 1
		.amdhsa_system_sgpr_workgroup_id_y 0
		.amdhsa_system_sgpr_workgroup_id_z 0
		.amdhsa_system_sgpr_workgroup_info 0
		.amdhsa_system_vgpr_workitem_id 0
		.amdhsa_next_free_vgpr 1
		.amdhsa_next_free_sgpr 0
		.amdhsa_accum_offset 4
		.amdhsa_reserve_vcc 0
		.amdhsa_float_round_mode_32 0
		.amdhsa_float_round_mode_16_64 0
		.amdhsa_float_denorm_mode_32 3
		.amdhsa_float_denorm_mode_16_64 3
		.amdhsa_dx10_clamp 1
		.amdhsa_ieee_mode 1
		.amdhsa_fp16_overflow 0
		.amdhsa_tg_split 0
		.amdhsa_exception_fp_ieee_invalid_op 0
		.amdhsa_exception_fp_denorm_src 0
		.amdhsa_exception_fp_ieee_div_zero 0
		.amdhsa_exception_fp_ieee_overflow 0
		.amdhsa_exception_fp_ieee_underflow 0
		.amdhsa_exception_fp_ieee_inexact 0
		.amdhsa_exception_int_div_zero 0
	.end_amdhsa_kernel
	.section	.text._ZN7rocprim17ROCPRIM_400000_NS6detail17trampoline_kernelINS0_14default_configENS1_22reduce_config_selectorItEEZNS1_11reduce_implILb1ES3_PtS7_tN6thrust23THRUST_200600_302600_NS4plusItEEEE10hipError_tPvRmT1_T2_T3_mT4_P12ihipStream_tbEUlT_E0_NS1_11comp_targetILNS1_3genE3ELNS1_11target_archE908ELNS1_3gpuE7ELNS1_3repE0EEENS1_30default_config_static_selectorELNS0_4arch9wavefront6targetE1EEEvSF_,"axG",@progbits,_ZN7rocprim17ROCPRIM_400000_NS6detail17trampoline_kernelINS0_14default_configENS1_22reduce_config_selectorItEEZNS1_11reduce_implILb1ES3_PtS7_tN6thrust23THRUST_200600_302600_NS4plusItEEEE10hipError_tPvRmT1_T2_T3_mT4_P12ihipStream_tbEUlT_E0_NS1_11comp_targetILNS1_3genE3ELNS1_11target_archE908ELNS1_3gpuE7ELNS1_3repE0EEENS1_30default_config_static_selectorELNS0_4arch9wavefront6targetE1EEEvSF_,comdat
.Lfunc_end153:
	.size	_ZN7rocprim17ROCPRIM_400000_NS6detail17trampoline_kernelINS0_14default_configENS1_22reduce_config_selectorItEEZNS1_11reduce_implILb1ES3_PtS7_tN6thrust23THRUST_200600_302600_NS4plusItEEEE10hipError_tPvRmT1_T2_T3_mT4_P12ihipStream_tbEUlT_E0_NS1_11comp_targetILNS1_3genE3ELNS1_11target_archE908ELNS1_3gpuE7ELNS1_3repE0EEENS1_30default_config_static_selectorELNS0_4arch9wavefront6targetE1EEEvSF_, .Lfunc_end153-_ZN7rocprim17ROCPRIM_400000_NS6detail17trampoline_kernelINS0_14default_configENS1_22reduce_config_selectorItEEZNS1_11reduce_implILb1ES3_PtS7_tN6thrust23THRUST_200600_302600_NS4plusItEEEE10hipError_tPvRmT1_T2_T3_mT4_P12ihipStream_tbEUlT_E0_NS1_11comp_targetILNS1_3genE3ELNS1_11target_archE908ELNS1_3gpuE7ELNS1_3repE0EEENS1_30default_config_static_selectorELNS0_4arch9wavefront6targetE1EEEvSF_
                                        ; -- End function
	.set _ZN7rocprim17ROCPRIM_400000_NS6detail17trampoline_kernelINS0_14default_configENS1_22reduce_config_selectorItEEZNS1_11reduce_implILb1ES3_PtS7_tN6thrust23THRUST_200600_302600_NS4plusItEEEE10hipError_tPvRmT1_T2_T3_mT4_P12ihipStream_tbEUlT_E0_NS1_11comp_targetILNS1_3genE3ELNS1_11target_archE908ELNS1_3gpuE7ELNS1_3repE0EEENS1_30default_config_static_selectorELNS0_4arch9wavefront6targetE1EEEvSF_.num_vgpr, 0
	.set _ZN7rocprim17ROCPRIM_400000_NS6detail17trampoline_kernelINS0_14default_configENS1_22reduce_config_selectorItEEZNS1_11reduce_implILb1ES3_PtS7_tN6thrust23THRUST_200600_302600_NS4plusItEEEE10hipError_tPvRmT1_T2_T3_mT4_P12ihipStream_tbEUlT_E0_NS1_11comp_targetILNS1_3genE3ELNS1_11target_archE908ELNS1_3gpuE7ELNS1_3repE0EEENS1_30default_config_static_selectorELNS0_4arch9wavefront6targetE1EEEvSF_.num_agpr, 0
	.set _ZN7rocprim17ROCPRIM_400000_NS6detail17trampoline_kernelINS0_14default_configENS1_22reduce_config_selectorItEEZNS1_11reduce_implILb1ES3_PtS7_tN6thrust23THRUST_200600_302600_NS4plusItEEEE10hipError_tPvRmT1_T2_T3_mT4_P12ihipStream_tbEUlT_E0_NS1_11comp_targetILNS1_3genE3ELNS1_11target_archE908ELNS1_3gpuE7ELNS1_3repE0EEENS1_30default_config_static_selectorELNS0_4arch9wavefront6targetE1EEEvSF_.numbered_sgpr, 0
	.set _ZN7rocprim17ROCPRIM_400000_NS6detail17trampoline_kernelINS0_14default_configENS1_22reduce_config_selectorItEEZNS1_11reduce_implILb1ES3_PtS7_tN6thrust23THRUST_200600_302600_NS4plusItEEEE10hipError_tPvRmT1_T2_T3_mT4_P12ihipStream_tbEUlT_E0_NS1_11comp_targetILNS1_3genE3ELNS1_11target_archE908ELNS1_3gpuE7ELNS1_3repE0EEENS1_30default_config_static_selectorELNS0_4arch9wavefront6targetE1EEEvSF_.num_named_barrier, 0
	.set _ZN7rocprim17ROCPRIM_400000_NS6detail17trampoline_kernelINS0_14default_configENS1_22reduce_config_selectorItEEZNS1_11reduce_implILb1ES3_PtS7_tN6thrust23THRUST_200600_302600_NS4plusItEEEE10hipError_tPvRmT1_T2_T3_mT4_P12ihipStream_tbEUlT_E0_NS1_11comp_targetILNS1_3genE3ELNS1_11target_archE908ELNS1_3gpuE7ELNS1_3repE0EEENS1_30default_config_static_selectorELNS0_4arch9wavefront6targetE1EEEvSF_.private_seg_size, 0
	.set _ZN7rocprim17ROCPRIM_400000_NS6detail17trampoline_kernelINS0_14default_configENS1_22reduce_config_selectorItEEZNS1_11reduce_implILb1ES3_PtS7_tN6thrust23THRUST_200600_302600_NS4plusItEEEE10hipError_tPvRmT1_T2_T3_mT4_P12ihipStream_tbEUlT_E0_NS1_11comp_targetILNS1_3genE3ELNS1_11target_archE908ELNS1_3gpuE7ELNS1_3repE0EEENS1_30default_config_static_selectorELNS0_4arch9wavefront6targetE1EEEvSF_.uses_vcc, 0
	.set _ZN7rocprim17ROCPRIM_400000_NS6detail17trampoline_kernelINS0_14default_configENS1_22reduce_config_selectorItEEZNS1_11reduce_implILb1ES3_PtS7_tN6thrust23THRUST_200600_302600_NS4plusItEEEE10hipError_tPvRmT1_T2_T3_mT4_P12ihipStream_tbEUlT_E0_NS1_11comp_targetILNS1_3genE3ELNS1_11target_archE908ELNS1_3gpuE7ELNS1_3repE0EEENS1_30default_config_static_selectorELNS0_4arch9wavefront6targetE1EEEvSF_.uses_flat_scratch, 0
	.set _ZN7rocprim17ROCPRIM_400000_NS6detail17trampoline_kernelINS0_14default_configENS1_22reduce_config_selectorItEEZNS1_11reduce_implILb1ES3_PtS7_tN6thrust23THRUST_200600_302600_NS4plusItEEEE10hipError_tPvRmT1_T2_T3_mT4_P12ihipStream_tbEUlT_E0_NS1_11comp_targetILNS1_3genE3ELNS1_11target_archE908ELNS1_3gpuE7ELNS1_3repE0EEENS1_30default_config_static_selectorELNS0_4arch9wavefront6targetE1EEEvSF_.has_dyn_sized_stack, 0
	.set _ZN7rocprim17ROCPRIM_400000_NS6detail17trampoline_kernelINS0_14default_configENS1_22reduce_config_selectorItEEZNS1_11reduce_implILb1ES3_PtS7_tN6thrust23THRUST_200600_302600_NS4plusItEEEE10hipError_tPvRmT1_T2_T3_mT4_P12ihipStream_tbEUlT_E0_NS1_11comp_targetILNS1_3genE3ELNS1_11target_archE908ELNS1_3gpuE7ELNS1_3repE0EEENS1_30default_config_static_selectorELNS0_4arch9wavefront6targetE1EEEvSF_.has_recursion, 0
	.set _ZN7rocprim17ROCPRIM_400000_NS6detail17trampoline_kernelINS0_14default_configENS1_22reduce_config_selectorItEEZNS1_11reduce_implILb1ES3_PtS7_tN6thrust23THRUST_200600_302600_NS4plusItEEEE10hipError_tPvRmT1_T2_T3_mT4_P12ihipStream_tbEUlT_E0_NS1_11comp_targetILNS1_3genE3ELNS1_11target_archE908ELNS1_3gpuE7ELNS1_3repE0EEENS1_30default_config_static_selectorELNS0_4arch9wavefront6targetE1EEEvSF_.has_indirect_call, 0
	.section	.AMDGPU.csdata,"",@progbits
; Kernel info:
; codeLenInByte = 0
; TotalNumSgprs: 6
; NumVgprs: 0
; NumAgprs: 0
; TotalNumVgprs: 0
; ScratchSize: 0
; MemoryBound: 0
; FloatMode: 240
; IeeeMode: 1
; LDSByteSize: 0 bytes/workgroup (compile time only)
; SGPRBlocks: 0
; VGPRBlocks: 0
; NumSGPRsForWavesPerEU: 6
; NumVGPRsForWavesPerEU: 1
; AccumOffset: 4
; Occupancy: 8
; WaveLimiterHint : 0
; COMPUTE_PGM_RSRC2:SCRATCH_EN: 0
; COMPUTE_PGM_RSRC2:USER_SGPR: 2
; COMPUTE_PGM_RSRC2:TRAP_HANDLER: 0
; COMPUTE_PGM_RSRC2:TGID_X_EN: 1
; COMPUTE_PGM_RSRC2:TGID_Y_EN: 0
; COMPUTE_PGM_RSRC2:TGID_Z_EN: 0
; COMPUTE_PGM_RSRC2:TIDIG_COMP_CNT: 0
; COMPUTE_PGM_RSRC3_GFX90A:ACCUM_OFFSET: 0
; COMPUTE_PGM_RSRC3_GFX90A:TG_SPLIT: 0
	.section	.text._ZN7rocprim17ROCPRIM_400000_NS6detail17trampoline_kernelINS0_14default_configENS1_22reduce_config_selectorItEEZNS1_11reduce_implILb1ES3_PtS7_tN6thrust23THRUST_200600_302600_NS4plusItEEEE10hipError_tPvRmT1_T2_T3_mT4_P12ihipStream_tbEUlT_E0_NS1_11comp_targetILNS1_3genE2ELNS1_11target_archE906ELNS1_3gpuE6ELNS1_3repE0EEENS1_30default_config_static_selectorELNS0_4arch9wavefront6targetE1EEEvSF_,"axG",@progbits,_ZN7rocprim17ROCPRIM_400000_NS6detail17trampoline_kernelINS0_14default_configENS1_22reduce_config_selectorItEEZNS1_11reduce_implILb1ES3_PtS7_tN6thrust23THRUST_200600_302600_NS4plusItEEEE10hipError_tPvRmT1_T2_T3_mT4_P12ihipStream_tbEUlT_E0_NS1_11comp_targetILNS1_3genE2ELNS1_11target_archE906ELNS1_3gpuE6ELNS1_3repE0EEENS1_30default_config_static_selectorELNS0_4arch9wavefront6targetE1EEEvSF_,comdat
	.protected	_ZN7rocprim17ROCPRIM_400000_NS6detail17trampoline_kernelINS0_14default_configENS1_22reduce_config_selectorItEEZNS1_11reduce_implILb1ES3_PtS7_tN6thrust23THRUST_200600_302600_NS4plusItEEEE10hipError_tPvRmT1_T2_T3_mT4_P12ihipStream_tbEUlT_E0_NS1_11comp_targetILNS1_3genE2ELNS1_11target_archE906ELNS1_3gpuE6ELNS1_3repE0EEENS1_30default_config_static_selectorELNS0_4arch9wavefront6targetE1EEEvSF_ ; -- Begin function _ZN7rocprim17ROCPRIM_400000_NS6detail17trampoline_kernelINS0_14default_configENS1_22reduce_config_selectorItEEZNS1_11reduce_implILb1ES3_PtS7_tN6thrust23THRUST_200600_302600_NS4plusItEEEE10hipError_tPvRmT1_T2_T3_mT4_P12ihipStream_tbEUlT_E0_NS1_11comp_targetILNS1_3genE2ELNS1_11target_archE906ELNS1_3gpuE6ELNS1_3repE0EEENS1_30default_config_static_selectorELNS0_4arch9wavefront6targetE1EEEvSF_
	.globl	_ZN7rocprim17ROCPRIM_400000_NS6detail17trampoline_kernelINS0_14default_configENS1_22reduce_config_selectorItEEZNS1_11reduce_implILb1ES3_PtS7_tN6thrust23THRUST_200600_302600_NS4plusItEEEE10hipError_tPvRmT1_T2_T3_mT4_P12ihipStream_tbEUlT_E0_NS1_11comp_targetILNS1_3genE2ELNS1_11target_archE906ELNS1_3gpuE6ELNS1_3repE0EEENS1_30default_config_static_selectorELNS0_4arch9wavefront6targetE1EEEvSF_
	.p2align	8
	.type	_ZN7rocprim17ROCPRIM_400000_NS6detail17trampoline_kernelINS0_14default_configENS1_22reduce_config_selectorItEEZNS1_11reduce_implILb1ES3_PtS7_tN6thrust23THRUST_200600_302600_NS4plusItEEEE10hipError_tPvRmT1_T2_T3_mT4_P12ihipStream_tbEUlT_E0_NS1_11comp_targetILNS1_3genE2ELNS1_11target_archE906ELNS1_3gpuE6ELNS1_3repE0EEENS1_30default_config_static_selectorELNS0_4arch9wavefront6targetE1EEEvSF_,@function
_ZN7rocprim17ROCPRIM_400000_NS6detail17trampoline_kernelINS0_14default_configENS1_22reduce_config_selectorItEEZNS1_11reduce_implILb1ES3_PtS7_tN6thrust23THRUST_200600_302600_NS4plusItEEEE10hipError_tPvRmT1_T2_T3_mT4_P12ihipStream_tbEUlT_E0_NS1_11comp_targetILNS1_3genE2ELNS1_11target_archE906ELNS1_3gpuE6ELNS1_3repE0EEENS1_30default_config_static_selectorELNS0_4arch9wavefront6targetE1EEEvSF_: ; @_ZN7rocprim17ROCPRIM_400000_NS6detail17trampoline_kernelINS0_14default_configENS1_22reduce_config_selectorItEEZNS1_11reduce_implILb1ES3_PtS7_tN6thrust23THRUST_200600_302600_NS4plusItEEEE10hipError_tPvRmT1_T2_T3_mT4_P12ihipStream_tbEUlT_E0_NS1_11comp_targetILNS1_3genE2ELNS1_11target_archE906ELNS1_3gpuE6ELNS1_3repE0EEENS1_30default_config_static_selectorELNS0_4arch9wavefront6targetE1EEEvSF_
; %bb.0:
	.section	.rodata,"a",@progbits
	.p2align	6, 0x0
	.amdhsa_kernel _ZN7rocprim17ROCPRIM_400000_NS6detail17trampoline_kernelINS0_14default_configENS1_22reduce_config_selectorItEEZNS1_11reduce_implILb1ES3_PtS7_tN6thrust23THRUST_200600_302600_NS4plusItEEEE10hipError_tPvRmT1_T2_T3_mT4_P12ihipStream_tbEUlT_E0_NS1_11comp_targetILNS1_3genE2ELNS1_11target_archE906ELNS1_3gpuE6ELNS1_3repE0EEENS1_30default_config_static_selectorELNS0_4arch9wavefront6targetE1EEEvSF_
		.amdhsa_group_segment_fixed_size 0
		.amdhsa_private_segment_fixed_size 0
		.amdhsa_kernarg_size 56
		.amdhsa_user_sgpr_count 2
		.amdhsa_user_sgpr_dispatch_ptr 0
		.amdhsa_user_sgpr_queue_ptr 0
		.amdhsa_user_sgpr_kernarg_segment_ptr 1
		.amdhsa_user_sgpr_dispatch_id 0
		.amdhsa_user_sgpr_kernarg_preload_length 0
		.amdhsa_user_sgpr_kernarg_preload_offset 0
		.amdhsa_user_sgpr_private_segment_size 0
		.amdhsa_uses_dynamic_stack 0
		.amdhsa_enable_private_segment 0
		.amdhsa_system_sgpr_workgroup_id_x 1
		.amdhsa_system_sgpr_workgroup_id_y 0
		.amdhsa_system_sgpr_workgroup_id_z 0
		.amdhsa_system_sgpr_workgroup_info 0
		.amdhsa_system_vgpr_workitem_id 0
		.amdhsa_next_free_vgpr 1
		.amdhsa_next_free_sgpr 0
		.amdhsa_accum_offset 4
		.amdhsa_reserve_vcc 0
		.amdhsa_float_round_mode_32 0
		.amdhsa_float_round_mode_16_64 0
		.amdhsa_float_denorm_mode_32 3
		.amdhsa_float_denorm_mode_16_64 3
		.amdhsa_dx10_clamp 1
		.amdhsa_ieee_mode 1
		.amdhsa_fp16_overflow 0
		.amdhsa_tg_split 0
		.amdhsa_exception_fp_ieee_invalid_op 0
		.amdhsa_exception_fp_denorm_src 0
		.amdhsa_exception_fp_ieee_div_zero 0
		.amdhsa_exception_fp_ieee_overflow 0
		.amdhsa_exception_fp_ieee_underflow 0
		.amdhsa_exception_fp_ieee_inexact 0
		.amdhsa_exception_int_div_zero 0
	.end_amdhsa_kernel
	.section	.text._ZN7rocprim17ROCPRIM_400000_NS6detail17trampoline_kernelINS0_14default_configENS1_22reduce_config_selectorItEEZNS1_11reduce_implILb1ES3_PtS7_tN6thrust23THRUST_200600_302600_NS4plusItEEEE10hipError_tPvRmT1_T2_T3_mT4_P12ihipStream_tbEUlT_E0_NS1_11comp_targetILNS1_3genE2ELNS1_11target_archE906ELNS1_3gpuE6ELNS1_3repE0EEENS1_30default_config_static_selectorELNS0_4arch9wavefront6targetE1EEEvSF_,"axG",@progbits,_ZN7rocprim17ROCPRIM_400000_NS6detail17trampoline_kernelINS0_14default_configENS1_22reduce_config_selectorItEEZNS1_11reduce_implILb1ES3_PtS7_tN6thrust23THRUST_200600_302600_NS4plusItEEEE10hipError_tPvRmT1_T2_T3_mT4_P12ihipStream_tbEUlT_E0_NS1_11comp_targetILNS1_3genE2ELNS1_11target_archE906ELNS1_3gpuE6ELNS1_3repE0EEENS1_30default_config_static_selectorELNS0_4arch9wavefront6targetE1EEEvSF_,comdat
.Lfunc_end154:
	.size	_ZN7rocprim17ROCPRIM_400000_NS6detail17trampoline_kernelINS0_14default_configENS1_22reduce_config_selectorItEEZNS1_11reduce_implILb1ES3_PtS7_tN6thrust23THRUST_200600_302600_NS4plusItEEEE10hipError_tPvRmT1_T2_T3_mT4_P12ihipStream_tbEUlT_E0_NS1_11comp_targetILNS1_3genE2ELNS1_11target_archE906ELNS1_3gpuE6ELNS1_3repE0EEENS1_30default_config_static_selectorELNS0_4arch9wavefront6targetE1EEEvSF_, .Lfunc_end154-_ZN7rocprim17ROCPRIM_400000_NS6detail17trampoline_kernelINS0_14default_configENS1_22reduce_config_selectorItEEZNS1_11reduce_implILb1ES3_PtS7_tN6thrust23THRUST_200600_302600_NS4plusItEEEE10hipError_tPvRmT1_T2_T3_mT4_P12ihipStream_tbEUlT_E0_NS1_11comp_targetILNS1_3genE2ELNS1_11target_archE906ELNS1_3gpuE6ELNS1_3repE0EEENS1_30default_config_static_selectorELNS0_4arch9wavefront6targetE1EEEvSF_
                                        ; -- End function
	.set _ZN7rocprim17ROCPRIM_400000_NS6detail17trampoline_kernelINS0_14default_configENS1_22reduce_config_selectorItEEZNS1_11reduce_implILb1ES3_PtS7_tN6thrust23THRUST_200600_302600_NS4plusItEEEE10hipError_tPvRmT1_T2_T3_mT4_P12ihipStream_tbEUlT_E0_NS1_11comp_targetILNS1_3genE2ELNS1_11target_archE906ELNS1_3gpuE6ELNS1_3repE0EEENS1_30default_config_static_selectorELNS0_4arch9wavefront6targetE1EEEvSF_.num_vgpr, 0
	.set _ZN7rocprim17ROCPRIM_400000_NS6detail17trampoline_kernelINS0_14default_configENS1_22reduce_config_selectorItEEZNS1_11reduce_implILb1ES3_PtS7_tN6thrust23THRUST_200600_302600_NS4plusItEEEE10hipError_tPvRmT1_T2_T3_mT4_P12ihipStream_tbEUlT_E0_NS1_11comp_targetILNS1_3genE2ELNS1_11target_archE906ELNS1_3gpuE6ELNS1_3repE0EEENS1_30default_config_static_selectorELNS0_4arch9wavefront6targetE1EEEvSF_.num_agpr, 0
	.set _ZN7rocprim17ROCPRIM_400000_NS6detail17trampoline_kernelINS0_14default_configENS1_22reduce_config_selectorItEEZNS1_11reduce_implILb1ES3_PtS7_tN6thrust23THRUST_200600_302600_NS4plusItEEEE10hipError_tPvRmT1_T2_T3_mT4_P12ihipStream_tbEUlT_E0_NS1_11comp_targetILNS1_3genE2ELNS1_11target_archE906ELNS1_3gpuE6ELNS1_3repE0EEENS1_30default_config_static_selectorELNS0_4arch9wavefront6targetE1EEEvSF_.numbered_sgpr, 0
	.set _ZN7rocprim17ROCPRIM_400000_NS6detail17trampoline_kernelINS0_14default_configENS1_22reduce_config_selectorItEEZNS1_11reduce_implILb1ES3_PtS7_tN6thrust23THRUST_200600_302600_NS4plusItEEEE10hipError_tPvRmT1_T2_T3_mT4_P12ihipStream_tbEUlT_E0_NS1_11comp_targetILNS1_3genE2ELNS1_11target_archE906ELNS1_3gpuE6ELNS1_3repE0EEENS1_30default_config_static_selectorELNS0_4arch9wavefront6targetE1EEEvSF_.num_named_barrier, 0
	.set _ZN7rocprim17ROCPRIM_400000_NS6detail17trampoline_kernelINS0_14default_configENS1_22reduce_config_selectorItEEZNS1_11reduce_implILb1ES3_PtS7_tN6thrust23THRUST_200600_302600_NS4plusItEEEE10hipError_tPvRmT1_T2_T3_mT4_P12ihipStream_tbEUlT_E0_NS1_11comp_targetILNS1_3genE2ELNS1_11target_archE906ELNS1_3gpuE6ELNS1_3repE0EEENS1_30default_config_static_selectorELNS0_4arch9wavefront6targetE1EEEvSF_.private_seg_size, 0
	.set _ZN7rocprim17ROCPRIM_400000_NS6detail17trampoline_kernelINS0_14default_configENS1_22reduce_config_selectorItEEZNS1_11reduce_implILb1ES3_PtS7_tN6thrust23THRUST_200600_302600_NS4plusItEEEE10hipError_tPvRmT1_T2_T3_mT4_P12ihipStream_tbEUlT_E0_NS1_11comp_targetILNS1_3genE2ELNS1_11target_archE906ELNS1_3gpuE6ELNS1_3repE0EEENS1_30default_config_static_selectorELNS0_4arch9wavefront6targetE1EEEvSF_.uses_vcc, 0
	.set _ZN7rocprim17ROCPRIM_400000_NS6detail17trampoline_kernelINS0_14default_configENS1_22reduce_config_selectorItEEZNS1_11reduce_implILb1ES3_PtS7_tN6thrust23THRUST_200600_302600_NS4plusItEEEE10hipError_tPvRmT1_T2_T3_mT4_P12ihipStream_tbEUlT_E0_NS1_11comp_targetILNS1_3genE2ELNS1_11target_archE906ELNS1_3gpuE6ELNS1_3repE0EEENS1_30default_config_static_selectorELNS0_4arch9wavefront6targetE1EEEvSF_.uses_flat_scratch, 0
	.set _ZN7rocprim17ROCPRIM_400000_NS6detail17trampoline_kernelINS0_14default_configENS1_22reduce_config_selectorItEEZNS1_11reduce_implILb1ES3_PtS7_tN6thrust23THRUST_200600_302600_NS4plusItEEEE10hipError_tPvRmT1_T2_T3_mT4_P12ihipStream_tbEUlT_E0_NS1_11comp_targetILNS1_3genE2ELNS1_11target_archE906ELNS1_3gpuE6ELNS1_3repE0EEENS1_30default_config_static_selectorELNS0_4arch9wavefront6targetE1EEEvSF_.has_dyn_sized_stack, 0
	.set _ZN7rocprim17ROCPRIM_400000_NS6detail17trampoline_kernelINS0_14default_configENS1_22reduce_config_selectorItEEZNS1_11reduce_implILb1ES3_PtS7_tN6thrust23THRUST_200600_302600_NS4plusItEEEE10hipError_tPvRmT1_T2_T3_mT4_P12ihipStream_tbEUlT_E0_NS1_11comp_targetILNS1_3genE2ELNS1_11target_archE906ELNS1_3gpuE6ELNS1_3repE0EEENS1_30default_config_static_selectorELNS0_4arch9wavefront6targetE1EEEvSF_.has_recursion, 0
	.set _ZN7rocprim17ROCPRIM_400000_NS6detail17trampoline_kernelINS0_14default_configENS1_22reduce_config_selectorItEEZNS1_11reduce_implILb1ES3_PtS7_tN6thrust23THRUST_200600_302600_NS4plusItEEEE10hipError_tPvRmT1_T2_T3_mT4_P12ihipStream_tbEUlT_E0_NS1_11comp_targetILNS1_3genE2ELNS1_11target_archE906ELNS1_3gpuE6ELNS1_3repE0EEENS1_30default_config_static_selectorELNS0_4arch9wavefront6targetE1EEEvSF_.has_indirect_call, 0
	.section	.AMDGPU.csdata,"",@progbits
; Kernel info:
; codeLenInByte = 0
; TotalNumSgprs: 6
; NumVgprs: 0
; NumAgprs: 0
; TotalNumVgprs: 0
; ScratchSize: 0
; MemoryBound: 0
; FloatMode: 240
; IeeeMode: 1
; LDSByteSize: 0 bytes/workgroup (compile time only)
; SGPRBlocks: 0
; VGPRBlocks: 0
; NumSGPRsForWavesPerEU: 6
; NumVGPRsForWavesPerEU: 1
; AccumOffset: 4
; Occupancy: 8
; WaveLimiterHint : 0
; COMPUTE_PGM_RSRC2:SCRATCH_EN: 0
; COMPUTE_PGM_RSRC2:USER_SGPR: 2
; COMPUTE_PGM_RSRC2:TRAP_HANDLER: 0
; COMPUTE_PGM_RSRC2:TGID_X_EN: 1
; COMPUTE_PGM_RSRC2:TGID_Y_EN: 0
; COMPUTE_PGM_RSRC2:TGID_Z_EN: 0
; COMPUTE_PGM_RSRC2:TIDIG_COMP_CNT: 0
; COMPUTE_PGM_RSRC3_GFX90A:ACCUM_OFFSET: 0
; COMPUTE_PGM_RSRC3_GFX90A:TG_SPLIT: 0
	.section	.text._ZN7rocprim17ROCPRIM_400000_NS6detail17trampoline_kernelINS0_14default_configENS1_22reduce_config_selectorItEEZNS1_11reduce_implILb1ES3_PtS7_tN6thrust23THRUST_200600_302600_NS4plusItEEEE10hipError_tPvRmT1_T2_T3_mT4_P12ihipStream_tbEUlT_E0_NS1_11comp_targetILNS1_3genE10ELNS1_11target_archE1201ELNS1_3gpuE5ELNS1_3repE0EEENS1_30default_config_static_selectorELNS0_4arch9wavefront6targetE1EEEvSF_,"axG",@progbits,_ZN7rocprim17ROCPRIM_400000_NS6detail17trampoline_kernelINS0_14default_configENS1_22reduce_config_selectorItEEZNS1_11reduce_implILb1ES3_PtS7_tN6thrust23THRUST_200600_302600_NS4plusItEEEE10hipError_tPvRmT1_T2_T3_mT4_P12ihipStream_tbEUlT_E0_NS1_11comp_targetILNS1_3genE10ELNS1_11target_archE1201ELNS1_3gpuE5ELNS1_3repE0EEENS1_30default_config_static_selectorELNS0_4arch9wavefront6targetE1EEEvSF_,comdat
	.protected	_ZN7rocprim17ROCPRIM_400000_NS6detail17trampoline_kernelINS0_14default_configENS1_22reduce_config_selectorItEEZNS1_11reduce_implILb1ES3_PtS7_tN6thrust23THRUST_200600_302600_NS4plusItEEEE10hipError_tPvRmT1_T2_T3_mT4_P12ihipStream_tbEUlT_E0_NS1_11comp_targetILNS1_3genE10ELNS1_11target_archE1201ELNS1_3gpuE5ELNS1_3repE0EEENS1_30default_config_static_selectorELNS0_4arch9wavefront6targetE1EEEvSF_ ; -- Begin function _ZN7rocprim17ROCPRIM_400000_NS6detail17trampoline_kernelINS0_14default_configENS1_22reduce_config_selectorItEEZNS1_11reduce_implILb1ES3_PtS7_tN6thrust23THRUST_200600_302600_NS4plusItEEEE10hipError_tPvRmT1_T2_T3_mT4_P12ihipStream_tbEUlT_E0_NS1_11comp_targetILNS1_3genE10ELNS1_11target_archE1201ELNS1_3gpuE5ELNS1_3repE0EEENS1_30default_config_static_selectorELNS0_4arch9wavefront6targetE1EEEvSF_
	.globl	_ZN7rocprim17ROCPRIM_400000_NS6detail17trampoline_kernelINS0_14default_configENS1_22reduce_config_selectorItEEZNS1_11reduce_implILb1ES3_PtS7_tN6thrust23THRUST_200600_302600_NS4plusItEEEE10hipError_tPvRmT1_T2_T3_mT4_P12ihipStream_tbEUlT_E0_NS1_11comp_targetILNS1_3genE10ELNS1_11target_archE1201ELNS1_3gpuE5ELNS1_3repE0EEENS1_30default_config_static_selectorELNS0_4arch9wavefront6targetE1EEEvSF_
	.p2align	8
	.type	_ZN7rocprim17ROCPRIM_400000_NS6detail17trampoline_kernelINS0_14default_configENS1_22reduce_config_selectorItEEZNS1_11reduce_implILb1ES3_PtS7_tN6thrust23THRUST_200600_302600_NS4plusItEEEE10hipError_tPvRmT1_T2_T3_mT4_P12ihipStream_tbEUlT_E0_NS1_11comp_targetILNS1_3genE10ELNS1_11target_archE1201ELNS1_3gpuE5ELNS1_3repE0EEENS1_30default_config_static_selectorELNS0_4arch9wavefront6targetE1EEEvSF_,@function
_ZN7rocprim17ROCPRIM_400000_NS6detail17trampoline_kernelINS0_14default_configENS1_22reduce_config_selectorItEEZNS1_11reduce_implILb1ES3_PtS7_tN6thrust23THRUST_200600_302600_NS4plusItEEEE10hipError_tPvRmT1_T2_T3_mT4_P12ihipStream_tbEUlT_E0_NS1_11comp_targetILNS1_3genE10ELNS1_11target_archE1201ELNS1_3gpuE5ELNS1_3repE0EEENS1_30default_config_static_selectorELNS0_4arch9wavefront6targetE1EEEvSF_: ; @_ZN7rocprim17ROCPRIM_400000_NS6detail17trampoline_kernelINS0_14default_configENS1_22reduce_config_selectorItEEZNS1_11reduce_implILb1ES3_PtS7_tN6thrust23THRUST_200600_302600_NS4plusItEEEE10hipError_tPvRmT1_T2_T3_mT4_P12ihipStream_tbEUlT_E0_NS1_11comp_targetILNS1_3genE10ELNS1_11target_archE1201ELNS1_3gpuE5ELNS1_3repE0EEENS1_30default_config_static_selectorELNS0_4arch9wavefront6targetE1EEEvSF_
; %bb.0:
	.section	.rodata,"a",@progbits
	.p2align	6, 0x0
	.amdhsa_kernel _ZN7rocprim17ROCPRIM_400000_NS6detail17trampoline_kernelINS0_14default_configENS1_22reduce_config_selectorItEEZNS1_11reduce_implILb1ES3_PtS7_tN6thrust23THRUST_200600_302600_NS4plusItEEEE10hipError_tPvRmT1_T2_T3_mT4_P12ihipStream_tbEUlT_E0_NS1_11comp_targetILNS1_3genE10ELNS1_11target_archE1201ELNS1_3gpuE5ELNS1_3repE0EEENS1_30default_config_static_selectorELNS0_4arch9wavefront6targetE1EEEvSF_
		.amdhsa_group_segment_fixed_size 0
		.amdhsa_private_segment_fixed_size 0
		.amdhsa_kernarg_size 56
		.amdhsa_user_sgpr_count 2
		.amdhsa_user_sgpr_dispatch_ptr 0
		.amdhsa_user_sgpr_queue_ptr 0
		.amdhsa_user_sgpr_kernarg_segment_ptr 1
		.amdhsa_user_sgpr_dispatch_id 0
		.amdhsa_user_sgpr_kernarg_preload_length 0
		.amdhsa_user_sgpr_kernarg_preload_offset 0
		.amdhsa_user_sgpr_private_segment_size 0
		.amdhsa_uses_dynamic_stack 0
		.amdhsa_enable_private_segment 0
		.amdhsa_system_sgpr_workgroup_id_x 1
		.amdhsa_system_sgpr_workgroup_id_y 0
		.amdhsa_system_sgpr_workgroup_id_z 0
		.amdhsa_system_sgpr_workgroup_info 0
		.amdhsa_system_vgpr_workitem_id 0
		.amdhsa_next_free_vgpr 1
		.amdhsa_next_free_sgpr 0
		.amdhsa_accum_offset 4
		.amdhsa_reserve_vcc 0
		.amdhsa_float_round_mode_32 0
		.amdhsa_float_round_mode_16_64 0
		.amdhsa_float_denorm_mode_32 3
		.amdhsa_float_denorm_mode_16_64 3
		.amdhsa_dx10_clamp 1
		.amdhsa_ieee_mode 1
		.amdhsa_fp16_overflow 0
		.amdhsa_tg_split 0
		.amdhsa_exception_fp_ieee_invalid_op 0
		.amdhsa_exception_fp_denorm_src 0
		.amdhsa_exception_fp_ieee_div_zero 0
		.amdhsa_exception_fp_ieee_overflow 0
		.amdhsa_exception_fp_ieee_underflow 0
		.amdhsa_exception_fp_ieee_inexact 0
		.amdhsa_exception_int_div_zero 0
	.end_amdhsa_kernel
	.section	.text._ZN7rocprim17ROCPRIM_400000_NS6detail17trampoline_kernelINS0_14default_configENS1_22reduce_config_selectorItEEZNS1_11reduce_implILb1ES3_PtS7_tN6thrust23THRUST_200600_302600_NS4plusItEEEE10hipError_tPvRmT1_T2_T3_mT4_P12ihipStream_tbEUlT_E0_NS1_11comp_targetILNS1_3genE10ELNS1_11target_archE1201ELNS1_3gpuE5ELNS1_3repE0EEENS1_30default_config_static_selectorELNS0_4arch9wavefront6targetE1EEEvSF_,"axG",@progbits,_ZN7rocprim17ROCPRIM_400000_NS6detail17trampoline_kernelINS0_14default_configENS1_22reduce_config_selectorItEEZNS1_11reduce_implILb1ES3_PtS7_tN6thrust23THRUST_200600_302600_NS4plusItEEEE10hipError_tPvRmT1_T2_T3_mT4_P12ihipStream_tbEUlT_E0_NS1_11comp_targetILNS1_3genE10ELNS1_11target_archE1201ELNS1_3gpuE5ELNS1_3repE0EEENS1_30default_config_static_selectorELNS0_4arch9wavefront6targetE1EEEvSF_,comdat
.Lfunc_end155:
	.size	_ZN7rocprim17ROCPRIM_400000_NS6detail17trampoline_kernelINS0_14default_configENS1_22reduce_config_selectorItEEZNS1_11reduce_implILb1ES3_PtS7_tN6thrust23THRUST_200600_302600_NS4plusItEEEE10hipError_tPvRmT1_T2_T3_mT4_P12ihipStream_tbEUlT_E0_NS1_11comp_targetILNS1_3genE10ELNS1_11target_archE1201ELNS1_3gpuE5ELNS1_3repE0EEENS1_30default_config_static_selectorELNS0_4arch9wavefront6targetE1EEEvSF_, .Lfunc_end155-_ZN7rocprim17ROCPRIM_400000_NS6detail17trampoline_kernelINS0_14default_configENS1_22reduce_config_selectorItEEZNS1_11reduce_implILb1ES3_PtS7_tN6thrust23THRUST_200600_302600_NS4plusItEEEE10hipError_tPvRmT1_T2_T3_mT4_P12ihipStream_tbEUlT_E0_NS1_11comp_targetILNS1_3genE10ELNS1_11target_archE1201ELNS1_3gpuE5ELNS1_3repE0EEENS1_30default_config_static_selectorELNS0_4arch9wavefront6targetE1EEEvSF_
                                        ; -- End function
	.set _ZN7rocprim17ROCPRIM_400000_NS6detail17trampoline_kernelINS0_14default_configENS1_22reduce_config_selectorItEEZNS1_11reduce_implILb1ES3_PtS7_tN6thrust23THRUST_200600_302600_NS4plusItEEEE10hipError_tPvRmT1_T2_T3_mT4_P12ihipStream_tbEUlT_E0_NS1_11comp_targetILNS1_3genE10ELNS1_11target_archE1201ELNS1_3gpuE5ELNS1_3repE0EEENS1_30default_config_static_selectorELNS0_4arch9wavefront6targetE1EEEvSF_.num_vgpr, 0
	.set _ZN7rocprim17ROCPRIM_400000_NS6detail17trampoline_kernelINS0_14default_configENS1_22reduce_config_selectorItEEZNS1_11reduce_implILb1ES3_PtS7_tN6thrust23THRUST_200600_302600_NS4plusItEEEE10hipError_tPvRmT1_T2_T3_mT4_P12ihipStream_tbEUlT_E0_NS1_11comp_targetILNS1_3genE10ELNS1_11target_archE1201ELNS1_3gpuE5ELNS1_3repE0EEENS1_30default_config_static_selectorELNS0_4arch9wavefront6targetE1EEEvSF_.num_agpr, 0
	.set _ZN7rocprim17ROCPRIM_400000_NS6detail17trampoline_kernelINS0_14default_configENS1_22reduce_config_selectorItEEZNS1_11reduce_implILb1ES3_PtS7_tN6thrust23THRUST_200600_302600_NS4plusItEEEE10hipError_tPvRmT1_T2_T3_mT4_P12ihipStream_tbEUlT_E0_NS1_11comp_targetILNS1_3genE10ELNS1_11target_archE1201ELNS1_3gpuE5ELNS1_3repE0EEENS1_30default_config_static_selectorELNS0_4arch9wavefront6targetE1EEEvSF_.numbered_sgpr, 0
	.set _ZN7rocprim17ROCPRIM_400000_NS6detail17trampoline_kernelINS0_14default_configENS1_22reduce_config_selectorItEEZNS1_11reduce_implILb1ES3_PtS7_tN6thrust23THRUST_200600_302600_NS4plusItEEEE10hipError_tPvRmT1_T2_T3_mT4_P12ihipStream_tbEUlT_E0_NS1_11comp_targetILNS1_3genE10ELNS1_11target_archE1201ELNS1_3gpuE5ELNS1_3repE0EEENS1_30default_config_static_selectorELNS0_4arch9wavefront6targetE1EEEvSF_.num_named_barrier, 0
	.set _ZN7rocprim17ROCPRIM_400000_NS6detail17trampoline_kernelINS0_14default_configENS1_22reduce_config_selectorItEEZNS1_11reduce_implILb1ES3_PtS7_tN6thrust23THRUST_200600_302600_NS4plusItEEEE10hipError_tPvRmT1_T2_T3_mT4_P12ihipStream_tbEUlT_E0_NS1_11comp_targetILNS1_3genE10ELNS1_11target_archE1201ELNS1_3gpuE5ELNS1_3repE0EEENS1_30default_config_static_selectorELNS0_4arch9wavefront6targetE1EEEvSF_.private_seg_size, 0
	.set _ZN7rocprim17ROCPRIM_400000_NS6detail17trampoline_kernelINS0_14default_configENS1_22reduce_config_selectorItEEZNS1_11reduce_implILb1ES3_PtS7_tN6thrust23THRUST_200600_302600_NS4plusItEEEE10hipError_tPvRmT1_T2_T3_mT4_P12ihipStream_tbEUlT_E0_NS1_11comp_targetILNS1_3genE10ELNS1_11target_archE1201ELNS1_3gpuE5ELNS1_3repE0EEENS1_30default_config_static_selectorELNS0_4arch9wavefront6targetE1EEEvSF_.uses_vcc, 0
	.set _ZN7rocprim17ROCPRIM_400000_NS6detail17trampoline_kernelINS0_14default_configENS1_22reduce_config_selectorItEEZNS1_11reduce_implILb1ES3_PtS7_tN6thrust23THRUST_200600_302600_NS4plusItEEEE10hipError_tPvRmT1_T2_T3_mT4_P12ihipStream_tbEUlT_E0_NS1_11comp_targetILNS1_3genE10ELNS1_11target_archE1201ELNS1_3gpuE5ELNS1_3repE0EEENS1_30default_config_static_selectorELNS0_4arch9wavefront6targetE1EEEvSF_.uses_flat_scratch, 0
	.set _ZN7rocprim17ROCPRIM_400000_NS6detail17trampoline_kernelINS0_14default_configENS1_22reduce_config_selectorItEEZNS1_11reduce_implILb1ES3_PtS7_tN6thrust23THRUST_200600_302600_NS4plusItEEEE10hipError_tPvRmT1_T2_T3_mT4_P12ihipStream_tbEUlT_E0_NS1_11comp_targetILNS1_3genE10ELNS1_11target_archE1201ELNS1_3gpuE5ELNS1_3repE0EEENS1_30default_config_static_selectorELNS0_4arch9wavefront6targetE1EEEvSF_.has_dyn_sized_stack, 0
	.set _ZN7rocprim17ROCPRIM_400000_NS6detail17trampoline_kernelINS0_14default_configENS1_22reduce_config_selectorItEEZNS1_11reduce_implILb1ES3_PtS7_tN6thrust23THRUST_200600_302600_NS4plusItEEEE10hipError_tPvRmT1_T2_T3_mT4_P12ihipStream_tbEUlT_E0_NS1_11comp_targetILNS1_3genE10ELNS1_11target_archE1201ELNS1_3gpuE5ELNS1_3repE0EEENS1_30default_config_static_selectorELNS0_4arch9wavefront6targetE1EEEvSF_.has_recursion, 0
	.set _ZN7rocprim17ROCPRIM_400000_NS6detail17trampoline_kernelINS0_14default_configENS1_22reduce_config_selectorItEEZNS1_11reduce_implILb1ES3_PtS7_tN6thrust23THRUST_200600_302600_NS4plusItEEEE10hipError_tPvRmT1_T2_T3_mT4_P12ihipStream_tbEUlT_E0_NS1_11comp_targetILNS1_3genE10ELNS1_11target_archE1201ELNS1_3gpuE5ELNS1_3repE0EEENS1_30default_config_static_selectorELNS0_4arch9wavefront6targetE1EEEvSF_.has_indirect_call, 0
	.section	.AMDGPU.csdata,"",@progbits
; Kernel info:
; codeLenInByte = 0
; TotalNumSgprs: 6
; NumVgprs: 0
; NumAgprs: 0
; TotalNumVgprs: 0
; ScratchSize: 0
; MemoryBound: 0
; FloatMode: 240
; IeeeMode: 1
; LDSByteSize: 0 bytes/workgroup (compile time only)
; SGPRBlocks: 0
; VGPRBlocks: 0
; NumSGPRsForWavesPerEU: 6
; NumVGPRsForWavesPerEU: 1
; AccumOffset: 4
; Occupancy: 8
; WaveLimiterHint : 0
; COMPUTE_PGM_RSRC2:SCRATCH_EN: 0
; COMPUTE_PGM_RSRC2:USER_SGPR: 2
; COMPUTE_PGM_RSRC2:TRAP_HANDLER: 0
; COMPUTE_PGM_RSRC2:TGID_X_EN: 1
; COMPUTE_PGM_RSRC2:TGID_Y_EN: 0
; COMPUTE_PGM_RSRC2:TGID_Z_EN: 0
; COMPUTE_PGM_RSRC2:TIDIG_COMP_CNT: 0
; COMPUTE_PGM_RSRC3_GFX90A:ACCUM_OFFSET: 0
; COMPUTE_PGM_RSRC3_GFX90A:TG_SPLIT: 0
	.section	.text._ZN7rocprim17ROCPRIM_400000_NS6detail17trampoline_kernelINS0_14default_configENS1_22reduce_config_selectorItEEZNS1_11reduce_implILb1ES3_PtS7_tN6thrust23THRUST_200600_302600_NS4plusItEEEE10hipError_tPvRmT1_T2_T3_mT4_P12ihipStream_tbEUlT_E0_NS1_11comp_targetILNS1_3genE10ELNS1_11target_archE1200ELNS1_3gpuE4ELNS1_3repE0EEENS1_30default_config_static_selectorELNS0_4arch9wavefront6targetE1EEEvSF_,"axG",@progbits,_ZN7rocprim17ROCPRIM_400000_NS6detail17trampoline_kernelINS0_14default_configENS1_22reduce_config_selectorItEEZNS1_11reduce_implILb1ES3_PtS7_tN6thrust23THRUST_200600_302600_NS4plusItEEEE10hipError_tPvRmT1_T2_T3_mT4_P12ihipStream_tbEUlT_E0_NS1_11comp_targetILNS1_3genE10ELNS1_11target_archE1200ELNS1_3gpuE4ELNS1_3repE0EEENS1_30default_config_static_selectorELNS0_4arch9wavefront6targetE1EEEvSF_,comdat
	.protected	_ZN7rocprim17ROCPRIM_400000_NS6detail17trampoline_kernelINS0_14default_configENS1_22reduce_config_selectorItEEZNS1_11reduce_implILb1ES3_PtS7_tN6thrust23THRUST_200600_302600_NS4plusItEEEE10hipError_tPvRmT1_T2_T3_mT4_P12ihipStream_tbEUlT_E0_NS1_11comp_targetILNS1_3genE10ELNS1_11target_archE1200ELNS1_3gpuE4ELNS1_3repE0EEENS1_30default_config_static_selectorELNS0_4arch9wavefront6targetE1EEEvSF_ ; -- Begin function _ZN7rocprim17ROCPRIM_400000_NS6detail17trampoline_kernelINS0_14default_configENS1_22reduce_config_selectorItEEZNS1_11reduce_implILb1ES3_PtS7_tN6thrust23THRUST_200600_302600_NS4plusItEEEE10hipError_tPvRmT1_T2_T3_mT4_P12ihipStream_tbEUlT_E0_NS1_11comp_targetILNS1_3genE10ELNS1_11target_archE1200ELNS1_3gpuE4ELNS1_3repE0EEENS1_30default_config_static_selectorELNS0_4arch9wavefront6targetE1EEEvSF_
	.globl	_ZN7rocprim17ROCPRIM_400000_NS6detail17trampoline_kernelINS0_14default_configENS1_22reduce_config_selectorItEEZNS1_11reduce_implILb1ES3_PtS7_tN6thrust23THRUST_200600_302600_NS4plusItEEEE10hipError_tPvRmT1_T2_T3_mT4_P12ihipStream_tbEUlT_E0_NS1_11comp_targetILNS1_3genE10ELNS1_11target_archE1200ELNS1_3gpuE4ELNS1_3repE0EEENS1_30default_config_static_selectorELNS0_4arch9wavefront6targetE1EEEvSF_
	.p2align	8
	.type	_ZN7rocprim17ROCPRIM_400000_NS6detail17trampoline_kernelINS0_14default_configENS1_22reduce_config_selectorItEEZNS1_11reduce_implILb1ES3_PtS7_tN6thrust23THRUST_200600_302600_NS4plusItEEEE10hipError_tPvRmT1_T2_T3_mT4_P12ihipStream_tbEUlT_E0_NS1_11comp_targetILNS1_3genE10ELNS1_11target_archE1200ELNS1_3gpuE4ELNS1_3repE0EEENS1_30default_config_static_selectorELNS0_4arch9wavefront6targetE1EEEvSF_,@function
_ZN7rocprim17ROCPRIM_400000_NS6detail17trampoline_kernelINS0_14default_configENS1_22reduce_config_selectorItEEZNS1_11reduce_implILb1ES3_PtS7_tN6thrust23THRUST_200600_302600_NS4plusItEEEE10hipError_tPvRmT1_T2_T3_mT4_P12ihipStream_tbEUlT_E0_NS1_11comp_targetILNS1_3genE10ELNS1_11target_archE1200ELNS1_3gpuE4ELNS1_3repE0EEENS1_30default_config_static_selectorELNS0_4arch9wavefront6targetE1EEEvSF_: ; @_ZN7rocprim17ROCPRIM_400000_NS6detail17trampoline_kernelINS0_14default_configENS1_22reduce_config_selectorItEEZNS1_11reduce_implILb1ES3_PtS7_tN6thrust23THRUST_200600_302600_NS4plusItEEEE10hipError_tPvRmT1_T2_T3_mT4_P12ihipStream_tbEUlT_E0_NS1_11comp_targetILNS1_3genE10ELNS1_11target_archE1200ELNS1_3gpuE4ELNS1_3repE0EEENS1_30default_config_static_selectorELNS0_4arch9wavefront6targetE1EEEvSF_
; %bb.0:
	.section	.rodata,"a",@progbits
	.p2align	6, 0x0
	.amdhsa_kernel _ZN7rocprim17ROCPRIM_400000_NS6detail17trampoline_kernelINS0_14default_configENS1_22reduce_config_selectorItEEZNS1_11reduce_implILb1ES3_PtS7_tN6thrust23THRUST_200600_302600_NS4plusItEEEE10hipError_tPvRmT1_T2_T3_mT4_P12ihipStream_tbEUlT_E0_NS1_11comp_targetILNS1_3genE10ELNS1_11target_archE1200ELNS1_3gpuE4ELNS1_3repE0EEENS1_30default_config_static_selectorELNS0_4arch9wavefront6targetE1EEEvSF_
		.amdhsa_group_segment_fixed_size 0
		.amdhsa_private_segment_fixed_size 0
		.amdhsa_kernarg_size 56
		.amdhsa_user_sgpr_count 2
		.amdhsa_user_sgpr_dispatch_ptr 0
		.amdhsa_user_sgpr_queue_ptr 0
		.amdhsa_user_sgpr_kernarg_segment_ptr 1
		.amdhsa_user_sgpr_dispatch_id 0
		.amdhsa_user_sgpr_kernarg_preload_length 0
		.amdhsa_user_sgpr_kernarg_preload_offset 0
		.amdhsa_user_sgpr_private_segment_size 0
		.amdhsa_uses_dynamic_stack 0
		.amdhsa_enable_private_segment 0
		.amdhsa_system_sgpr_workgroup_id_x 1
		.amdhsa_system_sgpr_workgroup_id_y 0
		.amdhsa_system_sgpr_workgroup_id_z 0
		.amdhsa_system_sgpr_workgroup_info 0
		.amdhsa_system_vgpr_workitem_id 0
		.amdhsa_next_free_vgpr 1
		.amdhsa_next_free_sgpr 0
		.amdhsa_accum_offset 4
		.amdhsa_reserve_vcc 0
		.amdhsa_float_round_mode_32 0
		.amdhsa_float_round_mode_16_64 0
		.amdhsa_float_denorm_mode_32 3
		.amdhsa_float_denorm_mode_16_64 3
		.amdhsa_dx10_clamp 1
		.amdhsa_ieee_mode 1
		.amdhsa_fp16_overflow 0
		.amdhsa_tg_split 0
		.amdhsa_exception_fp_ieee_invalid_op 0
		.amdhsa_exception_fp_denorm_src 0
		.amdhsa_exception_fp_ieee_div_zero 0
		.amdhsa_exception_fp_ieee_overflow 0
		.amdhsa_exception_fp_ieee_underflow 0
		.amdhsa_exception_fp_ieee_inexact 0
		.amdhsa_exception_int_div_zero 0
	.end_amdhsa_kernel
	.section	.text._ZN7rocprim17ROCPRIM_400000_NS6detail17trampoline_kernelINS0_14default_configENS1_22reduce_config_selectorItEEZNS1_11reduce_implILb1ES3_PtS7_tN6thrust23THRUST_200600_302600_NS4plusItEEEE10hipError_tPvRmT1_T2_T3_mT4_P12ihipStream_tbEUlT_E0_NS1_11comp_targetILNS1_3genE10ELNS1_11target_archE1200ELNS1_3gpuE4ELNS1_3repE0EEENS1_30default_config_static_selectorELNS0_4arch9wavefront6targetE1EEEvSF_,"axG",@progbits,_ZN7rocprim17ROCPRIM_400000_NS6detail17trampoline_kernelINS0_14default_configENS1_22reduce_config_selectorItEEZNS1_11reduce_implILb1ES3_PtS7_tN6thrust23THRUST_200600_302600_NS4plusItEEEE10hipError_tPvRmT1_T2_T3_mT4_P12ihipStream_tbEUlT_E0_NS1_11comp_targetILNS1_3genE10ELNS1_11target_archE1200ELNS1_3gpuE4ELNS1_3repE0EEENS1_30default_config_static_selectorELNS0_4arch9wavefront6targetE1EEEvSF_,comdat
.Lfunc_end156:
	.size	_ZN7rocprim17ROCPRIM_400000_NS6detail17trampoline_kernelINS0_14default_configENS1_22reduce_config_selectorItEEZNS1_11reduce_implILb1ES3_PtS7_tN6thrust23THRUST_200600_302600_NS4plusItEEEE10hipError_tPvRmT1_T2_T3_mT4_P12ihipStream_tbEUlT_E0_NS1_11comp_targetILNS1_3genE10ELNS1_11target_archE1200ELNS1_3gpuE4ELNS1_3repE0EEENS1_30default_config_static_selectorELNS0_4arch9wavefront6targetE1EEEvSF_, .Lfunc_end156-_ZN7rocprim17ROCPRIM_400000_NS6detail17trampoline_kernelINS0_14default_configENS1_22reduce_config_selectorItEEZNS1_11reduce_implILb1ES3_PtS7_tN6thrust23THRUST_200600_302600_NS4plusItEEEE10hipError_tPvRmT1_T2_T3_mT4_P12ihipStream_tbEUlT_E0_NS1_11comp_targetILNS1_3genE10ELNS1_11target_archE1200ELNS1_3gpuE4ELNS1_3repE0EEENS1_30default_config_static_selectorELNS0_4arch9wavefront6targetE1EEEvSF_
                                        ; -- End function
	.set _ZN7rocprim17ROCPRIM_400000_NS6detail17trampoline_kernelINS0_14default_configENS1_22reduce_config_selectorItEEZNS1_11reduce_implILb1ES3_PtS7_tN6thrust23THRUST_200600_302600_NS4plusItEEEE10hipError_tPvRmT1_T2_T3_mT4_P12ihipStream_tbEUlT_E0_NS1_11comp_targetILNS1_3genE10ELNS1_11target_archE1200ELNS1_3gpuE4ELNS1_3repE0EEENS1_30default_config_static_selectorELNS0_4arch9wavefront6targetE1EEEvSF_.num_vgpr, 0
	.set _ZN7rocprim17ROCPRIM_400000_NS6detail17trampoline_kernelINS0_14default_configENS1_22reduce_config_selectorItEEZNS1_11reduce_implILb1ES3_PtS7_tN6thrust23THRUST_200600_302600_NS4plusItEEEE10hipError_tPvRmT1_T2_T3_mT4_P12ihipStream_tbEUlT_E0_NS1_11comp_targetILNS1_3genE10ELNS1_11target_archE1200ELNS1_3gpuE4ELNS1_3repE0EEENS1_30default_config_static_selectorELNS0_4arch9wavefront6targetE1EEEvSF_.num_agpr, 0
	.set _ZN7rocprim17ROCPRIM_400000_NS6detail17trampoline_kernelINS0_14default_configENS1_22reduce_config_selectorItEEZNS1_11reduce_implILb1ES3_PtS7_tN6thrust23THRUST_200600_302600_NS4plusItEEEE10hipError_tPvRmT1_T2_T3_mT4_P12ihipStream_tbEUlT_E0_NS1_11comp_targetILNS1_3genE10ELNS1_11target_archE1200ELNS1_3gpuE4ELNS1_3repE0EEENS1_30default_config_static_selectorELNS0_4arch9wavefront6targetE1EEEvSF_.numbered_sgpr, 0
	.set _ZN7rocprim17ROCPRIM_400000_NS6detail17trampoline_kernelINS0_14default_configENS1_22reduce_config_selectorItEEZNS1_11reduce_implILb1ES3_PtS7_tN6thrust23THRUST_200600_302600_NS4plusItEEEE10hipError_tPvRmT1_T2_T3_mT4_P12ihipStream_tbEUlT_E0_NS1_11comp_targetILNS1_3genE10ELNS1_11target_archE1200ELNS1_3gpuE4ELNS1_3repE0EEENS1_30default_config_static_selectorELNS0_4arch9wavefront6targetE1EEEvSF_.num_named_barrier, 0
	.set _ZN7rocprim17ROCPRIM_400000_NS6detail17trampoline_kernelINS0_14default_configENS1_22reduce_config_selectorItEEZNS1_11reduce_implILb1ES3_PtS7_tN6thrust23THRUST_200600_302600_NS4plusItEEEE10hipError_tPvRmT1_T2_T3_mT4_P12ihipStream_tbEUlT_E0_NS1_11comp_targetILNS1_3genE10ELNS1_11target_archE1200ELNS1_3gpuE4ELNS1_3repE0EEENS1_30default_config_static_selectorELNS0_4arch9wavefront6targetE1EEEvSF_.private_seg_size, 0
	.set _ZN7rocprim17ROCPRIM_400000_NS6detail17trampoline_kernelINS0_14default_configENS1_22reduce_config_selectorItEEZNS1_11reduce_implILb1ES3_PtS7_tN6thrust23THRUST_200600_302600_NS4plusItEEEE10hipError_tPvRmT1_T2_T3_mT4_P12ihipStream_tbEUlT_E0_NS1_11comp_targetILNS1_3genE10ELNS1_11target_archE1200ELNS1_3gpuE4ELNS1_3repE0EEENS1_30default_config_static_selectorELNS0_4arch9wavefront6targetE1EEEvSF_.uses_vcc, 0
	.set _ZN7rocprim17ROCPRIM_400000_NS6detail17trampoline_kernelINS0_14default_configENS1_22reduce_config_selectorItEEZNS1_11reduce_implILb1ES3_PtS7_tN6thrust23THRUST_200600_302600_NS4plusItEEEE10hipError_tPvRmT1_T2_T3_mT4_P12ihipStream_tbEUlT_E0_NS1_11comp_targetILNS1_3genE10ELNS1_11target_archE1200ELNS1_3gpuE4ELNS1_3repE0EEENS1_30default_config_static_selectorELNS0_4arch9wavefront6targetE1EEEvSF_.uses_flat_scratch, 0
	.set _ZN7rocprim17ROCPRIM_400000_NS6detail17trampoline_kernelINS0_14default_configENS1_22reduce_config_selectorItEEZNS1_11reduce_implILb1ES3_PtS7_tN6thrust23THRUST_200600_302600_NS4plusItEEEE10hipError_tPvRmT1_T2_T3_mT4_P12ihipStream_tbEUlT_E0_NS1_11comp_targetILNS1_3genE10ELNS1_11target_archE1200ELNS1_3gpuE4ELNS1_3repE0EEENS1_30default_config_static_selectorELNS0_4arch9wavefront6targetE1EEEvSF_.has_dyn_sized_stack, 0
	.set _ZN7rocprim17ROCPRIM_400000_NS6detail17trampoline_kernelINS0_14default_configENS1_22reduce_config_selectorItEEZNS1_11reduce_implILb1ES3_PtS7_tN6thrust23THRUST_200600_302600_NS4plusItEEEE10hipError_tPvRmT1_T2_T3_mT4_P12ihipStream_tbEUlT_E0_NS1_11comp_targetILNS1_3genE10ELNS1_11target_archE1200ELNS1_3gpuE4ELNS1_3repE0EEENS1_30default_config_static_selectorELNS0_4arch9wavefront6targetE1EEEvSF_.has_recursion, 0
	.set _ZN7rocprim17ROCPRIM_400000_NS6detail17trampoline_kernelINS0_14default_configENS1_22reduce_config_selectorItEEZNS1_11reduce_implILb1ES3_PtS7_tN6thrust23THRUST_200600_302600_NS4plusItEEEE10hipError_tPvRmT1_T2_T3_mT4_P12ihipStream_tbEUlT_E0_NS1_11comp_targetILNS1_3genE10ELNS1_11target_archE1200ELNS1_3gpuE4ELNS1_3repE0EEENS1_30default_config_static_selectorELNS0_4arch9wavefront6targetE1EEEvSF_.has_indirect_call, 0
	.section	.AMDGPU.csdata,"",@progbits
; Kernel info:
; codeLenInByte = 0
; TotalNumSgprs: 6
; NumVgprs: 0
; NumAgprs: 0
; TotalNumVgprs: 0
; ScratchSize: 0
; MemoryBound: 0
; FloatMode: 240
; IeeeMode: 1
; LDSByteSize: 0 bytes/workgroup (compile time only)
; SGPRBlocks: 0
; VGPRBlocks: 0
; NumSGPRsForWavesPerEU: 6
; NumVGPRsForWavesPerEU: 1
; AccumOffset: 4
; Occupancy: 8
; WaveLimiterHint : 0
; COMPUTE_PGM_RSRC2:SCRATCH_EN: 0
; COMPUTE_PGM_RSRC2:USER_SGPR: 2
; COMPUTE_PGM_RSRC2:TRAP_HANDLER: 0
; COMPUTE_PGM_RSRC2:TGID_X_EN: 1
; COMPUTE_PGM_RSRC2:TGID_Y_EN: 0
; COMPUTE_PGM_RSRC2:TGID_Z_EN: 0
; COMPUTE_PGM_RSRC2:TIDIG_COMP_CNT: 0
; COMPUTE_PGM_RSRC3_GFX90A:ACCUM_OFFSET: 0
; COMPUTE_PGM_RSRC3_GFX90A:TG_SPLIT: 0
	.section	.text._ZN7rocprim17ROCPRIM_400000_NS6detail17trampoline_kernelINS0_14default_configENS1_22reduce_config_selectorItEEZNS1_11reduce_implILb1ES3_PtS7_tN6thrust23THRUST_200600_302600_NS4plusItEEEE10hipError_tPvRmT1_T2_T3_mT4_P12ihipStream_tbEUlT_E0_NS1_11comp_targetILNS1_3genE9ELNS1_11target_archE1100ELNS1_3gpuE3ELNS1_3repE0EEENS1_30default_config_static_selectorELNS0_4arch9wavefront6targetE1EEEvSF_,"axG",@progbits,_ZN7rocprim17ROCPRIM_400000_NS6detail17trampoline_kernelINS0_14default_configENS1_22reduce_config_selectorItEEZNS1_11reduce_implILb1ES3_PtS7_tN6thrust23THRUST_200600_302600_NS4plusItEEEE10hipError_tPvRmT1_T2_T3_mT4_P12ihipStream_tbEUlT_E0_NS1_11comp_targetILNS1_3genE9ELNS1_11target_archE1100ELNS1_3gpuE3ELNS1_3repE0EEENS1_30default_config_static_selectorELNS0_4arch9wavefront6targetE1EEEvSF_,comdat
	.protected	_ZN7rocprim17ROCPRIM_400000_NS6detail17trampoline_kernelINS0_14default_configENS1_22reduce_config_selectorItEEZNS1_11reduce_implILb1ES3_PtS7_tN6thrust23THRUST_200600_302600_NS4plusItEEEE10hipError_tPvRmT1_T2_T3_mT4_P12ihipStream_tbEUlT_E0_NS1_11comp_targetILNS1_3genE9ELNS1_11target_archE1100ELNS1_3gpuE3ELNS1_3repE0EEENS1_30default_config_static_selectorELNS0_4arch9wavefront6targetE1EEEvSF_ ; -- Begin function _ZN7rocprim17ROCPRIM_400000_NS6detail17trampoline_kernelINS0_14default_configENS1_22reduce_config_selectorItEEZNS1_11reduce_implILb1ES3_PtS7_tN6thrust23THRUST_200600_302600_NS4plusItEEEE10hipError_tPvRmT1_T2_T3_mT4_P12ihipStream_tbEUlT_E0_NS1_11comp_targetILNS1_3genE9ELNS1_11target_archE1100ELNS1_3gpuE3ELNS1_3repE0EEENS1_30default_config_static_selectorELNS0_4arch9wavefront6targetE1EEEvSF_
	.globl	_ZN7rocprim17ROCPRIM_400000_NS6detail17trampoline_kernelINS0_14default_configENS1_22reduce_config_selectorItEEZNS1_11reduce_implILb1ES3_PtS7_tN6thrust23THRUST_200600_302600_NS4plusItEEEE10hipError_tPvRmT1_T2_T3_mT4_P12ihipStream_tbEUlT_E0_NS1_11comp_targetILNS1_3genE9ELNS1_11target_archE1100ELNS1_3gpuE3ELNS1_3repE0EEENS1_30default_config_static_selectorELNS0_4arch9wavefront6targetE1EEEvSF_
	.p2align	8
	.type	_ZN7rocprim17ROCPRIM_400000_NS6detail17trampoline_kernelINS0_14default_configENS1_22reduce_config_selectorItEEZNS1_11reduce_implILb1ES3_PtS7_tN6thrust23THRUST_200600_302600_NS4plusItEEEE10hipError_tPvRmT1_T2_T3_mT4_P12ihipStream_tbEUlT_E0_NS1_11comp_targetILNS1_3genE9ELNS1_11target_archE1100ELNS1_3gpuE3ELNS1_3repE0EEENS1_30default_config_static_selectorELNS0_4arch9wavefront6targetE1EEEvSF_,@function
_ZN7rocprim17ROCPRIM_400000_NS6detail17trampoline_kernelINS0_14default_configENS1_22reduce_config_selectorItEEZNS1_11reduce_implILb1ES3_PtS7_tN6thrust23THRUST_200600_302600_NS4plusItEEEE10hipError_tPvRmT1_T2_T3_mT4_P12ihipStream_tbEUlT_E0_NS1_11comp_targetILNS1_3genE9ELNS1_11target_archE1100ELNS1_3gpuE3ELNS1_3repE0EEENS1_30default_config_static_selectorELNS0_4arch9wavefront6targetE1EEEvSF_: ; @_ZN7rocprim17ROCPRIM_400000_NS6detail17trampoline_kernelINS0_14default_configENS1_22reduce_config_selectorItEEZNS1_11reduce_implILb1ES3_PtS7_tN6thrust23THRUST_200600_302600_NS4plusItEEEE10hipError_tPvRmT1_T2_T3_mT4_P12ihipStream_tbEUlT_E0_NS1_11comp_targetILNS1_3genE9ELNS1_11target_archE1100ELNS1_3gpuE3ELNS1_3repE0EEENS1_30default_config_static_selectorELNS0_4arch9wavefront6targetE1EEEvSF_
; %bb.0:
	.section	.rodata,"a",@progbits
	.p2align	6, 0x0
	.amdhsa_kernel _ZN7rocprim17ROCPRIM_400000_NS6detail17trampoline_kernelINS0_14default_configENS1_22reduce_config_selectorItEEZNS1_11reduce_implILb1ES3_PtS7_tN6thrust23THRUST_200600_302600_NS4plusItEEEE10hipError_tPvRmT1_T2_T3_mT4_P12ihipStream_tbEUlT_E0_NS1_11comp_targetILNS1_3genE9ELNS1_11target_archE1100ELNS1_3gpuE3ELNS1_3repE0EEENS1_30default_config_static_selectorELNS0_4arch9wavefront6targetE1EEEvSF_
		.amdhsa_group_segment_fixed_size 0
		.amdhsa_private_segment_fixed_size 0
		.amdhsa_kernarg_size 56
		.amdhsa_user_sgpr_count 2
		.amdhsa_user_sgpr_dispatch_ptr 0
		.amdhsa_user_sgpr_queue_ptr 0
		.amdhsa_user_sgpr_kernarg_segment_ptr 1
		.amdhsa_user_sgpr_dispatch_id 0
		.amdhsa_user_sgpr_kernarg_preload_length 0
		.amdhsa_user_sgpr_kernarg_preload_offset 0
		.amdhsa_user_sgpr_private_segment_size 0
		.amdhsa_uses_dynamic_stack 0
		.amdhsa_enable_private_segment 0
		.amdhsa_system_sgpr_workgroup_id_x 1
		.amdhsa_system_sgpr_workgroup_id_y 0
		.amdhsa_system_sgpr_workgroup_id_z 0
		.amdhsa_system_sgpr_workgroup_info 0
		.amdhsa_system_vgpr_workitem_id 0
		.amdhsa_next_free_vgpr 1
		.amdhsa_next_free_sgpr 0
		.amdhsa_accum_offset 4
		.amdhsa_reserve_vcc 0
		.amdhsa_float_round_mode_32 0
		.amdhsa_float_round_mode_16_64 0
		.amdhsa_float_denorm_mode_32 3
		.amdhsa_float_denorm_mode_16_64 3
		.amdhsa_dx10_clamp 1
		.amdhsa_ieee_mode 1
		.amdhsa_fp16_overflow 0
		.amdhsa_tg_split 0
		.amdhsa_exception_fp_ieee_invalid_op 0
		.amdhsa_exception_fp_denorm_src 0
		.amdhsa_exception_fp_ieee_div_zero 0
		.amdhsa_exception_fp_ieee_overflow 0
		.amdhsa_exception_fp_ieee_underflow 0
		.amdhsa_exception_fp_ieee_inexact 0
		.amdhsa_exception_int_div_zero 0
	.end_amdhsa_kernel
	.section	.text._ZN7rocprim17ROCPRIM_400000_NS6detail17trampoline_kernelINS0_14default_configENS1_22reduce_config_selectorItEEZNS1_11reduce_implILb1ES3_PtS7_tN6thrust23THRUST_200600_302600_NS4plusItEEEE10hipError_tPvRmT1_T2_T3_mT4_P12ihipStream_tbEUlT_E0_NS1_11comp_targetILNS1_3genE9ELNS1_11target_archE1100ELNS1_3gpuE3ELNS1_3repE0EEENS1_30default_config_static_selectorELNS0_4arch9wavefront6targetE1EEEvSF_,"axG",@progbits,_ZN7rocprim17ROCPRIM_400000_NS6detail17trampoline_kernelINS0_14default_configENS1_22reduce_config_selectorItEEZNS1_11reduce_implILb1ES3_PtS7_tN6thrust23THRUST_200600_302600_NS4plusItEEEE10hipError_tPvRmT1_T2_T3_mT4_P12ihipStream_tbEUlT_E0_NS1_11comp_targetILNS1_3genE9ELNS1_11target_archE1100ELNS1_3gpuE3ELNS1_3repE0EEENS1_30default_config_static_selectorELNS0_4arch9wavefront6targetE1EEEvSF_,comdat
.Lfunc_end157:
	.size	_ZN7rocprim17ROCPRIM_400000_NS6detail17trampoline_kernelINS0_14default_configENS1_22reduce_config_selectorItEEZNS1_11reduce_implILb1ES3_PtS7_tN6thrust23THRUST_200600_302600_NS4plusItEEEE10hipError_tPvRmT1_T2_T3_mT4_P12ihipStream_tbEUlT_E0_NS1_11comp_targetILNS1_3genE9ELNS1_11target_archE1100ELNS1_3gpuE3ELNS1_3repE0EEENS1_30default_config_static_selectorELNS0_4arch9wavefront6targetE1EEEvSF_, .Lfunc_end157-_ZN7rocprim17ROCPRIM_400000_NS6detail17trampoline_kernelINS0_14default_configENS1_22reduce_config_selectorItEEZNS1_11reduce_implILb1ES3_PtS7_tN6thrust23THRUST_200600_302600_NS4plusItEEEE10hipError_tPvRmT1_T2_T3_mT4_P12ihipStream_tbEUlT_E0_NS1_11comp_targetILNS1_3genE9ELNS1_11target_archE1100ELNS1_3gpuE3ELNS1_3repE0EEENS1_30default_config_static_selectorELNS0_4arch9wavefront6targetE1EEEvSF_
                                        ; -- End function
	.set _ZN7rocprim17ROCPRIM_400000_NS6detail17trampoline_kernelINS0_14default_configENS1_22reduce_config_selectorItEEZNS1_11reduce_implILb1ES3_PtS7_tN6thrust23THRUST_200600_302600_NS4plusItEEEE10hipError_tPvRmT1_T2_T3_mT4_P12ihipStream_tbEUlT_E0_NS1_11comp_targetILNS1_3genE9ELNS1_11target_archE1100ELNS1_3gpuE3ELNS1_3repE0EEENS1_30default_config_static_selectorELNS0_4arch9wavefront6targetE1EEEvSF_.num_vgpr, 0
	.set _ZN7rocprim17ROCPRIM_400000_NS6detail17trampoline_kernelINS0_14default_configENS1_22reduce_config_selectorItEEZNS1_11reduce_implILb1ES3_PtS7_tN6thrust23THRUST_200600_302600_NS4plusItEEEE10hipError_tPvRmT1_T2_T3_mT4_P12ihipStream_tbEUlT_E0_NS1_11comp_targetILNS1_3genE9ELNS1_11target_archE1100ELNS1_3gpuE3ELNS1_3repE0EEENS1_30default_config_static_selectorELNS0_4arch9wavefront6targetE1EEEvSF_.num_agpr, 0
	.set _ZN7rocprim17ROCPRIM_400000_NS6detail17trampoline_kernelINS0_14default_configENS1_22reduce_config_selectorItEEZNS1_11reduce_implILb1ES3_PtS7_tN6thrust23THRUST_200600_302600_NS4plusItEEEE10hipError_tPvRmT1_T2_T3_mT4_P12ihipStream_tbEUlT_E0_NS1_11comp_targetILNS1_3genE9ELNS1_11target_archE1100ELNS1_3gpuE3ELNS1_3repE0EEENS1_30default_config_static_selectorELNS0_4arch9wavefront6targetE1EEEvSF_.numbered_sgpr, 0
	.set _ZN7rocprim17ROCPRIM_400000_NS6detail17trampoline_kernelINS0_14default_configENS1_22reduce_config_selectorItEEZNS1_11reduce_implILb1ES3_PtS7_tN6thrust23THRUST_200600_302600_NS4plusItEEEE10hipError_tPvRmT1_T2_T3_mT4_P12ihipStream_tbEUlT_E0_NS1_11comp_targetILNS1_3genE9ELNS1_11target_archE1100ELNS1_3gpuE3ELNS1_3repE0EEENS1_30default_config_static_selectorELNS0_4arch9wavefront6targetE1EEEvSF_.num_named_barrier, 0
	.set _ZN7rocprim17ROCPRIM_400000_NS6detail17trampoline_kernelINS0_14default_configENS1_22reduce_config_selectorItEEZNS1_11reduce_implILb1ES3_PtS7_tN6thrust23THRUST_200600_302600_NS4plusItEEEE10hipError_tPvRmT1_T2_T3_mT4_P12ihipStream_tbEUlT_E0_NS1_11comp_targetILNS1_3genE9ELNS1_11target_archE1100ELNS1_3gpuE3ELNS1_3repE0EEENS1_30default_config_static_selectorELNS0_4arch9wavefront6targetE1EEEvSF_.private_seg_size, 0
	.set _ZN7rocprim17ROCPRIM_400000_NS6detail17trampoline_kernelINS0_14default_configENS1_22reduce_config_selectorItEEZNS1_11reduce_implILb1ES3_PtS7_tN6thrust23THRUST_200600_302600_NS4plusItEEEE10hipError_tPvRmT1_T2_T3_mT4_P12ihipStream_tbEUlT_E0_NS1_11comp_targetILNS1_3genE9ELNS1_11target_archE1100ELNS1_3gpuE3ELNS1_3repE0EEENS1_30default_config_static_selectorELNS0_4arch9wavefront6targetE1EEEvSF_.uses_vcc, 0
	.set _ZN7rocprim17ROCPRIM_400000_NS6detail17trampoline_kernelINS0_14default_configENS1_22reduce_config_selectorItEEZNS1_11reduce_implILb1ES3_PtS7_tN6thrust23THRUST_200600_302600_NS4plusItEEEE10hipError_tPvRmT1_T2_T3_mT4_P12ihipStream_tbEUlT_E0_NS1_11comp_targetILNS1_3genE9ELNS1_11target_archE1100ELNS1_3gpuE3ELNS1_3repE0EEENS1_30default_config_static_selectorELNS0_4arch9wavefront6targetE1EEEvSF_.uses_flat_scratch, 0
	.set _ZN7rocprim17ROCPRIM_400000_NS6detail17trampoline_kernelINS0_14default_configENS1_22reduce_config_selectorItEEZNS1_11reduce_implILb1ES3_PtS7_tN6thrust23THRUST_200600_302600_NS4plusItEEEE10hipError_tPvRmT1_T2_T3_mT4_P12ihipStream_tbEUlT_E0_NS1_11comp_targetILNS1_3genE9ELNS1_11target_archE1100ELNS1_3gpuE3ELNS1_3repE0EEENS1_30default_config_static_selectorELNS0_4arch9wavefront6targetE1EEEvSF_.has_dyn_sized_stack, 0
	.set _ZN7rocprim17ROCPRIM_400000_NS6detail17trampoline_kernelINS0_14default_configENS1_22reduce_config_selectorItEEZNS1_11reduce_implILb1ES3_PtS7_tN6thrust23THRUST_200600_302600_NS4plusItEEEE10hipError_tPvRmT1_T2_T3_mT4_P12ihipStream_tbEUlT_E0_NS1_11comp_targetILNS1_3genE9ELNS1_11target_archE1100ELNS1_3gpuE3ELNS1_3repE0EEENS1_30default_config_static_selectorELNS0_4arch9wavefront6targetE1EEEvSF_.has_recursion, 0
	.set _ZN7rocprim17ROCPRIM_400000_NS6detail17trampoline_kernelINS0_14default_configENS1_22reduce_config_selectorItEEZNS1_11reduce_implILb1ES3_PtS7_tN6thrust23THRUST_200600_302600_NS4plusItEEEE10hipError_tPvRmT1_T2_T3_mT4_P12ihipStream_tbEUlT_E0_NS1_11comp_targetILNS1_3genE9ELNS1_11target_archE1100ELNS1_3gpuE3ELNS1_3repE0EEENS1_30default_config_static_selectorELNS0_4arch9wavefront6targetE1EEEvSF_.has_indirect_call, 0
	.section	.AMDGPU.csdata,"",@progbits
; Kernel info:
; codeLenInByte = 0
; TotalNumSgprs: 6
; NumVgprs: 0
; NumAgprs: 0
; TotalNumVgprs: 0
; ScratchSize: 0
; MemoryBound: 0
; FloatMode: 240
; IeeeMode: 1
; LDSByteSize: 0 bytes/workgroup (compile time only)
; SGPRBlocks: 0
; VGPRBlocks: 0
; NumSGPRsForWavesPerEU: 6
; NumVGPRsForWavesPerEU: 1
; AccumOffset: 4
; Occupancy: 8
; WaveLimiterHint : 0
; COMPUTE_PGM_RSRC2:SCRATCH_EN: 0
; COMPUTE_PGM_RSRC2:USER_SGPR: 2
; COMPUTE_PGM_RSRC2:TRAP_HANDLER: 0
; COMPUTE_PGM_RSRC2:TGID_X_EN: 1
; COMPUTE_PGM_RSRC2:TGID_Y_EN: 0
; COMPUTE_PGM_RSRC2:TGID_Z_EN: 0
; COMPUTE_PGM_RSRC2:TIDIG_COMP_CNT: 0
; COMPUTE_PGM_RSRC3_GFX90A:ACCUM_OFFSET: 0
; COMPUTE_PGM_RSRC3_GFX90A:TG_SPLIT: 0
	.section	.text._ZN7rocprim17ROCPRIM_400000_NS6detail17trampoline_kernelINS0_14default_configENS1_22reduce_config_selectorItEEZNS1_11reduce_implILb1ES3_PtS7_tN6thrust23THRUST_200600_302600_NS4plusItEEEE10hipError_tPvRmT1_T2_T3_mT4_P12ihipStream_tbEUlT_E0_NS1_11comp_targetILNS1_3genE8ELNS1_11target_archE1030ELNS1_3gpuE2ELNS1_3repE0EEENS1_30default_config_static_selectorELNS0_4arch9wavefront6targetE1EEEvSF_,"axG",@progbits,_ZN7rocprim17ROCPRIM_400000_NS6detail17trampoline_kernelINS0_14default_configENS1_22reduce_config_selectorItEEZNS1_11reduce_implILb1ES3_PtS7_tN6thrust23THRUST_200600_302600_NS4plusItEEEE10hipError_tPvRmT1_T2_T3_mT4_P12ihipStream_tbEUlT_E0_NS1_11comp_targetILNS1_3genE8ELNS1_11target_archE1030ELNS1_3gpuE2ELNS1_3repE0EEENS1_30default_config_static_selectorELNS0_4arch9wavefront6targetE1EEEvSF_,comdat
	.protected	_ZN7rocprim17ROCPRIM_400000_NS6detail17trampoline_kernelINS0_14default_configENS1_22reduce_config_selectorItEEZNS1_11reduce_implILb1ES3_PtS7_tN6thrust23THRUST_200600_302600_NS4plusItEEEE10hipError_tPvRmT1_T2_T3_mT4_P12ihipStream_tbEUlT_E0_NS1_11comp_targetILNS1_3genE8ELNS1_11target_archE1030ELNS1_3gpuE2ELNS1_3repE0EEENS1_30default_config_static_selectorELNS0_4arch9wavefront6targetE1EEEvSF_ ; -- Begin function _ZN7rocprim17ROCPRIM_400000_NS6detail17trampoline_kernelINS0_14default_configENS1_22reduce_config_selectorItEEZNS1_11reduce_implILb1ES3_PtS7_tN6thrust23THRUST_200600_302600_NS4plusItEEEE10hipError_tPvRmT1_T2_T3_mT4_P12ihipStream_tbEUlT_E0_NS1_11comp_targetILNS1_3genE8ELNS1_11target_archE1030ELNS1_3gpuE2ELNS1_3repE0EEENS1_30default_config_static_selectorELNS0_4arch9wavefront6targetE1EEEvSF_
	.globl	_ZN7rocprim17ROCPRIM_400000_NS6detail17trampoline_kernelINS0_14default_configENS1_22reduce_config_selectorItEEZNS1_11reduce_implILb1ES3_PtS7_tN6thrust23THRUST_200600_302600_NS4plusItEEEE10hipError_tPvRmT1_T2_T3_mT4_P12ihipStream_tbEUlT_E0_NS1_11comp_targetILNS1_3genE8ELNS1_11target_archE1030ELNS1_3gpuE2ELNS1_3repE0EEENS1_30default_config_static_selectorELNS0_4arch9wavefront6targetE1EEEvSF_
	.p2align	8
	.type	_ZN7rocprim17ROCPRIM_400000_NS6detail17trampoline_kernelINS0_14default_configENS1_22reduce_config_selectorItEEZNS1_11reduce_implILb1ES3_PtS7_tN6thrust23THRUST_200600_302600_NS4plusItEEEE10hipError_tPvRmT1_T2_T3_mT4_P12ihipStream_tbEUlT_E0_NS1_11comp_targetILNS1_3genE8ELNS1_11target_archE1030ELNS1_3gpuE2ELNS1_3repE0EEENS1_30default_config_static_selectorELNS0_4arch9wavefront6targetE1EEEvSF_,@function
_ZN7rocprim17ROCPRIM_400000_NS6detail17trampoline_kernelINS0_14default_configENS1_22reduce_config_selectorItEEZNS1_11reduce_implILb1ES3_PtS7_tN6thrust23THRUST_200600_302600_NS4plusItEEEE10hipError_tPvRmT1_T2_T3_mT4_P12ihipStream_tbEUlT_E0_NS1_11comp_targetILNS1_3genE8ELNS1_11target_archE1030ELNS1_3gpuE2ELNS1_3repE0EEENS1_30default_config_static_selectorELNS0_4arch9wavefront6targetE1EEEvSF_: ; @_ZN7rocprim17ROCPRIM_400000_NS6detail17trampoline_kernelINS0_14default_configENS1_22reduce_config_selectorItEEZNS1_11reduce_implILb1ES3_PtS7_tN6thrust23THRUST_200600_302600_NS4plusItEEEE10hipError_tPvRmT1_T2_T3_mT4_P12ihipStream_tbEUlT_E0_NS1_11comp_targetILNS1_3genE8ELNS1_11target_archE1030ELNS1_3gpuE2ELNS1_3repE0EEENS1_30default_config_static_selectorELNS0_4arch9wavefront6targetE1EEEvSF_
; %bb.0:
	.section	.rodata,"a",@progbits
	.p2align	6, 0x0
	.amdhsa_kernel _ZN7rocprim17ROCPRIM_400000_NS6detail17trampoline_kernelINS0_14default_configENS1_22reduce_config_selectorItEEZNS1_11reduce_implILb1ES3_PtS7_tN6thrust23THRUST_200600_302600_NS4plusItEEEE10hipError_tPvRmT1_T2_T3_mT4_P12ihipStream_tbEUlT_E0_NS1_11comp_targetILNS1_3genE8ELNS1_11target_archE1030ELNS1_3gpuE2ELNS1_3repE0EEENS1_30default_config_static_selectorELNS0_4arch9wavefront6targetE1EEEvSF_
		.amdhsa_group_segment_fixed_size 0
		.amdhsa_private_segment_fixed_size 0
		.amdhsa_kernarg_size 56
		.amdhsa_user_sgpr_count 2
		.amdhsa_user_sgpr_dispatch_ptr 0
		.amdhsa_user_sgpr_queue_ptr 0
		.amdhsa_user_sgpr_kernarg_segment_ptr 1
		.amdhsa_user_sgpr_dispatch_id 0
		.amdhsa_user_sgpr_kernarg_preload_length 0
		.amdhsa_user_sgpr_kernarg_preload_offset 0
		.amdhsa_user_sgpr_private_segment_size 0
		.amdhsa_uses_dynamic_stack 0
		.amdhsa_enable_private_segment 0
		.amdhsa_system_sgpr_workgroup_id_x 1
		.amdhsa_system_sgpr_workgroup_id_y 0
		.amdhsa_system_sgpr_workgroup_id_z 0
		.amdhsa_system_sgpr_workgroup_info 0
		.amdhsa_system_vgpr_workitem_id 0
		.amdhsa_next_free_vgpr 1
		.amdhsa_next_free_sgpr 0
		.amdhsa_accum_offset 4
		.amdhsa_reserve_vcc 0
		.amdhsa_float_round_mode_32 0
		.amdhsa_float_round_mode_16_64 0
		.amdhsa_float_denorm_mode_32 3
		.amdhsa_float_denorm_mode_16_64 3
		.amdhsa_dx10_clamp 1
		.amdhsa_ieee_mode 1
		.amdhsa_fp16_overflow 0
		.amdhsa_tg_split 0
		.amdhsa_exception_fp_ieee_invalid_op 0
		.amdhsa_exception_fp_denorm_src 0
		.amdhsa_exception_fp_ieee_div_zero 0
		.amdhsa_exception_fp_ieee_overflow 0
		.amdhsa_exception_fp_ieee_underflow 0
		.amdhsa_exception_fp_ieee_inexact 0
		.amdhsa_exception_int_div_zero 0
	.end_amdhsa_kernel
	.section	.text._ZN7rocprim17ROCPRIM_400000_NS6detail17trampoline_kernelINS0_14default_configENS1_22reduce_config_selectorItEEZNS1_11reduce_implILb1ES3_PtS7_tN6thrust23THRUST_200600_302600_NS4plusItEEEE10hipError_tPvRmT1_T2_T3_mT4_P12ihipStream_tbEUlT_E0_NS1_11comp_targetILNS1_3genE8ELNS1_11target_archE1030ELNS1_3gpuE2ELNS1_3repE0EEENS1_30default_config_static_selectorELNS0_4arch9wavefront6targetE1EEEvSF_,"axG",@progbits,_ZN7rocprim17ROCPRIM_400000_NS6detail17trampoline_kernelINS0_14default_configENS1_22reduce_config_selectorItEEZNS1_11reduce_implILb1ES3_PtS7_tN6thrust23THRUST_200600_302600_NS4plusItEEEE10hipError_tPvRmT1_T2_T3_mT4_P12ihipStream_tbEUlT_E0_NS1_11comp_targetILNS1_3genE8ELNS1_11target_archE1030ELNS1_3gpuE2ELNS1_3repE0EEENS1_30default_config_static_selectorELNS0_4arch9wavefront6targetE1EEEvSF_,comdat
.Lfunc_end158:
	.size	_ZN7rocprim17ROCPRIM_400000_NS6detail17trampoline_kernelINS0_14default_configENS1_22reduce_config_selectorItEEZNS1_11reduce_implILb1ES3_PtS7_tN6thrust23THRUST_200600_302600_NS4plusItEEEE10hipError_tPvRmT1_T2_T3_mT4_P12ihipStream_tbEUlT_E0_NS1_11comp_targetILNS1_3genE8ELNS1_11target_archE1030ELNS1_3gpuE2ELNS1_3repE0EEENS1_30default_config_static_selectorELNS0_4arch9wavefront6targetE1EEEvSF_, .Lfunc_end158-_ZN7rocprim17ROCPRIM_400000_NS6detail17trampoline_kernelINS0_14default_configENS1_22reduce_config_selectorItEEZNS1_11reduce_implILb1ES3_PtS7_tN6thrust23THRUST_200600_302600_NS4plusItEEEE10hipError_tPvRmT1_T2_T3_mT4_P12ihipStream_tbEUlT_E0_NS1_11comp_targetILNS1_3genE8ELNS1_11target_archE1030ELNS1_3gpuE2ELNS1_3repE0EEENS1_30default_config_static_selectorELNS0_4arch9wavefront6targetE1EEEvSF_
                                        ; -- End function
	.set _ZN7rocprim17ROCPRIM_400000_NS6detail17trampoline_kernelINS0_14default_configENS1_22reduce_config_selectorItEEZNS1_11reduce_implILb1ES3_PtS7_tN6thrust23THRUST_200600_302600_NS4plusItEEEE10hipError_tPvRmT1_T2_T3_mT4_P12ihipStream_tbEUlT_E0_NS1_11comp_targetILNS1_3genE8ELNS1_11target_archE1030ELNS1_3gpuE2ELNS1_3repE0EEENS1_30default_config_static_selectorELNS0_4arch9wavefront6targetE1EEEvSF_.num_vgpr, 0
	.set _ZN7rocprim17ROCPRIM_400000_NS6detail17trampoline_kernelINS0_14default_configENS1_22reduce_config_selectorItEEZNS1_11reduce_implILb1ES3_PtS7_tN6thrust23THRUST_200600_302600_NS4plusItEEEE10hipError_tPvRmT1_T2_T3_mT4_P12ihipStream_tbEUlT_E0_NS1_11comp_targetILNS1_3genE8ELNS1_11target_archE1030ELNS1_3gpuE2ELNS1_3repE0EEENS1_30default_config_static_selectorELNS0_4arch9wavefront6targetE1EEEvSF_.num_agpr, 0
	.set _ZN7rocprim17ROCPRIM_400000_NS6detail17trampoline_kernelINS0_14default_configENS1_22reduce_config_selectorItEEZNS1_11reduce_implILb1ES3_PtS7_tN6thrust23THRUST_200600_302600_NS4plusItEEEE10hipError_tPvRmT1_T2_T3_mT4_P12ihipStream_tbEUlT_E0_NS1_11comp_targetILNS1_3genE8ELNS1_11target_archE1030ELNS1_3gpuE2ELNS1_3repE0EEENS1_30default_config_static_selectorELNS0_4arch9wavefront6targetE1EEEvSF_.numbered_sgpr, 0
	.set _ZN7rocprim17ROCPRIM_400000_NS6detail17trampoline_kernelINS0_14default_configENS1_22reduce_config_selectorItEEZNS1_11reduce_implILb1ES3_PtS7_tN6thrust23THRUST_200600_302600_NS4plusItEEEE10hipError_tPvRmT1_T2_T3_mT4_P12ihipStream_tbEUlT_E0_NS1_11comp_targetILNS1_3genE8ELNS1_11target_archE1030ELNS1_3gpuE2ELNS1_3repE0EEENS1_30default_config_static_selectorELNS0_4arch9wavefront6targetE1EEEvSF_.num_named_barrier, 0
	.set _ZN7rocprim17ROCPRIM_400000_NS6detail17trampoline_kernelINS0_14default_configENS1_22reduce_config_selectorItEEZNS1_11reduce_implILb1ES3_PtS7_tN6thrust23THRUST_200600_302600_NS4plusItEEEE10hipError_tPvRmT1_T2_T3_mT4_P12ihipStream_tbEUlT_E0_NS1_11comp_targetILNS1_3genE8ELNS1_11target_archE1030ELNS1_3gpuE2ELNS1_3repE0EEENS1_30default_config_static_selectorELNS0_4arch9wavefront6targetE1EEEvSF_.private_seg_size, 0
	.set _ZN7rocprim17ROCPRIM_400000_NS6detail17trampoline_kernelINS0_14default_configENS1_22reduce_config_selectorItEEZNS1_11reduce_implILb1ES3_PtS7_tN6thrust23THRUST_200600_302600_NS4plusItEEEE10hipError_tPvRmT1_T2_T3_mT4_P12ihipStream_tbEUlT_E0_NS1_11comp_targetILNS1_3genE8ELNS1_11target_archE1030ELNS1_3gpuE2ELNS1_3repE0EEENS1_30default_config_static_selectorELNS0_4arch9wavefront6targetE1EEEvSF_.uses_vcc, 0
	.set _ZN7rocprim17ROCPRIM_400000_NS6detail17trampoline_kernelINS0_14default_configENS1_22reduce_config_selectorItEEZNS1_11reduce_implILb1ES3_PtS7_tN6thrust23THRUST_200600_302600_NS4plusItEEEE10hipError_tPvRmT1_T2_T3_mT4_P12ihipStream_tbEUlT_E0_NS1_11comp_targetILNS1_3genE8ELNS1_11target_archE1030ELNS1_3gpuE2ELNS1_3repE0EEENS1_30default_config_static_selectorELNS0_4arch9wavefront6targetE1EEEvSF_.uses_flat_scratch, 0
	.set _ZN7rocprim17ROCPRIM_400000_NS6detail17trampoline_kernelINS0_14default_configENS1_22reduce_config_selectorItEEZNS1_11reduce_implILb1ES3_PtS7_tN6thrust23THRUST_200600_302600_NS4plusItEEEE10hipError_tPvRmT1_T2_T3_mT4_P12ihipStream_tbEUlT_E0_NS1_11comp_targetILNS1_3genE8ELNS1_11target_archE1030ELNS1_3gpuE2ELNS1_3repE0EEENS1_30default_config_static_selectorELNS0_4arch9wavefront6targetE1EEEvSF_.has_dyn_sized_stack, 0
	.set _ZN7rocprim17ROCPRIM_400000_NS6detail17trampoline_kernelINS0_14default_configENS1_22reduce_config_selectorItEEZNS1_11reduce_implILb1ES3_PtS7_tN6thrust23THRUST_200600_302600_NS4plusItEEEE10hipError_tPvRmT1_T2_T3_mT4_P12ihipStream_tbEUlT_E0_NS1_11comp_targetILNS1_3genE8ELNS1_11target_archE1030ELNS1_3gpuE2ELNS1_3repE0EEENS1_30default_config_static_selectorELNS0_4arch9wavefront6targetE1EEEvSF_.has_recursion, 0
	.set _ZN7rocprim17ROCPRIM_400000_NS6detail17trampoline_kernelINS0_14default_configENS1_22reduce_config_selectorItEEZNS1_11reduce_implILb1ES3_PtS7_tN6thrust23THRUST_200600_302600_NS4plusItEEEE10hipError_tPvRmT1_T2_T3_mT4_P12ihipStream_tbEUlT_E0_NS1_11comp_targetILNS1_3genE8ELNS1_11target_archE1030ELNS1_3gpuE2ELNS1_3repE0EEENS1_30default_config_static_selectorELNS0_4arch9wavefront6targetE1EEEvSF_.has_indirect_call, 0
	.section	.AMDGPU.csdata,"",@progbits
; Kernel info:
; codeLenInByte = 0
; TotalNumSgprs: 6
; NumVgprs: 0
; NumAgprs: 0
; TotalNumVgprs: 0
; ScratchSize: 0
; MemoryBound: 0
; FloatMode: 240
; IeeeMode: 1
; LDSByteSize: 0 bytes/workgroup (compile time only)
; SGPRBlocks: 0
; VGPRBlocks: 0
; NumSGPRsForWavesPerEU: 6
; NumVGPRsForWavesPerEU: 1
; AccumOffset: 4
; Occupancy: 8
; WaveLimiterHint : 0
; COMPUTE_PGM_RSRC2:SCRATCH_EN: 0
; COMPUTE_PGM_RSRC2:USER_SGPR: 2
; COMPUTE_PGM_RSRC2:TRAP_HANDLER: 0
; COMPUTE_PGM_RSRC2:TGID_X_EN: 1
; COMPUTE_PGM_RSRC2:TGID_Y_EN: 0
; COMPUTE_PGM_RSRC2:TGID_Z_EN: 0
; COMPUTE_PGM_RSRC2:TIDIG_COMP_CNT: 0
; COMPUTE_PGM_RSRC3_GFX90A:ACCUM_OFFSET: 0
; COMPUTE_PGM_RSRC3_GFX90A:TG_SPLIT: 0
	.section	.text._ZN7rocprim17ROCPRIM_400000_NS6detail17trampoline_kernelINS0_14default_configENS1_22reduce_config_selectorItEEZNS1_11reduce_implILb1ES3_PtS7_tN6thrust23THRUST_200600_302600_NS4plusItEEEE10hipError_tPvRmT1_T2_T3_mT4_P12ihipStream_tbEUlT_E1_NS1_11comp_targetILNS1_3genE0ELNS1_11target_archE4294967295ELNS1_3gpuE0ELNS1_3repE0EEENS1_30default_config_static_selectorELNS0_4arch9wavefront6targetE1EEEvSF_,"axG",@progbits,_ZN7rocprim17ROCPRIM_400000_NS6detail17trampoline_kernelINS0_14default_configENS1_22reduce_config_selectorItEEZNS1_11reduce_implILb1ES3_PtS7_tN6thrust23THRUST_200600_302600_NS4plusItEEEE10hipError_tPvRmT1_T2_T3_mT4_P12ihipStream_tbEUlT_E1_NS1_11comp_targetILNS1_3genE0ELNS1_11target_archE4294967295ELNS1_3gpuE0ELNS1_3repE0EEENS1_30default_config_static_selectorELNS0_4arch9wavefront6targetE1EEEvSF_,comdat
	.protected	_ZN7rocprim17ROCPRIM_400000_NS6detail17trampoline_kernelINS0_14default_configENS1_22reduce_config_selectorItEEZNS1_11reduce_implILb1ES3_PtS7_tN6thrust23THRUST_200600_302600_NS4plusItEEEE10hipError_tPvRmT1_T2_T3_mT4_P12ihipStream_tbEUlT_E1_NS1_11comp_targetILNS1_3genE0ELNS1_11target_archE4294967295ELNS1_3gpuE0ELNS1_3repE0EEENS1_30default_config_static_selectorELNS0_4arch9wavefront6targetE1EEEvSF_ ; -- Begin function _ZN7rocprim17ROCPRIM_400000_NS6detail17trampoline_kernelINS0_14default_configENS1_22reduce_config_selectorItEEZNS1_11reduce_implILb1ES3_PtS7_tN6thrust23THRUST_200600_302600_NS4plusItEEEE10hipError_tPvRmT1_T2_T3_mT4_P12ihipStream_tbEUlT_E1_NS1_11comp_targetILNS1_3genE0ELNS1_11target_archE4294967295ELNS1_3gpuE0ELNS1_3repE0EEENS1_30default_config_static_selectorELNS0_4arch9wavefront6targetE1EEEvSF_
	.globl	_ZN7rocprim17ROCPRIM_400000_NS6detail17trampoline_kernelINS0_14default_configENS1_22reduce_config_selectorItEEZNS1_11reduce_implILb1ES3_PtS7_tN6thrust23THRUST_200600_302600_NS4plusItEEEE10hipError_tPvRmT1_T2_T3_mT4_P12ihipStream_tbEUlT_E1_NS1_11comp_targetILNS1_3genE0ELNS1_11target_archE4294967295ELNS1_3gpuE0ELNS1_3repE0EEENS1_30default_config_static_selectorELNS0_4arch9wavefront6targetE1EEEvSF_
	.p2align	8
	.type	_ZN7rocprim17ROCPRIM_400000_NS6detail17trampoline_kernelINS0_14default_configENS1_22reduce_config_selectorItEEZNS1_11reduce_implILb1ES3_PtS7_tN6thrust23THRUST_200600_302600_NS4plusItEEEE10hipError_tPvRmT1_T2_T3_mT4_P12ihipStream_tbEUlT_E1_NS1_11comp_targetILNS1_3genE0ELNS1_11target_archE4294967295ELNS1_3gpuE0ELNS1_3repE0EEENS1_30default_config_static_selectorELNS0_4arch9wavefront6targetE1EEEvSF_,@function
_ZN7rocprim17ROCPRIM_400000_NS6detail17trampoline_kernelINS0_14default_configENS1_22reduce_config_selectorItEEZNS1_11reduce_implILb1ES3_PtS7_tN6thrust23THRUST_200600_302600_NS4plusItEEEE10hipError_tPvRmT1_T2_T3_mT4_P12ihipStream_tbEUlT_E1_NS1_11comp_targetILNS1_3genE0ELNS1_11target_archE4294967295ELNS1_3gpuE0ELNS1_3repE0EEENS1_30default_config_static_selectorELNS0_4arch9wavefront6targetE1EEEvSF_: ; @_ZN7rocprim17ROCPRIM_400000_NS6detail17trampoline_kernelINS0_14default_configENS1_22reduce_config_selectorItEEZNS1_11reduce_implILb1ES3_PtS7_tN6thrust23THRUST_200600_302600_NS4plusItEEEE10hipError_tPvRmT1_T2_T3_mT4_P12ihipStream_tbEUlT_E1_NS1_11comp_targetILNS1_3genE0ELNS1_11target_archE4294967295ELNS1_3gpuE0ELNS1_3repE0EEENS1_30default_config_static_selectorELNS0_4arch9wavefront6targetE1EEEvSF_
; %bb.0:
	s_load_dword s33, s[0:1], 0x4
	s_load_dwordx4 s[68:71], s[0:1], 0x8
	s_waitcnt lgkmcnt(0)
	s_cmp_lt_i32 s33, 8
	s_cbranch_scc1 .LBB159_12
; %bb.1:
	s_cmp_gt_i32 s33, 31
	s_cbranch_scc0 .LBB159_13
; %bb.2:
	s_cmp_gt_i32 s33, 63
	s_cbranch_scc0 .LBB159_22
; %bb.3:
	s_cmp_eq_u32 s33, 64
	s_mov_b64 s[40:41], 0
	s_cbranch_scc0 .LBB159_23
; %bb.4:
	s_mov_b32 s3, 0
	s_lshl_b32 s4, s2, 13
	s_mov_b32 s5, s3
	s_lshr_b64 s[6:7], s[70:71], 13
	s_lshl_b64 s[8:9], s[4:5], 1
	s_add_u32 s42, s68, s8
	s_addc_u32 s43, s69, s9
	s_cmp_lg_u64 s[6:7], s[2:3]
	s_cbranch_scc0 .LBB159_34
; %bb.5:
	v_lshlrev_b32_e32 v2, 1, v0
	global_load_ushort v1, v2, s[42:43]
	global_load_ushort v10, v2, s[42:43] offset:256
	global_load_ushort v11, v2, s[42:43] offset:512
	;; [unrolled: 1-line block ×8, first 2 shown]
	v_mov_b32_e32 v3, 0
	v_lshl_add_u64 v[4:5], s[42:43], 0, v[2:3]
	s_movk_i32 s5, 0x1000
	v_add_co_u32_e32 v6, vcc, s5, v4
	s_movk_i32 s5, 0x2000
	s_nop 0
	v_addc_co_u32_e32 v7, vcc, 0, v5, vcc
	v_add_co_u32_e32 v8, vcc, s5, v4
	s_movk_i32 s5, 0x3000
	s_nop 0
	v_addc_co_u32_e32 v9, vcc, 0, v5, vcc
	global_load_ushort v18, v2, s[42:43] offset:2304
	global_load_ushort v19, v2, s[42:43] offset:2560
	;; [unrolled: 1-line block ×7, first 2 shown]
	global_load_ushort v25, v[8:9], off offset:-4096
	global_load_ushort v26, v[6:7], off offset:256
	global_load_ushort v27, v[6:7], off offset:512
	;; [unrolled: 1-line block ×7, first 2 shown]
                                        ; kill: killed $vgpr2
	global_load_ushort v33, v[6:7], off offset:2048
	global_load_ushort v34, v[6:7], off offset:2304
	;; [unrolled: 1-line block ×8, first 2 shown]
	global_load_ushort v41, v[8:9], off
	global_load_ushort v42, v[8:9], off offset:256
	global_load_ushort v43, v[8:9], off offset:512
	;; [unrolled: 1-line block ×6, first 2 shown]
                                        ; kill: killed $vgpr6 killed $vgpr7
	global_load_ushort v6, v[8:9], off offset:1792
	global_load_ushort v7, v[8:9], off offset:2048
	global_load_ushort v48, v[8:9], off offset:2304
	global_load_ushort v49, v[8:9], off offset:2560
	global_load_ushort v50, v[8:9], off offset:2816
	global_load_ushort v51, v[8:9], off offset:3072
	global_load_ushort v52, v[8:9], off offset:3328
	global_load_ushort v53, v[8:9], off offset:3584
	global_load_ushort v54, v[8:9], off offset:3840
	v_add_co_u32_e32 v2, vcc, s5, v4
	s_waitcnt vmcnt(46)
	v_add_u16_e32 v1, v10, v1
	v_addc_co_u32_e32 v3, vcc, 0, v5, vcc
	global_load_ushort v4, v[2:3], off
	global_load_ushort v5, v[2:3], off offset:256
	global_load_ushort v8, v[2:3], off offset:512
	;; [unrolled: 1-line block ×14, first 2 shown]
	s_nop 0
	global_load_ushort v2, v[2:3], off offset:3840
	s_waitcnt vmcnt(61)
	v_add_u16_e32 v1, v1, v11
	s_waitcnt vmcnt(60)
	v_add_u16_e32 v1, v1, v12
	s_waitcnt vmcnt(59)
	v_add_u16_e32 v1, v1, v13
	s_waitcnt vmcnt(58)
	v_add_u16_e32 v1, v1, v14
	s_waitcnt vmcnt(57)
	v_add_u16_e32 v1, v1, v15
	s_waitcnt vmcnt(56)
	v_add_u16_e32 v1, v1, v16
	s_waitcnt vmcnt(55)
	v_add_u16_e32 v1, v1, v17
	s_waitcnt vmcnt(54)
	v_add_u16_e32 v1, v1, v18
	s_waitcnt vmcnt(53)
	v_add_u16_e32 v1, v1, v19
	s_waitcnt vmcnt(52)
	v_add_u16_e32 v1, v1, v20
	s_waitcnt vmcnt(51)
	v_add_u16_e32 v1, v1, v21
	s_waitcnt vmcnt(50)
	v_add_u16_e32 v1, v1, v22
	s_waitcnt vmcnt(49)
	v_add_u16_e32 v1, v1, v23
	s_waitcnt vmcnt(48)
	v_add_u16_e32 v1, v1, v24
	s_waitcnt vmcnt(47)
	v_add_u16_e32 v1, v1, v25
	s_waitcnt vmcnt(46)
	v_add_u16_e32 v1, v1, v26
	s_waitcnt vmcnt(45)
	v_add_u16_e32 v1, v1, v27
	s_waitcnt vmcnt(44)
	v_add_u16_e32 v1, v1, v28
	s_waitcnt vmcnt(43)
	v_add_u16_e32 v1, v1, v29
	s_waitcnt vmcnt(42)
	v_add_u16_e32 v1, v1, v30
	s_waitcnt vmcnt(41)
	v_add_u16_e32 v1, v1, v31
	s_waitcnt vmcnt(40)
	v_add_u16_e32 v1, v1, v32
	s_waitcnt vmcnt(39)
	v_add_u16_e32 v1, v1, v33
	s_waitcnt vmcnt(38)
	v_add_u16_e32 v1, v1, v34
	s_waitcnt vmcnt(37)
	v_add_u16_e32 v1, v1, v35
	s_waitcnt vmcnt(36)
	v_add_u16_e32 v1, v1, v36
	s_waitcnt vmcnt(35)
	v_add_u16_e32 v1, v1, v37
	s_waitcnt vmcnt(34)
	v_add_u16_e32 v1, v1, v38
	s_waitcnt vmcnt(33)
	v_add_u16_e32 v1, v1, v39
	s_waitcnt vmcnt(32)
	v_add_u16_e32 v1, v1, v40
	s_waitcnt vmcnt(31)
	v_add_u16_e32 v1, v1, v41
	s_waitcnt vmcnt(30)
	v_add_u16_e32 v1, v1, v42
	s_waitcnt vmcnt(29)
	v_add_u16_e32 v1, v1, v43
	s_waitcnt vmcnt(28)
	v_add_u16_e32 v1, v1, v44
	s_waitcnt vmcnt(27)
	v_add_u16_e32 v1, v1, v45
	s_waitcnt vmcnt(26)
	v_add_u16_e32 v1, v1, v46
	s_waitcnt vmcnt(25)
	v_add_u16_e32 v1, v1, v47
	s_waitcnt vmcnt(24)
	v_add_u16_e32 v1, v1, v6
	s_waitcnt vmcnt(23)
	v_add_u16_e32 v1, v1, v7
	s_waitcnt vmcnt(22)
	v_add_u16_e32 v1, v1, v48
	s_waitcnt vmcnt(21)
	v_add_u16_e32 v1, v1, v49
	s_waitcnt vmcnt(20)
	v_add_u16_e32 v1, v1, v50
	s_waitcnt vmcnt(19)
	v_add_u16_e32 v1, v1, v51
	s_waitcnt vmcnt(18)
	v_add_u16_e32 v1, v1, v52
	s_waitcnt vmcnt(17)
	v_add_u16_e32 v1, v1, v53
	s_waitcnt vmcnt(16)
	v_add_u16_e32 v1, v1, v54
	s_waitcnt vmcnt(15)
	v_add_u16_e32 v1, v1, v4
	s_waitcnt vmcnt(14)
	v_add_u16_e32 v1, v1, v5
	s_waitcnt vmcnt(13)
	v_add_u16_e32 v1, v1, v8
	s_waitcnt vmcnt(12)
	v_add_u16_e32 v1, v1, v9
	s_waitcnt vmcnt(11)
	v_add_u16_e32 v1, v1, v55
	s_waitcnt vmcnt(10)
	v_add_u16_e32 v1, v1, v56
	s_waitcnt vmcnt(9)
	v_add_u16_e32 v1, v1, v57
	s_waitcnt vmcnt(8)
	v_add_u16_e32 v1, v1, v58
	s_waitcnt vmcnt(7)
	v_add_u16_e32 v1, v1, v59
	s_waitcnt vmcnt(6)
	v_add_u16_e32 v1, v1, v60
	s_waitcnt vmcnt(5)
	v_add_u16_e32 v1, v1, v61
	s_waitcnt vmcnt(4)
	v_add_u16_e32 v1, v1, v62
	s_waitcnt vmcnt(3)
	v_add_u16_e32 v1, v1, v63
	s_waitcnt vmcnt(2)
	v_add_u16_e32 v1, v1, v64
	s_waitcnt vmcnt(1)
	v_add_u16_e32 v1, v1, v65
	s_waitcnt vmcnt(0)
	v_add_u16_e32 v1, v1, v2
	v_mbcnt_lo_u32_b32 v2, -1, 0
	v_mbcnt_hi_u32_b32 v2, -1, v2
	v_add_u16_dpp v1, v1, v1 quad_perm:[1,0,3,2] row_mask:0xf bank_mask:0xf bound_ctrl:1
	v_lshlrev_b32_e32 v3, 2, v2
	v_or_b32_e32 v4, 0xfc, v3
	v_add_u16_dpp v1, v1, v1 quad_perm:[2,3,0,1] row_mask:0xf bank_mask:0xf bound_ctrl:1
	v_cmp_eq_u32_e32 vcc, 0, v2
	s_nop 0
	v_add_u16_dpp v1, v1, v1 row_ror:4 row_mask:0xf bank_mask:0xf bound_ctrl:1
	s_nop 1
	v_add_u16_dpp v1, v1, v1 row_ror:8 row_mask:0xf bank_mask:0xf bound_ctrl:1
	s_nop 1
	v_add_u16_dpp v1, v1, v1 row_bcast:15 row_mask:0xf bank_mask:0xf bound_ctrl:1
	s_nop 1
	v_add_u16_dpp v1, v1, v1 row_bcast:31 row_mask:0xf bank_mask:0xf bound_ctrl:1
	ds_bpermute_b32 v1, v4, v1
	s_and_saveexec_b64 s[6:7], vcc
	s_cbranch_execz .LBB159_7
; %bb.6:
	v_lshrrev_b32_e32 v4, 5, v0
	v_and_b32_e32 v4, 2, v4
	s_waitcnt lgkmcnt(0)
	ds_write_b16 v4, v1 offset:20
.LBB159_7:
	s_or_b64 exec, exec, s[6:7]
	v_cmp_gt_u32_e32 vcc, 64, v0
	s_waitcnt lgkmcnt(0)
	s_barrier
	s_and_saveexec_b64 s[6:7], vcc
	s_cbranch_execz .LBB159_9
; %bb.8:
	v_and_b32_e32 v1, 1, v2
	v_lshlrev_b32_e32 v1, 1, v1
	ds_read_u16 v1, v1 offset:20
	v_or_b32_e32 v2, 4, v3
	s_waitcnt lgkmcnt(0)
	v_and_b32_e32 v3, 0xffff, v1
	ds_bpermute_b32 v2, v2, v3
	s_waitcnt lgkmcnt(0)
	v_add_u16_e32 v1, v1, v2
.LBB159_9:
	s_or_b64 exec, exec, s[6:7]
.LBB159_10:
	v_cmp_eq_u32_e64 s[4:5], 0, v0
	s_and_b64 vcc, exec, s[40:41]
	s_cbranch_vccnz .LBB159_24
.LBB159_11:
	s_branch .LBB159_288
.LBB159_12:
	s_mov_b64 s[4:5], 0
                                        ; implicit-def: $vgpr1
	s_cbranch_execz .LBB159_371
	s_branch .LBB159_289
.LBB159_13:
	s_mov_b64 s[4:5], 0
                                        ; implicit-def: $vgpr1
	s_cbranch_execz .LBB159_288
; %bb.14:
	s_cmp_gt_i32 s33, 15
	s_cbranch_scc0 .LBB159_31
; %bb.15:
	s_cmp_eq_u32 s33, 16
	s_cbranch_scc0 .LBB159_32
; %bb.16:
	s_mov_b32 s3, 0
	s_lshl_b32 s4, s2, 11
	s_mov_b32 s5, s3
	s_lshr_b64 s[6:7], s[70:71], 11
	s_lshl_b64 s[8:9], s[4:5], 1
	s_add_u32 s34, s68, s8
	s_addc_u32 s35, s69, s9
	s_cmp_lg_u64 s[6:7], s[2:3]
	s_cbranch_scc0 .LBB159_168
; %bb.17:
	v_lshlrev_b32_e32 v1, 1, v0
	global_load_ushort v4, v1, s[34:35]
	global_load_ushort v5, v1, s[34:35] offset:256
	global_load_ushort v6, v1, s[34:35] offset:512
	;; [unrolled: 1-line block ×14, first 2 shown]
	s_nop 0
	global_load_ushort v1, v1, s[34:35] offset:3840
	v_mbcnt_lo_u32_b32 v2, -1, 0
	v_mbcnt_hi_u32_b32 v2, -1, v2
	v_lshlrev_b32_e32 v3, 2, v2
	v_cmp_eq_u32_e32 vcc, 0, v2
	s_waitcnt vmcnt(14)
	v_add_u16_e32 v4, v5, v4
	s_waitcnt vmcnt(13)
	v_add_u16_e32 v4, v4, v6
	;; [unrolled: 2-line block ×15, first 2 shown]
	v_or_b32_e32 v4, 0xfc, v3
	s_nop 0
	v_add_u16_dpp v1, v1, v1 quad_perm:[1,0,3,2] row_mask:0xf bank_mask:0xf bound_ctrl:1
	s_nop 1
	v_add_u16_dpp v1, v1, v1 quad_perm:[2,3,0,1] row_mask:0xf bank_mask:0xf bound_ctrl:1
	s_nop 1
	v_add_u16_dpp v1, v1, v1 row_ror:4 row_mask:0xf bank_mask:0xf bound_ctrl:1
	s_nop 1
	v_add_u16_dpp v1, v1, v1 row_ror:8 row_mask:0xf bank_mask:0xf bound_ctrl:1
	s_nop 1
	v_add_u16_dpp v1, v1, v1 row_bcast:15 row_mask:0xf bank_mask:0xf bound_ctrl:1
	s_nop 1
	v_add_u16_dpp v1, v1, v1 row_bcast:31 row_mask:0xf bank_mask:0xf bound_ctrl:1
	ds_bpermute_b32 v1, v4, v1
	s_and_saveexec_b64 s[6:7], vcc
	s_cbranch_execz .LBB159_19
; %bb.18:
	v_lshrrev_b32_e32 v4, 5, v0
	v_and_b32_e32 v4, 2, v4
	s_waitcnt lgkmcnt(0)
	ds_write_b16 v4, v1
.LBB159_19:
	s_or_b64 exec, exec, s[6:7]
	v_cmp_gt_u32_e32 vcc, 64, v0
	s_waitcnt lgkmcnt(0)
	s_barrier
	s_and_saveexec_b64 s[6:7], vcc
	s_cbranch_execz .LBB159_21
; %bb.20:
	v_and_b32_e32 v1, 1, v2
	v_lshlrev_b32_e32 v1, 1, v1
	ds_read_u16 v1, v1
	v_or_b32_e32 v2, 4, v3
	s_waitcnt lgkmcnt(0)
	v_and_b32_e32 v3, 0xffff, v1
	ds_bpermute_b32 v2, v2, v3
	s_waitcnt lgkmcnt(0)
	v_add_u16_e32 v1, v1, v2
.LBB159_21:
	s_or_b64 exec, exec, s[6:7]
	s_mov_b64 s[6:7], 0
	s_branch .LBB159_169
.LBB159_22:
	s_mov_b64 s[40:41], -1
.LBB159_23:
	s_mov_b64 s[4:5], 0
                                        ; implicit-def: $vgpr1
	s_and_b64 vcc, exec, s[40:41]
	s_cbranch_vccz .LBB159_11
.LBB159_24:
	s_cmp_eq_u32 s33, 32
	s_cbranch_scc0 .LBB159_33
; %bb.25:
	s_mov_b32 s3, 0
	s_lshl_b32 s4, s2, 12
	s_mov_b32 s5, s3
	s_lshr_b64 s[6:7], s[70:71], 12
	s_lshl_b64 s[8:9], s[4:5], 1
	s_add_u32 s66, s68, s8
	s_addc_u32 s67, s69, s9
	s_cmp_lg_u64 s[6:7], s[2:3]
	s_cbranch_scc0 .LBB159_216
; %bb.26:
	v_lshlrev_b32_e32 v2, 1, v0
	global_load_ushort v1, v2, s[66:67]
	global_load_ushort v6, v2, s[66:67] offset:256
	global_load_ushort v7, v2, s[66:67] offset:512
	;; [unrolled: 1-line block ×15, first 2 shown]
	v_mov_b32_e32 v3, 0
	v_lshl_add_u64 v[4:5], s[66:67], 0, v[2:3]
	s_movk_i32 s5, 0x1000
	v_add_co_u32_e32 v2, vcc, s5, v4
	s_waitcnt vmcnt(14)
	v_add_u16_e32 v1, v6, v1
	v_addc_co_u32_e32 v3, vcc, 0, v5, vcc
	global_load_ushort v4, v[2:3], off
	global_load_ushort v5, v[2:3], off offset:256
	global_load_ushort v21, v[2:3], off offset:512
	;; [unrolled: 1-line block ×15, first 2 shown]
	s_waitcnt vmcnt(29)
	v_add_u16_e32 v1, v1, v7
	s_waitcnt vmcnt(28)
	v_add_u16_e32 v1, v1, v8
	s_waitcnt vmcnt(27)
	v_add_u16_e32 v1, v1, v9
	s_waitcnt vmcnt(26)
	v_add_u16_e32 v1, v1, v10
	s_waitcnt vmcnt(25)
	v_add_u16_e32 v1, v1, v11
	s_waitcnt vmcnt(24)
	v_add_u16_e32 v1, v1, v12
	s_waitcnt vmcnt(23)
	v_add_u16_e32 v1, v1, v13
	s_waitcnt vmcnt(22)
	v_add_u16_e32 v1, v1, v14
	s_waitcnt vmcnt(21)
	v_add_u16_e32 v1, v1, v15
	s_waitcnt vmcnt(20)
	v_add_u16_e32 v1, v1, v16
	s_waitcnt vmcnt(19)
	v_add_u16_e32 v1, v1, v17
	s_waitcnt vmcnt(18)
	v_add_u16_e32 v1, v1, v18
	s_waitcnt vmcnt(17)
	v_add_u16_e32 v1, v1, v19
	s_waitcnt vmcnt(16)
	v_add_u16_e32 v1, v1, v20
	v_mbcnt_lo_u32_b32 v2, -1, 0
	v_mbcnt_hi_u32_b32 v2, -1, v2
	v_lshlrev_b32_e32 v3, 2, v2
	v_cmp_eq_u32_e32 vcc, 0, v2
	s_waitcnt vmcnt(15)
	v_add_u16_e32 v1, v1, v4
	s_waitcnt vmcnt(14)
	v_add_u16_e32 v1, v1, v5
	s_waitcnt vmcnt(13)
	v_add_u16_e32 v1, v1, v21
	s_waitcnt vmcnt(12)
	v_add_u16_e32 v1, v1, v22
	s_waitcnt vmcnt(11)
	v_add_u16_e32 v1, v1, v23
	s_waitcnt vmcnt(10)
	v_add_u16_e32 v1, v1, v24
	s_waitcnt vmcnt(9)
	v_add_u16_e32 v1, v1, v25
	s_waitcnt vmcnt(8)
	v_add_u16_e32 v1, v1, v26
	s_waitcnt vmcnt(7)
	v_add_u16_e32 v1, v1, v27
	s_waitcnt vmcnt(6)
	v_add_u16_e32 v1, v1, v28
	s_waitcnt vmcnt(5)
	v_add_u16_e32 v1, v1, v29
	s_waitcnt vmcnt(4)
	v_add_u16_e32 v1, v1, v30
	s_waitcnt vmcnt(3)
	v_add_u16_e32 v1, v1, v31
	s_waitcnt vmcnt(2)
	v_add_u16_e32 v1, v1, v32
	s_waitcnt vmcnt(1)
	v_add_u16_e32 v1, v1, v33
	s_waitcnt vmcnt(0)
	v_add_u16_e32 v1, v1, v34
	v_or_b32_e32 v4, 0xfc, v3
	s_nop 0
	v_add_u16_dpp v1, v1, v1 quad_perm:[1,0,3,2] row_mask:0xf bank_mask:0xf bound_ctrl:1
	s_nop 1
	v_add_u16_dpp v1, v1, v1 quad_perm:[2,3,0,1] row_mask:0xf bank_mask:0xf bound_ctrl:1
	s_nop 1
	v_add_u16_dpp v1, v1, v1 row_ror:4 row_mask:0xf bank_mask:0xf bound_ctrl:1
	s_nop 1
	v_add_u16_dpp v1, v1, v1 row_ror:8 row_mask:0xf bank_mask:0xf bound_ctrl:1
	s_nop 1
	v_add_u16_dpp v1, v1, v1 row_bcast:15 row_mask:0xf bank_mask:0xf bound_ctrl:1
	s_nop 1
	v_add_u16_dpp v1, v1, v1 row_bcast:31 row_mask:0xf bank_mask:0xf bound_ctrl:1
	ds_bpermute_b32 v1, v4, v1
	s_and_saveexec_b64 s[6:7], vcc
	s_cbranch_execz .LBB159_28
; %bb.27:
	v_lshrrev_b32_e32 v4, 5, v0
	v_and_b32_e32 v4, 2, v4
	s_waitcnt lgkmcnt(0)
	ds_write_b16 v4, v1 offset:12
.LBB159_28:
	s_or_b64 exec, exec, s[6:7]
	v_cmp_gt_u32_e32 vcc, 64, v0
	s_waitcnt lgkmcnt(0)
	s_barrier
	s_and_saveexec_b64 s[6:7], vcc
	s_cbranch_execz .LBB159_30
; %bb.29:
	v_and_b32_e32 v1, 1, v2
	v_lshlrev_b32_e32 v1, 1, v1
	ds_read_u16 v1, v1 offset:12
	v_or_b32_e32 v2, 4, v3
	s_waitcnt lgkmcnt(0)
	v_and_b32_e32 v3, 0xffff, v1
	ds_bpermute_b32 v2, v2, v3
	s_waitcnt lgkmcnt(0)
	v_add_u16_e32 v1, v1, v2
.LBB159_30:
	s_or_b64 exec, exec, s[6:7]
	s_mov_b64 s[6:7], 0
	s_branch .LBB159_217
.LBB159_31:
                                        ; implicit-def: $vgpr1
	s_cbranch_execz .LBB159_288
	s_branch .LBB159_208
.LBB159_32:
                                        ; implicit-def: $vgpr1
	s_branch .LBB159_288
.LBB159_33:
                                        ; implicit-def: $vgpr1
	s_branch .LBB159_288
.LBB159_34:
                                        ; implicit-def: $vgpr1
	s_cbranch_execz .LBB159_10
; %bb.35:
	s_sub_i32 s46, s70, s4
	s_mov_b32 s4, 0
	s_mov_b32 s18, s4
	;; [unrolled: 1-line block ×16, first 2 shown]
	v_mov_b64_e32 v[32:33], s[18:19]
	v_mov_b64_e32 v[18:19], s[4:5]
	;; [unrolled: 1-line block ×9, first 2 shown]
	v_cmp_gt_u32_e32 vcc, s46, v0
	v_mov_b64_e32 v[4:5], v[20:21]
	v_mov_b64_e32 v[6:7], v[22:23]
	;; [unrolled: 1-line block ×7, first 2 shown]
	s_and_saveexec_b64 s[4:5], vcc
	s_cbranch_execz .LBB159_37
; %bb.36:
	v_lshlrev_b32_e32 v1, 1, v0
	global_load_ushort v1, v1, s[42:43]
	v_mov_b32_e32 v19, 0
	v_mov_b32_e32 v20, v19
	v_mov_b32_e32 v21, v19
	v_mov_b32_e32 v22, v19
	v_mov_b32_e32 v23, v19
	v_mov_b32_e32 v24, v19
	v_mov_b32_e32 v25, v19
	v_mov_b32_e32 v26, v19
	v_mov_b32_e32 v27, v19
	v_mov_b32_e32 v28, v19
	v_mov_b32_e32 v29, v19
	v_mov_b32_e32 v30, v19
	v_mov_b32_e32 v31, v19
	v_mov_b32_e32 v32, v19
	v_mov_b32_e32 v33, v19
	v_mov_b32_e32 v2, v19
	v_mov_b32_e32 v3, v19
	v_mov_b32_e32 v4, v19
	v_mov_b32_e32 v5, v19
	v_mov_b32_e32 v6, v19
	v_mov_b32_e32 v7, v19
	v_mov_b32_e32 v8, v19
	v_mov_b32_e32 v9, v19
	v_mov_b32_e32 v10, v19
	v_mov_b32_e32 v11, v19
	v_mov_b32_e32 v12, v19
	v_mov_b32_e32 v13, v19
	v_mov_b32_e32 v14, v19
	v_mov_b32_e32 v15, v19
	v_mov_b32_e32 v16, v19
	v_mov_b32_e32 v17, v19
	s_waitcnt vmcnt(0)
	v_and_b32_e32 v18, 0xffff, v1
.LBB159_37:
	s_or_b64 exec, exec, s[4:5]
	v_or_b32_e32 v1, 0x80, v0
	v_cmp_gt_u32_e32 vcc, s46, v1
	s_and_saveexec_b64 s[4:5], vcc
	s_cbranch_execz .LBB159_39
; %bb.38:
	v_lshlrev_b32_e32 v1, 1, v0
	global_load_ushort v1, v1, s[42:43] offset:256
	s_mov_b32 s6, 0x5040100
	s_waitcnt vmcnt(0)
	v_perm_b32 v18, v1, v18, s6
.LBB159_39:
	s_or_b64 exec, exec, s[4:5]
	v_or_b32_e32 v1, 0x100, v0
	v_cmp_gt_u32_e64 s[6:7], s46, v1
	s_mov_b64 s[4:5], exec
                                        ; implicit-def: $vgpr66 : SGPR spill to VGPR lane
	s_nop 0
	v_writelane_b32 v66, s6, 0
	s_nop 1
	v_writelane_b32 v66, s7, 1
	s_and_b64 s[6:7], s[4:5], s[6:7]
	s_mov_b64 exec, s[6:7]
	s_cbranch_execz .LBB159_41
; %bb.40:
	v_lshlrev_b32_e32 v1, 1, v0
	global_load_ushort v1, v1, s[42:43] offset:512
	s_mov_b32 s6, 0xffff
	s_waitcnt vmcnt(0)
	v_bfi_b32 v19, s6, v1, v19
.LBB159_41:
	s_or_b64 exec, exec, s[4:5]
	v_or_b32_e32 v1, 0x180, v0
	v_cmp_gt_u32_e64 s[6:7], s46, v1
	s_mov_b64 s[4:5], exec
	s_nop 0
	v_writelane_b32 v66, s6, 2
	s_nop 1
	v_writelane_b32 v66, s7, 3
	s_and_b64 s[6:7], s[4:5], s[6:7]
	s_mov_b64 exec, s[6:7]
	s_cbranch_execz .LBB159_43
; %bb.42:
	v_lshlrev_b32_e32 v1, 1, v0
	global_load_ushort v1, v1, s[42:43] offset:768
	s_mov_b32 s6, 0x5040100
	s_waitcnt vmcnt(0)
	v_perm_b32 v19, v1, v19, s6
.LBB159_43:
	s_or_b64 exec, exec, s[4:5]
	v_or_b32_e32 v1, 0x200, v0
	v_cmp_gt_u32_e64 s[6:7], s46, v1
	s_mov_b64 s[4:5], exec
	s_nop 0
	v_writelane_b32 v66, s6, 4
	s_nop 1
	v_writelane_b32 v66, s7, 5
	s_and_b64 s[6:7], s[4:5], s[6:7]
	s_mov_b64 exec, s[6:7]
	s_cbranch_execz .LBB159_45
; %bb.44:
	v_lshlrev_b32_e32 v1, 1, v0
	global_load_ushort v1, v1, s[42:43] offset:1024
	s_mov_b32 s6, 0xffff
	s_waitcnt vmcnt(0)
	v_bfi_b32 v20, s6, v1, v20
.LBB159_45:
	s_or_b64 exec, exec, s[4:5]
	v_or_b32_e32 v1, 0x280, v0
	v_cmp_gt_u32_e64 s[6:7], s46, v1
	s_mov_b64 s[4:5], exec
	s_nop 0
	v_writelane_b32 v66, s6, 6
	s_nop 1
	v_writelane_b32 v66, s7, 7
	s_and_b64 s[6:7], s[4:5], s[6:7]
	s_mov_b64 exec, s[6:7]
	s_cbranch_execz .LBB159_47
; %bb.46:
	v_lshlrev_b32_e32 v1, 1, v0
	global_load_ushort v1, v1, s[42:43] offset:1280
	s_mov_b32 s6, 0x5040100
	s_waitcnt vmcnt(0)
	v_perm_b32 v20, v1, v20, s6
.LBB159_47:
	s_or_b64 exec, exec, s[4:5]
	v_or_b32_e32 v1, 0x300, v0
	v_cmp_gt_u32_e64 s[6:7], s46, v1
	s_mov_b64 s[4:5], exec
	;; [unrolled: 36-line block ×7, first 2 shown]
	s_nop 0
	v_writelane_b32 v66, s6, 28
	s_nop 1
	v_writelane_b32 v66, s7, 29
	s_and_b64 s[6:7], s[4:5], s[6:7]
	s_mov_b64 exec, s[6:7]
	s_cbranch_execz .LBB159_69
; %bb.68:
	v_lshlrev_b32_e32 v1, 1, v1
	global_load_ushort v1, v1, s[42:43]
	s_mov_b32 s6, 0xffff
	s_waitcnt vmcnt(0)
	v_bfi_b32 v26, s6, v1, v26
.LBB159_69:
	s_or_b64 exec, exec, s[4:5]
	v_or_b32_e32 v1, 0x880, v0
	v_cmp_gt_u32_e64 s[6:7], s46, v1
	s_mov_b64 s[4:5], exec
	s_nop 0
	v_writelane_b32 v66, s6, 30
	s_nop 1
	v_writelane_b32 v66, s7, 31
	s_and_b64 s[6:7], s[4:5], s[6:7]
	s_mov_b64 exec, s[6:7]
	s_cbranch_execz .LBB159_71
; %bb.70:
	v_lshlrev_b32_e32 v1, 1, v1
	global_load_ushort v1, v1, s[42:43]
	s_mov_b32 s6, 0x5040100
	s_waitcnt vmcnt(0)
	v_perm_b32 v26, v1, v26, s6
.LBB159_71:
	s_or_b64 exec, exec, s[4:5]
	v_or_b32_e32 v1, 0x900, v0
	v_cmp_gt_u32_e64 s[6:7], s46, v1
	s_mov_b64 s[4:5], exec
	s_nop 0
	v_writelane_b32 v66, s6, 32
	s_nop 1
	v_writelane_b32 v66, s7, 33
	s_and_b64 s[6:7], s[4:5], s[6:7]
	s_mov_b64 exec, s[6:7]
	s_cbranch_execz .LBB159_73
; %bb.72:
	v_lshlrev_b32_e32 v1, 1, v1
	global_load_ushort v1, v1, s[42:43]
	s_mov_b32 s6, 0xffff
	s_waitcnt vmcnt(0)
	v_bfi_b32 v27, s6, v1, v27
.LBB159_73:
	s_or_b64 exec, exec, s[4:5]
	v_or_b32_e32 v1, 0x980, v0
	v_cmp_gt_u32_e64 s[6:7], s46, v1
	s_mov_b64 s[4:5], exec
	s_nop 0
	v_writelane_b32 v66, s6, 34
	s_nop 1
	v_writelane_b32 v66, s7, 35
	s_and_b64 s[6:7], s[4:5], s[6:7]
	s_mov_b64 exec, s[6:7]
	s_cbranch_execz .LBB159_75
; %bb.74:
	v_lshlrev_b32_e32 v1, 1, v1
	global_load_ushort v1, v1, s[42:43]
	s_mov_b32 s6, 0x5040100
	s_waitcnt vmcnt(0)
	v_perm_b32 v27, v1, v27, s6
.LBB159_75:
	s_or_b64 exec, exec, s[4:5]
	v_or_b32_e32 v1, 0xa00, v0
	v_cmp_gt_u32_e64 s[6:7], s46, v1
	s_mov_b64 s[4:5], exec
	;; [unrolled: 36-line block ×3, first 2 shown]
	s_nop 0
	v_writelane_b32 v66, s6, 40
	s_nop 1
	v_writelane_b32 v66, s7, 41
	s_and_b64 s[6:7], s[4:5], s[6:7]
	s_mov_b64 exec, s[6:7]
	s_cbranch_execz .LBB159_81
; %bb.80:
	v_lshlrev_b32_e32 v1, 1, v1
	global_load_ushort v1, v1, s[42:43]
	s_mov_b32 s6, 0xffff
	s_waitcnt vmcnt(0)
	v_bfi_b32 v29, s6, v1, v29
.LBB159_81:
	s_or_b64 exec, exec, s[4:5]
	v_or_b32_e32 v1, 0xb80, v0
	v_cmp_gt_u32_e64 s[6:7], s46, v1
	s_mov_b64 s[4:5], exec
	s_nop 0
	v_writelane_b32 v66, s6, 42
	s_nop 1
	v_writelane_b32 v66, s7, 43
	s_and_b64 s[6:7], s[4:5], s[6:7]
	s_mov_b64 exec, s[6:7]
	s_cbranch_execz .LBB159_83
; %bb.82:
	v_lshlrev_b32_e32 v1, 1, v1
	global_load_ushort v1, v1, s[42:43]
	s_mov_b32 s6, 0x5040100
	s_waitcnt vmcnt(0)
	v_perm_b32 v29, v1, v29, s6
.LBB159_83:
	s_or_b64 exec, exec, s[4:5]
	v_or_b32_e32 v1, 0xc00, v0
	v_cmp_gt_u32_e64 s[50:51], s46, v1
	s_and_saveexec_b64 s[4:5], s[50:51]
	s_cbranch_execz .LBB159_85
; %bb.84:
	v_lshlrev_b32_e32 v1, 1, v1
	global_load_ushort v1, v1, s[42:43]
	s_mov_b32 s6, 0xffff
	s_waitcnt vmcnt(0)
	v_bfi_b32 v30, s6, v1, v30
.LBB159_85:
	s_or_b64 exec, exec, s[4:5]
	v_or_b32_e32 v1, 0xc80, v0
	v_cmp_gt_u32_e64 s[52:53], s46, v1
	s_and_saveexec_b64 s[4:5], s[52:53]
	s_cbranch_execz .LBB159_87
; %bb.86:
	v_lshlrev_b32_e32 v1, 1, v1
	global_load_ushort v1, v1, s[42:43]
	s_mov_b32 s6, 0x5040100
	s_waitcnt vmcnt(0)
	v_perm_b32 v30, v1, v30, s6
.LBB159_87:
	s_or_b64 exec, exec, s[4:5]
	v_or_b32_e32 v1, 0xd00, v0
	v_cmp_gt_u32_e64 s[54:55], s46, v1
	s_and_saveexec_b64 s[4:5], s[54:55]
	s_cbranch_execz .LBB159_89
; %bb.88:
	v_lshlrev_b32_e32 v1, 1, v1
	global_load_ushort v1, v1, s[42:43]
	s_mov_b32 s6, 0xffff
	s_waitcnt vmcnt(0)
	v_bfi_b32 v31, s6, v1, v31
.LBB159_89:
	s_or_b64 exec, exec, s[4:5]
	v_or_b32_e32 v1, 0xd80, v0
	v_cmp_gt_u32_e64 s[56:57], s46, v1
	s_and_saveexec_b64 s[4:5], s[56:57]
	;; [unrolled: 24-line block ×20, first 2 shown]
	s_cbranch_execz .LBB159_163
; %bb.162:
	v_lshlrev_b32_e32 v1, 1, v1
	global_load_ushort v1, v1, s[42:43]
	s_mov_b32 s42, 0x5040100
	s_waitcnt vmcnt(0)
	v_perm_b32 v17, v1, v17, s42
.LBB159_163:
	s_or_b64 exec, exec, s[44:45]
	v_readlane_b32 s42, v66, 0
	v_readlane_b32 s43, v66, 1
	v_mov_b32_e32 v1, 0
	v_cndmask_b32_sdwa v1, v1, v18, vcc dst_sel:DWORD dst_unused:UNUSED_PAD src0_sel:DWORD src1_sel:WORD_1
	v_cndmask_b32_e64 v34, 0, v19, s[42:43]
	v_readlane_b32 s42, v66, 2
	v_lshrrev_b32_e32 v19, 16, v19
	v_readlane_b32 s43, v66, 3
	v_add_u16_e32 v1, v1, v18
	v_add_u16_e32 v1, v1, v34
	v_cndmask_b32_e64 v19, 0, v19, s[42:43]
	v_readlane_b32 s42, v66, 4
	v_readlane_b32 s43, v66, 5
	v_add_u16_e32 v1, v1, v19
	s_nop 0
	v_cndmask_b32_e64 v35, 0, v20, s[42:43]
	v_readlane_b32 s42, v66, 6
	v_lshrrev_b32_e32 v20, 16, v20
	v_readlane_b32 s43, v66, 7
	v_add_u16_e32 v1, v1, v35
	s_nop 0
	v_cndmask_b32_e64 v20, 0, v20, s[42:43]
	v_readlane_b32 s42, v66, 8
	v_readlane_b32 s43, v66, 9
	v_add_u16_e32 v1, v1, v20
	s_nop 0
	v_cndmask_b32_e64 v36, 0, v21, s[42:43]
	v_readlane_b32 s42, v66, 10
	v_lshrrev_b32_e32 v21, 16, v21
	v_readlane_b32 s43, v66, 11
	v_add_u16_e32 v1, v1, v36
	s_nop 0
	v_cndmask_b32_e64 v21, 0, v21, s[42:43]
	v_readlane_b32 s42, v66, 12
	v_readlane_b32 s43, v66, 13
	v_add_u16_e32 v1, v1, v21
	s_nop 0
	v_cndmask_b32_e64 v37, 0, v22, s[42:43]
	v_readlane_b32 s42, v66, 14
	v_lshrrev_b32_e32 v22, 16, v22
	v_readlane_b32 s43, v66, 15
	v_add_u16_e32 v1, v1, v37
	s_nop 0
	v_cndmask_b32_e64 v22, 0, v22, s[42:43]
	v_readlane_b32 s42, v66, 16
	v_readlane_b32 s43, v66, 17
	v_add_u16_e32 v1, v1, v22
	s_nop 0
	v_cndmask_b32_e64 v38, 0, v23, s[42:43]
	v_readlane_b32 s42, v66, 18
	v_lshrrev_b32_e32 v23, 16, v23
	v_readlane_b32 s43, v66, 19
	v_add_u16_e32 v1, v1, v38
	s_nop 0
	v_cndmask_b32_e64 v23, 0, v23, s[42:43]
	v_readlane_b32 s42, v66, 20
	v_readlane_b32 s43, v66, 21
	v_add_u16_e32 v1, v1, v23
	s_nop 0
	v_cndmask_b32_e64 v39, 0, v24, s[42:43]
	v_readlane_b32 s42, v66, 22
	v_lshrrev_b32_e32 v24, 16, v24
	v_readlane_b32 s43, v66, 23
	v_add_u16_e32 v1, v1, v39
	s_nop 0
	v_cndmask_b32_e64 v24, 0, v24, s[42:43]
	v_readlane_b32 s42, v66, 24
	v_readlane_b32 s43, v66, 25
	v_add_u16_e32 v1, v1, v24
	s_nop 0
	v_cndmask_b32_e64 v40, 0, v25, s[42:43]
	v_readlane_b32 s42, v66, 26
	v_lshrrev_b32_e32 v25, 16, v25
	v_readlane_b32 s43, v66, 27
	v_add_u16_e32 v1, v1, v40
	s_nop 0
	v_cndmask_b32_e64 v25, 0, v25, s[42:43]
	v_readlane_b32 s42, v66, 28
	v_readlane_b32 s43, v66, 29
	v_add_u16_e32 v1, v1, v25
	s_nop 0
	v_cndmask_b32_e64 v41, 0, v26, s[42:43]
	v_readlane_b32 s42, v66, 30
	v_lshrrev_b32_e32 v26, 16, v26
	v_readlane_b32 s43, v66, 31
	v_add_u16_e32 v1, v1, v41
	s_nop 0
	v_cndmask_b32_e64 v26, 0, v26, s[42:43]
	v_readlane_b32 s42, v66, 32
	v_readlane_b32 s43, v66, 33
	v_add_u16_e32 v1, v1, v26
	s_nop 0
	v_cndmask_b32_e64 v42, 0, v27, s[42:43]
	v_readlane_b32 s42, v66, 34
	v_lshrrev_b32_e32 v27, 16, v27
	v_readlane_b32 s43, v66, 35
	v_add_u16_e32 v1, v1, v42
	s_nop 0
	v_cndmask_b32_e64 v27, 0, v27, s[42:43]
	v_readlane_b32 s42, v66, 36
	v_readlane_b32 s43, v66, 37
	v_add_u16_e32 v1, v1, v27
	s_nop 0
	v_cndmask_b32_e64 v43, 0, v28, s[42:43]
	v_readlane_b32 s42, v66, 38
	v_lshrrev_b32_e32 v28, 16, v28
	v_readlane_b32 s43, v66, 39
	v_add_u16_e32 v1, v1, v43
	s_nop 0
	v_cndmask_b32_e64 v28, 0, v28, s[42:43]
	v_readlane_b32 s42, v66, 40
	v_readlane_b32 s43, v66, 41
	v_add_u16_e32 v1, v1, v28
	s_nop 0
	v_cndmask_b32_e64 v18, 0, v29, s[42:43]
	v_readlane_b32 s42, v66, 42
	v_add_u16_e32 v1, v1, v18
	v_lshrrev_b32_e32 v18, 16, v29
	v_readlane_b32 s43, v66, 43
	s_nop 1
	v_cndmask_b32_e64 v18, 0, v18, s[42:43]
	v_add_u16_e32 v1, v1, v18
	v_cndmask_b32_e64 v18, 0, v30, s[50:51]
	v_add_u16_e32 v1, v1, v18
	v_lshrrev_b32_e32 v18, 16, v30
	v_cndmask_b32_e64 v18, 0, v18, s[52:53]
	v_add_u16_e32 v1, v1, v18
	v_cndmask_b32_e64 v18, 0, v31, s[54:55]
	v_add_u16_e32 v1, v1, v18
	v_lshrrev_b32_e32 v18, 16, v31
	;; [unrolled: 5-line block ×4, first 2 shown]
	v_cndmask_b32_e64 v18, 0, v18, s[64:65]
	v_add_u16_e32 v1, v1, v18
	v_cndmask_b32_e64 v18, 0, v2, s[66:67]
	v_lshrrev_b32_e32 v2, 16, v2
	v_add_u16_e32 v1, v1, v18
	v_cndmask_b32_e64 v2, 0, v2, s[36:37]
	v_add_u16_e32 v1, v1, v2
	v_cndmask_b32_e64 v2, 0, v3, s[38:39]
	v_add_u16_e32 v1, v1, v2
	v_lshrrev_b32_e32 v2, 16, v3
	v_cndmask_b32_e64 v2, 0, v2, s[72:73]
	v_add_u16_e32 v1, v1, v2
	v_cndmask_b32_e64 v2, 0, v4, s[74:75]
	v_add_u16_e32 v1, v1, v2
	v_lshrrev_b32_e32 v2, 16, v4
	;; [unrolled: 5-line block ×15, first 2 shown]
	v_cndmask_b32_e64 v2, 0, v2, s[34:35]
	v_add_u16_e32 v1, v1, v2
	v_mbcnt_lo_u32_b32 v2, -1, 0
	v_mbcnt_hi_u32_b32 v2, -1, v2
	v_and_b32_e32 v4, 63, v2
	v_cmp_ne_u32_e32 vcc, 63, v4
	s_min_u32 s6, s46, 0x80
	v_and_b32_e32 v5, 64, v0
	v_addc_co_u32_e32 v3, vcc, 0, v2, vcc
	v_lshlrev_b32_e32 v3, 2, v3
	ds_bpermute_b32 v3, v3, v1
	v_sub_u32_e64 v5, s6, v5 clamp
	v_add_u32_e32 v6, 1, v4
	v_cmp_gt_u32_e64 s[4:5], 62, v4
	v_cmp_lt_u32_e32 vcc, v6, v5
	s_waitcnt lgkmcnt(0)
	v_add_u16_e32 v3, v1, v3
	v_cndmask_b32_e64 v6, 0, 2, s[4:5]
	v_cndmask_b32_e32 v3, v1, v3, vcc
	v_add_lshl_u32 v6, v6, v2, 2
	ds_bpermute_b32 v6, v6, v3
	v_add_u32_e32 v7, 2, v4
	v_cmp_lt_u32_e64 s[4:5], v7, v5
	v_add_u32_e32 v7, 4, v4
	s_waitcnt lgkmcnt(0)
	v_add_u16_e32 v6, v3, v6
	v_cndmask_b32_e64 v3, v3, v6, s[4:5]
	v_cmp_gt_u32_e64 s[4:5], 60, v4
	s_nop 1
	v_cndmask_b32_e64 v6, 0, 4, s[4:5]
	v_add_lshl_u32 v6, v6, v2, 2
	ds_bpermute_b32 v6, v6, v3
	v_cmp_lt_u32_e64 s[4:5], v7, v5
	v_add_u32_e32 v7, 8, v4
	s_waitcnt lgkmcnt(0)
	v_add_u16_e32 v6, v3, v6
	v_cndmask_b32_e64 v3, v3, v6, s[4:5]
	v_cmp_gt_u32_e64 s[4:5], 56, v4
	s_nop 1
	v_cndmask_b32_e64 v6, 0, 8, s[4:5]
	v_add_lshl_u32 v6, v6, v2, 2
	ds_bpermute_b32 v6, v6, v3
	v_cmp_lt_u32_e64 s[4:5], v7, v5
	v_add_u32_e32 v7, 16, v4
	s_waitcnt lgkmcnt(0)
	v_add_u16_e32 v6, v3, v6
	v_cndmask_b32_e64 v3, v3, v6, s[4:5]
	v_cmp_gt_u32_e64 s[4:5], 48, v4
	v_add_u32_e32 v4, 32, v4
	s_nop 0
	v_cndmask_b32_e64 v6, 0, 16, s[4:5]
	v_add_lshl_u32 v6, v6, v2, 2
	ds_bpermute_b32 v6, v6, v3
	v_cmp_lt_u32_e64 s[4:5], v7, v5
	s_waitcnt lgkmcnt(0)
	v_add_u16_e32 v6, v3, v6
	v_cndmask_b32_e64 v6, v3, v6, s[4:5]
	v_lshlrev_b32_e32 v3, 2, v2
	v_or_b32_e32 v7, 0x80, v3
	ds_bpermute_b32 v7, v7, v6
	v_cmp_lt_u32_e64 s[4:5], v4, v5
	s_waitcnt lgkmcnt(0)
	s_nop 0
	v_cndmask_b32_e64 v4, 0, v7, s[4:5]
	v_add_u16_e32 v4, v6, v4
	v_cndmask_b32_e32 v1, v1, v4, vcc
	v_cmp_eq_u32_e32 vcc, 0, v2
	s_and_saveexec_b64 s[4:5], vcc
; %bb.164:
	v_lshrrev_b32_e32 v4, 5, v0
	v_and_b32_e32 v4, 2, v4
	ds_write_b16 v4, v1 offset:28
; %bb.165:
	s_or_b64 exec, exec, s[4:5]
	v_cmp_gt_u32_e32 vcc, 2, v0
	s_waitcnt lgkmcnt(0)
	s_barrier
	s_and_saveexec_b64 s[4:5], vcc
	s_cbranch_execz .LBB159_167
; %bb.166:
	v_lshlrev_b32_e32 v1, 1, v2
	ds_read_u16 v1, v1 offset:28
	v_or_b32_e32 v3, 4, v3
	s_add_i32 s6, s6, 63
	v_and_b32_e32 v2, 1, v2
	s_lshr_b32 s6, s6, 6
	s_waitcnt lgkmcnt(0)
	v_and_b32_e32 v4, 0xffff, v1
	ds_bpermute_b32 v3, v3, v4
	v_add_u32_e32 v2, 1, v2
	v_cmp_gt_u32_e32 vcc, s6, v2
	s_waitcnt lgkmcnt(0)
	s_nop 0
	v_cndmask_b32_e32 v2, 0, v3, vcc
	v_add_u16_e32 v1, v2, v1
.LBB159_167:
	s_or_b64 exec, exec, s[4:5]
	v_cmp_eq_u32_e64 s[4:5], 0, v0
	s_and_b64 vcc, exec, s[40:41]
	s_cbranch_vccnz .LBB159_24
	s_branch .LBB159_11
.LBB159_168:
	s_mov_b64 s[6:7], -1
                                        ; implicit-def: $vgpr1
.LBB159_169:
	s_and_b64 vcc, exec, s[6:7]
	s_cbranch_vccz .LBB159_207
; %bb.170:
	s_sub_i32 s38, s70, s4
	v_mov_b32_e32 v2, 0
	v_cmp_gt_u32_e32 vcc, s38, v0
	v_mov_b32_e32 v3, v2
	v_mov_b32_e32 v4, v2
	;; [unrolled: 1-line block ×7, first 2 shown]
	s_and_saveexec_b64 s[4:5], vcc
	s_cbranch_execz .LBB159_172
; %bb.171:
	v_lshlrev_b32_e32 v1, 1, v0
	global_load_ushort v1, v1, s[34:35]
	v_mov_b32_e32 v5, v2
	v_mov_b32_e32 v6, v2
	;; [unrolled: 1-line block ×7, first 2 shown]
	s_waitcnt vmcnt(0)
	v_and_b32_e32 v4, 0xffff, v1
	v_mov_b64_e32 v[2:3], v[4:5]
	v_mov_b64_e32 v[4:5], v[6:7]
	;; [unrolled: 1-line block ×4, first 2 shown]
.LBB159_172:
	s_or_b64 exec, exec, s[4:5]
	v_or_b32_e32 v1, 0x80, v0
	v_cmp_gt_u32_e32 vcc, s38, v1
	s_and_saveexec_b64 s[4:5], vcc
	s_cbranch_execz .LBB159_174
; %bb.173:
	v_lshlrev_b32_e32 v1, 1, v0
	global_load_ushort v1, v1, s[34:35] offset:256
	s_mov_b32 s6, 0x5040100
	s_waitcnt vmcnt(0)
	v_perm_b32 v2, v1, v2, s6
.LBB159_174:
	s_or_b64 exec, exec, s[4:5]
	v_or_b32_e32 v1, 0x100, v0
	v_cmp_gt_u32_e64 s[4:5], s38, v1
	s_and_saveexec_b64 s[6:7], s[4:5]
	s_cbranch_execz .LBB159_176
; %bb.175:
	v_lshlrev_b32_e32 v1, 1, v0
	global_load_ushort v1, v1, s[34:35] offset:512
	s_mov_b32 s8, 0xffff
	s_waitcnt vmcnt(0)
	v_bfi_b32 v3, s8, v1, v3
.LBB159_176:
	s_or_b64 exec, exec, s[6:7]
	v_or_b32_e32 v1, 0x180, v0
	v_cmp_gt_u32_e64 s[6:7], s38, v1
	s_and_saveexec_b64 s[8:9], s[6:7]
	s_cbranch_execz .LBB159_178
; %bb.177:
	v_lshlrev_b32_e32 v1, 1, v0
	global_load_ushort v1, v1, s[34:35] offset:768
	s_mov_b32 s10, 0x5040100
	s_waitcnt vmcnt(0)
	v_perm_b32 v3, v1, v3, s10
.LBB159_178:
	s_or_b64 exec, exec, s[8:9]
	v_or_b32_e32 v1, 0x200, v0
	v_cmp_gt_u32_e64 s[8:9], s38, v1
	s_and_saveexec_b64 s[10:11], s[8:9]
	s_cbranch_execz .LBB159_180
; %bb.179:
	v_lshlrev_b32_e32 v1, 1, v0
	global_load_ushort v1, v1, s[34:35] offset:1024
	s_mov_b32 s12, 0xffff
	s_waitcnt vmcnt(0)
	v_bfi_b32 v4, s12, v1, v4
.LBB159_180:
	s_or_b64 exec, exec, s[10:11]
	v_or_b32_e32 v1, 0x280, v0
	v_cmp_gt_u32_e64 s[10:11], s38, v1
	s_and_saveexec_b64 s[12:13], s[10:11]
	;; [unrolled: 24-line block ×7, first 2 shown]
	s_cbranch_execz .LBB159_202
; %bb.201:
	v_lshlrev_b32_e32 v1, 1, v0
	global_load_ushort v1, v1, s[34:35] offset:3840
	s_mov_b32 s34, 0x5040100
	s_waitcnt vmcnt(0)
	v_perm_b32 v9, v1, v9, s34
.LBB159_202:
	s_or_b64 exec, exec, s[36:37]
	v_mov_b32_e32 v1, 0
	v_cndmask_b32_sdwa v1, v1, v2, vcc dst_sel:DWORD dst_unused:UNUSED_PAD src0_sel:DWORD src1_sel:WORD_1
	v_add_u16_e32 v1, v1, v2
	v_cndmask_b32_e64 v2, 0, v3, s[4:5]
	v_add_u16_e32 v1, v1, v2
	v_lshrrev_b32_e32 v2, 16, v3
	v_cndmask_b32_e64 v2, 0, v2, s[6:7]
	v_add_u16_e32 v1, v1, v2
	v_cndmask_b32_e64 v2, 0, v4, s[8:9]
	v_add_u16_e32 v1, v1, v2
	v_lshrrev_b32_e32 v2, 16, v4
	v_cndmask_b32_e64 v2, 0, v2, s[10:11]
	;; [unrolled: 5-line block ×7, first 2 shown]
	v_add_u16_e32 v1, v1, v2
	v_mbcnt_lo_u32_b32 v2, -1, 0
	v_mbcnt_hi_u32_b32 v2, -1, v2
	v_and_b32_e32 v4, 63, v2
	v_cmp_ne_u32_e32 vcc, 63, v4
	s_min_u32 s6, s38, 0x80
	v_and_b32_e32 v5, 64, v0
	v_addc_co_u32_e32 v3, vcc, 0, v2, vcc
	v_lshlrev_b32_e32 v3, 2, v3
	ds_bpermute_b32 v3, v3, v1
	v_sub_u32_e64 v5, s6, v5 clamp
	v_add_u32_e32 v6, 1, v4
	v_cmp_gt_u32_e64 s[4:5], 62, v4
	v_cmp_lt_u32_e32 vcc, v6, v5
	s_waitcnt lgkmcnt(0)
	v_add_u16_e32 v3, v1, v3
	v_cndmask_b32_e64 v6, 0, 2, s[4:5]
	v_cndmask_b32_e32 v3, v1, v3, vcc
	v_add_lshl_u32 v6, v6, v2, 2
	ds_bpermute_b32 v6, v6, v3
	v_add_u32_e32 v7, 2, v4
	v_cmp_lt_u32_e64 s[4:5], v7, v5
	v_add_u32_e32 v7, 4, v4
	s_waitcnt lgkmcnt(0)
	v_add_u16_e32 v6, v3, v6
	v_cndmask_b32_e64 v3, v3, v6, s[4:5]
	v_cmp_gt_u32_e64 s[4:5], 60, v4
	s_nop 1
	v_cndmask_b32_e64 v6, 0, 4, s[4:5]
	v_add_lshl_u32 v6, v6, v2, 2
	ds_bpermute_b32 v6, v6, v3
	v_cmp_lt_u32_e64 s[4:5], v7, v5
	v_add_u32_e32 v7, 8, v4
	s_waitcnt lgkmcnt(0)
	v_add_u16_e32 v6, v3, v6
	v_cndmask_b32_e64 v3, v3, v6, s[4:5]
	v_cmp_gt_u32_e64 s[4:5], 56, v4
	s_nop 1
	v_cndmask_b32_e64 v6, 0, 8, s[4:5]
	v_add_lshl_u32 v6, v6, v2, 2
	ds_bpermute_b32 v6, v6, v3
	v_cmp_lt_u32_e64 s[4:5], v7, v5
	v_add_u32_e32 v7, 16, v4
	s_waitcnt lgkmcnt(0)
	v_add_u16_e32 v6, v3, v6
	v_cndmask_b32_e64 v3, v3, v6, s[4:5]
	v_cmp_gt_u32_e64 s[4:5], 48, v4
	v_add_u32_e32 v4, 32, v4
	s_nop 0
	v_cndmask_b32_e64 v6, 0, 16, s[4:5]
	v_add_lshl_u32 v6, v6, v2, 2
	ds_bpermute_b32 v6, v6, v3
	v_cmp_lt_u32_e64 s[4:5], v7, v5
	s_waitcnt lgkmcnt(0)
	v_add_u16_e32 v6, v3, v6
	v_cndmask_b32_e64 v6, v3, v6, s[4:5]
	v_lshlrev_b32_e32 v3, 2, v2
	v_or_b32_e32 v7, 0x80, v3
	ds_bpermute_b32 v7, v7, v6
	v_cmp_lt_u32_e64 s[4:5], v4, v5
	s_waitcnt lgkmcnt(0)
	s_nop 0
	v_cndmask_b32_e64 v4, 0, v7, s[4:5]
	v_add_u16_e32 v4, v6, v4
	v_cndmask_b32_e32 v1, v1, v4, vcc
	v_cmp_eq_u32_e32 vcc, 0, v2
	s_and_saveexec_b64 s[4:5], vcc
; %bb.203:
	v_lshrrev_b32_e32 v4, 5, v0
	v_and_b32_e32 v4, 2, v4
	ds_write_b16 v4, v1 offset:28
; %bb.204:
	s_or_b64 exec, exec, s[4:5]
	v_cmp_gt_u32_e32 vcc, 2, v0
	s_waitcnt lgkmcnt(0)
	s_barrier
	s_and_saveexec_b64 s[4:5], vcc
	s_cbranch_execz .LBB159_206
; %bb.205:
	v_lshlrev_b32_e32 v1, 1, v2
	ds_read_u16 v1, v1 offset:28
	v_or_b32_e32 v3, 4, v3
	s_add_i32 s6, s6, 63
	v_and_b32_e32 v2, 1, v2
	s_lshr_b32 s6, s6, 6
	s_waitcnt lgkmcnt(0)
	v_and_b32_e32 v4, 0xffff, v1
	ds_bpermute_b32 v3, v3, v4
	v_add_u32_e32 v2, 1, v2
	v_cmp_gt_u32_e32 vcc, s6, v2
	s_waitcnt lgkmcnt(0)
	s_nop 0
	v_cndmask_b32_e32 v2, 0, v3, vcc
	v_add_u16_e32 v1, v2, v1
.LBB159_206:
	s_or_b64 exec, exec, s[4:5]
.LBB159_207:
	v_cmp_eq_u32_e64 s[4:5], 0, v0
	s_branch .LBB159_288
.LBB159_208:
	s_cmp_eq_u32 s33, 8
	s_cbranch_scc0 .LBB159_215
; %bb.209:
	s_mov_b32 s3, 0
	s_lshl_b32 s4, s2, 10
	s_mov_b32 s5, s3
	s_lshr_b64 s[6:7], s[70:71], 10
	s_lshl_b64 s[8:9], s[4:5], 1
	s_add_u32 s16, s68, s8
	s_addc_u32 s17, s69, s9
	s_cmp_lg_u64 s[6:7], s[2:3]
	s_cbranch_scc0 .LBB159_309
; %bb.210:
	v_lshlrev_b32_e32 v1, 1, v0
	global_load_ushort v4, v1, s[16:17]
	global_load_ushort v5, v1, s[16:17] offset:256
	global_load_ushort v6, v1, s[16:17] offset:512
	;; [unrolled: 1-line block ×7, first 2 shown]
	v_mbcnt_lo_u32_b32 v1, -1, 0
	v_mbcnt_hi_u32_b32 v2, -1, v1
	v_lshlrev_b32_e32 v3, 2, v2
	v_cmp_eq_u32_e32 vcc, 0, v2
	s_waitcnt vmcnt(6)
	v_add_u16_e32 v1, v5, v4
	s_waitcnt vmcnt(5)
	v_add_u16_e32 v1, v1, v6
	;; [unrolled: 2-line block ×7, first 2 shown]
	v_or_b32_e32 v4, 0xfc, v3
	s_nop 0
	v_add_u16_dpp v1, v1, v1 quad_perm:[1,0,3,2] row_mask:0xf bank_mask:0xf bound_ctrl:1
	s_nop 1
	v_add_u16_dpp v1, v1, v1 quad_perm:[2,3,0,1] row_mask:0xf bank_mask:0xf bound_ctrl:1
	s_nop 1
	v_add_u16_dpp v1, v1, v1 row_ror:4 row_mask:0xf bank_mask:0xf bound_ctrl:1
	s_nop 1
	v_add_u16_dpp v1, v1, v1 row_ror:8 row_mask:0xf bank_mask:0xf bound_ctrl:1
	s_nop 1
	v_add_u16_dpp v1, v1, v1 row_bcast:15 row_mask:0xf bank_mask:0xf bound_ctrl:1
	s_nop 1
	v_add_u16_dpp v1, v1, v1 row_bcast:31 row_mask:0xf bank_mask:0xf bound_ctrl:1
	ds_bpermute_b32 v1, v4, v1
	s_and_saveexec_b64 s[6:7], vcc
	s_cbranch_execz .LBB159_212
; %bb.211:
	v_lshrrev_b32_e32 v4, 5, v0
	v_and_b32_e32 v4, 2, v4
	s_waitcnt lgkmcnt(0)
	ds_write_b16 v4, v1 offset:24
.LBB159_212:
	s_or_b64 exec, exec, s[6:7]
	v_cmp_gt_u32_e32 vcc, 64, v0
	s_waitcnt lgkmcnt(0)
	s_barrier
	s_and_saveexec_b64 s[6:7], vcc
	s_cbranch_execz .LBB159_214
; %bb.213:
	v_and_b32_e32 v1, 1, v2
	v_lshlrev_b32_e32 v1, 1, v1
	ds_read_u16 v1, v1 offset:24
	v_or_b32_e32 v2, 4, v3
	s_waitcnt lgkmcnt(0)
	v_and_b32_e32 v3, 0xffff, v1
	ds_bpermute_b32 v2, v2, v3
	s_waitcnt lgkmcnt(0)
	v_add_u16_e32 v1, v1, v2
.LBB159_214:
	s_or_b64 exec, exec, s[6:7]
	s_mov_b64 s[6:7], 0
	s_branch .LBB159_310
.LBB159_215:
                                        ; implicit-def: $vgpr1
	s_branch .LBB159_371
.LBB159_216:
	s_mov_b64 s[6:7], -1
                                        ; implicit-def: $vgpr1
.LBB159_217:
	s_and_b64 vcc, exec, s[6:7]
	s_cbranch_vccz .LBB159_287
; %bb.218:
	s_sub_i32 s74, s70, s4
	v_mov_b32_e32 v2, 0
	v_cmp_gt_u32_e32 vcc, s74, v0
	v_mov_b32_e32 v3, v2
	v_mov_b32_e32 v4, v2
	;; [unrolled: 1-line block ×15, first 2 shown]
	s_and_saveexec_b64 s[4:5], vcc
	s_cbranch_execz .LBB159_220
; %bb.219:
	v_lshlrev_b32_e32 v1, 1, v0
	global_load_ushort v1, v1, s[66:67]
	v_mov_b32_e32 v5, v2
	v_mov_b32_e32 v6, v2
	;; [unrolled: 1-line block ×15, first 2 shown]
	s_waitcnt vmcnt(0)
	v_and_b32_e32 v4, 0xffff, v1
	v_mov_b64_e32 v[2:3], v[4:5]
	v_mov_b64_e32 v[4:5], v[6:7]
	;; [unrolled: 1-line block ×8, first 2 shown]
.LBB159_220:
	s_or_b64 exec, exec, s[4:5]
	v_or_b32_e32 v1, 0x80, v0
	v_cmp_gt_u32_e32 vcc, s74, v1
	s_and_saveexec_b64 s[4:5], vcc
	s_cbranch_execz .LBB159_222
; %bb.221:
	v_lshlrev_b32_e32 v1, 1, v0
	global_load_ushort v1, v1, s[66:67] offset:256
	s_mov_b32 s6, 0x5040100
	s_waitcnt vmcnt(0)
	v_perm_b32 v2, v1, v2, s6
.LBB159_222:
	s_or_b64 exec, exec, s[4:5]
	v_or_b32_e32 v1, 0x100, v0
	v_cmp_gt_u32_e64 s[4:5], s74, v1
	s_and_saveexec_b64 s[6:7], s[4:5]
	s_cbranch_execz .LBB159_224
; %bb.223:
	v_lshlrev_b32_e32 v1, 1, v0
	global_load_ushort v1, v1, s[66:67] offset:512
	s_mov_b32 s8, 0xffff
	s_waitcnt vmcnt(0)
	v_bfi_b32 v3, s8, v1, v3
.LBB159_224:
	s_or_b64 exec, exec, s[6:7]
	v_or_b32_e32 v1, 0x180, v0
	v_cmp_gt_u32_e64 s[6:7], s74, v1
	s_and_saveexec_b64 s[8:9], s[6:7]
	s_cbranch_execz .LBB159_226
; %bb.225:
	v_lshlrev_b32_e32 v1, 1, v0
	global_load_ushort v1, v1, s[66:67] offset:768
	s_mov_b32 s10, 0x5040100
	s_waitcnt vmcnt(0)
	v_perm_b32 v3, v1, v3, s10
.LBB159_226:
	s_or_b64 exec, exec, s[8:9]
	v_or_b32_e32 v1, 0x200, v0
	v_cmp_gt_u32_e64 s[8:9], s74, v1
	s_and_saveexec_b64 s[10:11], s[8:9]
	s_cbranch_execz .LBB159_228
; %bb.227:
	v_lshlrev_b32_e32 v1, 1, v0
	global_load_ushort v1, v1, s[66:67] offset:1024
	s_mov_b32 s12, 0xffff
	s_waitcnt vmcnt(0)
	v_bfi_b32 v4, s12, v1, v4
.LBB159_228:
	s_or_b64 exec, exec, s[10:11]
	v_or_b32_e32 v1, 0x280, v0
	v_cmp_gt_u32_e64 s[10:11], s74, v1
	s_and_saveexec_b64 s[12:13], s[10:11]
	;; [unrolled: 24-line block ×7, first 2 shown]
	s_cbranch_execz .LBB159_250
; %bb.249:
	v_lshlrev_b32_e32 v1, 1, v0
	global_load_ushort v1, v1, s[66:67] offset:3840
	s_mov_b32 s36, 0x5040100
	s_waitcnt vmcnt(0)
	v_perm_b32 v9, v1, v9, s36
.LBB159_250:
	s_or_b64 exec, exec, s[34:35]
	v_or_b32_e32 v1, 0x800, v0
	v_cmp_gt_u32_e64 s[34:35], s74, v1
	s_and_saveexec_b64 s[36:37], s[34:35]
	s_cbranch_execz .LBB159_252
; %bb.251:
	v_lshlrev_b32_e32 v1, 1, v1
	global_load_ushort v1, v1, s[66:67]
	s_mov_b32 s38, 0xffff
	s_waitcnt vmcnt(0)
	v_bfi_b32 v10, s38, v1, v10
.LBB159_252:
	s_or_b64 exec, exec, s[36:37]
	v_or_b32_e32 v1, 0x880, v0
	v_cmp_gt_u32_e64 s[36:37], s74, v1
	s_and_saveexec_b64 s[38:39], s[36:37]
	s_cbranch_execz .LBB159_254
; %bb.253:
	v_lshlrev_b32_e32 v1, 1, v1
	global_load_ushort v1, v1, s[66:67]
	s_mov_b32 s40, 0x5040100
	s_waitcnt vmcnt(0)
	v_perm_b32 v10, v1, v10, s40
.LBB159_254:
	s_or_b64 exec, exec, s[38:39]
	v_or_b32_e32 v1, 0x900, v0
	v_cmp_gt_u32_e64 s[38:39], s74, v1
	s_and_saveexec_b64 s[40:41], s[38:39]
	s_cbranch_execz .LBB159_256
; %bb.255:
	v_lshlrev_b32_e32 v1, 1, v1
	global_load_ushort v1, v1, s[66:67]
	s_mov_b32 s42, 0xffff
	s_waitcnt vmcnt(0)
	v_bfi_b32 v11, s42, v1, v11
.LBB159_256:
	s_or_b64 exec, exec, s[40:41]
	v_or_b32_e32 v1, 0x980, v0
	v_cmp_gt_u32_e64 s[40:41], s74, v1
	s_and_saveexec_b64 s[42:43], s[40:41]
	s_cbranch_execz .LBB159_258
; %bb.257:
	v_lshlrev_b32_e32 v1, 1, v1
	global_load_ushort v1, v1, s[66:67]
	s_mov_b32 s44, 0x5040100
	s_waitcnt vmcnt(0)
	v_perm_b32 v11, v1, v11, s44
.LBB159_258:
	;; [unrolled: 24-line block ×8, first 2 shown]
	s_or_b64 exec, exec, s[72:73]
	v_mov_b32_e32 v1, 0
	v_cndmask_b32_sdwa v1, v1, v2, vcc dst_sel:DWORD dst_unused:UNUSED_PAD src0_sel:DWORD src1_sel:WORD_1
	v_add_u16_e32 v1, v1, v2
	v_cndmask_b32_e64 v2, 0, v3, s[4:5]
	v_add_u16_e32 v1, v1, v2
	v_lshrrev_b32_e32 v2, 16, v3
	v_cndmask_b32_e64 v2, 0, v2, s[6:7]
	v_add_u16_e32 v1, v1, v2
	v_cndmask_b32_e64 v2, 0, v4, s[8:9]
	v_add_u16_e32 v1, v1, v2
	v_lshrrev_b32_e32 v2, 16, v4
	v_cndmask_b32_e64 v2, 0, v2, s[10:11]
	;; [unrolled: 5-line block ×15, first 2 shown]
	v_add_u16_e32 v1, v1, v2
	v_mbcnt_lo_u32_b32 v2, -1, 0
	v_mbcnt_hi_u32_b32 v2, -1, v2
	v_and_b32_e32 v4, 63, v2
	v_cmp_ne_u32_e32 vcc, 63, v4
	s_min_u32 s6, s74, 0x80
	v_and_b32_e32 v5, 64, v0
	v_addc_co_u32_e32 v3, vcc, 0, v2, vcc
	v_lshlrev_b32_e32 v3, 2, v3
	ds_bpermute_b32 v3, v3, v1
	v_sub_u32_e64 v5, s6, v5 clamp
	v_add_u32_e32 v6, 1, v4
	v_cmp_gt_u32_e64 s[4:5], 62, v4
	v_cmp_lt_u32_e32 vcc, v6, v5
	s_waitcnt lgkmcnt(0)
	v_add_u16_e32 v3, v1, v3
	v_cndmask_b32_e64 v6, 0, 2, s[4:5]
	v_cndmask_b32_e32 v3, v1, v3, vcc
	v_add_lshl_u32 v6, v6, v2, 2
	ds_bpermute_b32 v6, v6, v3
	v_add_u32_e32 v7, 2, v4
	v_cmp_lt_u32_e64 s[4:5], v7, v5
	v_add_u32_e32 v7, 4, v4
	s_waitcnt lgkmcnt(0)
	v_add_u16_e32 v6, v3, v6
	v_cndmask_b32_e64 v3, v3, v6, s[4:5]
	v_cmp_gt_u32_e64 s[4:5], 60, v4
	s_nop 1
	v_cndmask_b32_e64 v6, 0, 4, s[4:5]
	v_add_lshl_u32 v6, v6, v2, 2
	ds_bpermute_b32 v6, v6, v3
	v_cmp_lt_u32_e64 s[4:5], v7, v5
	v_add_u32_e32 v7, 8, v4
	s_waitcnt lgkmcnt(0)
	v_add_u16_e32 v6, v3, v6
	v_cndmask_b32_e64 v3, v3, v6, s[4:5]
	v_cmp_gt_u32_e64 s[4:5], 56, v4
	s_nop 1
	v_cndmask_b32_e64 v6, 0, 8, s[4:5]
	v_add_lshl_u32 v6, v6, v2, 2
	ds_bpermute_b32 v6, v6, v3
	v_cmp_lt_u32_e64 s[4:5], v7, v5
	v_add_u32_e32 v7, 16, v4
	s_waitcnt lgkmcnt(0)
	v_add_u16_e32 v6, v3, v6
	v_cndmask_b32_e64 v3, v3, v6, s[4:5]
	v_cmp_gt_u32_e64 s[4:5], 48, v4
	v_add_u32_e32 v4, 32, v4
	s_nop 0
	v_cndmask_b32_e64 v6, 0, 16, s[4:5]
	v_add_lshl_u32 v6, v6, v2, 2
	ds_bpermute_b32 v6, v6, v3
	v_cmp_lt_u32_e64 s[4:5], v7, v5
	s_waitcnt lgkmcnt(0)
	v_add_u16_e32 v6, v3, v6
	v_cndmask_b32_e64 v6, v3, v6, s[4:5]
	v_lshlrev_b32_e32 v3, 2, v2
	v_or_b32_e32 v7, 0x80, v3
	ds_bpermute_b32 v7, v7, v6
	v_cmp_lt_u32_e64 s[4:5], v4, v5
	s_waitcnt lgkmcnt(0)
	s_nop 0
	v_cndmask_b32_e64 v4, 0, v7, s[4:5]
	v_add_u16_e32 v4, v6, v4
	v_cndmask_b32_e32 v1, v1, v4, vcc
	v_cmp_eq_u32_e32 vcc, 0, v2
	s_and_saveexec_b64 s[4:5], vcc
; %bb.283:
	v_lshrrev_b32_e32 v4, 5, v0
	v_and_b32_e32 v4, 2, v4
	ds_write_b16 v4, v1 offset:28
; %bb.284:
	s_or_b64 exec, exec, s[4:5]
	v_cmp_gt_u32_e32 vcc, 2, v0
	s_waitcnt lgkmcnt(0)
	s_barrier
	s_and_saveexec_b64 s[4:5], vcc
	s_cbranch_execz .LBB159_286
; %bb.285:
	v_lshlrev_b32_e32 v1, 1, v2
	ds_read_u16 v1, v1 offset:28
	v_or_b32_e32 v3, 4, v3
	s_add_i32 s6, s6, 63
	v_and_b32_e32 v2, 1, v2
	s_lshr_b32 s6, s6, 6
	s_waitcnt lgkmcnt(0)
	v_and_b32_e32 v4, 0xffff, v1
	ds_bpermute_b32 v3, v3, v4
	v_add_u32_e32 v2, 1, v2
	v_cmp_gt_u32_e32 vcc, s6, v2
	s_waitcnt lgkmcnt(0)
	s_nop 0
	v_cndmask_b32_e32 v2, 0, v3, vcc
	v_add_u16_e32 v1, v2, v1
.LBB159_286:
	s_or_b64 exec, exec, s[4:5]
.LBB159_287:
	v_cmp_eq_u32_e64 s[4:5], 0, v0
.LBB159_288:
	s_branch .LBB159_371
.LBB159_289:
	s_cmp_gt_i32 s33, 1
	s_cbranch_scc0 .LBB159_298
; %bb.290:
	s_cmp_gt_i32 s33, 3
	s_cbranch_scc0 .LBB159_299
; %bb.291:
	s_cmp_eq_u32 s33, 4
	s_cbranch_scc0 .LBB159_307
; %bb.292:
	s_mov_b32 s3, 0
	s_lshl_b32 s4, s2, 9
	s_mov_b32 s5, s3
	s_lshr_b64 s[6:7], s[70:71], 9
	s_lshl_b64 s[8:9], s[4:5], 1
	s_add_u32 s8, s68, s8
	s_addc_u32 s9, s69, s9
	s_cmp_lg_u64 s[6:7], s[2:3]
	s_cbranch_scc0 .LBB159_333
; %bb.293:
	v_lshlrev_b32_e32 v1, 1, v0
	global_load_ushort v4, v1, s[8:9]
	global_load_ushort v5, v1, s[8:9] offset:256
	global_load_ushort v6, v1, s[8:9] offset:512
	;; [unrolled: 1-line block ×3, first 2 shown]
	v_mbcnt_lo_u32_b32 v1, -1, 0
	v_mbcnt_hi_u32_b32 v2, -1, v1
	v_lshlrev_b32_e32 v3, 2, v2
	v_cmp_eq_u32_e32 vcc, 0, v2
	s_waitcnt vmcnt(2)
	v_add_u16_e32 v1, v5, v4
	s_waitcnt vmcnt(1)
	v_add_u16_e32 v1, v1, v6
	;; [unrolled: 2-line block ×3, first 2 shown]
	v_or_b32_e32 v4, 0xfc, v3
	s_nop 0
	v_add_u16_dpp v1, v1, v1 quad_perm:[1,0,3,2] row_mask:0xf bank_mask:0xf bound_ctrl:1
	s_nop 1
	v_add_u16_dpp v1, v1, v1 quad_perm:[2,3,0,1] row_mask:0xf bank_mask:0xf bound_ctrl:1
	s_nop 1
	v_add_u16_dpp v1, v1, v1 row_ror:4 row_mask:0xf bank_mask:0xf bound_ctrl:1
	s_nop 1
	v_add_u16_dpp v1, v1, v1 row_ror:8 row_mask:0xf bank_mask:0xf bound_ctrl:1
	s_nop 1
	v_add_u16_dpp v1, v1, v1 row_bcast:15 row_mask:0xf bank_mask:0xf bound_ctrl:1
	s_nop 1
	v_add_u16_dpp v1, v1, v1 row_bcast:31 row_mask:0xf bank_mask:0xf bound_ctrl:1
	ds_bpermute_b32 v1, v4, v1
	s_and_saveexec_b64 s[6:7], vcc
	s_cbranch_execz .LBB159_295
; %bb.294:
	v_lshrrev_b32_e32 v4, 5, v0
	v_and_b32_e32 v4, 2, v4
	s_waitcnt lgkmcnt(0)
	ds_write_b16 v4, v1 offset:16
.LBB159_295:
	s_or_b64 exec, exec, s[6:7]
	v_cmp_gt_u32_e32 vcc, 64, v0
	s_waitcnt lgkmcnt(0)
	s_barrier
	s_and_saveexec_b64 s[6:7], vcc
	s_cbranch_execz .LBB159_297
; %bb.296:
	v_and_b32_e32 v1, 1, v2
	v_lshlrev_b32_e32 v1, 1, v1
	ds_read_u16 v1, v1 offset:16
	v_or_b32_e32 v2, 4, v3
	s_waitcnt lgkmcnt(0)
	v_and_b32_e32 v3, 0xffff, v1
	ds_bpermute_b32 v2, v2, v3
	s_waitcnt lgkmcnt(0)
	v_add_u16_e32 v1, v1, v2
.LBB159_297:
	s_or_b64 exec, exec, s[6:7]
	s_mov_b64 s[6:7], 0
	s_branch .LBB159_334
.LBB159_298:
                                        ; implicit-def: $vgpr1
	s_cbranch_execnz .LBB159_362
	s_branch .LBB159_371
.LBB159_299:
                                        ; implicit-def: $vgpr1
	s_cbranch_execz .LBB159_349
; %bb.300:
	s_cmp_eq_u32 s33, 2
	s_cbranch_scc0 .LBB159_308
; %bb.301:
	s_mov_b32 s3, 0
	s_lshl_b32 s6, s2, 8
	s_mov_b32 s7, s3
	s_lshr_b64 s[8:9], s[70:71], 8
	s_lshl_b64 s[4:5], s[6:7], 1
	s_add_u32 s4, s68, s4
	s_addc_u32 s5, s69, s5
	s_cmp_lg_u64 s[8:9], s[2:3]
	s_cbranch_scc0 .LBB159_350
; %bb.302:
	v_lshlrev_b32_e32 v1, 1, v0
	global_load_ushort v4, v1, s[4:5]
	global_load_ushort v5, v1, s[4:5] offset:256
	v_mbcnt_lo_u32_b32 v1, -1, 0
	v_mbcnt_hi_u32_b32 v2, -1, v1
	v_lshlrev_b32_e32 v3, 2, v2
	v_cmp_eq_u32_e32 vcc, 0, v2
	s_waitcnt vmcnt(0)
	v_add_u16_e32 v1, v5, v4
	s_nop 1
	v_add_u16_dpp v1, v1, v1 quad_perm:[1,0,3,2] row_mask:0xf bank_mask:0xf bound_ctrl:1
	v_or_b32_e32 v4, 0xfc, v3
	s_nop 0
	v_add_u16_dpp v1, v1, v1 quad_perm:[2,3,0,1] row_mask:0xf bank_mask:0xf bound_ctrl:1
	s_nop 1
	v_add_u16_dpp v1, v1, v1 row_ror:4 row_mask:0xf bank_mask:0xf bound_ctrl:1
	s_nop 1
	v_add_u16_dpp v1, v1, v1 row_ror:8 row_mask:0xf bank_mask:0xf bound_ctrl:1
	s_nop 1
	v_add_u16_dpp v1, v1, v1 row_bcast:15 row_mask:0xf bank_mask:0xf bound_ctrl:1
	s_nop 1
	v_add_u16_dpp v1, v1, v1 row_bcast:31 row_mask:0xf bank_mask:0xf bound_ctrl:1
	ds_bpermute_b32 v1, v4, v1
	s_and_saveexec_b64 s[8:9], vcc
	s_cbranch_execz .LBB159_304
; %bb.303:
	v_lshrrev_b32_e32 v4, 5, v0
	v_and_b32_e32 v4, 2, v4
	s_waitcnt lgkmcnt(0)
	ds_write_b16 v4, v1 offset:8
.LBB159_304:
	s_or_b64 exec, exec, s[8:9]
	v_cmp_gt_u32_e32 vcc, 64, v0
	s_waitcnt lgkmcnt(0)
	s_barrier
	s_and_saveexec_b64 s[8:9], vcc
	s_cbranch_execz .LBB159_306
; %bb.305:
	v_and_b32_e32 v1, 1, v2
	v_lshlrev_b32_e32 v1, 1, v1
	ds_read_u16 v1, v1 offset:8
	v_or_b32_e32 v2, 4, v3
	s_waitcnt lgkmcnt(0)
	v_and_b32_e32 v3, 0xffff, v1
	ds_bpermute_b32 v2, v2, v3
	s_waitcnt lgkmcnt(0)
	v_add_u16_e32 v1, v1, v2
.LBB159_306:
	s_or_b64 exec, exec, s[8:9]
	s_mov_b64 s[8:9], 0
	s_branch .LBB159_351
.LBB159_307:
                                        ; implicit-def: $vgpr1
	s_branch .LBB159_349
.LBB159_308:
                                        ; implicit-def: $vgpr1
	s_branch .LBB159_371
.LBB159_309:
	s_mov_b64 s[6:7], -1
                                        ; implicit-def: $vgpr1
.LBB159_310:
	s_and_b64 vcc, exec, s[6:7]
	s_cbranch_vccz .LBB159_332
; %bb.311:
	s_sub_i32 s20, s70, s4
	v_mov_b32_e32 v2, 0
	v_cmp_gt_u32_e32 vcc, s20, v0
	v_mov_b32_e32 v3, v2
	v_mov_b32_e32 v4, v2
	;; [unrolled: 1-line block ×3, first 2 shown]
	s_and_saveexec_b64 s[4:5], vcc
	s_cbranch_execz .LBB159_313
; %bb.312:
	v_lshlrev_b32_e32 v1, 1, v0
	global_load_ushort v1, v1, s[16:17]
	v_mov_b32_e32 v5, v2
	v_mov_b32_e32 v6, v2
	;; [unrolled: 1-line block ×3, first 2 shown]
	s_waitcnt vmcnt(0)
	v_and_b32_e32 v4, 0xffff, v1
	v_mov_b64_e32 v[2:3], v[4:5]
	v_mov_b64_e32 v[4:5], v[6:7]
.LBB159_313:
	s_or_b64 exec, exec, s[4:5]
	v_or_b32_e32 v1, 0x80, v0
	v_cmp_gt_u32_e32 vcc, s20, v1
	s_and_saveexec_b64 s[4:5], vcc
	s_cbranch_execz .LBB159_315
; %bb.314:
	v_lshlrev_b32_e32 v1, 1, v0
	global_load_ushort v1, v1, s[16:17] offset:256
	s_mov_b32 s6, 0x5040100
	s_waitcnt vmcnt(0)
	v_perm_b32 v2, v1, v2, s6
.LBB159_315:
	s_or_b64 exec, exec, s[4:5]
	v_or_b32_e32 v1, 0x100, v0
	v_cmp_gt_u32_e64 s[4:5], s20, v1
	s_and_saveexec_b64 s[6:7], s[4:5]
	s_cbranch_execz .LBB159_317
; %bb.316:
	v_lshlrev_b32_e32 v1, 1, v0
	global_load_ushort v1, v1, s[16:17] offset:512
	s_mov_b32 s8, 0xffff
	s_waitcnt vmcnt(0)
	v_bfi_b32 v3, s8, v1, v3
.LBB159_317:
	s_or_b64 exec, exec, s[6:7]
	v_or_b32_e32 v1, 0x180, v0
	v_cmp_gt_u32_e64 s[6:7], s20, v1
	s_and_saveexec_b64 s[8:9], s[6:7]
	s_cbranch_execz .LBB159_319
; %bb.318:
	v_lshlrev_b32_e32 v1, 1, v0
	global_load_ushort v1, v1, s[16:17] offset:768
	s_mov_b32 s10, 0x5040100
	s_waitcnt vmcnt(0)
	v_perm_b32 v3, v1, v3, s10
.LBB159_319:
	s_or_b64 exec, exec, s[8:9]
	v_or_b32_e32 v1, 0x200, v0
	v_cmp_gt_u32_e64 s[8:9], s20, v1
	s_and_saveexec_b64 s[10:11], s[8:9]
	s_cbranch_execz .LBB159_321
; %bb.320:
	v_lshlrev_b32_e32 v1, 1, v0
	global_load_ushort v1, v1, s[16:17] offset:1024
	s_mov_b32 s12, 0xffff
	s_waitcnt vmcnt(0)
	v_bfi_b32 v4, s12, v1, v4
.LBB159_321:
	s_or_b64 exec, exec, s[10:11]
	v_or_b32_e32 v1, 0x280, v0
	v_cmp_gt_u32_e64 s[10:11], s20, v1
	s_and_saveexec_b64 s[12:13], s[10:11]
	;; [unrolled: 24-line block ×3, first 2 shown]
	s_cbranch_execz .LBB159_327
; %bb.326:
	v_lshlrev_b32_e32 v1, 1, v0
	global_load_ushort v1, v1, s[16:17] offset:1792
	s_mov_b32 s16, 0x5040100
	s_waitcnt vmcnt(0)
	v_perm_b32 v5, v1, v5, s16
.LBB159_327:
	s_or_b64 exec, exec, s[18:19]
	v_mov_b32_e32 v1, 0
	v_cndmask_b32_sdwa v1, v1, v2, vcc dst_sel:DWORD dst_unused:UNUSED_PAD src0_sel:DWORD src1_sel:WORD_1
	v_add_u16_e32 v1, v1, v2
	v_cndmask_b32_e64 v2, 0, v3, s[4:5]
	v_add_u16_e32 v1, v1, v2
	v_lshrrev_b32_e32 v2, 16, v3
	v_cndmask_b32_e64 v2, 0, v2, s[6:7]
	v_add_u16_e32 v1, v1, v2
	v_cndmask_b32_e64 v2, 0, v4, s[8:9]
	v_add_u16_e32 v1, v1, v2
	v_lshrrev_b32_e32 v2, 16, v4
	v_cndmask_b32_e64 v2, 0, v2, s[10:11]
	;; [unrolled: 5-line block ×3, first 2 shown]
	v_add_u16_e32 v1, v1, v2
	v_mbcnt_lo_u32_b32 v2, -1, 0
	v_mbcnt_hi_u32_b32 v2, -1, v2
	v_and_b32_e32 v4, 63, v2
	v_cmp_ne_u32_e32 vcc, 63, v4
	s_min_u32 s6, s20, 0x80
	v_and_b32_e32 v5, 64, v0
	v_addc_co_u32_e32 v3, vcc, 0, v2, vcc
	v_lshlrev_b32_e32 v3, 2, v3
	ds_bpermute_b32 v3, v3, v1
	v_sub_u32_e64 v5, s6, v5 clamp
	v_add_u32_e32 v6, 1, v4
	v_cmp_gt_u32_e64 s[4:5], 62, v4
	v_cmp_lt_u32_e32 vcc, v6, v5
	s_waitcnt lgkmcnt(0)
	v_add_u16_e32 v3, v1, v3
	v_cndmask_b32_e64 v6, 0, 2, s[4:5]
	v_cndmask_b32_e32 v3, v1, v3, vcc
	v_add_lshl_u32 v6, v6, v2, 2
	ds_bpermute_b32 v6, v6, v3
	v_add_u32_e32 v7, 2, v4
	v_cmp_lt_u32_e64 s[4:5], v7, v5
	v_add_u32_e32 v7, 4, v4
	s_waitcnt lgkmcnt(0)
	v_add_u16_e32 v6, v3, v6
	v_cndmask_b32_e64 v3, v3, v6, s[4:5]
	v_cmp_gt_u32_e64 s[4:5], 60, v4
	s_nop 1
	v_cndmask_b32_e64 v6, 0, 4, s[4:5]
	v_add_lshl_u32 v6, v6, v2, 2
	ds_bpermute_b32 v6, v6, v3
	v_cmp_lt_u32_e64 s[4:5], v7, v5
	v_add_u32_e32 v7, 8, v4
	s_waitcnt lgkmcnt(0)
	v_add_u16_e32 v6, v3, v6
	v_cndmask_b32_e64 v3, v3, v6, s[4:5]
	v_cmp_gt_u32_e64 s[4:5], 56, v4
	s_nop 1
	v_cndmask_b32_e64 v6, 0, 8, s[4:5]
	v_add_lshl_u32 v6, v6, v2, 2
	ds_bpermute_b32 v6, v6, v3
	v_cmp_lt_u32_e64 s[4:5], v7, v5
	v_add_u32_e32 v7, 16, v4
	s_waitcnt lgkmcnt(0)
	v_add_u16_e32 v6, v3, v6
	v_cndmask_b32_e64 v3, v3, v6, s[4:5]
	v_cmp_gt_u32_e64 s[4:5], 48, v4
	v_add_u32_e32 v4, 32, v4
	s_nop 0
	v_cndmask_b32_e64 v6, 0, 16, s[4:5]
	v_add_lshl_u32 v6, v6, v2, 2
	ds_bpermute_b32 v6, v6, v3
	v_cmp_lt_u32_e64 s[4:5], v7, v5
	s_waitcnt lgkmcnt(0)
	v_add_u16_e32 v6, v3, v6
	v_cndmask_b32_e64 v6, v3, v6, s[4:5]
	v_lshlrev_b32_e32 v3, 2, v2
	v_or_b32_e32 v7, 0x80, v3
	ds_bpermute_b32 v7, v7, v6
	v_cmp_lt_u32_e64 s[4:5], v4, v5
	s_waitcnt lgkmcnt(0)
	s_nop 0
	v_cndmask_b32_e64 v4, 0, v7, s[4:5]
	v_add_u16_e32 v4, v6, v4
	v_cndmask_b32_e32 v1, v1, v4, vcc
	v_cmp_eq_u32_e32 vcc, 0, v2
	s_and_saveexec_b64 s[4:5], vcc
; %bb.328:
	v_lshrrev_b32_e32 v4, 5, v0
	v_and_b32_e32 v4, 2, v4
	ds_write_b16 v4, v1 offset:28
; %bb.329:
	s_or_b64 exec, exec, s[4:5]
	v_cmp_gt_u32_e32 vcc, 2, v0
	s_waitcnt lgkmcnt(0)
	s_barrier
	s_and_saveexec_b64 s[4:5], vcc
	s_cbranch_execz .LBB159_331
; %bb.330:
	v_lshlrev_b32_e32 v1, 1, v2
	ds_read_u16 v1, v1 offset:28
	v_or_b32_e32 v3, 4, v3
	s_add_i32 s6, s6, 63
	v_and_b32_e32 v2, 1, v2
	s_lshr_b32 s6, s6, 6
	s_waitcnt lgkmcnt(0)
	v_and_b32_e32 v4, 0xffff, v1
	ds_bpermute_b32 v3, v3, v4
	v_add_u32_e32 v2, 1, v2
	v_cmp_gt_u32_e32 vcc, s6, v2
	s_waitcnt lgkmcnt(0)
	s_nop 0
	v_cndmask_b32_e32 v2, 0, v3, vcc
	v_add_u16_e32 v1, v2, v1
.LBB159_331:
	s_or_b64 exec, exec, s[4:5]
.LBB159_332:
	v_cmp_eq_u32_e64 s[4:5], 0, v0
	s_branch .LBB159_371
.LBB159_333:
	s_mov_b64 s[6:7], -1
                                        ; implicit-def: $vgpr1
.LBB159_334:
	s_and_b64 vcc, exec, s[6:7]
	s_cbranch_vccz .LBB159_348
; %bb.335:
	s_sub_i32 s12, s70, s4
	v_mov_b32_e32 v2, 0
	v_cmp_gt_u32_e32 vcc, s12, v0
	v_mov_b32_e32 v3, v2
	s_and_saveexec_b64 s[4:5], vcc
	s_cbranch_execz .LBB159_337
; %bb.336:
	v_lshlrev_b32_e32 v1, 1, v0
	global_load_ushort v1, v1, s[8:9]
	v_mov_b32_e32 v5, v2
	s_waitcnt vmcnt(0)
	v_and_b32_e32 v4, 0xffff, v1
	v_mov_b64_e32 v[2:3], v[4:5]
.LBB159_337:
	s_or_b64 exec, exec, s[4:5]
	v_or_b32_e32 v1, 0x80, v0
	v_cmp_gt_u32_e32 vcc, s12, v1
	s_and_saveexec_b64 s[4:5], vcc
	s_cbranch_execz .LBB159_339
; %bb.338:
	v_lshlrev_b32_e32 v1, 1, v0
	global_load_ushort v1, v1, s[8:9] offset:256
	s_mov_b32 s6, 0x5040100
	s_waitcnt vmcnt(0)
	v_perm_b32 v2, v1, v2, s6
.LBB159_339:
	s_or_b64 exec, exec, s[4:5]
	v_or_b32_e32 v1, 0x100, v0
	v_cmp_gt_u32_e64 s[4:5], s12, v1
	s_and_saveexec_b64 s[6:7], s[4:5]
	s_cbranch_execz .LBB159_341
; %bb.340:
	v_lshlrev_b32_e32 v1, 1, v0
	global_load_ushort v1, v1, s[8:9] offset:512
	s_mov_b32 s10, 0xffff
	s_waitcnt vmcnt(0)
	v_bfi_b32 v3, s10, v1, v3
.LBB159_341:
	s_or_b64 exec, exec, s[6:7]
	v_or_b32_e32 v1, 0x180, v0
	v_cmp_gt_u32_e64 s[6:7], s12, v1
	s_and_saveexec_b64 s[10:11], s[6:7]
	s_cbranch_execz .LBB159_343
; %bb.342:
	v_lshlrev_b32_e32 v1, 1, v0
	global_load_ushort v1, v1, s[8:9] offset:768
	s_mov_b32 s8, 0x5040100
	s_waitcnt vmcnt(0)
	v_perm_b32 v3, v1, v3, s8
.LBB159_343:
	s_or_b64 exec, exec, s[10:11]
	v_mov_b32_e32 v1, 0
	v_cndmask_b32_sdwa v1, v1, v2, vcc dst_sel:DWORD dst_unused:UNUSED_PAD src0_sel:DWORD src1_sel:WORD_1
	v_add_u16_e32 v1, v1, v2
	v_cndmask_b32_e64 v2, 0, v3, s[4:5]
	v_add_u16_e32 v1, v1, v2
	v_lshrrev_b32_e32 v2, 16, v3
	v_cndmask_b32_e64 v2, 0, v2, s[6:7]
	v_add_u16_e32 v1, v1, v2
	v_mbcnt_lo_u32_b32 v2, -1, 0
	v_mbcnt_hi_u32_b32 v2, -1, v2
	v_and_b32_e32 v4, 63, v2
	v_cmp_ne_u32_e32 vcc, 63, v4
	s_min_u32 s6, s12, 0x80
	v_and_b32_e32 v5, 64, v0
	v_addc_co_u32_e32 v3, vcc, 0, v2, vcc
	v_lshlrev_b32_e32 v3, 2, v3
	ds_bpermute_b32 v3, v3, v1
	v_sub_u32_e64 v5, s6, v5 clamp
	v_add_u32_e32 v6, 1, v4
	v_cmp_gt_u32_e64 s[4:5], 62, v4
	v_cmp_lt_u32_e32 vcc, v6, v5
	s_waitcnt lgkmcnt(0)
	v_add_u16_e32 v3, v1, v3
	v_cndmask_b32_e64 v6, 0, 2, s[4:5]
	v_cndmask_b32_e32 v3, v1, v3, vcc
	v_add_lshl_u32 v6, v6, v2, 2
	ds_bpermute_b32 v6, v6, v3
	v_add_u32_e32 v7, 2, v4
	v_cmp_lt_u32_e64 s[4:5], v7, v5
	v_add_u32_e32 v7, 4, v4
	s_waitcnt lgkmcnt(0)
	v_add_u16_e32 v6, v3, v6
	v_cndmask_b32_e64 v3, v3, v6, s[4:5]
	v_cmp_gt_u32_e64 s[4:5], 60, v4
	s_nop 1
	v_cndmask_b32_e64 v6, 0, 4, s[4:5]
	v_add_lshl_u32 v6, v6, v2, 2
	ds_bpermute_b32 v6, v6, v3
	v_cmp_lt_u32_e64 s[4:5], v7, v5
	v_add_u32_e32 v7, 8, v4
	s_waitcnt lgkmcnt(0)
	v_add_u16_e32 v6, v3, v6
	v_cndmask_b32_e64 v3, v3, v6, s[4:5]
	v_cmp_gt_u32_e64 s[4:5], 56, v4
	s_nop 1
	v_cndmask_b32_e64 v6, 0, 8, s[4:5]
	v_add_lshl_u32 v6, v6, v2, 2
	ds_bpermute_b32 v6, v6, v3
	v_cmp_lt_u32_e64 s[4:5], v7, v5
	v_add_u32_e32 v7, 16, v4
	s_waitcnt lgkmcnt(0)
	v_add_u16_e32 v6, v3, v6
	v_cndmask_b32_e64 v3, v3, v6, s[4:5]
	v_cmp_gt_u32_e64 s[4:5], 48, v4
	v_add_u32_e32 v4, 32, v4
	s_nop 0
	v_cndmask_b32_e64 v6, 0, 16, s[4:5]
	v_add_lshl_u32 v6, v6, v2, 2
	ds_bpermute_b32 v6, v6, v3
	v_cmp_lt_u32_e64 s[4:5], v7, v5
	s_waitcnt lgkmcnt(0)
	v_add_u16_e32 v6, v3, v6
	v_cndmask_b32_e64 v6, v3, v6, s[4:5]
	v_lshlrev_b32_e32 v3, 2, v2
	v_or_b32_e32 v7, 0x80, v3
	ds_bpermute_b32 v7, v7, v6
	v_cmp_lt_u32_e64 s[4:5], v4, v5
	s_waitcnt lgkmcnt(0)
	s_nop 0
	v_cndmask_b32_e64 v4, 0, v7, s[4:5]
	v_add_u16_e32 v4, v6, v4
	v_cndmask_b32_e32 v1, v1, v4, vcc
	v_cmp_eq_u32_e32 vcc, 0, v2
	s_and_saveexec_b64 s[4:5], vcc
; %bb.344:
	v_lshrrev_b32_e32 v4, 5, v0
	v_and_b32_e32 v4, 2, v4
	ds_write_b16 v4, v1 offset:28
; %bb.345:
	s_or_b64 exec, exec, s[4:5]
	v_cmp_gt_u32_e32 vcc, 2, v0
	s_waitcnt lgkmcnt(0)
	s_barrier
	s_and_saveexec_b64 s[4:5], vcc
	s_cbranch_execz .LBB159_347
; %bb.346:
	v_lshlrev_b32_e32 v1, 1, v2
	ds_read_u16 v1, v1 offset:28
	v_or_b32_e32 v3, 4, v3
	s_add_i32 s6, s6, 63
	v_and_b32_e32 v2, 1, v2
	s_lshr_b32 s6, s6, 6
	s_waitcnt lgkmcnt(0)
	v_and_b32_e32 v4, 0xffff, v1
	ds_bpermute_b32 v3, v3, v4
	v_add_u32_e32 v2, 1, v2
	v_cmp_gt_u32_e32 vcc, s6, v2
	s_waitcnt lgkmcnt(0)
	s_nop 0
	v_cndmask_b32_e32 v2, 0, v3, vcc
	v_add_u16_e32 v1, v2, v1
.LBB159_347:
	s_or_b64 exec, exec, s[4:5]
.LBB159_348:
	v_cmp_eq_u32_e64 s[4:5], 0, v0
.LBB159_349:
	s_branch .LBB159_371
.LBB159_350:
	s_mov_b64 s[8:9], -1
                                        ; implicit-def: $vgpr1
.LBB159_351:
	s_and_b64 vcc, exec, s[8:9]
	s_cbranch_vccz .LBB159_361
; %bb.352:
	s_sub_i32 s8, s70, s6
	v_cmp_gt_u32_e32 vcc, s8, v0
	v_mov_b32_e32 v1, 0
	s_and_saveexec_b64 s[6:7], vcc
	s_cbranch_execz .LBB159_354
; %bb.353:
	v_lshlrev_b32_e32 v1, 1, v0
	global_load_ushort v1, v1, s[4:5]
	s_waitcnt vmcnt(0)
	v_and_b32_e32 v1, 0xffff, v1
.LBB159_354:
	s_or_b64 exec, exec, s[6:7]
	v_or_b32_e32 v2, 0x80, v0
	v_cmp_gt_u32_e32 vcc, s8, v2
	s_and_saveexec_b64 s[6:7], vcc
	s_cbranch_execz .LBB159_356
; %bb.355:
	v_lshlrev_b32_e32 v2, 1, v0
	global_load_ushort v2, v2, s[4:5] offset:256
	s_mov_b32 s4, 0x5040100
	s_waitcnt vmcnt(0)
	v_perm_b32 v1, v2, v1, s4
.LBB159_356:
	s_or_b64 exec, exec, s[6:7]
	v_mov_b32_e32 v2, 0
	v_cndmask_b32_sdwa v2, v2, v1, vcc dst_sel:DWORD dst_unused:UNUSED_PAD src0_sel:DWORD src1_sel:WORD_1
	v_add_u16_e32 v1, v2, v1
	v_mbcnt_lo_u32_b32 v2, -1, 0
	v_mbcnt_hi_u32_b32 v2, -1, v2
	v_and_b32_e32 v4, 63, v2
	v_cmp_ne_u32_e32 vcc, 63, v4
	s_min_u32 s6, s8, 0x80
	v_and_b32_e32 v5, 64, v0
	v_addc_co_u32_e32 v3, vcc, 0, v2, vcc
	v_lshlrev_b32_e32 v3, 2, v3
	ds_bpermute_b32 v3, v3, v1
	v_sub_u32_e64 v5, s6, v5 clamp
	v_add_u32_e32 v6, 1, v4
	v_cmp_gt_u32_e64 s[4:5], 62, v4
	v_cmp_lt_u32_e32 vcc, v6, v5
	s_waitcnt lgkmcnt(0)
	v_add_u16_e32 v3, v1, v3
	v_cndmask_b32_e64 v6, 0, 2, s[4:5]
	v_cndmask_b32_e32 v3, v1, v3, vcc
	v_add_lshl_u32 v6, v6, v2, 2
	ds_bpermute_b32 v6, v6, v3
	v_add_u32_e32 v7, 2, v4
	v_cmp_lt_u32_e64 s[4:5], v7, v5
	v_add_u32_e32 v7, 4, v4
	s_waitcnt lgkmcnt(0)
	v_add_u16_e32 v6, v3, v6
	v_cndmask_b32_e64 v3, v3, v6, s[4:5]
	v_cmp_gt_u32_e64 s[4:5], 60, v4
	s_nop 1
	v_cndmask_b32_e64 v6, 0, 4, s[4:5]
	v_add_lshl_u32 v6, v6, v2, 2
	ds_bpermute_b32 v6, v6, v3
	v_cmp_lt_u32_e64 s[4:5], v7, v5
	v_add_u32_e32 v7, 8, v4
	s_waitcnt lgkmcnt(0)
	v_add_u16_e32 v6, v3, v6
	v_cndmask_b32_e64 v3, v3, v6, s[4:5]
	v_cmp_gt_u32_e64 s[4:5], 56, v4
	s_nop 1
	v_cndmask_b32_e64 v6, 0, 8, s[4:5]
	v_add_lshl_u32 v6, v6, v2, 2
	ds_bpermute_b32 v6, v6, v3
	v_cmp_lt_u32_e64 s[4:5], v7, v5
	v_add_u32_e32 v7, 16, v4
	s_waitcnt lgkmcnt(0)
	v_add_u16_e32 v6, v3, v6
	v_cndmask_b32_e64 v3, v3, v6, s[4:5]
	v_cmp_gt_u32_e64 s[4:5], 48, v4
	v_add_u32_e32 v4, 32, v4
	s_nop 0
	v_cndmask_b32_e64 v6, 0, 16, s[4:5]
	v_add_lshl_u32 v6, v6, v2, 2
	ds_bpermute_b32 v6, v6, v3
	v_cmp_lt_u32_e64 s[4:5], v7, v5
	s_waitcnt lgkmcnt(0)
	v_add_u16_e32 v6, v3, v6
	v_cndmask_b32_e64 v6, v3, v6, s[4:5]
	v_lshlrev_b32_e32 v3, 2, v2
	v_or_b32_e32 v7, 0x80, v3
	ds_bpermute_b32 v7, v7, v6
	v_cmp_lt_u32_e64 s[4:5], v4, v5
	s_waitcnt lgkmcnt(0)
	s_nop 0
	v_cndmask_b32_e64 v4, 0, v7, s[4:5]
	v_add_u16_e32 v4, v6, v4
	v_cndmask_b32_e32 v1, v1, v4, vcc
	v_cmp_eq_u32_e32 vcc, 0, v2
	s_and_saveexec_b64 s[4:5], vcc
; %bb.357:
	v_lshrrev_b32_e32 v4, 5, v0
	v_and_b32_e32 v4, 2, v4
	ds_write_b16 v4, v1 offset:28
; %bb.358:
	s_or_b64 exec, exec, s[4:5]
	v_cmp_gt_u32_e32 vcc, 2, v0
	s_waitcnt lgkmcnt(0)
	s_barrier
	s_and_saveexec_b64 s[4:5], vcc
	s_cbranch_execz .LBB159_360
; %bb.359:
	v_lshlrev_b32_e32 v1, 1, v2
	ds_read_u16 v1, v1 offset:28
	v_or_b32_e32 v3, 4, v3
	s_add_i32 s6, s6, 63
	v_and_b32_e32 v2, 1, v2
	s_lshr_b32 s6, s6, 6
	s_waitcnt lgkmcnt(0)
	v_and_b32_e32 v4, 0xffff, v1
	ds_bpermute_b32 v3, v3, v4
	v_add_u32_e32 v2, 1, v2
	v_cmp_gt_u32_e32 vcc, s6, v2
	s_waitcnt lgkmcnt(0)
	s_nop 0
	v_cndmask_b32_e32 v2, 0, v3, vcc
	v_add_u16_e32 v1, v2, v1
.LBB159_360:
	s_or_b64 exec, exec, s[4:5]
.LBB159_361:
	v_cmp_eq_u32_e64 s[4:5], 0, v0
	s_branch .LBB159_371
.LBB159_362:
	s_cmp_eq_u32 s33, 1
	s_cbranch_scc0 .LBB159_370
; %bb.363:
	s_mov_b32 s5, 0
	s_lshl_b32 s4, s2, 7
	s_mov_b32 s3, s5
	s_lshr_b64 s[6:7], s[70:71], 7
	s_cmp_lg_u64 s[6:7], s[2:3]
	v_mbcnt_lo_u32_b32 v2, -1, 0
	s_cbranch_scc0 .LBB159_374
; %bb.364:
	s_lshl_b64 s[6:7], s[4:5], 1
	s_add_u32 s6, s68, s6
	s_addc_u32 s7, s69, s7
	v_lshlrev_b32_e32 v1, 1, v0
	global_load_ushort v1, v1, s[6:7]
	v_mbcnt_hi_u32_b32 v3, -1, v2
	v_lshlrev_b32_e32 v4, 2, v3
	v_cmp_eq_u32_e32 vcc, 0, v3
	s_waitcnt vmcnt(0)
	v_and_b32_e32 v5, 0xffff, v1
	s_nop 1
	v_add_u16_dpp v1, v5, v1 quad_perm:[1,0,3,2] row_mask:0xf bank_mask:0xf bound_ctrl:1
	v_or_b32_e32 v5, 0xfc, v4
	s_nop 0
	v_add_u16_dpp v1, v1, v1 quad_perm:[2,3,0,1] row_mask:0xf bank_mask:0xf bound_ctrl:1
	s_nop 1
	v_add_u16_dpp v1, v1, v1 row_ror:4 row_mask:0xf bank_mask:0xf bound_ctrl:1
	s_nop 1
	v_add_u16_dpp v1, v1, v1 row_ror:8 row_mask:0xf bank_mask:0xf bound_ctrl:1
	s_nop 1
	v_add_u16_dpp v1, v1, v1 row_bcast:15 row_mask:0xf bank_mask:0xf bound_ctrl:1
	s_nop 1
	v_add_u16_dpp v1, v1, v1 row_bcast:31 row_mask:0xf bank_mask:0xf bound_ctrl:1
	ds_bpermute_b32 v1, v5, v1
	s_and_saveexec_b64 s[6:7], vcc
	s_cbranch_execz .LBB159_366
; %bb.365:
	v_lshrrev_b32_e32 v5, 5, v0
	v_and_b32_e32 v5, 2, v5
	s_waitcnt lgkmcnt(0)
	ds_write_b16 v5, v1 offset:4
.LBB159_366:
	s_or_b64 exec, exec, s[6:7]
	v_cmp_gt_u32_e32 vcc, 64, v0
	s_waitcnt lgkmcnt(0)
	s_barrier
	s_and_saveexec_b64 s[6:7], vcc
	s_cbranch_execz .LBB159_368
; %bb.367:
	v_and_b32_e32 v1, 1, v3
	v_lshlrev_b32_e32 v1, 1, v1
	ds_read_u16 v1, v1 offset:4
	v_or_b32_e32 v3, 4, v4
	s_waitcnt lgkmcnt(0)
	v_and_b32_e32 v4, 0xffff, v1
	ds_bpermute_b32 v3, v3, v4
	s_waitcnt lgkmcnt(0)
	v_add_u16_e32 v1, v1, v3
.LBB159_368:
	s_or_b64 exec, exec, s[6:7]
.LBB159_369:
	v_cmp_eq_u32_e64 s[4:5], 0, v0
	s_and_saveexec_b64 s[6:7], s[4:5]
	s_cbranch_execnz .LBB159_372
	s_branch .LBB159_373
.LBB159_370:
                                        ; implicit-def: $vgpr1
                                        ; implicit-def: $sgpr2_sgpr3
.LBB159_371:
	s_and_saveexec_b64 s[6:7], s[4:5]
	s_cbranch_execz .LBB159_373
.LBB159_372:
	s_load_dwordx2 s[4:5], s[0:1], 0x18
	s_load_dword s6, s[0:1], 0x20
	s_lshl_b64 s[0:1], s[2:3], 1
	v_mov_b32_e32 v0, 0
	s_waitcnt lgkmcnt(0)
	s_add_u32 s0, s4, s0
	s_addc_u32 s1, s5, s1
	s_cmp_lg_u64 s[70:71], 0
	s_cselect_b64 vcc, -1, 0
	v_cndmask_b32_e32 v1, 0, v1, vcc
	v_add_u16_e32 v1, s6, v1
	global_store_short v0, v1, s[0:1]
.LBB159_373:
	s_endpgm
.LBB159_374:
                                        ; implicit-def: $vgpr1
	s_cbranch_execz .LBB159_369
; %bb.375:
	s_sub_i32 s8, s70, s4
	v_cmp_gt_u32_e32 vcc, s8, v0
                                        ; implicit-def: $vgpr1
	s_and_saveexec_b64 s[6:7], vcc
	s_cbranch_execz .LBB159_377
; %bb.376:
	s_lshl_b64 s[4:5], s[4:5], 1
	s_add_u32 s4, s68, s4
	s_addc_u32 s5, s69, s5
	v_lshlrev_b32_e32 v1, 1, v0
	global_load_ushort v1, v1, s[4:5]
.LBB159_377:
	s_or_b64 exec, exec, s[6:7]
	v_mbcnt_hi_u32_b32 v2, -1, v2
	v_and_b32_e32 v4, 63, v2
	v_cmp_ne_u32_e32 vcc, 63, v4
	s_waitcnt vmcnt(0)
	v_and_b32_e32 v5, 0xffff, v1
	s_min_u32 s8, s8, 0x80
	v_addc_co_u32_e32 v3, vcc, 0, v2, vcc
	v_lshlrev_b32_e32 v3, 2, v3
	ds_bpermute_b32 v3, v3, v5
	v_and_b32_e32 v6, 64, v0
	v_sub_u32_e64 v6, s8, v6 clamp
	v_add_u32_e32 v7, 1, v4
	v_cmp_gt_u32_e64 s[4:5], 62, v4
	s_waitcnt lgkmcnt(0)
	v_add_u16_e32 v3, v1, v3
	v_cmp_lt_u32_e32 vcc, v7, v6
	v_cndmask_b32_e64 v7, 0, 2, s[4:5]
	v_add_lshl_u32 v7, v7, v2, 2
	v_cndmask_b32_e32 v5, v5, v3, vcc
	ds_bpermute_b32 v7, v7, v5
	v_cndmask_b32_e32 v3, v1, v3, vcc
	v_add_u32_e32 v8, 2, v4
	v_cmp_gt_u32_e64 s[6:7], 60, v4
	v_cmp_lt_u32_e64 s[4:5], v8, v6
	s_waitcnt lgkmcnt(0)
	v_add_u16_e32 v7, v3, v7
	v_cndmask_b32_e64 v8, 0, 4, s[6:7]
	v_cndmask_b32_e64 v5, v5, v7, s[4:5]
	v_add_lshl_u32 v8, v8, v2, 2
	ds_bpermute_b32 v8, v8, v5
	v_cndmask_b32_e64 v3, v3, v7, s[4:5]
	v_add_u32_e32 v7, 4, v4
	v_cmp_gt_u32_e64 s[6:7], 56, v4
	v_cmp_lt_u32_e64 s[4:5], v7, v6
	s_waitcnt lgkmcnt(0)
	v_add_u16_e32 v8, v3, v8
	v_cndmask_b32_e64 v7, 0, 8, s[6:7]
	v_cndmask_b32_e64 v5, v5, v8, s[4:5]
	v_add_lshl_u32 v7, v7, v2, 2
	ds_bpermute_b32 v7, v7, v5
	v_cndmask_b32_e64 v3, v3, v8, s[4:5]
	;; [unrolled: 10-line block ×3, first 2 shown]
	v_add_u32_e32 v3, 16, v4
	v_cmp_lt_u32_e64 s[4:5], v3, v6
	v_lshlrev_b32_e32 v3, 2, v2
	s_waitcnt lgkmcnt(0)
	v_add_u16_e32 v8, v7, v8
	v_cndmask_b32_e64 v5, v5, v8, s[4:5]
	v_or_b32_e32 v9, 0x80, v3
	ds_bpermute_b32 v5, v9, v5
	v_add_u32_e32 v4, 32, v4
	v_cndmask_b32_e64 v7, v7, v8, s[4:5]
	v_cmp_lt_u32_e64 s[4:5], v4, v6
	s_waitcnt lgkmcnt(0)
	s_nop 0
	v_cndmask_b32_e64 v4, 0, v5, s[4:5]
	v_add_u16_e32 v4, v7, v4
	v_cndmask_b32_e32 v1, v1, v4, vcc
	v_cmp_eq_u32_e32 vcc, 0, v2
	s_and_saveexec_b64 s[4:5], vcc
; %bb.378:
	v_lshrrev_b32_e32 v4, 5, v0
	v_and_b32_e32 v4, 2, v4
	ds_write_b16 v4, v1 offset:28
; %bb.379:
	s_or_b64 exec, exec, s[4:5]
	v_cmp_gt_u32_e32 vcc, 2, v0
	s_waitcnt lgkmcnt(0)
	s_barrier
	s_and_saveexec_b64 s[4:5], vcc
	s_cbranch_execz .LBB159_381
; %bb.380:
	v_lshlrev_b32_e32 v1, 1, v2
	ds_read_u16 v1, v1 offset:28
	v_or_b32_e32 v3, 4, v3
	s_add_i32 s8, s8, 63
	v_and_b32_e32 v2, 1, v2
	s_lshr_b32 s6, s8, 6
	s_waitcnt lgkmcnt(0)
	v_and_b32_e32 v4, 0xffff, v1
	ds_bpermute_b32 v3, v3, v4
	v_add_u32_e32 v2, 1, v2
	v_cmp_gt_u32_e32 vcc, s6, v2
	s_waitcnt lgkmcnt(0)
	s_nop 0
	v_cndmask_b32_e32 v2, 0, v3, vcc
	v_add_u16_e32 v1, v2, v1
.LBB159_381:
	s_or_b64 exec, exec, s[4:5]
	v_cmp_eq_u32_e64 s[4:5], 0, v0
	s_and_saveexec_b64 s[6:7], s[4:5]
	s_cbranch_execnz .LBB159_372
	s_branch .LBB159_373
	.section	.rodata,"a",@progbits
	.p2align	6, 0x0
	.amdhsa_kernel _ZN7rocprim17ROCPRIM_400000_NS6detail17trampoline_kernelINS0_14default_configENS1_22reduce_config_selectorItEEZNS1_11reduce_implILb1ES3_PtS7_tN6thrust23THRUST_200600_302600_NS4plusItEEEE10hipError_tPvRmT1_T2_T3_mT4_P12ihipStream_tbEUlT_E1_NS1_11comp_targetILNS1_3genE0ELNS1_11target_archE4294967295ELNS1_3gpuE0ELNS1_3repE0EEENS1_30default_config_static_selectorELNS0_4arch9wavefront6targetE1EEEvSF_
		.amdhsa_group_segment_fixed_size 32
		.amdhsa_private_segment_fixed_size 0
		.amdhsa_kernarg_size 40
		.amdhsa_user_sgpr_count 2
		.amdhsa_user_sgpr_dispatch_ptr 0
		.amdhsa_user_sgpr_queue_ptr 0
		.amdhsa_user_sgpr_kernarg_segment_ptr 1
		.amdhsa_user_sgpr_dispatch_id 0
		.amdhsa_user_sgpr_kernarg_preload_length 0
		.amdhsa_user_sgpr_kernarg_preload_offset 0
		.amdhsa_user_sgpr_private_segment_size 0
		.amdhsa_uses_dynamic_stack 0
		.amdhsa_enable_private_segment 0
		.amdhsa_system_sgpr_workgroup_id_x 1
		.amdhsa_system_sgpr_workgroup_id_y 0
		.amdhsa_system_sgpr_workgroup_id_z 0
		.amdhsa_system_sgpr_workgroup_info 0
		.amdhsa_system_vgpr_workitem_id 0
		.amdhsa_next_free_vgpr 67
		.amdhsa_next_free_sgpr 100
		.amdhsa_accum_offset 68
		.amdhsa_reserve_vcc 1
		.amdhsa_float_round_mode_32 0
		.amdhsa_float_round_mode_16_64 0
		.amdhsa_float_denorm_mode_32 3
		.amdhsa_float_denorm_mode_16_64 3
		.amdhsa_dx10_clamp 1
		.amdhsa_ieee_mode 1
		.amdhsa_fp16_overflow 0
		.amdhsa_tg_split 0
		.amdhsa_exception_fp_ieee_invalid_op 0
		.amdhsa_exception_fp_denorm_src 0
		.amdhsa_exception_fp_ieee_div_zero 0
		.amdhsa_exception_fp_ieee_overflow 0
		.amdhsa_exception_fp_ieee_underflow 0
		.amdhsa_exception_fp_ieee_inexact 0
		.amdhsa_exception_int_div_zero 0
	.end_amdhsa_kernel
	.section	.text._ZN7rocprim17ROCPRIM_400000_NS6detail17trampoline_kernelINS0_14default_configENS1_22reduce_config_selectorItEEZNS1_11reduce_implILb1ES3_PtS7_tN6thrust23THRUST_200600_302600_NS4plusItEEEE10hipError_tPvRmT1_T2_T3_mT4_P12ihipStream_tbEUlT_E1_NS1_11comp_targetILNS1_3genE0ELNS1_11target_archE4294967295ELNS1_3gpuE0ELNS1_3repE0EEENS1_30default_config_static_selectorELNS0_4arch9wavefront6targetE1EEEvSF_,"axG",@progbits,_ZN7rocprim17ROCPRIM_400000_NS6detail17trampoline_kernelINS0_14default_configENS1_22reduce_config_selectorItEEZNS1_11reduce_implILb1ES3_PtS7_tN6thrust23THRUST_200600_302600_NS4plusItEEEE10hipError_tPvRmT1_T2_T3_mT4_P12ihipStream_tbEUlT_E1_NS1_11comp_targetILNS1_3genE0ELNS1_11target_archE4294967295ELNS1_3gpuE0ELNS1_3repE0EEENS1_30default_config_static_selectorELNS0_4arch9wavefront6targetE1EEEvSF_,comdat
.Lfunc_end159:
	.size	_ZN7rocprim17ROCPRIM_400000_NS6detail17trampoline_kernelINS0_14default_configENS1_22reduce_config_selectorItEEZNS1_11reduce_implILb1ES3_PtS7_tN6thrust23THRUST_200600_302600_NS4plusItEEEE10hipError_tPvRmT1_T2_T3_mT4_P12ihipStream_tbEUlT_E1_NS1_11comp_targetILNS1_3genE0ELNS1_11target_archE4294967295ELNS1_3gpuE0ELNS1_3repE0EEENS1_30default_config_static_selectorELNS0_4arch9wavefront6targetE1EEEvSF_, .Lfunc_end159-_ZN7rocprim17ROCPRIM_400000_NS6detail17trampoline_kernelINS0_14default_configENS1_22reduce_config_selectorItEEZNS1_11reduce_implILb1ES3_PtS7_tN6thrust23THRUST_200600_302600_NS4plusItEEEE10hipError_tPvRmT1_T2_T3_mT4_P12ihipStream_tbEUlT_E1_NS1_11comp_targetILNS1_3genE0ELNS1_11target_archE4294967295ELNS1_3gpuE0ELNS1_3repE0EEENS1_30default_config_static_selectorELNS0_4arch9wavefront6targetE1EEEvSF_
                                        ; -- End function
	.set _ZN7rocprim17ROCPRIM_400000_NS6detail17trampoline_kernelINS0_14default_configENS1_22reduce_config_selectorItEEZNS1_11reduce_implILb1ES3_PtS7_tN6thrust23THRUST_200600_302600_NS4plusItEEEE10hipError_tPvRmT1_T2_T3_mT4_P12ihipStream_tbEUlT_E1_NS1_11comp_targetILNS1_3genE0ELNS1_11target_archE4294967295ELNS1_3gpuE0ELNS1_3repE0EEENS1_30default_config_static_selectorELNS0_4arch9wavefront6targetE1EEEvSF_.num_vgpr, 67
	.set _ZN7rocprim17ROCPRIM_400000_NS6detail17trampoline_kernelINS0_14default_configENS1_22reduce_config_selectorItEEZNS1_11reduce_implILb1ES3_PtS7_tN6thrust23THRUST_200600_302600_NS4plusItEEEE10hipError_tPvRmT1_T2_T3_mT4_P12ihipStream_tbEUlT_E1_NS1_11comp_targetILNS1_3genE0ELNS1_11target_archE4294967295ELNS1_3gpuE0ELNS1_3repE0EEENS1_30default_config_static_selectorELNS0_4arch9wavefront6targetE1EEEvSF_.num_agpr, 0
	.set _ZN7rocprim17ROCPRIM_400000_NS6detail17trampoline_kernelINS0_14default_configENS1_22reduce_config_selectorItEEZNS1_11reduce_implILb1ES3_PtS7_tN6thrust23THRUST_200600_302600_NS4plusItEEEE10hipError_tPvRmT1_T2_T3_mT4_P12ihipStream_tbEUlT_E1_NS1_11comp_targetILNS1_3genE0ELNS1_11target_archE4294967295ELNS1_3gpuE0ELNS1_3repE0EEENS1_30default_config_static_selectorELNS0_4arch9wavefront6targetE1EEEvSF_.numbered_sgpr, 100
	.set _ZN7rocprim17ROCPRIM_400000_NS6detail17trampoline_kernelINS0_14default_configENS1_22reduce_config_selectorItEEZNS1_11reduce_implILb1ES3_PtS7_tN6thrust23THRUST_200600_302600_NS4plusItEEEE10hipError_tPvRmT1_T2_T3_mT4_P12ihipStream_tbEUlT_E1_NS1_11comp_targetILNS1_3genE0ELNS1_11target_archE4294967295ELNS1_3gpuE0ELNS1_3repE0EEENS1_30default_config_static_selectorELNS0_4arch9wavefront6targetE1EEEvSF_.num_named_barrier, 0
	.set _ZN7rocprim17ROCPRIM_400000_NS6detail17trampoline_kernelINS0_14default_configENS1_22reduce_config_selectorItEEZNS1_11reduce_implILb1ES3_PtS7_tN6thrust23THRUST_200600_302600_NS4plusItEEEE10hipError_tPvRmT1_T2_T3_mT4_P12ihipStream_tbEUlT_E1_NS1_11comp_targetILNS1_3genE0ELNS1_11target_archE4294967295ELNS1_3gpuE0ELNS1_3repE0EEENS1_30default_config_static_selectorELNS0_4arch9wavefront6targetE1EEEvSF_.private_seg_size, 0
	.set _ZN7rocprim17ROCPRIM_400000_NS6detail17trampoline_kernelINS0_14default_configENS1_22reduce_config_selectorItEEZNS1_11reduce_implILb1ES3_PtS7_tN6thrust23THRUST_200600_302600_NS4plusItEEEE10hipError_tPvRmT1_T2_T3_mT4_P12ihipStream_tbEUlT_E1_NS1_11comp_targetILNS1_3genE0ELNS1_11target_archE4294967295ELNS1_3gpuE0ELNS1_3repE0EEENS1_30default_config_static_selectorELNS0_4arch9wavefront6targetE1EEEvSF_.uses_vcc, 1
	.set _ZN7rocprim17ROCPRIM_400000_NS6detail17trampoline_kernelINS0_14default_configENS1_22reduce_config_selectorItEEZNS1_11reduce_implILb1ES3_PtS7_tN6thrust23THRUST_200600_302600_NS4plusItEEEE10hipError_tPvRmT1_T2_T3_mT4_P12ihipStream_tbEUlT_E1_NS1_11comp_targetILNS1_3genE0ELNS1_11target_archE4294967295ELNS1_3gpuE0ELNS1_3repE0EEENS1_30default_config_static_selectorELNS0_4arch9wavefront6targetE1EEEvSF_.uses_flat_scratch, 0
	.set _ZN7rocprim17ROCPRIM_400000_NS6detail17trampoline_kernelINS0_14default_configENS1_22reduce_config_selectorItEEZNS1_11reduce_implILb1ES3_PtS7_tN6thrust23THRUST_200600_302600_NS4plusItEEEE10hipError_tPvRmT1_T2_T3_mT4_P12ihipStream_tbEUlT_E1_NS1_11comp_targetILNS1_3genE0ELNS1_11target_archE4294967295ELNS1_3gpuE0ELNS1_3repE0EEENS1_30default_config_static_selectorELNS0_4arch9wavefront6targetE1EEEvSF_.has_dyn_sized_stack, 0
	.set _ZN7rocprim17ROCPRIM_400000_NS6detail17trampoline_kernelINS0_14default_configENS1_22reduce_config_selectorItEEZNS1_11reduce_implILb1ES3_PtS7_tN6thrust23THRUST_200600_302600_NS4plusItEEEE10hipError_tPvRmT1_T2_T3_mT4_P12ihipStream_tbEUlT_E1_NS1_11comp_targetILNS1_3genE0ELNS1_11target_archE4294967295ELNS1_3gpuE0ELNS1_3repE0EEENS1_30default_config_static_selectorELNS0_4arch9wavefront6targetE1EEEvSF_.has_recursion, 0
	.set _ZN7rocprim17ROCPRIM_400000_NS6detail17trampoline_kernelINS0_14default_configENS1_22reduce_config_selectorItEEZNS1_11reduce_implILb1ES3_PtS7_tN6thrust23THRUST_200600_302600_NS4plusItEEEE10hipError_tPvRmT1_T2_T3_mT4_P12ihipStream_tbEUlT_E1_NS1_11comp_targetILNS1_3genE0ELNS1_11target_archE4294967295ELNS1_3gpuE0ELNS1_3repE0EEENS1_30default_config_static_selectorELNS0_4arch9wavefront6targetE1EEEvSF_.has_indirect_call, 0
	.section	.AMDGPU.csdata,"",@progbits
; Kernel info:
; codeLenInByte = 18848
; TotalNumSgprs: 106
; NumVgprs: 67
; NumAgprs: 0
; TotalNumVgprs: 67
; ScratchSize: 0
; MemoryBound: 0
; FloatMode: 240
; IeeeMode: 1
; LDSByteSize: 32 bytes/workgroup (compile time only)
; SGPRBlocks: 13
; VGPRBlocks: 8
; NumSGPRsForWavesPerEU: 106
; NumVGPRsForWavesPerEU: 67
; AccumOffset: 68
; Occupancy: 7
; WaveLimiterHint : 1
; COMPUTE_PGM_RSRC2:SCRATCH_EN: 0
; COMPUTE_PGM_RSRC2:USER_SGPR: 2
; COMPUTE_PGM_RSRC2:TRAP_HANDLER: 0
; COMPUTE_PGM_RSRC2:TGID_X_EN: 1
; COMPUTE_PGM_RSRC2:TGID_Y_EN: 0
; COMPUTE_PGM_RSRC2:TGID_Z_EN: 0
; COMPUTE_PGM_RSRC2:TIDIG_COMP_CNT: 0
; COMPUTE_PGM_RSRC3_GFX90A:ACCUM_OFFSET: 16
; COMPUTE_PGM_RSRC3_GFX90A:TG_SPLIT: 0
	.section	.text._ZN7rocprim17ROCPRIM_400000_NS6detail17trampoline_kernelINS0_14default_configENS1_22reduce_config_selectorItEEZNS1_11reduce_implILb1ES3_PtS7_tN6thrust23THRUST_200600_302600_NS4plusItEEEE10hipError_tPvRmT1_T2_T3_mT4_P12ihipStream_tbEUlT_E1_NS1_11comp_targetILNS1_3genE5ELNS1_11target_archE942ELNS1_3gpuE9ELNS1_3repE0EEENS1_30default_config_static_selectorELNS0_4arch9wavefront6targetE1EEEvSF_,"axG",@progbits,_ZN7rocprim17ROCPRIM_400000_NS6detail17trampoline_kernelINS0_14default_configENS1_22reduce_config_selectorItEEZNS1_11reduce_implILb1ES3_PtS7_tN6thrust23THRUST_200600_302600_NS4plusItEEEE10hipError_tPvRmT1_T2_T3_mT4_P12ihipStream_tbEUlT_E1_NS1_11comp_targetILNS1_3genE5ELNS1_11target_archE942ELNS1_3gpuE9ELNS1_3repE0EEENS1_30default_config_static_selectorELNS0_4arch9wavefront6targetE1EEEvSF_,comdat
	.protected	_ZN7rocprim17ROCPRIM_400000_NS6detail17trampoline_kernelINS0_14default_configENS1_22reduce_config_selectorItEEZNS1_11reduce_implILb1ES3_PtS7_tN6thrust23THRUST_200600_302600_NS4plusItEEEE10hipError_tPvRmT1_T2_T3_mT4_P12ihipStream_tbEUlT_E1_NS1_11comp_targetILNS1_3genE5ELNS1_11target_archE942ELNS1_3gpuE9ELNS1_3repE0EEENS1_30default_config_static_selectorELNS0_4arch9wavefront6targetE1EEEvSF_ ; -- Begin function _ZN7rocprim17ROCPRIM_400000_NS6detail17trampoline_kernelINS0_14default_configENS1_22reduce_config_selectorItEEZNS1_11reduce_implILb1ES3_PtS7_tN6thrust23THRUST_200600_302600_NS4plusItEEEE10hipError_tPvRmT1_T2_T3_mT4_P12ihipStream_tbEUlT_E1_NS1_11comp_targetILNS1_3genE5ELNS1_11target_archE942ELNS1_3gpuE9ELNS1_3repE0EEENS1_30default_config_static_selectorELNS0_4arch9wavefront6targetE1EEEvSF_
	.globl	_ZN7rocprim17ROCPRIM_400000_NS6detail17trampoline_kernelINS0_14default_configENS1_22reduce_config_selectorItEEZNS1_11reduce_implILb1ES3_PtS7_tN6thrust23THRUST_200600_302600_NS4plusItEEEE10hipError_tPvRmT1_T2_T3_mT4_P12ihipStream_tbEUlT_E1_NS1_11comp_targetILNS1_3genE5ELNS1_11target_archE942ELNS1_3gpuE9ELNS1_3repE0EEENS1_30default_config_static_selectorELNS0_4arch9wavefront6targetE1EEEvSF_
	.p2align	8
	.type	_ZN7rocprim17ROCPRIM_400000_NS6detail17trampoline_kernelINS0_14default_configENS1_22reduce_config_selectorItEEZNS1_11reduce_implILb1ES3_PtS7_tN6thrust23THRUST_200600_302600_NS4plusItEEEE10hipError_tPvRmT1_T2_T3_mT4_P12ihipStream_tbEUlT_E1_NS1_11comp_targetILNS1_3genE5ELNS1_11target_archE942ELNS1_3gpuE9ELNS1_3repE0EEENS1_30default_config_static_selectorELNS0_4arch9wavefront6targetE1EEEvSF_,@function
_ZN7rocprim17ROCPRIM_400000_NS6detail17trampoline_kernelINS0_14default_configENS1_22reduce_config_selectorItEEZNS1_11reduce_implILb1ES3_PtS7_tN6thrust23THRUST_200600_302600_NS4plusItEEEE10hipError_tPvRmT1_T2_T3_mT4_P12ihipStream_tbEUlT_E1_NS1_11comp_targetILNS1_3genE5ELNS1_11target_archE942ELNS1_3gpuE9ELNS1_3repE0EEENS1_30default_config_static_selectorELNS0_4arch9wavefront6targetE1EEEvSF_: ; @_ZN7rocprim17ROCPRIM_400000_NS6detail17trampoline_kernelINS0_14default_configENS1_22reduce_config_selectorItEEZNS1_11reduce_implILb1ES3_PtS7_tN6thrust23THRUST_200600_302600_NS4plusItEEEE10hipError_tPvRmT1_T2_T3_mT4_P12ihipStream_tbEUlT_E1_NS1_11comp_targetILNS1_3genE5ELNS1_11target_archE942ELNS1_3gpuE9ELNS1_3repE0EEENS1_30default_config_static_selectorELNS0_4arch9wavefront6targetE1EEEvSF_
; %bb.0:
	.section	.rodata,"a",@progbits
	.p2align	6, 0x0
	.amdhsa_kernel _ZN7rocprim17ROCPRIM_400000_NS6detail17trampoline_kernelINS0_14default_configENS1_22reduce_config_selectorItEEZNS1_11reduce_implILb1ES3_PtS7_tN6thrust23THRUST_200600_302600_NS4plusItEEEE10hipError_tPvRmT1_T2_T3_mT4_P12ihipStream_tbEUlT_E1_NS1_11comp_targetILNS1_3genE5ELNS1_11target_archE942ELNS1_3gpuE9ELNS1_3repE0EEENS1_30default_config_static_selectorELNS0_4arch9wavefront6targetE1EEEvSF_
		.amdhsa_group_segment_fixed_size 0
		.amdhsa_private_segment_fixed_size 0
		.amdhsa_kernarg_size 40
		.amdhsa_user_sgpr_count 2
		.amdhsa_user_sgpr_dispatch_ptr 0
		.amdhsa_user_sgpr_queue_ptr 0
		.amdhsa_user_sgpr_kernarg_segment_ptr 1
		.amdhsa_user_sgpr_dispatch_id 0
		.amdhsa_user_sgpr_kernarg_preload_length 0
		.amdhsa_user_sgpr_kernarg_preload_offset 0
		.amdhsa_user_sgpr_private_segment_size 0
		.amdhsa_uses_dynamic_stack 0
		.amdhsa_enable_private_segment 0
		.amdhsa_system_sgpr_workgroup_id_x 1
		.amdhsa_system_sgpr_workgroup_id_y 0
		.amdhsa_system_sgpr_workgroup_id_z 0
		.amdhsa_system_sgpr_workgroup_info 0
		.amdhsa_system_vgpr_workitem_id 0
		.amdhsa_next_free_vgpr 1
		.amdhsa_next_free_sgpr 0
		.amdhsa_accum_offset 4
		.amdhsa_reserve_vcc 0
		.amdhsa_float_round_mode_32 0
		.amdhsa_float_round_mode_16_64 0
		.amdhsa_float_denorm_mode_32 3
		.amdhsa_float_denorm_mode_16_64 3
		.amdhsa_dx10_clamp 1
		.amdhsa_ieee_mode 1
		.amdhsa_fp16_overflow 0
		.amdhsa_tg_split 0
		.amdhsa_exception_fp_ieee_invalid_op 0
		.amdhsa_exception_fp_denorm_src 0
		.amdhsa_exception_fp_ieee_div_zero 0
		.amdhsa_exception_fp_ieee_overflow 0
		.amdhsa_exception_fp_ieee_underflow 0
		.amdhsa_exception_fp_ieee_inexact 0
		.amdhsa_exception_int_div_zero 0
	.end_amdhsa_kernel
	.section	.text._ZN7rocprim17ROCPRIM_400000_NS6detail17trampoline_kernelINS0_14default_configENS1_22reduce_config_selectorItEEZNS1_11reduce_implILb1ES3_PtS7_tN6thrust23THRUST_200600_302600_NS4plusItEEEE10hipError_tPvRmT1_T2_T3_mT4_P12ihipStream_tbEUlT_E1_NS1_11comp_targetILNS1_3genE5ELNS1_11target_archE942ELNS1_3gpuE9ELNS1_3repE0EEENS1_30default_config_static_selectorELNS0_4arch9wavefront6targetE1EEEvSF_,"axG",@progbits,_ZN7rocprim17ROCPRIM_400000_NS6detail17trampoline_kernelINS0_14default_configENS1_22reduce_config_selectorItEEZNS1_11reduce_implILb1ES3_PtS7_tN6thrust23THRUST_200600_302600_NS4plusItEEEE10hipError_tPvRmT1_T2_T3_mT4_P12ihipStream_tbEUlT_E1_NS1_11comp_targetILNS1_3genE5ELNS1_11target_archE942ELNS1_3gpuE9ELNS1_3repE0EEENS1_30default_config_static_selectorELNS0_4arch9wavefront6targetE1EEEvSF_,comdat
.Lfunc_end160:
	.size	_ZN7rocprim17ROCPRIM_400000_NS6detail17trampoline_kernelINS0_14default_configENS1_22reduce_config_selectorItEEZNS1_11reduce_implILb1ES3_PtS7_tN6thrust23THRUST_200600_302600_NS4plusItEEEE10hipError_tPvRmT1_T2_T3_mT4_P12ihipStream_tbEUlT_E1_NS1_11comp_targetILNS1_3genE5ELNS1_11target_archE942ELNS1_3gpuE9ELNS1_3repE0EEENS1_30default_config_static_selectorELNS0_4arch9wavefront6targetE1EEEvSF_, .Lfunc_end160-_ZN7rocprim17ROCPRIM_400000_NS6detail17trampoline_kernelINS0_14default_configENS1_22reduce_config_selectorItEEZNS1_11reduce_implILb1ES3_PtS7_tN6thrust23THRUST_200600_302600_NS4plusItEEEE10hipError_tPvRmT1_T2_T3_mT4_P12ihipStream_tbEUlT_E1_NS1_11comp_targetILNS1_3genE5ELNS1_11target_archE942ELNS1_3gpuE9ELNS1_3repE0EEENS1_30default_config_static_selectorELNS0_4arch9wavefront6targetE1EEEvSF_
                                        ; -- End function
	.set _ZN7rocprim17ROCPRIM_400000_NS6detail17trampoline_kernelINS0_14default_configENS1_22reduce_config_selectorItEEZNS1_11reduce_implILb1ES3_PtS7_tN6thrust23THRUST_200600_302600_NS4plusItEEEE10hipError_tPvRmT1_T2_T3_mT4_P12ihipStream_tbEUlT_E1_NS1_11comp_targetILNS1_3genE5ELNS1_11target_archE942ELNS1_3gpuE9ELNS1_3repE0EEENS1_30default_config_static_selectorELNS0_4arch9wavefront6targetE1EEEvSF_.num_vgpr, 0
	.set _ZN7rocprim17ROCPRIM_400000_NS6detail17trampoline_kernelINS0_14default_configENS1_22reduce_config_selectorItEEZNS1_11reduce_implILb1ES3_PtS7_tN6thrust23THRUST_200600_302600_NS4plusItEEEE10hipError_tPvRmT1_T2_T3_mT4_P12ihipStream_tbEUlT_E1_NS1_11comp_targetILNS1_3genE5ELNS1_11target_archE942ELNS1_3gpuE9ELNS1_3repE0EEENS1_30default_config_static_selectorELNS0_4arch9wavefront6targetE1EEEvSF_.num_agpr, 0
	.set _ZN7rocprim17ROCPRIM_400000_NS6detail17trampoline_kernelINS0_14default_configENS1_22reduce_config_selectorItEEZNS1_11reduce_implILb1ES3_PtS7_tN6thrust23THRUST_200600_302600_NS4plusItEEEE10hipError_tPvRmT1_T2_T3_mT4_P12ihipStream_tbEUlT_E1_NS1_11comp_targetILNS1_3genE5ELNS1_11target_archE942ELNS1_3gpuE9ELNS1_3repE0EEENS1_30default_config_static_selectorELNS0_4arch9wavefront6targetE1EEEvSF_.numbered_sgpr, 0
	.set _ZN7rocprim17ROCPRIM_400000_NS6detail17trampoline_kernelINS0_14default_configENS1_22reduce_config_selectorItEEZNS1_11reduce_implILb1ES3_PtS7_tN6thrust23THRUST_200600_302600_NS4plusItEEEE10hipError_tPvRmT1_T2_T3_mT4_P12ihipStream_tbEUlT_E1_NS1_11comp_targetILNS1_3genE5ELNS1_11target_archE942ELNS1_3gpuE9ELNS1_3repE0EEENS1_30default_config_static_selectorELNS0_4arch9wavefront6targetE1EEEvSF_.num_named_barrier, 0
	.set _ZN7rocprim17ROCPRIM_400000_NS6detail17trampoline_kernelINS0_14default_configENS1_22reduce_config_selectorItEEZNS1_11reduce_implILb1ES3_PtS7_tN6thrust23THRUST_200600_302600_NS4plusItEEEE10hipError_tPvRmT1_T2_T3_mT4_P12ihipStream_tbEUlT_E1_NS1_11comp_targetILNS1_3genE5ELNS1_11target_archE942ELNS1_3gpuE9ELNS1_3repE0EEENS1_30default_config_static_selectorELNS0_4arch9wavefront6targetE1EEEvSF_.private_seg_size, 0
	.set _ZN7rocprim17ROCPRIM_400000_NS6detail17trampoline_kernelINS0_14default_configENS1_22reduce_config_selectorItEEZNS1_11reduce_implILb1ES3_PtS7_tN6thrust23THRUST_200600_302600_NS4plusItEEEE10hipError_tPvRmT1_T2_T3_mT4_P12ihipStream_tbEUlT_E1_NS1_11comp_targetILNS1_3genE5ELNS1_11target_archE942ELNS1_3gpuE9ELNS1_3repE0EEENS1_30default_config_static_selectorELNS0_4arch9wavefront6targetE1EEEvSF_.uses_vcc, 0
	.set _ZN7rocprim17ROCPRIM_400000_NS6detail17trampoline_kernelINS0_14default_configENS1_22reduce_config_selectorItEEZNS1_11reduce_implILb1ES3_PtS7_tN6thrust23THRUST_200600_302600_NS4plusItEEEE10hipError_tPvRmT1_T2_T3_mT4_P12ihipStream_tbEUlT_E1_NS1_11comp_targetILNS1_3genE5ELNS1_11target_archE942ELNS1_3gpuE9ELNS1_3repE0EEENS1_30default_config_static_selectorELNS0_4arch9wavefront6targetE1EEEvSF_.uses_flat_scratch, 0
	.set _ZN7rocprim17ROCPRIM_400000_NS6detail17trampoline_kernelINS0_14default_configENS1_22reduce_config_selectorItEEZNS1_11reduce_implILb1ES3_PtS7_tN6thrust23THRUST_200600_302600_NS4plusItEEEE10hipError_tPvRmT1_T2_T3_mT4_P12ihipStream_tbEUlT_E1_NS1_11comp_targetILNS1_3genE5ELNS1_11target_archE942ELNS1_3gpuE9ELNS1_3repE0EEENS1_30default_config_static_selectorELNS0_4arch9wavefront6targetE1EEEvSF_.has_dyn_sized_stack, 0
	.set _ZN7rocprim17ROCPRIM_400000_NS6detail17trampoline_kernelINS0_14default_configENS1_22reduce_config_selectorItEEZNS1_11reduce_implILb1ES3_PtS7_tN6thrust23THRUST_200600_302600_NS4plusItEEEE10hipError_tPvRmT1_T2_T3_mT4_P12ihipStream_tbEUlT_E1_NS1_11comp_targetILNS1_3genE5ELNS1_11target_archE942ELNS1_3gpuE9ELNS1_3repE0EEENS1_30default_config_static_selectorELNS0_4arch9wavefront6targetE1EEEvSF_.has_recursion, 0
	.set _ZN7rocprim17ROCPRIM_400000_NS6detail17trampoline_kernelINS0_14default_configENS1_22reduce_config_selectorItEEZNS1_11reduce_implILb1ES3_PtS7_tN6thrust23THRUST_200600_302600_NS4plusItEEEE10hipError_tPvRmT1_T2_T3_mT4_P12ihipStream_tbEUlT_E1_NS1_11comp_targetILNS1_3genE5ELNS1_11target_archE942ELNS1_3gpuE9ELNS1_3repE0EEENS1_30default_config_static_selectorELNS0_4arch9wavefront6targetE1EEEvSF_.has_indirect_call, 0
	.section	.AMDGPU.csdata,"",@progbits
; Kernel info:
; codeLenInByte = 0
; TotalNumSgprs: 6
; NumVgprs: 0
; NumAgprs: 0
; TotalNumVgprs: 0
; ScratchSize: 0
; MemoryBound: 0
; FloatMode: 240
; IeeeMode: 1
; LDSByteSize: 0 bytes/workgroup (compile time only)
; SGPRBlocks: 0
; VGPRBlocks: 0
; NumSGPRsForWavesPerEU: 6
; NumVGPRsForWavesPerEU: 1
; AccumOffset: 4
; Occupancy: 8
; WaveLimiterHint : 0
; COMPUTE_PGM_RSRC2:SCRATCH_EN: 0
; COMPUTE_PGM_RSRC2:USER_SGPR: 2
; COMPUTE_PGM_RSRC2:TRAP_HANDLER: 0
; COMPUTE_PGM_RSRC2:TGID_X_EN: 1
; COMPUTE_PGM_RSRC2:TGID_Y_EN: 0
; COMPUTE_PGM_RSRC2:TGID_Z_EN: 0
; COMPUTE_PGM_RSRC2:TIDIG_COMP_CNT: 0
; COMPUTE_PGM_RSRC3_GFX90A:ACCUM_OFFSET: 0
; COMPUTE_PGM_RSRC3_GFX90A:TG_SPLIT: 0
	.section	.text._ZN7rocprim17ROCPRIM_400000_NS6detail17trampoline_kernelINS0_14default_configENS1_22reduce_config_selectorItEEZNS1_11reduce_implILb1ES3_PtS7_tN6thrust23THRUST_200600_302600_NS4plusItEEEE10hipError_tPvRmT1_T2_T3_mT4_P12ihipStream_tbEUlT_E1_NS1_11comp_targetILNS1_3genE4ELNS1_11target_archE910ELNS1_3gpuE8ELNS1_3repE0EEENS1_30default_config_static_selectorELNS0_4arch9wavefront6targetE1EEEvSF_,"axG",@progbits,_ZN7rocprim17ROCPRIM_400000_NS6detail17trampoline_kernelINS0_14default_configENS1_22reduce_config_selectorItEEZNS1_11reduce_implILb1ES3_PtS7_tN6thrust23THRUST_200600_302600_NS4plusItEEEE10hipError_tPvRmT1_T2_T3_mT4_P12ihipStream_tbEUlT_E1_NS1_11comp_targetILNS1_3genE4ELNS1_11target_archE910ELNS1_3gpuE8ELNS1_3repE0EEENS1_30default_config_static_selectorELNS0_4arch9wavefront6targetE1EEEvSF_,comdat
	.protected	_ZN7rocprim17ROCPRIM_400000_NS6detail17trampoline_kernelINS0_14default_configENS1_22reduce_config_selectorItEEZNS1_11reduce_implILb1ES3_PtS7_tN6thrust23THRUST_200600_302600_NS4plusItEEEE10hipError_tPvRmT1_T2_T3_mT4_P12ihipStream_tbEUlT_E1_NS1_11comp_targetILNS1_3genE4ELNS1_11target_archE910ELNS1_3gpuE8ELNS1_3repE0EEENS1_30default_config_static_selectorELNS0_4arch9wavefront6targetE1EEEvSF_ ; -- Begin function _ZN7rocprim17ROCPRIM_400000_NS6detail17trampoline_kernelINS0_14default_configENS1_22reduce_config_selectorItEEZNS1_11reduce_implILb1ES3_PtS7_tN6thrust23THRUST_200600_302600_NS4plusItEEEE10hipError_tPvRmT1_T2_T3_mT4_P12ihipStream_tbEUlT_E1_NS1_11comp_targetILNS1_3genE4ELNS1_11target_archE910ELNS1_3gpuE8ELNS1_3repE0EEENS1_30default_config_static_selectorELNS0_4arch9wavefront6targetE1EEEvSF_
	.globl	_ZN7rocprim17ROCPRIM_400000_NS6detail17trampoline_kernelINS0_14default_configENS1_22reduce_config_selectorItEEZNS1_11reduce_implILb1ES3_PtS7_tN6thrust23THRUST_200600_302600_NS4plusItEEEE10hipError_tPvRmT1_T2_T3_mT4_P12ihipStream_tbEUlT_E1_NS1_11comp_targetILNS1_3genE4ELNS1_11target_archE910ELNS1_3gpuE8ELNS1_3repE0EEENS1_30default_config_static_selectorELNS0_4arch9wavefront6targetE1EEEvSF_
	.p2align	8
	.type	_ZN7rocprim17ROCPRIM_400000_NS6detail17trampoline_kernelINS0_14default_configENS1_22reduce_config_selectorItEEZNS1_11reduce_implILb1ES3_PtS7_tN6thrust23THRUST_200600_302600_NS4plusItEEEE10hipError_tPvRmT1_T2_T3_mT4_P12ihipStream_tbEUlT_E1_NS1_11comp_targetILNS1_3genE4ELNS1_11target_archE910ELNS1_3gpuE8ELNS1_3repE0EEENS1_30default_config_static_selectorELNS0_4arch9wavefront6targetE1EEEvSF_,@function
_ZN7rocprim17ROCPRIM_400000_NS6detail17trampoline_kernelINS0_14default_configENS1_22reduce_config_selectorItEEZNS1_11reduce_implILb1ES3_PtS7_tN6thrust23THRUST_200600_302600_NS4plusItEEEE10hipError_tPvRmT1_T2_T3_mT4_P12ihipStream_tbEUlT_E1_NS1_11comp_targetILNS1_3genE4ELNS1_11target_archE910ELNS1_3gpuE8ELNS1_3repE0EEENS1_30default_config_static_selectorELNS0_4arch9wavefront6targetE1EEEvSF_: ; @_ZN7rocprim17ROCPRIM_400000_NS6detail17trampoline_kernelINS0_14default_configENS1_22reduce_config_selectorItEEZNS1_11reduce_implILb1ES3_PtS7_tN6thrust23THRUST_200600_302600_NS4plusItEEEE10hipError_tPvRmT1_T2_T3_mT4_P12ihipStream_tbEUlT_E1_NS1_11comp_targetILNS1_3genE4ELNS1_11target_archE910ELNS1_3gpuE8ELNS1_3repE0EEENS1_30default_config_static_selectorELNS0_4arch9wavefront6targetE1EEEvSF_
; %bb.0:
	.section	.rodata,"a",@progbits
	.p2align	6, 0x0
	.amdhsa_kernel _ZN7rocprim17ROCPRIM_400000_NS6detail17trampoline_kernelINS0_14default_configENS1_22reduce_config_selectorItEEZNS1_11reduce_implILb1ES3_PtS7_tN6thrust23THRUST_200600_302600_NS4plusItEEEE10hipError_tPvRmT1_T2_T3_mT4_P12ihipStream_tbEUlT_E1_NS1_11comp_targetILNS1_3genE4ELNS1_11target_archE910ELNS1_3gpuE8ELNS1_3repE0EEENS1_30default_config_static_selectorELNS0_4arch9wavefront6targetE1EEEvSF_
		.amdhsa_group_segment_fixed_size 0
		.amdhsa_private_segment_fixed_size 0
		.amdhsa_kernarg_size 40
		.amdhsa_user_sgpr_count 2
		.amdhsa_user_sgpr_dispatch_ptr 0
		.amdhsa_user_sgpr_queue_ptr 0
		.amdhsa_user_sgpr_kernarg_segment_ptr 1
		.amdhsa_user_sgpr_dispatch_id 0
		.amdhsa_user_sgpr_kernarg_preload_length 0
		.amdhsa_user_sgpr_kernarg_preload_offset 0
		.amdhsa_user_sgpr_private_segment_size 0
		.amdhsa_uses_dynamic_stack 0
		.amdhsa_enable_private_segment 0
		.amdhsa_system_sgpr_workgroup_id_x 1
		.amdhsa_system_sgpr_workgroup_id_y 0
		.amdhsa_system_sgpr_workgroup_id_z 0
		.amdhsa_system_sgpr_workgroup_info 0
		.amdhsa_system_vgpr_workitem_id 0
		.amdhsa_next_free_vgpr 1
		.amdhsa_next_free_sgpr 0
		.amdhsa_accum_offset 4
		.amdhsa_reserve_vcc 0
		.amdhsa_float_round_mode_32 0
		.amdhsa_float_round_mode_16_64 0
		.amdhsa_float_denorm_mode_32 3
		.amdhsa_float_denorm_mode_16_64 3
		.amdhsa_dx10_clamp 1
		.amdhsa_ieee_mode 1
		.amdhsa_fp16_overflow 0
		.amdhsa_tg_split 0
		.amdhsa_exception_fp_ieee_invalid_op 0
		.amdhsa_exception_fp_denorm_src 0
		.amdhsa_exception_fp_ieee_div_zero 0
		.amdhsa_exception_fp_ieee_overflow 0
		.amdhsa_exception_fp_ieee_underflow 0
		.amdhsa_exception_fp_ieee_inexact 0
		.amdhsa_exception_int_div_zero 0
	.end_amdhsa_kernel
	.section	.text._ZN7rocprim17ROCPRIM_400000_NS6detail17trampoline_kernelINS0_14default_configENS1_22reduce_config_selectorItEEZNS1_11reduce_implILb1ES3_PtS7_tN6thrust23THRUST_200600_302600_NS4plusItEEEE10hipError_tPvRmT1_T2_T3_mT4_P12ihipStream_tbEUlT_E1_NS1_11comp_targetILNS1_3genE4ELNS1_11target_archE910ELNS1_3gpuE8ELNS1_3repE0EEENS1_30default_config_static_selectorELNS0_4arch9wavefront6targetE1EEEvSF_,"axG",@progbits,_ZN7rocprim17ROCPRIM_400000_NS6detail17trampoline_kernelINS0_14default_configENS1_22reduce_config_selectorItEEZNS1_11reduce_implILb1ES3_PtS7_tN6thrust23THRUST_200600_302600_NS4plusItEEEE10hipError_tPvRmT1_T2_T3_mT4_P12ihipStream_tbEUlT_E1_NS1_11comp_targetILNS1_3genE4ELNS1_11target_archE910ELNS1_3gpuE8ELNS1_3repE0EEENS1_30default_config_static_selectorELNS0_4arch9wavefront6targetE1EEEvSF_,comdat
.Lfunc_end161:
	.size	_ZN7rocprim17ROCPRIM_400000_NS6detail17trampoline_kernelINS0_14default_configENS1_22reduce_config_selectorItEEZNS1_11reduce_implILb1ES3_PtS7_tN6thrust23THRUST_200600_302600_NS4plusItEEEE10hipError_tPvRmT1_T2_T3_mT4_P12ihipStream_tbEUlT_E1_NS1_11comp_targetILNS1_3genE4ELNS1_11target_archE910ELNS1_3gpuE8ELNS1_3repE0EEENS1_30default_config_static_selectorELNS0_4arch9wavefront6targetE1EEEvSF_, .Lfunc_end161-_ZN7rocprim17ROCPRIM_400000_NS6detail17trampoline_kernelINS0_14default_configENS1_22reduce_config_selectorItEEZNS1_11reduce_implILb1ES3_PtS7_tN6thrust23THRUST_200600_302600_NS4plusItEEEE10hipError_tPvRmT1_T2_T3_mT4_P12ihipStream_tbEUlT_E1_NS1_11comp_targetILNS1_3genE4ELNS1_11target_archE910ELNS1_3gpuE8ELNS1_3repE0EEENS1_30default_config_static_selectorELNS0_4arch9wavefront6targetE1EEEvSF_
                                        ; -- End function
	.set _ZN7rocprim17ROCPRIM_400000_NS6detail17trampoline_kernelINS0_14default_configENS1_22reduce_config_selectorItEEZNS1_11reduce_implILb1ES3_PtS7_tN6thrust23THRUST_200600_302600_NS4plusItEEEE10hipError_tPvRmT1_T2_T3_mT4_P12ihipStream_tbEUlT_E1_NS1_11comp_targetILNS1_3genE4ELNS1_11target_archE910ELNS1_3gpuE8ELNS1_3repE0EEENS1_30default_config_static_selectorELNS0_4arch9wavefront6targetE1EEEvSF_.num_vgpr, 0
	.set _ZN7rocprim17ROCPRIM_400000_NS6detail17trampoline_kernelINS0_14default_configENS1_22reduce_config_selectorItEEZNS1_11reduce_implILb1ES3_PtS7_tN6thrust23THRUST_200600_302600_NS4plusItEEEE10hipError_tPvRmT1_T2_T3_mT4_P12ihipStream_tbEUlT_E1_NS1_11comp_targetILNS1_3genE4ELNS1_11target_archE910ELNS1_3gpuE8ELNS1_3repE0EEENS1_30default_config_static_selectorELNS0_4arch9wavefront6targetE1EEEvSF_.num_agpr, 0
	.set _ZN7rocprim17ROCPRIM_400000_NS6detail17trampoline_kernelINS0_14default_configENS1_22reduce_config_selectorItEEZNS1_11reduce_implILb1ES3_PtS7_tN6thrust23THRUST_200600_302600_NS4plusItEEEE10hipError_tPvRmT1_T2_T3_mT4_P12ihipStream_tbEUlT_E1_NS1_11comp_targetILNS1_3genE4ELNS1_11target_archE910ELNS1_3gpuE8ELNS1_3repE0EEENS1_30default_config_static_selectorELNS0_4arch9wavefront6targetE1EEEvSF_.numbered_sgpr, 0
	.set _ZN7rocprim17ROCPRIM_400000_NS6detail17trampoline_kernelINS0_14default_configENS1_22reduce_config_selectorItEEZNS1_11reduce_implILb1ES3_PtS7_tN6thrust23THRUST_200600_302600_NS4plusItEEEE10hipError_tPvRmT1_T2_T3_mT4_P12ihipStream_tbEUlT_E1_NS1_11comp_targetILNS1_3genE4ELNS1_11target_archE910ELNS1_3gpuE8ELNS1_3repE0EEENS1_30default_config_static_selectorELNS0_4arch9wavefront6targetE1EEEvSF_.num_named_barrier, 0
	.set _ZN7rocprim17ROCPRIM_400000_NS6detail17trampoline_kernelINS0_14default_configENS1_22reduce_config_selectorItEEZNS1_11reduce_implILb1ES3_PtS7_tN6thrust23THRUST_200600_302600_NS4plusItEEEE10hipError_tPvRmT1_T2_T3_mT4_P12ihipStream_tbEUlT_E1_NS1_11comp_targetILNS1_3genE4ELNS1_11target_archE910ELNS1_3gpuE8ELNS1_3repE0EEENS1_30default_config_static_selectorELNS0_4arch9wavefront6targetE1EEEvSF_.private_seg_size, 0
	.set _ZN7rocprim17ROCPRIM_400000_NS6detail17trampoline_kernelINS0_14default_configENS1_22reduce_config_selectorItEEZNS1_11reduce_implILb1ES3_PtS7_tN6thrust23THRUST_200600_302600_NS4plusItEEEE10hipError_tPvRmT1_T2_T3_mT4_P12ihipStream_tbEUlT_E1_NS1_11comp_targetILNS1_3genE4ELNS1_11target_archE910ELNS1_3gpuE8ELNS1_3repE0EEENS1_30default_config_static_selectorELNS0_4arch9wavefront6targetE1EEEvSF_.uses_vcc, 0
	.set _ZN7rocprim17ROCPRIM_400000_NS6detail17trampoline_kernelINS0_14default_configENS1_22reduce_config_selectorItEEZNS1_11reduce_implILb1ES3_PtS7_tN6thrust23THRUST_200600_302600_NS4plusItEEEE10hipError_tPvRmT1_T2_T3_mT4_P12ihipStream_tbEUlT_E1_NS1_11comp_targetILNS1_3genE4ELNS1_11target_archE910ELNS1_3gpuE8ELNS1_3repE0EEENS1_30default_config_static_selectorELNS0_4arch9wavefront6targetE1EEEvSF_.uses_flat_scratch, 0
	.set _ZN7rocprim17ROCPRIM_400000_NS6detail17trampoline_kernelINS0_14default_configENS1_22reduce_config_selectorItEEZNS1_11reduce_implILb1ES3_PtS7_tN6thrust23THRUST_200600_302600_NS4plusItEEEE10hipError_tPvRmT1_T2_T3_mT4_P12ihipStream_tbEUlT_E1_NS1_11comp_targetILNS1_3genE4ELNS1_11target_archE910ELNS1_3gpuE8ELNS1_3repE0EEENS1_30default_config_static_selectorELNS0_4arch9wavefront6targetE1EEEvSF_.has_dyn_sized_stack, 0
	.set _ZN7rocprim17ROCPRIM_400000_NS6detail17trampoline_kernelINS0_14default_configENS1_22reduce_config_selectorItEEZNS1_11reduce_implILb1ES3_PtS7_tN6thrust23THRUST_200600_302600_NS4plusItEEEE10hipError_tPvRmT1_T2_T3_mT4_P12ihipStream_tbEUlT_E1_NS1_11comp_targetILNS1_3genE4ELNS1_11target_archE910ELNS1_3gpuE8ELNS1_3repE0EEENS1_30default_config_static_selectorELNS0_4arch9wavefront6targetE1EEEvSF_.has_recursion, 0
	.set _ZN7rocprim17ROCPRIM_400000_NS6detail17trampoline_kernelINS0_14default_configENS1_22reduce_config_selectorItEEZNS1_11reduce_implILb1ES3_PtS7_tN6thrust23THRUST_200600_302600_NS4plusItEEEE10hipError_tPvRmT1_T2_T3_mT4_P12ihipStream_tbEUlT_E1_NS1_11comp_targetILNS1_3genE4ELNS1_11target_archE910ELNS1_3gpuE8ELNS1_3repE0EEENS1_30default_config_static_selectorELNS0_4arch9wavefront6targetE1EEEvSF_.has_indirect_call, 0
	.section	.AMDGPU.csdata,"",@progbits
; Kernel info:
; codeLenInByte = 0
; TotalNumSgprs: 6
; NumVgprs: 0
; NumAgprs: 0
; TotalNumVgprs: 0
; ScratchSize: 0
; MemoryBound: 0
; FloatMode: 240
; IeeeMode: 1
; LDSByteSize: 0 bytes/workgroup (compile time only)
; SGPRBlocks: 0
; VGPRBlocks: 0
; NumSGPRsForWavesPerEU: 6
; NumVGPRsForWavesPerEU: 1
; AccumOffset: 4
; Occupancy: 8
; WaveLimiterHint : 0
; COMPUTE_PGM_RSRC2:SCRATCH_EN: 0
; COMPUTE_PGM_RSRC2:USER_SGPR: 2
; COMPUTE_PGM_RSRC2:TRAP_HANDLER: 0
; COMPUTE_PGM_RSRC2:TGID_X_EN: 1
; COMPUTE_PGM_RSRC2:TGID_Y_EN: 0
; COMPUTE_PGM_RSRC2:TGID_Z_EN: 0
; COMPUTE_PGM_RSRC2:TIDIG_COMP_CNT: 0
; COMPUTE_PGM_RSRC3_GFX90A:ACCUM_OFFSET: 0
; COMPUTE_PGM_RSRC3_GFX90A:TG_SPLIT: 0
	.section	.text._ZN7rocprim17ROCPRIM_400000_NS6detail17trampoline_kernelINS0_14default_configENS1_22reduce_config_selectorItEEZNS1_11reduce_implILb1ES3_PtS7_tN6thrust23THRUST_200600_302600_NS4plusItEEEE10hipError_tPvRmT1_T2_T3_mT4_P12ihipStream_tbEUlT_E1_NS1_11comp_targetILNS1_3genE3ELNS1_11target_archE908ELNS1_3gpuE7ELNS1_3repE0EEENS1_30default_config_static_selectorELNS0_4arch9wavefront6targetE1EEEvSF_,"axG",@progbits,_ZN7rocprim17ROCPRIM_400000_NS6detail17trampoline_kernelINS0_14default_configENS1_22reduce_config_selectorItEEZNS1_11reduce_implILb1ES3_PtS7_tN6thrust23THRUST_200600_302600_NS4plusItEEEE10hipError_tPvRmT1_T2_T3_mT4_P12ihipStream_tbEUlT_E1_NS1_11comp_targetILNS1_3genE3ELNS1_11target_archE908ELNS1_3gpuE7ELNS1_3repE0EEENS1_30default_config_static_selectorELNS0_4arch9wavefront6targetE1EEEvSF_,comdat
	.protected	_ZN7rocprim17ROCPRIM_400000_NS6detail17trampoline_kernelINS0_14default_configENS1_22reduce_config_selectorItEEZNS1_11reduce_implILb1ES3_PtS7_tN6thrust23THRUST_200600_302600_NS4plusItEEEE10hipError_tPvRmT1_T2_T3_mT4_P12ihipStream_tbEUlT_E1_NS1_11comp_targetILNS1_3genE3ELNS1_11target_archE908ELNS1_3gpuE7ELNS1_3repE0EEENS1_30default_config_static_selectorELNS0_4arch9wavefront6targetE1EEEvSF_ ; -- Begin function _ZN7rocprim17ROCPRIM_400000_NS6detail17trampoline_kernelINS0_14default_configENS1_22reduce_config_selectorItEEZNS1_11reduce_implILb1ES3_PtS7_tN6thrust23THRUST_200600_302600_NS4plusItEEEE10hipError_tPvRmT1_T2_T3_mT4_P12ihipStream_tbEUlT_E1_NS1_11comp_targetILNS1_3genE3ELNS1_11target_archE908ELNS1_3gpuE7ELNS1_3repE0EEENS1_30default_config_static_selectorELNS0_4arch9wavefront6targetE1EEEvSF_
	.globl	_ZN7rocprim17ROCPRIM_400000_NS6detail17trampoline_kernelINS0_14default_configENS1_22reduce_config_selectorItEEZNS1_11reduce_implILb1ES3_PtS7_tN6thrust23THRUST_200600_302600_NS4plusItEEEE10hipError_tPvRmT1_T2_T3_mT4_P12ihipStream_tbEUlT_E1_NS1_11comp_targetILNS1_3genE3ELNS1_11target_archE908ELNS1_3gpuE7ELNS1_3repE0EEENS1_30default_config_static_selectorELNS0_4arch9wavefront6targetE1EEEvSF_
	.p2align	8
	.type	_ZN7rocprim17ROCPRIM_400000_NS6detail17trampoline_kernelINS0_14default_configENS1_22reduce_config_selectorItEEZNS1_11reduce_implILb1ES3_PtS7_tN6thrust23THRUST_200600_302600_NS4plusItEEEE10hipError_tPvRmT1_T2_T3_mT4_P12ihipStream_tbEUlT_E1_NS1_11comp_targetILNS1_3genE3ELNS1_11target_archE908ELNS1_3gpuE7ELNS1_3repE0EEENS1_30default_config_static_selectorELNS0_4arch9wavefront6targetE1EEEvSF_,@function
_ZN7rocprim17ROCPRIM_400000_NS6detail17trampoline_kernelINS0_14default_configENS1_22reduce_config_selectorItEEZNS1_11reduce_implILb1ES3_PtS7_tN6thrust23THRUST_200600_302600_NS4plusItEEEE10hipError_tPvRmT1_T2_T3_mT4_P12ihipStream_tbEUlT_E1_NS1_11comp_targetILNS1_3genE3ELNS1_11target_archE908ELNS1_3gpuE7ELNS1_3repE0EEENS1_30default_config_static_selectorELNS0_4arch9wavefront6targetE1EEEvSF_: ; @_ZN7rocprim17ROCPRIM_400000_NS6detail17trampoline_kernelINS0_14default_configENS1_22reduce_config_selectorItEEZNS1_11reduce_implILb1ES3_PtS7_tN6thrust23THRUST_200600_302600_NS4plusItEEEE10hipError_tPvRmT1_T2_T3_mT4_P12ihipStream_tbEUlT_E1_NS1_11comp_targetILNS1_3genE3ELNS1_11target_archE908ELNS1_3gpuE7ELNS1_3repE0EEENS1_30default_config_static_selectorELNS0_4arch9wavefront6targetE1EEEvSF_
; %bb.0:
	.section	.rodata,"a",@progbits
	.p2align	6, 0x0
	.amdhsa_kernel _ZN7rocprim17ROCPRIM_400000_NS6detail17trampoline_kernelINS0_14default_configENS1_22reduce_config_selectorItEEZNS1_11reduce_implILb1ES3_PtS7_tN6thrust23THRUST_200600_302600_NS4plusItEEEE10hipError_tPvRmT1_T2_T3_mT4_P12ihipStream_tbEUlT_E1_NS1_11comp_targetILNS1_3genE3ELNS1_11target_archE908ELNS1_3gpuE7ELNS1_3repE0EEENS1_30default_config_static_selectorELNS0_4arch9wavefront6targetE1EEEvSF_
		.amdhsa_group_segment_fixed_size 0
		.amdhsa_private_segment_fixed_size 0
		.amdhsa_kernarg_size 40
		.amdhsa_user_sgpr_count 2
		.amdhsa_user_sgpr_dispatch_ptr 0
		.amdhsa_user_sgpr_queue_ptr 0
		.amdhsa_user_sgpr_kernarg_segment_ptr 1
		.amdhsa_user_sgpr_dispatch_id 0
		.amdhsa_user_sgpr_kernarg_preload_length 0
		.amdhsa_user_sgpr_kernarg_preload_offset 0
		.amdhsa_user_sgpr_private_segment_size 0
		.amdhsa_uses_dynamic_stack 0
		.amdhsa_enable_private_segment 0
		.amdhsa_system_sgpr_workgroup_id_x 1
		.amdhsa_system_sgpr_workgroup_id_y 0
		.amdhsa_system_sgpr_workgroup_id_z 0
		.amdhsa_system_sgpr_workgroup_info 0
		.amdhsa_system_vgpr_workitem_id 0
		.amdhsa_next_free_vgpr 1
		.amdhsa_next_free_sgpr 0
		.amdhsa_accum_offset 4
		.amdhsa_reserve_vcc 0
		.amdhsa_float_round_mode_32 0
		.amdhsa_float_round_mode_16_64 0
		.amdhsa_float_denorm_mode_32 3
		.amdhsa_float_denorm_mode_16_64 3
		.amdhsa_dx10_clamp 1
		.amdhsa_ieee_mode 1
		.amdhsa_fp16_overflow 0
		.amdhsa_tg_split 0
		.amdhsa_exception_fp_ieee_invalid_op 0
		.amdhsa_exception_fp_denorm_src 0
		.amdhsa_exception_fp_ieee_div_zero 0
		.amdhsa_exception_fp_ieee_overflow 0
		.amdhsa_exception_fp_ieee_underflow 0
		.amdhsa_exception_fp_ieee_inexact 0
		.amdhsa_exception_int_div_zero 0
	.end_amdhsa_kernel
	.section	.text._ZN7rocprim17ROCPRIM_400000_NS6detail17trampoline_kernelINS0_14default_configENS1_22reduce_config_selectorItEEZNS1_11reduce_implILb1ES3_PtS7_tN6thrust23THRUST_200600_302600_NS4plusItEEEE10hipError_tPvRmT1_T2_T3_mT4_P12ihipStream_tbEUlT_E1_NS1_11comp_targetILNS1_3genE3ELNS1_11target_archE908ELNS1_3gpuE7ELNS1_3repE0EEENS1_30default_config_static_selectorELNS0_4arch9wavefront6targetE1EEEvSF_,"axG",@progbits,_ZN7rocprim17ROCPRIM_400000_NS6detail17trampoline_kernelINS0_14default_configENS1_22reduce_config_selectorItEEZNS1_11reduce_implILb1ES3_PtS7_tN6thrust23THRUST_200600_302600_NS4plusItEEEE10hipError_tPvRmT1_T2_T3_mT4_P12ihipStream_tbEUlT_E1_NS1_11comp_targetILNS1_3genE3ELNS1_11target_archE908ELNS1_3gpuE7ELNS1_3repE0EEENS1_30default_config_static_selectorELNS0_4arch9wavefront6targetE1EEEvSF_,comdat
.Lfunc_end162:
	.size	_ZN7rocprim17ROCPRIM_400000_NS6detail17trampoline_kernelINS0_14default_configENS1_22reduce_config_selectorItEEZNS1_11reduce_implILb1ES3_PtS7_tN6thrust23THRUST_200600_302600_NS4plusItEEEE10hipError_tPvRmT1_T2_T3_mT4_P12ihipStream_tbEUlT_E1_NS1_11comp_targetILNS1_3genE3ELNS1_11target_archE908ELNS1_3gpuE7ELNS1_3repE0EEENS1_30default_config_static_selectorELNS0_4arch9wavefront6targetE1EEEvSF_, .Lfunc_end162-_ZN7rocprim17ROCPRIM_400000_NS6detail17trampoline_kernelINS0_14default_configENS1_22reduce_config_selectorItEEZNS1_11reduce_implILb1ES3_PtS7_tN6thrust23THRUST_200600_302600_NS4plusItEEEE10hipError_tPvRmT1_T2_T3_mT4_P12ihipStream_tbEUlT_E1_NS1_11comp_targetILNS1_3genE3ELNS1_11target_archE908ELNS1_3gpuE7ELNS1_3repE0EEENS1_30default_config_static_selectorELNS0_4arch9wavefront6targetE1EEEvSF_
                                        ; -- End function
	.set _ZN7rocprim17ROCPRIM_400000_NS6detail17trampoline_kernelINS0_14default_configENS1_22reduce_config_selectorItEEZNS1_11reduce_implILb1ES3_PtS7_tN6thrust23THRUST_200600_302600_NS4plusItEEEE10hipError_tPvRmT1_T2_T3_mT4_P12ihipStream_tbEUlT_E1_NS1_11comp_targetILNS1_3genE3ELNS1_11target_archE908ELNS1_3gpuE7ELNS1_3repE0EEENS1_30default_config_static_selectorELNS0_4arch9wavefront6targetE1EEEvSF_.num_vgpr, 0
	.set _ZN7rocprim17ROCPRIM_400000_NS6detail17trampoline_kernelINS0_14default_configENS1_22reduce_config_selectorItEEZNS1_11reduce_implILb1ES3_PtS7_tN6thrust23THRUST_200600_302600_NS4plusItEEEE10hipError_tPvRmT1_T2_T3_mT4_P12ihipStream_tbEUlT_E1_NS1_11comp_targetILNS1_3genE3ELNS1_11target_archE908ELNS1_3gpuE7ELNS1_3repE0EEENS1_30default_config_static_selectorELNS0_4arch9wavefront6targetE1EEEvSF_.num_agpr, 0
	.set _ZN7rocprim17ROCPRIM_400000_NS6detail17trampoline_kernelINS0_14default_configENS1_22reduce_config_selectorItEEZNS1_11reduce_implILb1ES3_PtS7_tN6thrust23THRUST_200600_302600_NS4plusItEEEE10hipError_tPvRmT1_T2_T3_mT4_P12ihipStream_tbEUlT_E1_NS1_11comp_targetILNS1_3genE3ELNS1_11target_archE908ELNS1_3gpuE7ELNS1_3repE0EEENS1_30default_config_static_selectorELNS0_4arch9wavefront6targetE1EEEvSF_.numbered_sgpr, 0
	.set _ZN7rocprim17ROCPRIM_400000_NS6detail17trampoline_kernelINS0_14default_configENS1_22reduce_config_selectorItEEZNS1_11reduce_implILb1ES3_PtS7_tN6thrust23THRUST_200600_302600_NS4plusItEEEE10hipError_tPvRmT1_T2_T3_mT4_P12ihipStream_tbEUlT_E1_NS1_11comp_targetILNS1_3genE3ELNS1_11target_archE908ELNS1_3gpuE7ELNS1_3repE0EEENS1_30default_config_static_selectorELNS0_4arch9wavefront6targetE1EEEvSF_.num_named_barrier, 0
	.set _ZN7rocprim17ROCPRIM_400000_NS6detail17trampoline_kernelINS0_14default_configENS1_22reduce_config_selectorItEEZNS1_11reduce_implILb1ES3_PtS7_tN6thrust23THRUST_200600_302600_NS4plusItEEEE10hipError_tPvRmT1_T2_T3_mT4_P12ihipStream_tbEUlT_E1_NS1_11comp_targetILNS1_3genE3ELNS1_11target_archE908ELNS1_3gpuE7ELNS1_3repE0EEENS1_30default_config_static_selectorELNS0_4arch9wavefront6targetE1EEEvSF_.private_seg_size, 0
	.set _ZN7rocprim17ROCPRIM_400000_NS6detail17trampoline_kernelINS0_14default_configENS1_22reduce_config_selectorItEEZNS1_11reduce_implILb1ES3_PtS7_tN6thrust23THRUST_200600_302600_NS4plusItEEEE10hipError_tPvRmT1_T2_T3_mT4_P12ihipStream_tbEUlT_E1_NS1_11comp_targetILNS1_3genE3ELNS1_11target_archE908ELNS1_3gpuE7ELNS1_3repE0EEENS1_30default_config_static_selectorELNS0_4arch9wavefront6targetE1EEEvSF_.uses_vcc, 0
	.set _ZN7rocprim17ROCPRIM_400000_NS6detail17trampoline_kernelINS0_14default_configENS1_22reduce_config_selectorItEEZNS1_11reduce_implILb1ES3_PtS7_tN6thrust23THRUST_200600_302600_NS4plusItEEEE10hipError_tPvRmT1_T2_T3_mT4_P12ihipStream_tbEUlT_E1_NS1_11comp_targetILNS1_3genE3ELNS1_11target_archE908ELNS1_3gpuE7ELNS1_3repE0EEENS1_30default_config_static_selectorELNS0_4arch9wavefront6targetE1EEEvSF_.uses_flat_scratch, 0
	.set _ZN7rocprim17ROCPRIM_400000_NS6detail17trampoline_kernelINS0_14default_configENS1_22reduce_config_selectorItEEZNS1_11reduce_implILb1ES3_PtS7_tN6thrust23THRUST_200600_302600_NS4plusItEEEE10hipError_tPvRmT1_T2_T3_mT4_P12ihipStream_tbEUlT_E1_NS1_11comp_targetILNS1_3genE3ELNS1_11target_archE908ELNS1_3gpuE7ELNS1_3repE0EEENS1_30default_config_static_selectorELNS0_4arch9wavefront6targetE1EEEvSF_.has_dyn_sized_stack, 0
	.set _ZN7rocprim17ROCPRIM_400000_NS6detail17trampoline_kernelINS0_14default_configENS1_22reduce_config_selectorItEEZNS1_11reduce_implILb1ES3_PtS7_tN6thrust23THRUST_200600_302600_NS4plusItEEEE10hipError_tPvRmT1_T2_T3_mT4_P12ihipStream_tbEUlT_E1_NS1_11comp_targetILNS1_3genE3ELNS1_11target_archE908ELNS1_3gpuE7ELNS1_3repE0EEENS1_30default_config_static_selectorELNS0_4arch9wavefront6targetE1EEEvSF_.has_recursion, 0
	.set _ZN7rocprim17ROCPRIM_400000_NS6detail17trampoline_kernelINS0_14default_configENS1_22reduce_config_selectorItEEZNS1_11reduce_implILb1ES3_PtS7_tN6thrust23THRUST_200600_302600_NS4plusItEEEE10hipError_tPvRmT1_T2_T3_mT4_P12ihipStream_tbEUlT_E1_NS1_11comp_targetILNS1_3genE3ELNS1_11target_archE908ELNS1_3gpuE7ELNS1_3repE0EEENS1_30default_config_static_selectorELNS0_4arch9wavefront6targetE1EEEvSF_.has_indirect_call, 0
	.section	.AMDGPU.csdata,"",@progbits
; Kernel info:
; codeLenInByte = 0
; TotalNumSgprs: 6
; NumVgprs: 0
; NumAgprs: 0
; TotalNumVgprs: 0
; ScratchSize: 0
; MemoryBound: 0
; FloatMode: 240
; IeeeMode: 1
; LDSByteSize: 0 bytes/workgroup (compile time only)
; SGPRBlocks: 0
; VGPRBlocks: 0
; NumSGPRsForWavesPerEU: 6
; NumVGPRsForWavesPerEU: 1
; AccumOffset: 4
; Occupancy: 8
; WaveLimiterHint : 0
; COMPUTE_PGM_RSRC2:SCRATCH_EN: 0
; COMPUTE_PGM_RSRC2:USER_SGPR: 2
; COMPUTE_PGM_RSRC2:TRAP_HANDLER: 0
; COMPUTE_PGM_RSRC2:TGID_X_EN: 1
; COMPUTE_PGM_RSRC2:TGID_Y_EN: 0
; COMPUTE_PGM_RSRC2:TGID_Z_EN: 0
; COMPUTE_PGM_RSRC2:TIDIG_COMP_CNT: 0
; COMPUTE_PGM_RSRC3_GFX90A:ACCUM_OFFSET: 0
; COMPUTE_PGM_RSRC3_GFX90A:TG_SPLIT: 0
	.section	.text._ZN7rocprim17ROCPRIM_400000_NS6detail17trampoline_kernelINS0_14default_configENS1_22reduce_config_selectorItEEZNS1_11reduce_implILb1ES3_PtS7_tN6thrust23THRUST_200600_302600_NS4plusItEEEE10hipError_tPvRmT1_T2_T3_mT4_P12ihipStream_tbEUlT_E1_NS1_11comp_targetILNS1_3genE2ELNS1_11target_archE906ELNS1_3gpuE6ELNS1_3repE0EEENS1_30default_config_static_selectorELNS0_4arch9wavefront6targetE1EEEvSF_,"axG",@progbits,_ZN7rocprim17ROCPRIM_400000_NS6detail17trampoline_kernelINS0_14default_configENS1_22reduce_config_selectorItEEZNS1_11reduce_implILb1ES3_PtS7_tN6thrust23THRUST_200600_302600_NS4plusItEEEE10hipError_tPvRmT1_T2_T3_mT4_P12ihipStream_tbEUlT_E1_NS1_11comp_targetILNS1_3genE2ELNS1_11target_archE906ELNS1_3gpuE6ELNS1_3repE0EEENS1_30default_config_static_selectorELNS0_4arch9wavefront6targetE1EEEvSF_,comdat
	.protected	_ZN7rocprim17ROCPRIM_400000_NS6detail17trampoline_kernelINS0_14default_configENS1_22reduce_config_selectorItEEZNS1_11reduce_implILb1ES3_PtS7_tN6thrust23THRUST_200600_302600_NS4plusItEEEE10hipError_tPvRmT1_T2_T3_mT4_P12ihipStream_tbEUlT_E1_NS1_11comp_targetILNS1_3genE2ELNS1_11target_archE906ELNS1_3gpuE6ELNS1_3repE0EEENS1_30default_config_static_selectorELNS0_4arch9wavefront6targetE1EEEvSF_ ; -- Begin function _ZN7rocprim17ROCPRIM_400000_NS6detail17trampoline_kernelINS0_14default_configENS1_22reduce_config_selectorItEEZNS1_11reduce_implILb1ES3_PtS7_tN6thrust23THRUST_200600_302600_NS4plusItEEEE10hipError_tPvRmT1_T2_T3_mT4_P12ihipStream_tbEUlT_E1_NS1_11comp_targetILNS1_3genE2ELNS1_11target_archE906ELNS1_3gpuE6ELNS1_3repE0EEENS1_30default_config_static_selectorELNS0_4arch9wavefront6targetE1EEEvSF_
	.globl	_ZN7rocprim17ROCPRIM_400000_NS6detail17trampoline_kernelINS0_14default_configENS1_22reduce_config_selectorItEEZNS1_11reduce_implILb1ES3_PtS7_tN6thrust23THRUST_200600_302600_NS4plusItEEEE10hipError_tPvRmT1_T2_T3_mT4_P12ihipStream_tbEUlT_E1_NS1_11comp_targetILNS1_3genE2ELNS1_11target_archE906ELNS1_3gpuE6ELNS1_3repE0EEENS1_30default_config_static_selectorELNS0_4arch9wavefront6targetE1EEEvSF_
	.p2align	8
	.type	_ZN7rocprim17ROCPRIM_400000_NS6detail17trampoline_kernelINS0_14default_configENS1_22reduce_config_selectorItEEZNS1_11reduce_implILb1ES3_PtS7_tN6thrust23THRUST_200600_302600_NS4plusItEEEE10hipError_tPvRmT1_T2_T3_mT4_P12ihipStream_tbEUlT_E1_NS1_11comp_targetILNS1_3genE2ELNS1_11target_archE906ELNS1_3gpuE6ELNS1_3repE0EEENS1_30default_config_static_selectorELNS0_4arch9wavefront6targetE1EEEvSF_,@function
_ZN7rocprim17ROCPRIM_400000_NS6detail17trampoline_kernelINS0_14default_configENS1_22reduce_config_selectorItEEZNS1_11reduce_implILb1ES3_PtS7_tN6thrust23THRUST_200600_302600_NS4plusItEEEE10hipError_tPvRmT1_T2_T3_mT4_P12ihipStream_tbEUlT_E1_NS1_11comp_targetILNS1_3genE2ELNS1_11target_archE906ELNS1_3gpuE6ELNS1_3repE0EEENS1_30default_config_static_selectorELNS0_4arch9wavefront6targetE1EEEvSF_: ; @_ZN7rocprim17ROCPRIM_400000_NS6detail17trampoline_kernelINS0_14default_configENS1_22reduce_config_selectorItEEZNS1_11reduce_implILb1ES3_PtS7_tN6thrust23THRUST_200600_302600_NS4plusItEEEE10hipError_tPvRmT1_T2_T3_mT4_P12ihipStream_tbEUlT_E1_NS1_11comp_targetILNS1_3genE2ELNS1_11target_archE906ELNS1_3gpuE6ELNS1_3repE0EEENS1_30default_config_static_selectorELNS0_4arch9wavefront6targetE1EEEvSF_
; %bb.0:
	.section	.rodata,"a",@progbits
	.p2align	6, 0x0
	.amdhsa_kernel _ZN7rocprim17ROCPRIM_400000_NS6detail17trampoline_kernelINS0_14default_configENS1_22reduce_config_selectorItEEZNS1_11reduce_implILb1ES3_PtS7_tN6thrust23THRUST_200600_302600_NS4plusItEEEE10hipError_tPvRmT1_T2_T3_mT4_P12ihipStream_tbEUlT_E1_NS1_11comp_targetILNS1_3genE2ELNS1_11target_archE906ELNS1_3gpuE6ELNS1_3repE0EEENS1_30default_config_static_selectorELNS0_4arch9wavefront6targetE1EEEvSF_
		.amdhsa_group_segment_fixed_size 0
		.amdhsa_private_segment_fixed_size 0
		.amdhsa_kernarg_size 40
		.amdhsa_user_sgpr_count 2
		.amdhsa_user_sgpr_dispatch_ptr 0
		.amdhsa_user_sgpr_queue_ptr 0
		.amdhsa_user_sgpr_kernarg_segment_ptr 1
		.amdhsa_user_sgpr_dispatch_id 0
		.amdhsa_user_sgpr_kernarg_preload_length 0
		.amdhsa_user_sgpr_kernarg_preload_offset 0
		.amdhsa_user_sgpr_private_segment_size 0
		.amdhsa_uses_dynamic_stack 0
		.amdhsa_enable_private_segment 0
		.amdhsa_system_sgpr_workgroup_id_x 1
		.amdhsa_system_sgpr_workgroup_id_y 0
		.amdhsa_system_sgpr_workgroup_id_z 0
		.amdhsa_system_sgpr_workgroup_info 0
		.amdhsa_system_vgpr_workitem_id 0
		.amdhsa_next_free_vgpr 1
		.amdhsa_next_free_sgpr 0
		.amdhsa_accum_offset 4
		.amdhsa_reserve_vcc 0
		.amdhsa_float_round_mode_32 0
		.amdhsa_float_round_mode_16_64 0
		.amdhsa_float_denorm_mode_32 3
		.amdhsa_float_denorm_mode_16_64 3
		.amdhsa_dx10_clamp 1
		.amdhsa_ieee_mode 1
		.amdhsa_fp16_overflow 0
		.amdhsa_tg_split 0
		.amdhsa_exception_fp_ieee_invalid_op 0
		.amdhsa_exception_fp_denorm_src 0
		.amdhsa_exception_fp_ieee_div_zero 0
		.amdhsa_exception_fp_ieee_overflow 0
		.amdhsa_exception_fp_ieee_underflow 0
		.amdhsa_exception_fp_ieee_inexact 0
		.amdhsa_exception_int_div_zero 0
	.end_amdhsa_kernel
	.section	.text._ZN7rocprim17ROCPRIM_400000_NS6detail17trampoline_kernelINS0_14default_configENS1_22reduce_config_selectorItEEZNS1_11reduce_implILb1ES3_PtS7_tN6thrust23THRUST_200600_302600_NS4plusItEEEE10hipError_tPvRmT1_T2_T3_mT4_P12ihipStream_tbEUlT_E1_NS1_11comp_targetILNS1_3genE2ELNS1_11target_archE906ELNS1_3gpuE6ELNS1_3repE0EEENS1_30default_config_static_selectorELNS0_4arch9wavefront6targetE1EEEvSF_,"axG",@progbits,_ZN7rocprim17ROCPRIM_400000_NS6detail17trampoline_kernelINS0_14default_configENS1_22reduce_config_selectorItEEZNS1_11reduce_implILb1ES3_PtS7_tN6thrust23THRUST_200600_302600_NS4plusItEEEE10hipError_tPvRmT1_T2_T3_mT4_P12ihipStream_tbEUlT_E1_NS1_11comp_targetILNS1_3genE2ELNS1_11target_archE906ELNS1_3gpuE6ELNS1_3repE0EEENS1_30default_config_static_selectorELNS0_4arch9wavefront6targetE1EEEvSF_,comdat
.Lfunc_end163:
	.size	_ZN7rocprim17ROCPRIM_400000_NS6detail17trampoline_kernelINS0_14default_configENS1_22reduce_config_selectorItEEZNS1_11reduce_implILb1ES3_PtS7_tN6thrust23THRUST_200600_302600_NS4plusItEEEE10hipError_tPvRmT1_T2_T3_mT4_P12ihipStream_tbEUlT_E1_NS1_11comp_targetILNS1_3genE2ELNS1_11target_archE906ELNS1_3gpuE6ELNS1_3repE0EEENS1_30default_config_static_selectorELNS0_4arch9wavefront6targetE1EEEvSF_, .Lfunc_end163-_ZN7rocprim17ROCPRIM_400000_NS6detail17trampoline_kernelINS0_14default_configENS1_22reduce_config_selectorItEEZNS1_11reduce_implILb1ES3_PtS7_tN6thrust23THRUST_200600_302600_NS4plusItEEEE10hipError_tPvRmT1_T2_T3_mT4_P12ihipStream_tbEUlT_E1_NS1_11comp_targetILNS1_3genE2ELNS1_11target_archE906ELNS1_3gpuE6ELNS1_3repE0EEENS1_30default_config_static_selectorELNS0_4arch9wavefront6targetE1EEEvSF_
                                        ; -- End function
	.set _ZN7rocprim17ROCPRIM_400000_NS6detail17trampoline_kernelINS0_14default_configENS1_22reduce_config_selectorItEEZNS1_11reduce_implILb1ES3_PtS7_tN6thrust23THRUST_200600_302600_NS4plusItEEEE10hipError_tPvRmT1_T2_T3_mT4_P12ihipStream_tbEUlT_E1_NS1_11comp_targetILNS1_3genE2ELNS1_11target_archE906ELNS1_3gpuE6ELNS1_3repE0EEENS1_30default_config_static_selectorELNS0_4arch9wavefront6targetE1EEEvSF_.num_vgpr, 0
	.set _ZN7rocprim17ROCPRIM_400000_NS6detail17trampoline_kernelINS0_14default_configENS1_22reduce_config_selectorItEEZNS1_11reduce_implILb1ES3_PtS7_tN6thrust23THRUST_200600_302600_NS4plusItEEEE10hipError_tPvRmT1_T2_T3_mT4_P12ihipStream_tbEUlT_E1_NS1_11comp_targetILNS1_3genE2ELNS1_11target_archE906ELNS1_3gpuE6ELNS1_3repE0EEENS1_30default_config_static_selectorELNS0_4arch9wavefront6targetE1EEEvSF_.num_agpr, 0
	.set _ZN7rocprim17ROCPRIM_400000_NS6detail17trampoline_kernelINS0_14default_configENS1_22reduce_config_selectorItEEZNS1_11reduce_implILb1ES3_PtS7_tN6thrust23THRUST_200600_302600_NS4plusItEEEE10hipError_tPvRmT1_T2_T3_mT4_P12ihipStream_tbEUlT_E1_NS1_11comp_targetILNS1_3genE2ELNS1_11target_archE906ELNS1_3gpuE6ELNS1_3repE0EEENS1_30default_config_static_selectorELNS0_4arch9wavefront6targetE1EEEvSF_.numbered_sgpr, 0
	.set _ZN7rocprim17ROCPRIM_400000_NS6detail17trampoline_kernelINS0_14default_configENS1_22reduce_config_selectorItEEZNS1_11reduce_implILb1ES3_PtS7_tN6thrust23THRUST_200600_302600_NS4plusItEEEE10hipError_tPvRmT1_T2_T3_mT4_P12ihipStream_tbEUlT_E1_NS1_11comp_targetILNS1_3genE2ELNS1_11target_archE906ELNS1_3gpuE6ELNS1_3repE0EEENS1_30default_config_static_selectorELNS0_4arch9wavefront6targetE1EEEvSF_.num_named_barrier, 0
	.set _ZN7rocprim17ROCPRIM_400000_NS6detail17trampoline_kernelINS0_14default_configENS1_22reduce_config_selectorItEEZNS1_11reduce_implILb1ES3_PtS7_tN6thrust23THRUST_200600_302600_NS4plusItEEEE10hipError_tPvRmT1_T2_T3_mT4_P12ihipStream_tbEUlT_E1_NS1_11comp_targetILNS1_3genE2ELNS1_11target_archE906ELNS1_3gpuE6ELNS1_3repE0EEENS1_30default_config_static_selectorELNS0_4arch9wavefront6targetE1EEEvSF_.private_seg_size, 0
	.set _ZN7rocprim17ROCPRIM_400000_NS6detail17trampoline_kernelINS0_14default_configENS1_22reduce_config_selectorItEEZNS1_11reduce_implILb1ES3_PtS7_tN6thrust23THRUST_200600_302600_NS4plusItEEEE10hipError_tPvRmT1_T2_T3_mT4_P12ihipStream_tbEUlT_E1_NS1_11comp_targetILNS1_3genE2ELNS1_11target_archE906ELNS1_3gpuE6ELNS1_3repE0EEENS1_30default_config_static_selectorELNS0_4arch9wavefront6targetE1EEEvSF_.uses_vcc, 0
	.set _ZN7rocprim17ROCPRIM_400000_NS6detail17trampoline_kernelINS0_14default_configENS1_22reduce_config_selectorItEEZNS1_11reduce_implILb1ES3_PtS7_tN6thrust23THRUST_200600_302600_NS4plusItEEEE10hipError_tPvRmT1_T2_T3_mT4_P12ihipStream_tbEUlT_E1_NS1_11comp_targetILNS1_3genE2ELNS1_11target_archE906ELNS1_3gpuE6ELNS1_3repE0EEENS1_30default_config_static_selectorELNS0_4arch9wavefront6targetE1EEEvSF_.uses_flat_scratch, 0
	.set _ZN7rocprim17ROCPRIM_400000_NS6detail17trampoline_kernelINS0_14default_configENS1_22reduce_config_selectorItEEZNS1_11reduce_implILb1ES3_PtS7_tN6thrust23THRUST_200600_302600_NS4plusItEEEE10hipError_tPvRmT1_T2_T3_mT4_P12ihipStream_tbEUlT_E1_NS1_11comp_targetILNS1_3genE2ELNS1_11target_archE906ELNS1_3gpuE6ELNS1_3repE0EEENS1_30default_config_static_selectorELNS0_4arch9wavefront6targetE1EEEvSF_.has_dyn_sized_stack, 0
	.set _ZN7rocprim17ROCPRIM_400000_NS6detail17trampoline_kernelINS0_14default_configENS1_22reduce_config_selectorItEEZNS1_11reduce_implILb1ES3_PtS7_tN6thrust23THRUST_200600_302600_NS4plusItEEEE10hipError_tPvRmT1_T2_T3_mT4_P12ihipStream_tbEUlT_E1_NS1_11comp_targetILNS1_3genE2ELNS1_11target_archE906ELNS1_3gpuE6ELNS1_3repE0EEENS1_30default_config_static_selectorELNS0_4arch9wavefront6targetE1EEEvSF_.has_recursion, 0
	.set _ZN7rocprim17ROCPRIM_400000_NS6detail17trampoline_kernelINS0_14default_configENS1_22reduce_config_selectorItEEZNS1_11reduce_implILb1ES3_PtS7_tN6thrust23THRUST_200600_302600_NS4plusItEEEE10hipError_tPvRmT1_T2_T3_mT4_P12ihipStream_tbEUlT_E1_NS1_11comp_targetILNS1_3genE2ELNS1_11target_archE906ELNS1_3gpuE6ELNS1_3repE0EEENS1_30default_config_static_selectorELNS0_4arch9wavefront6targetE1EEEvSF_.has_indirect_call, 0
	.section	.AMDGPU.csdata,"",@progbits
; Kernel info:
; codeLenInByte = 0
; TotalNumSgprs: 6
; NumVgprs: 0
; NumAgprs: 0
; TotalNumVgprs: 0
; ScratchSize: 0
; MemoryBound: 0
; FloatMode: 240
; IeeeMode: 1
; LDSByteSize: 0 bytes/workgroup (compile time only)
; SGPRBlocks: 0
; VGPRBlocks: 0
; NumSGPRsForWavesPerEU: 6
; NumVGPRsForWavesPerEU: 1
; AccumOffset: 4
; Occupancy: 8
; WaveLimiterHint : 0
; COMPUTE_PGM_RSRC2:SCRATCH_EN: 0
; COMPUTE_PGM_RSRC2:USER_SGPR: 2
; COMPUTE_PGM_RSRC2:TRAP_HANDLER: 0
; COMPUTE_PGM_RSRC2:TGID_X_EN: 1
; COMPUTE_PGM_RSRC2:TGID_Y_EN: 0
; COMPUTE_PGM_RSRC2:TGID_Z_EN: 0
; COMPUTE_PGM_RSRC2:TIDIG_COMP_CNT: 0
; COMPUTE_PGM_RSRC3_GFX90A:ACCUM_OFFSET: 0
; COMPUTE_PGM_RSRC3_GFX90A:TG_SPLIT: 0
	.section	.text._ZN7rocprim17ROCPRIM_400000_NS6detail17trampoline_kernelINS0_14default_configENS1_22reduce_config_selectorItEEZNS1_11reduce_implILb1ES3_PtS7_tN6thrust23THRUST_200600_302600_NS4plusItEEEE10hipError_tPvRmT1_T2_T3_mT4_P12ihipStream_tbEUlT_E1_NS1_11comp_targetILNS1_3genE10ELNS1_11target_archE1201ELNS1_3gpuE5ELNS1_3repE0EEENS1_30default_config_static_selectorELNS0_4arch9wavefront6targetE1EEEvSF_,"axG",@progbits,_ZN7rocprim17ROCPRIM_400000_NS6detail17trampoline_kernelINS0_14default_configENS1_22reduce_config_selectorItEEZNS1_11reduce_implILb1ES3_PtS7_tN6thrust23THRUST_200600_302600_NS4plusItEEEE10hipError_tPvRmT1_T2_T3_mT4_P12ihipStream_tbEUlT_E1_NS1_11comp_targetILNS1_3genE10ELNS1_11target_archE1201ELNS1_3gpuE5ELNS1_3repE0EEENS1_30default_config_static_selectorELNS0_4arch9wavefront6targetE1EEEvSF_,comdat
	.protected	_ZN7rocprim17ROCPRIM_400000_NS6detail17trampoline_kernelINS0_14default_configENS1_22reduce_config_selectorItEEZNS1_11reduce_implILb1ES3_PtS7_tN6thrust23THRUST_200600_302600_NS4plusItEEEE10hipError_tPvRmT1_T2_T3_mT4_P12ihipStream_tbEUlT_E1_NS1_11comp_targetILNS1_3genE10ELNS1_11target_archE1201ELNS1_3gpuE5ELNS1_3repE0EEENS1_30default_config_static_selectorELNS0_4arch9wavefront6targetE1EEEvSF_ ; -- Begin function _ZN7rocprim17ROCPRIM_400000_NS6detail17trampoline_kernelINS0_14default_configENS1_22reduce_config_selectorItEEZNS1_11reduce_implILb1ES3_PtS7_tN6thrust23THRUST_200600_302600_NS4plusItEEEE10hipError_tPvRmT1_T2_T3_mT4_P12ihipStream_tbEUlT_E1_NS1_11comp_targetILNS1_3genE10ELNS1_11target_archE1201ELNS1_3gpuE5ELNS1_3repE0EEENS1_30default_config_static_selectorELNS0_4arch9wavefront6targetE1EEEvSF_
	.globl	_ZN7rocprim17ROCPRIM_400000_NS6detail17trampoline_kernelINS0_14default_configENS1_22reduce_config_selectorItEEZNS1_11reduce_implILb1ES3_PtS7_tN6thrust23THRUST_200600_302600_NS4plusItEEEE10hipError_tPvRmT1_T2_T3_mT4_P12ihipStream_tbEUlT_E1_NS1_11comp_targetILNS1_3genE10ELNS1_11target_archE1201ELNS1_3gpuE5ELNS1_3repE0EEENS1_30default_config_static_selectorELNS0_4arch9wavefront6targetE1EEEvSF_
	.p2align	8
	.type	_ZN7rocprim17ROCPRIM_400000_NS6detail17trampoline_kernelINS0_14default_configENS1_22reduce_config_selectorItEEZNS1_11reduce_implILb1ES3_PtS7_tN6thrust23THRUST_200600_302600_NS4plusItEEEE10hipError_tPvRmT1_T2_T3_mT4_P12ihipStream_tbEUlT_E1_NS1_11comp_targetILNS1_3genE10ELNS1_11target_archE1201ELNS1_3gpuE5ELNS1_3repE0EEENS1_30default_config_static_selectorELNS0_4arch9wavefront6targetE1EEEvSF_,@function
_ZN7rocprim17ROCPRIM_400000_NS6detail17trampoline_kernelINS0_14default_configENS1_22reduce_config_selectorItEEZNS1_11reduce_implILb1ES3_PtS7_tN6thrust23THRUST_200600_302600_NS4plusItEEEE10hipError_tPvRmT1_T2_T3_mT4_P12ihipStream_tbEUlT_E1_NS1_11comp_targetILNS1_3genE10ELNS1_11target_archE1201ELNS1_3gpuE5ELNS1_3repE0EEENS1_30default_config_static_selectorELNS0_4arch9wavefront6targetE1EEEvSF_: ; @_ZN7rocprim17ROCPRIM_400000_NS6detail17trampoline_kernelINS0_14default_configENS1_22reduce_config_selectorItEEZNS1_11reduce_implILb1ES3_PtS7_tN6thrust23THRUST_200600_302600_NS4plusItEEEE10hipError_tPvRmT1_T2_T3_mT4_P12ihipStream_tbEUlT_E1_NS1_11comp_targetILNS1_3genE10ELNS1_11target_archE1201ELNS1_3gpuE5ELNS1_3repE0EEENS1_30default_config_static_selectorELNS0_4arch9wavefront6targetE1EEEvSF_
; %bb.0:
	.section	.rodata,"a",@progbits
	.p2align	6, 0x0
	.amdhsa_kernel _ZN7rocprim17ROCPRIM_400000_NS6detail17trampoline_kernelINS0_14default_configENS1_22reduce_config_selectorItEEZNS1_11reduce_implILb1ES3_PtS7_tN6thrust23THRUST_200600_302600_NS4plusItEEEE10hipError_tPvRmT1_T2_T3_mT4_P12ihipStream_tbEUlT_E1_NS1_11comp_targetILNS1_3genE10ELNS1_11target_archE1201ELNS1_3gpuE5ELNS1_3repE0EEENS1_30default_config_static_selectorELNS0_4arch9wavefront6targetE1EEEvSF_
		.amdhsa_group_segment_fixed_size 0
		.amdhsa_private_segment_fixed_size 0
		.amdhsa_kernarg_size 40
		.amdhsa_user_sgpr_count 2
		.amdhsa_user_sgpr_dispatch_ptr 0
		.amdhsa_user_sgpr_queue_ptr 0
		.amdhsa_user_sgpr_kernarg_segment_ptr 1
		.amdhsa_user_sgpr_dispatch_id 0
		.amdhsa_user_sgpr_kernarg_preload_length 0
		.amdhsa_user_sgpr_kernarg_preload_offset 0
		.amdhsa_user_sgpr_private_segment_size 0
		.amdhsa_uses_dynamic_stack 0
		.amdhsa_enable_private_segment 0
		.amdhsa_system_sgpr_workgroup_id_x 1
		.amdhsa_system_sgpr_workgroup_id_y 0
		.amdhsa_system_sgpr_workgroup_id_z 0
		.amdhsa_system_sgpr_workgroup_info 0
		.amdhsa_system_vgpr_workitem_id 0
		.amdhsa_next_free_vgpr 1
		.amdhsa_next_free_sgpr 0
		.amdhsa_accum_offset 4
		.amdhsa_reserve_vcc 0
		.amdhsa_float_round_mode_32 0
		.amdhsa_float_round_mode_16_64 0
		.amdhsa_float_denorm_mode_32 3
		.amdhsa_float_denorm_mode_16_64 3
		.amdhsa_dx10_clamp 1
		.amdhsa_ieee_mode 1
		.amdhsa_fp16_overflow 0
		.amdhsa_tg_split 0
		.amdhsa_exception_fp_ieee_invalid_op 0
		.amdhsa_exception_fp_denorm_src 0
		.amdhsa_exception_fp_ieee_div_zero 0
		.amdhsa_exception_fp_ieee_overflow 0
		.amdhsa_exception_fp_ieee_underflow 0
		.amdhsa_exception_fp_ieee_inexact 0
		.amdhsa_exception_int_div_zero 0
	.end_amdhsa_kernel
	.section	.text._ZN7rocprim17ROCPRIM_400000_NS6detail17trampoline_kernelINS0_14default_configENS1_22reduce_config_selectorItEEZNS1_11reduce_implILb1ES3_PtS7_tN6thrust23THRUST_200600_302600_NS4plusItEEEE10hipError_tPvRmT1_T2_T3_mT4_P12ihipStream_tbEUlT_E1_NS1_11comp_targetILNS1_3genE10ELNS1_11target_archE1201ELNS1_3gpuE5ELNS1_3repE0EEENS1_30default_config_static_selectorELNS0_4arch9wavefront6targetE1EEEvSF_,"axG",@progbits,_ZN7rocprim17ROCPRIM_400000_NS6detail17trampoline_kernelINS0_14default_configENS1_22reduce_config_selectorItEEZNS1_11reduce_implILb1ES3_PtS7_tN6thrust23THRUST_200600_302600_NS4plusItEEEE10hipError_tPvRmT1_T2_T3_mT4_P12ihipStream_tbEUlT_E1_NS1_11comp_targetILNS1_3genE10ELNS1_11target_archE1201ELNS1_3gpuE5ELNS1_3repE0EEENS1_30default_config_static_selectorELNS0_4arch9wavefront6targetE1EEEvSF_,comdat
.Lfunc_end164:
	.size	_ZN7rocprim17ROCPRIM_400000_NS6detail17trampoline_kernelINS0_14default_configENS1_22reduce_config_selectorItEEZNS1_11reduce_implILb1ES3_PtS7_tN6thrust23THRUST_200600_302600_NS4plusItEEEE10hipError_tPvRmT1_T2_T3_mT4_P12ihipStream_tbEUlT_E1_NS1_11comp_targetILNS1_3genE10ELNS1_11target_archE1201ELNS1_3gpuE5ELNS1_3repE0EEENS1_30default_config_static_selectorELNS0_4arch9wavefront6targetE1EEEvSF_, .Lfunc_end164-_ZN7rocprim17ROCPRIM_400000_NS6detail17trampoline_kernelINS0_14default_configENS1_22reduce_config_selectorItEEZNS1_11reduce_implILb1ES3_PtS7_tN6thrust23THRUST_200600_302600_NS4plusItEEEE10hipError_tPvRmT1_T2_T3_mT4_P12ihipStream_tbEUlT_E1_NS1_11comp_targetILNS1_3genE10ELNS1_11target_archE1201ELNS1_3gpuE5ELNS1_3repE0EEENS1_30default_config_static_selectorELNS0_4arch9wavefront6targetE1EEEvSF_
                                        ; -- End function
	.set _ZN7rocprim17ROCPRIM_400000_NS6detail17trampoline_kernelINS0_14default_configENS1_22reduce_config_selectorItEEZNS1_11reduce_implILb1ES3_PtS7_tN6thrust23THRUST_200600_302600_NS4plusItEEEE10hipError_tPvRmT1_T2_T3_mT4_P12ihipStream_tbEUlT_E1_NS1_11comp_targetILNS1_3genE10ELNS1_11target_archE1201ELNS1_3gpuE5ELNS1_3repE0EEENS1_30default_config_static_selectorELNS0_4arch9wavefront6targetE1EEEvSF_.num_vgpr, 0
	.set _ZN7rocprim17ROCPRIM_400000_NS6detail17trampoline_kernelINS0_14default_configENS1_22reduce_config_selectorItEEZNS1_11reduce_implILb1ES3_PtS7_tN6thrust23THRUST_200600_302600_NS4plusItEEEE10hipError_tPvRmT1_T2_T3_mT4_P12ihipStream_tbEUlT_E1_NS1_11comp_targetILNS1_3genE10ELNS1_11target_archE1201ELNS1_3gpuE5ELNS1_3repE0EEENS1_30default_config_static_selectorELNS0_4arch9wavefront6targetE1EEEvSF_.num_agpr, 0
	.set _ZN7rocprim17ROCPRIM_400000_NS6detail17trampoline_kernelINS0_14default_configENS1_22reduce_config_selectorItEEZNS1_11reduce_implILb1ES3_PtS7_tN6thrust23THRUST_200600_302600_NS4plusItEEEE10hipError_tPvRmT1_T2_T3_mT4_P12ihipStream_tbEUlT_E1_NS1_11comp_targetILNS1_3genE10ELNS1_11target_archE1201ELNS1_3gpuE5ELNS1_3repE0EEENS1_30default_config_static_selectorELNS0_4arch9wavefront6targetE1EEEvSF_.numbered_sgpr, 0
	.set _ZN7rocprim17ROCPRIM_400000_NS6detail17trampoline_kernelINS0_14default_configENS1_22reduce_config_selectorItEEZNS1_11reduce_implILb1ES3_PtS7_tN6thrust23THRUST_200600_302600_NS4plusItEEEE10hipError_tPvRmT1_T2_T3_mT4_P12ihipStream_tbEUlT_E1_NS1_11comp_targetILNS1_3genE10ELNS1_11target_archE1201ELNS1_3gpuE5ELNS1_3repE0EEENS1_30default_config_static_selectorELNS0_4arch9wavefront6targetE1EEEvSF_.num_named_barrier, 0
	.set _ZN7rocprim17ROCPRIM_400000_NS6detail17trampoline_kernelINS0_14default_configENS1_22reduce_config_selectorItEEZNS1_11reduce_implILb1ES3_PtS7_tN6thrust23THRUST_200600_302600_NS4plusItEEEE10hipError_tPvRmT1_T2_T3_mT4_P12ihipStream_tbEUlT_E1_NS1_11comp_targetILNS1_3genE10ELNS1_11target_archE1201ELNS1_3gpuE5ELNS1_3repE0EEENS1_30default_config_static_selectorELNS0_4arch9wavefront6targetE1EEEvSF_.private_seg_size, 0
	.set _ZN7rocprim17ROCPRIM_400000_NS6detail17trampoline_kernelINS0_14default_configENS1_22reduce_config_selectorItEEZNS1_11reduce_implILb1ES3_PtS7_tN6thrust23THRUST_200600_302600_NS4plusItEEEE10hipError_tPvRmT1_T2_T3_mT4_P12ihipStream_tbEUlT_E1_NS1_11comp_targetILNS1_3genE10ELNS1_11target_archE1201ELNS1_3gpuE5ELNS1_3repE0EEENS1_30default_config_static_selectorELNS0_4arch9wavefront6targetE1EEEvSF_.uses_vcc, 0
	.set _ZN7rocprim17ROCPRIM_400000_NS6detail17trampoline_kernelINS0_14default_configENS1_22reduce_config_selectorItEEZNS1_11reduce_implILb1ES3_PtS7_tN6thrust23THRUST_200600_302600_NS4plusItEEEE10hipError_tPvRmT1_T2_T3_mT4_P12ihipStream_tbEUlT_E1_NS1_11comp_targetILNS1_3genE10ELNS1_11target_archE1201ELNS1_3gpuE5ELNS1_3repE0EEENS1_30default_config_static_selectorELNS0_4arch9wavefront6targetE1EEEvSF_.uses_flat_scratch, 0
	.set _ZN7rocprim17ROCPRIM_400000_NS6detail17trampoline_kernelINS0_14default_configENS1_22reduce_config_selectorItEEZNS1_11reduce_implILb1ES3_PtS7_tN6thrust23THRUST_200600_302600_NS4plusItEEEE10hipError_tPvRmT1_T2_T3_mT4_P12ihipStream_tbEUlT_E1_NS1_11comp_targetILNS1_3genE10ELNS1_11target_archE1201ELNS1_3gpuE5ELNS1_3repE0EEENS1_30default_config_static_selectorELNS0_4arch9wavefront6targetE1EEEvSF_.has_dyn_sized_stack, 0
	.set _ZN7rocprim17ROCPRIM_400000_NS6detail17trampoline_kernelINS0_14default_configENS1_22reduce_config_selectorItEEZNS1_11reduce_implILb1ES3_PtS7_tN6thrust23THRUST_200600_302600_NS4plusItEEEE10hipError_tPvRmT1_T2_T3_mT4_P12ihipStream_tbEUlT_E1_NS1_11comp_targetILNS1_3genE10ELNS1_11target_archE1201ELNS1_3gpuE5ELNS1_3repE0EEENS1_30default_config_static_selectorELNS0_4arch9wavefront6targetE1EEEvSF_.has_recursion, 0
	.set _ZN7rocprim17ROCPRIM_400000_NS6detail17trampoline_kernelINS0_14default_configENS1_22reduce_config_selectorItEEZNS1_11reduce_implILb1ES3_PtS7_tN6thrust23THRUST_200600_302600_NS4plusItEEEE10hipError_tPvRmT1_T2_T3_mT4_P12ihipStream_tbEUlT_E1_NS1_11comp_targetILNS1_3genE10ELNS1_11target_archE1201ELNS1_3gpuE5ELNS1_3repE0EEENS1_30default_config_static_selectorELNS0_4arch9wavefront6targetE1EEEvSF_.has_indirect_call, 0
	.section	.AMDGPU.csdata,"",@progbits
; Kernel info:
; codeLenInByte = 0
; TotalNumSgprs: 6
; NumVgprs: 0
; NumAgprs: 0
; TotalNumVgprs: 0
; ScratchSize: 0
; MemoryBound: 0
; FloatMode: 240
; IeeeMode: 1
; LDSByteSize: 0 bytes/workgroup (compile time only)
; SGPRBlocks: 0
; VGPRBlocks: 0
; NumSGPRsForWavesPerEU: 6
; NumVGPRsForWavesPerEU: 1
; AccumOffset: 4
; Occupancy: 8
; WaveLimiterHint : 0
; COMPUTE_PGM_RSRC2:SCRATCH_EN: 0
; COMPUTE_PGM_RSRC2:USER_SGPR: 2
; COMPUTE_PGM_RSRC2:TRAP_HANDLER: 0
; COMPUTE_PGM_RSRC2:TGID_X_EN: 1
; COMPUTE_PGM_RSRC2:TGID_Y_EN: 0
; COMPUTE_PGM_RSRC2:TGID_Z_EN: 0
; COMPUTE_PGM_RSRC2:TIDIG_COMP_CNT: 0
; COMPUTE_PGM_RSRC3_GFX90A:ACCUM_OFFSET: 0
; COMPUTE_PGM_RSRC3_GFX90A:TG_SPLIT: 0
	.section	.text._ZN7rocprim17ROCPRIM_400000_NS6detail17trampoline_kernelINS0_14default_configENS1_22reduce_config_selectorItEEZNS1_11reduce_implILb1ES3_PtS7_tN6thrust23THRUST_200600_302600_NS4plusItEEEE10hipError_tPvRmT1_T2_T3_mT4_P12ihipStream_tbEUlT_E1_NS1_11comp_targetILNS1_3genE10ELNS1_11target_archE1200ELNS1_3gpuE4ELNS1_3repE0EEENS1_30default_config_static_selectorELNS0_4arch9wavefront6targetE1EEEvSF_,"axG",@progbits,_ZN7rocprim17ROCPRIM_400000_NS6detail17trampoline_kernelINS0_14default_configENS1_22reduce_config_selectorItEEZNS1_11reduce_implILb1ES3_PtS7_tN6thrust23THRUST_200600_302600_NS4plusItEEEE10hipError_tPvRmT1_T2_T3_mT4_P12ihipStream_tbEUlT_E1_NS1_11comp_targetILNS1_3genE10ELNS1_11target_archE1200ELNS1_3gpuE4ELNS1_3repE0EEENS1_30default_config_static_selectorELNS0_4arch9wavefront6targetE1EEEvSF_,comdat
	.protected	_ZN7rocprim17ROCPRIM_400000_NS6detail17trampoline_kernelINS0_14default_configENS1_22reduce_config_selectorItEEZNS1_11reduce_implILb1ES3_PtS7_tN6thrust23THRUST_200600_302600_NS4plusItEEEE10hipError_tPvRmT1_T2_T3_mT4_P12ihipStream_tbEUlT_E1_NS1_11comp_targetILNS1_3genE10ELNS1_11target_archE1200ELNS1_3gpuE4ELNS1_3repE0EEENS1_30default_config_static_selectorELNS0_4arch9wavefront6targetE1EEEvSF_ ; -- Begin function _ZN7rocprim17ROCPRIM_400000_NS6detail17trampoline_kernelINS0_14default_configENS1_22reduce_config_selectorItEEZNS1_11reduce_implILb1ES3_PtS7_tN6thrust23THRUST_200600_302600_NS4plusItEEEE10hipError_tPvRmT1_T2_T3_mT4_P12ihipStream_tbEUlT_E1_NS1_11comp_targetILNS1_3genE10ELNS1_11target_archE1200ELNS1_3gpuE4ELNS1_3repE0EEENS1_30default_config_static_selectorELNS0_4arch9wavefront6targetE1EEEvSF_
	.globl	_ZN7rocprim17ROCPRIM_400000_NS6detail17trampoline_kernelINS0_14default_configENS1_22reduce_config_selectorItEEZNS1_11reduce_implILb1ES3_PtS7_tN6thrust23THRUST_200600_302600_NS4plusItEEEE10hipError_tPvRmT1_T2_T3_mT4_P12ihipStream_tbEUlT_E1_NS1_11comp_targetILNS1_3genE10ELNS1_11target_archE1200ELNS1_3gpuE4ELNS1_3repE0EEENS1_30default_config_static_selectorELNS0_4arch9wavefront6targetE1EEEvSF_
	.p2align	8
	.type	_ZN7rocprim17ROCPRIM_400000_NS6detail17trampoline_kernelINS0_14default_configENS1_22reduce_config_selectorItEEZNS1_11reduce_implILb1ES3_PtS7_tN6thrust23THRUST_200600_302600_NS4plusItEEEE10hipError_tPvRmT1_T2_T3_mT4_P12ihipStream_tbEUlT_E1_NS1_11comp_targetILNS1_3genE10ELNS1_11target_archE1200ELNS1_3gpuE4ELNS1_3repE0EEENS1_30default_config_static_selectorELNS0_4arch9wavefront6targetE1EEEvSF_,@function
_ZN7rocprim17ROCPRIM_400000_NS6detail17trampoline_kernelINS0_14default_configENS1_22reduce_config_selectorItEEZNS1_11reduce_implILb1ES3_PtS7_tN6thrust23THRUST_200600_302600_NS4plusItEEEE10hipError_tPvRmT1_T2_T3_mT4_P12ihipStream_tbEUlT_E1_NS1_11comp_targetILNS1_3genE10ELNS1_11target_archE1200ELNS1_3gpuE4ELNS1_3repE0EEENS1_30default_config_static_selectorELNS0_4arch9wavefront6targetE1EEEvSF_: ; @_ZN7rocprim17ROCPRIM_400000_NS6detail17trampoline_kernelINS0_14default_configENS1_22reduce_config_selectorItEEZNS1_11reduce_implILb1ES3_PtS7_tN6thrust23THRUST_200600_302600_NS4plusItEEEE10hipError_tPvRmT1_T2_T3_mT4_P12ihipStream_tbEUlT_E1_NS1_11comp_targetILNS1_3genE10ELNS1_11target_archE1200ELNS1_3gpuE4ELNS1_3repE0EEENS1_30default_config_static_selectorELNS0_4arch9wavefront6targetE1EEEvSF_
; %bb.0:
	.section	.rodata,"a",@progbits
	.p2align	6, 0x0
	.amdhsa_kernel _ZN7rocprim17ROCPRIM_400000_NS6detail17trampoline_kernelINS0_14default_configENS1_22reduce_config_selectorItEEZNS1_11reduce_implILb1ES3_PtS7_tN6thrust23THRUST_200600_302600_NS4plusItEEEE10hipError_tPvRmT1_T2_T3_mT4_P12ihipStream_tbEUlT_E1_NS1_11comp_targetILNS1_3genE10ELNS1_11target_archE1200ELNS1_3gpuE4ELNS1_3repE0EEENS1_30default_config_static_selectorELNS0_4arch9wavefront6targetE1EEEvSF_
		.amdhsa_group_segment_fixed_size 0
		.amdhsa_private_segment_fixed_size 0
		.amdhsa_kernarg_size 40
		.amdhsa_user_sgpr_count 2
		.amdhsa_user_sgpr_dispatch_ptr 0
		.amdhsa_user_sgpr_queue_ptr 0
		.amdhsa_user_sgpr_kernarg_segment_ptr 1
		.amdhsa_user_sgpr_dispatch_id 0
		.amdhsa_user_sgpr_kernarg_preload_length 0
		.amdhsa_user_sgpr_kernarg_preload_offset 0
		.amdhsa_user_sgpr_private_segment_size 0
		.amdhsa_uses_dynamic_stack 0
		.amdhsa_enable_private_segment 0
		.amdhsa_system_sgpr_workgroup_id_x 1
		.amdhsa_system_sgpr_workgroup_id_y 0
		.amdhsa_system_sgpr_workgroup_id_z 0
		.amdhsa_system_sgpr_workgroup_info 0
		.amdhsa_system_vgpr_workitem_id 0
		.amdhsa_next_free_vgpr 1
		.amdhsa_next_free_sgpr 0
		.amdhsa_accum_offset 4
		.amdhsa_reserve_vcc 0
		.amdhsa_float_round_mode_32 0
		.amdhsa_float_round_mode_16_64 0
		.amdhsa_float_denorm_mode_32 3
		.amdhsa_float_denorm_mode_16_64 3
		.amdhsa_dx10_clamp 1
		.amdhsa_ieee_mode 1
		.amdhsa_fp16_overflow 0
		.amdhsa_tg_split 0
		.amdhsa_exception_fp_ieee_invalid_op 0
		.amdhsa_exception_fp_denorm_src 0
		.amdhsa_exception_fp_ieee_div_zero 0
		.amdhsa_exception_fp_ieee_overflow 0
		.amdhsa_exception_fp_ieee_underflow 0
		.amdhsa_exception_fp_ieee_inexact 0
		.amdhsa_exception_int_div_zero 0
	.end_amdhsa_kernel
	.section	.text._ZN7rocprim17ROCPRIM_400000_NS6detail17trampoline_kernelINS0_14default_configENS1_22reduce_config_selectorItEEZNS1_11reduce_implILb1ES3_PtS7_tN6thrust23THRUST_200600_302600_NS4plusItEEEE10hipError_tPvRmT1_T2_T3_mT4_P12ihipStream_tbEUlT_E1_NS1_11comp_targetILNS1_3genE10ELNS1_11target_archE1200ELNS1_3gpuE4ELNS1_3repE0EEENS1_30default_config_static_selectorELNS0_4arch9wavefront6targetE1EEEvSF_,"axG",@progbits,_ZN7rocprim17ROCPRIM_400000_NS6detail17trampoline_kernelINS0_14default_configENS1_22reduce_config_selectorItEEZNS1_11reduce_implILb1ES3_PtS7_tN6thrust23THRUST_200600_302600_NS4plusItEEEE10hipError_tPvRmT1_T2_T3_mT4_P12ihipStream_tbEUlT_E1_NS1_11comp_targetILNS1_3genE10ELNS1_11target_archE1200ELNS1_3gpuE4ELNS1_3repE0EEENS1_30default_config_static_selectorELNS0_4arch9wavefront6targetE1EEEvSF_,comdat
.Lfunc_end165:
	.size	_ZN7rocprim17ROCPRIM_400000_NS6detail17trampoline_kernelINS0_14default_configENS1_22reduce_config_selectorItEEZNS1_11reduce_implILb1ES3_PtS7_tN6thrust23THRUST_200600_302600_NS4plusItEEEE10hipError_tPvRmT1_T2_T3_mT4_P12ihipStream_tbEUlT_E1_NS1_11comp_targetILNS1_3genE10ELNS1_11target_archE1200ELNS1_3gpuE4ELNS1_3repE0EEENS1_30default_config_static_selectorELNS0_4arch9wavefront6targetE1EEEvSF_, .Lfunc_end165-_ZN7rocprim17ROCPRIM_400000_NS6detail17trampoline_kernelINS0_14default_configENS1_22reduce_config_selectorItEEZNS1_11reduce_implILb1ES3_PtS7_tN6thrust23THRUST_200600_302600_NS4plusItEEEE10hipError_tPvRmT1_T2_T3_mT4_P12ihipStream_tbEUlT_E1_NS1_11comp_targetILNS1_3genE10ELNS1_11target_archE1200ELNS1_3gpuE4ELNS1_3repE0EEENS1_30default_config_static_selectorELNS0_4arch9wavefront6targetE1EEEvSF_
                                        ; -- End function
	.set _ZN7rocprim17ROCPRIM_400000_NS6detail17trampoline_kernelINS0_14default_configENS1_22reduce_config_selectorItEEZNS1_11reduce_implILb1ES3_PtS7_tN6thrust23THRUST_200600_302600_NS4plusItEEEE10hipError_tPvRmT1_T2_T3_mT4_P12ihipStream_tbEUlT_E1_NS1_11comp_targetILNS1_3genE10ELNS1_11target_archE1200ELNS1_3gpuE4ELNS1_3repE0EEENS1_30default_config_static_selectorELNS0_4arch9wavefront6targetE1EEEvSF_.num_vgpr, 0
	.set _ZN7rocprim17ROCPRIM_400000_NS6detail17trampoline_kernelINS0_14default_configENS1_22reduce_config_selectorItEEZNS1_11reduce_implILb1ES3_PtS7_tN6thrust23THRUST_200600_302600_NS4plusItEEEE10hipError_tPvRmT1_T2_T3_mT4_P12ihipStream_tbEUlT_E1_NS1_11comp_targetILNS1_3genE10ELNS1_11target_archE1200ELNS1_3gpuE4ELNS1_3repE0EEENS1_30default_config_static_selectorELNS0_4arch9wavefront6targetE1EEEvSF_.num_agpr, 0
	.set _ZN7rocprim17ROCPRIM_400000_NS6detail17trampoline_kernelINS0_14default_configENS1_22reduce_config_selectorItEEZNS1_11reduce_implILb1ES3_PtS7_tN6thrust23THRUST_200600_302600_NS4plusItEEEE10hipError_tPvRmT1_T2_T3_mT4_P12ihipStream_tbEUlT_E1_NS1_11comp_targetILNS1_3genE10ELNS1_11target_archE1200ELNS1_3gpuE4ELNS1_3repE0EEENS1_30default_config_static_selectorELNS0_4arch9wavefront6targetE1EEEvSF_.numbered_sgpr, 0
	.set _ZN7rocprim17ROCPRIM_400000_NS6detail17trampoline_kernelINS0_14default_configENS1_22reduce_config_selectorItEEZNS1_11reduce_implILb1ES3_PtS7_tN6thrust23THRUST_200600_302600_NS4plusItEEEE10hipError_tPvRmT1_T2_T3_mT4_P12ihipStream_tbEUlT_E1_NS1_11comp_targetILNS1_3genE10ELNS1_11target_archE1200ELNS1_3gpuE4ELNS1_3repE0EEENS1_30default_config_static_selectorELNS0_4arch9wavefront6targetE1EEEvSF_.num_named_barrier, 0
	.set _ZN7rocprim17ROCPRIM_400000_NS6detail17trampoline_kernelINS0_14default_configENS1_22reduce_config_selectorItEEZNS1_11reduce_implILb1ES3_PtS7_tN6thrust23THRUST_200600_302600_NS4plusItEEEE10hipError_tPvRmT1_T2_T3_mT4_P12ihipStream_tbEUlT_E1_NS1_11comp_targetILNS1_3genE10ELNS1_11target_archE1200ELNS1_3gpuE4ELNS1_3repE0EEENS1_30default_config_static_selectorELNS0_4arch9wavefront6targetE1EEEvSF_.private_seg_size, 0
	.set _ZN7rocprim17ROCPRIM_400000_NS6detail17trampoline_kernelINS0_14default_configENS1_22reduce_config_selectorItEEZNS1_11reduce_implILb1ES3_PtS7_tN6thrust23THRUST_200600_302600_NS4plusItEEEE10hipError_tPvRmT1_T2_T3_mT4_P12ihipStream_tbEUlT_E1_NS1_11comp_targetILNS1_3genE10ELNS1_11target_archE1200ELNS1_3gpuE4ELNS1_3repE0EEENS1_30default_config_static_selectorELNS0_4arch9wavefront6targetE1EEEvSF_.uses_vcc, 0
	.set _ZN7rocprim17ROCPRIM_400000_NS6detail17trampoline_kernelINS0_14default_configENS1_22reduce_config_selectorItEEZNS1_11reduce_implILb1ES3_PtS7_tN6thrust23THRUST_200600_302600_NS4plusItEEEE10hipError_tPvRmT1_T2_T3_mT4_P12ihipStream_tbEUlT_E1_NS1_11comp_targetILNS1_3genE10ELNS1_11target_archE1200ELNS1_3gpuE4ELNS1_3repE0EEENS1_30default_config_static_selectorELNS0_4arch9wavefront6targetE1EEEvSF_.uses_flat_scratch, 0
	.set _ZN7rocprim17ROCPRIM_400000_NS6detail17trampoline_kernelINS0_14default_configENS1_22reduce_config_selectorItEEZNS1_11reduce_implILb1ES3_PtS7_tN6thrust23THRUST_200600_302600_NS4plusItEEEE10hipError_tPvRmT1_T2_T3_mT4_P12ihipStream_tbEUlT_E1_NS1_11comp_targetILNS1_3genE10ELNS1_11target_archE1200ELNS1_3gpuE4ELNS1_3repE0EEENS1_30default_config_static_selectorELNS0_4arch9wavefront6targetE1EEEvSF_.has_dyn_sized_stack, 0
	.set _ZN7rocprim17ROCPRIM_400000_NS6detail17trampoline_kernelINS0_14default_configENS1_22reduce_config_selectorItEEZNS1_11reduce_implILb1ES3_PtS7_tN6thrust23THRUST_200600_302600_NS4plusItEEEE10hipError_tPvRmT1_T2_T3_mT4_P12ihipStream_tbEUlT_E1_NS1_11comp_targetILNS1_3genE10ELNS1_11target_archE1200ELNS1_3gpuE4ELNS1_3repE0EEENS1_30default_config_static_selectorELNS0_4arch9wavefront6targetE1EEEvSF_.has_recursion, 0
	.set _ZN7rocprim17ROCPRIM_400000_NS6detail17trampoline_kernelINS0_14default_configENS1_22reduce_config_selectorItEEZNS1_11reduce_implILb1ES3_PtS7_tN6thrust23THRUST_200600_302600_NS4plusItEEEE10hipError_tPvRmT1_T2_T3_mT4_P12ihipStream_tbEUlT_E1_NS1_11comp_targetILNS1_3genE10ELNS1_11target_archE1200ELNS1_3gpuE4ELNS1_3repE0EEENS1_30default_config_static_selectorELNS0_4arch9wavefront6targetE1EEEvSF_.has_indirect_call, 0
	.section	.AMDGPU.csdata,"",@progbits
; Kernel info:
; codeLenInByte = 0
; TotalNumSgprs: 6
; NumVgprs: 0
; NumAgprs: 0
; TotalNumVgprs: 0
; ScratchSize: 0
; MemoryBound: 0
; FloatMode: 240
; IeeeMode: 1
; LDSByteSize: 0 bytes/workgroup (compile time only)
; SGPRBlocks: 0
; VGPRBlocks: 0
; NumSGPRsForWavesPerEU: 6
; NumVGPRsForWavesPerEU: 1
; AccumOffset: 4
; Occupancy: 8
; WaveLimiterHint : 0
; COMPUTE_PGM_RSRC2:SCRATCH_EN: 0
; COMPUTE_PGM_RSRC2:USER_SGPR: 2
; COMPUTE_PGM_RSRC2:TRAP_HANDLER: 0
; COMPUTE_PGM_RSRC2:TGID_X_EN: 1
; COMPUTE_PGM_RSRC2:TGID_Y_EN: 0
; COMPUTE_PGM_RSRC2:TGID_Z_EN: 0
; COMPUTE_PGM_RSRC2:TIDIG_COMP_CNT: 0
; COMPUTE_PGM_RSRC3_GFX90A:ACCUM_OFFSET: 0
; COMPUTE_PGM_RSRC3_GFX90A:TG_SPLIT: 0
	.section	.text._ZN7rocprim17ROCPRIM_400000_NS6detail17trampoline_kernelINS0_14default_configENS1_22reduce_config_selectorItEEZNS1_11reduce_implILb1ES3_PtS7_tN6thrust23THRUST_200600_302600_NS4plusItEEEE10hipError_tPvRmT1_T2_T3_mT4_P12ihipStream_tbEUlT_E1_NS1_11comp_targetILNS1_3genE9ELNS1_11target_archE1100ELNS1_3gpuE3ELNS1_3repE0EEENS1_30default_config_static_selectorELNS0_4arch9wavefront6targetE1EEEvSF_,"axG",@progbits,_ZN7rocprim17ROCPRIM_400000_NS6detail17trampoline_kernelINS0_14default_configENS1_22reduce_config_selectorItEEZNS1_11reduce_implILb1ES3_PtS7_tN6thrust23THRUST_200600_302600_NS4plusItEEEE10hipError_tPvRmT1_T2_T3_mT4_P12ihipStream_tbEUlT_E1_NS1_11comp_targetILNS1_3genE9ELNS1_11target_archE1100ELNS1_3gpuE3ELNS1_3repE0EEENS1_30default_config_static_selectorELNS0_4arch9wavefront6targetE1EEEvSF_,comdat
	.protected	_ZN7rocprim17ROCPRIM_400000_NS6detail17trampoline_kernelINS0_14default_configENS1_22reduce_config_selectorItEEZNS1_11reduce_implILb1ES3_PtS7_tN6thrust23THRUST_200600_302600_NS4plusItEEEE10hipError_tPvRmT1_T2_T3_mT4_P12ihipStream_tbEUlT_E1_NS1_11comp_targetILNS1_3genE9ELNS1_11target_archE1100ELNS1_3gpuE3ELNS1_3repE0EEENS1_30default_config_static_selectorELNS0_4arch9wavefront6targetE1EEEvSF_ ; -- Begin function _ZN7rocprim17ROCPRIM_400000_NS6detail17trampoline_kernelINS0_14default_configENS1_22reduce_config_selectorItEEZNS1_11reduce_implILb1ES3_PtS7_tN6thrust23THRUST_200600_302600_NS4plusItEEEE10hipError_tPvRmT1_T2_T3_mT4_P12ihipStream_tbEUlT_E1_NS1_11comp_targetILNS1_3genE9ELNS1_11target_archE1100ELNS1_3gpuE3ELNS1_3repE0EEENS1_30default_config_static_selectorELNS0_4arch9wavefront6targetE1EEEvSF_
	.globl	_ZN7rocprim17ROCPRIM_400000_NS6detail17trampoline_kernelINS0_14default_configENS1_22reduce_config_selectorItEEZNS1_11reduce_implILb1ES3_PtS7_tN6thrust23THRUST_200600_302600_NS4plusItEEEE10hipError_tPvRmT1_T2_T3_mT4_P12ihipStream_tbEUlT_E1_NS1_11comp_targetILNS1_3genE9ELNS1_11target_archE1100ELNS1_3gpuE3ELNS1_3repE0EEENS1_30default_config_static_selectorELNS0_4arch9wavefront6targetE1EEEvSF_
	.p2align	8
	.type	_ZN7rocprim17ROCPRIM_400000_NS6detail17trampoline_kernelINS0_14default_configENS1_22reduce_config_selectorItEEZNS1_11reduce_implILb1ES3_PtS7_tN6thrust23THRUST_200600_302600_NS4plusItEEEE10hipError_tPvRmT1_T2_T3_mT4_P12ihipStream_tbEUlT_E1_NS1_11comp_targetILNS1_3genE9ELNS1_11target_archE1100ELNS1_3gpuE3ELNS1_3repE0EEENS1_30default_config_static_selectorELNS0_4arch9wavefront6targetE1EEEvSF_,@function
_ZN7rocprim17ROCPRIM_400000_NS6detail17trampoline_kernelINS0_14default_configENS1_22reduce_config_selectorItEEZNS1_11reduce_implILb1ES3_PtS7_tN6thrust23THRUST_200600_302600_NS4plusItEEEE10hipError_tPvRmT1_T2_T3_mT4_P12ihipStream_tbEUlT_E1_NS1_11comp_targetILNS1_3genE9ELNS1_11target_archE1100ELNS1_3gpuE3ELNS1_3repE0EEENS1_30default_config_static_selectorELNS0_4arch9wavefront6targetE1EEEvSF_: ; @_ZN7rocprim17ROCPRIM_400000_NS6detail17trampoline_kernelINS0_14default_configENS1_22reduce_config_selectorItEEZNS1_11reduce_implILb1ES3_PtS7_tN6thrust23THRUST_200600_302600_NS4plusItEEEE10hipError_tPvRmT1_T2_T3_mT4_P12ihipStream_tbEUlT_E1_NS1_11comp_targetILNS1_3genE9ELNS1_11target_archE1100ELNS1_3gpuE3ELNS1_3repE0EEENS1_30default_config_static_selectorELNS0_4arch9wavefront6targetE1EEEvSF_
; %bb.0:
	.section	.rodata,"a",@progbits
	.p2align	6, 0x0
	.amdhsa_kernel _ZN7rocprim17ROCPRIM_400000_NS6detail17trampoline_kernelINS0_14default_configENS1_22reduce_config_selectorItEEZNS1_11reduce_implILb1ES3_PtS7_tN6thrust23THRUST_200600_302600_NS4plusItEEEE10hipError_tPvRmT1_T2_T3_mT4_P12ihipStream_tbEUlT_E1_NS1_11comp_targetILNS1_3genE9ELNS1_11target_archE1100ELNS1_3gpuE3ELNS1_3repE0EEENS1_30default_config_static_selectorELNS0_4arch9wavefront6targetE1EEEvSF_
		.amdhsa_group_segment_fixed_size 0
		.amdhsa_private_segment_fixed_size 0
		.amdhsa_kernarg_size 40
		.amdhsa_user_sgpr_count 2
		.amdhsa_user_sgpr_dispatch_ptr 0
		.amdhsa_user_sgpr_queue_ptr 0
		.amdhsa_user_sgpr_kernarg_segment_ptr 1
		.amdhsa_user_sgpr_dispatch_id 0
		.amdhsa_user_sgpr_kernarg_preload_length 0
		.amdhsa_user_sgpr_kernarg_preload_offset 0
		.amdhsa_user_sgpr_private_segment_size 0
		.amdhsa_uses_dynamic_stack 0
		.amdhsa_enable_private_segment 0
		.amdhsa_system_sgpr_workgroup_id_x 1
		.amdhsa_system_sgpr_workgroup_id_y 0
		.amdhsa_system_sgpr_workgroup_id_z 0
		.amdhsa_system_sgpr_workgroup_info 0
		.amdhsa_system_vgpr_workitem_id 0
		.amdhsa_next_free_vgpr 1
		.amdhsa_next_free_sgpr 0
		.amdhsa_accum_offset 4
		.amdhsa_reserve_vcc 0
		.amdhsa_float_round_mode_32 0
		.amdhsa_float_round_mode_16_64 0
		.amdhsa_float_denorm_mode_32 3
		.amdhsa_float_denorm_mode_16_64 3
		.amdhsa_dx10_clamp 1
		.amdhsa_ieee_mode 1
		.amdhsa_fp16_overflow 0
		.amdhsa_tg_split 0
		.amdhsa_exception_fp_ieee_invalid_op 0
		.amdhsa_exception_fp_denorm_src 0
		.amdhsa_exception_fp_ieee_div_zero 0
		.amdhsa_exception_fp_ieee_overflow 0
		.amdhsa_exception_fp_ieee_underflow 0
		.amdhsa_exception_fp_ieee_inexact 0
		.amdhsa_exception_int_div_zero 0
	.end_amdhsa_kernel
	.section	.text._ZN7rocprim17ROCPRIM_400000_NS6detail17trampoline_kernelINS0_14default_configENS1_22reduce_config_selectorItEEZNS1_11reduce_implILb1ES3_PtS7_tN6thrust23THRUST_200600_302600_NS4plusItEEEE10hipError_tPvRmT1_T2_T3_mT4_P12ihipStream_tbEUlT_E1_NS1_11comp_targetILNS1_3genE9ELNS1_11target_archE1100ELNS1_3gpuE3ELNS1_3repE0EEENS1_30default_config_static_selectorELNS0_4arch9wavefront6targetE1EEEvSF_,"axG",@progbits,_ZN7rocprim17ROCPRIM_400000_NS6detail17trampoline_kernelINS0_14default_configENS1_22reduce_config_selectorItEEZNS1_11reduce_implILb1ES3_PtS7_tN6thrust23THRUST_200600_302600_NS4plusItEEEE10hipError_tPvRmT1_T2_T3_mT4_P12ihipStream_tbEUlT_E1_NS1_11comp_targetILNS1_3genE9ELNS1_11target_archE1100ELNS1_3gpuE3ELNS1_3repE0EEENS1_30default_config_static_selectorELNS0_4arch9wavefront6targetE1EEEvSF_,comdat
.Lfunc_end166:
	.size	_ZN7rocprim17ROCPRIM_400000_NS6detail17trampoline_kernelINS0_14default_configENS1_22reduce_config_selectorItEEZNS1_11reduce_implILb1ES3_PtS7_tN6thrust23THRUST_200600_302600_NS4plusItEEEE10hipError_tPvRmT1_T2_T3_mT4_P12ihipStream_tbEUlT_E1_NS1_11comp_targetILNS1_3genE9ELNS1_11target_archE1100ELNS1_3gpuE3ELNS1_3repE0EEENS1_30default_config_static_selectorELNS0_4arch9wavefront6targetE1EEEvSF_, .Lfunc_end166-_ZN7rocprim17ROCPRIM_400000_NS6detail17trampoline_kernelINS0_14default_configENS1_22reduce_config_selectorItEEZNS1_11reduce_implILb1ES3_PtS7_tN6thrust23THRUST_200600_302600_NS4plusItEEEE10hipError_tPvRmT1_T2_T3_mT4_P12ihipStream_tbEUlT_E1_NS1_11comp_targetILNS1_3genE9ELNS1_11target_archE1100ELNS1_3gpuE3ELNS1_3repE0EEENS1_30default_config_static_selectorELNS0_4arch9wavefront6targetE1EEEvSF_
                                        ; -- End function
	.set _ZN7rocprim17ROCPRIM_400000_NS6detail17trampoline_kernelINS0_14default_configENS1_22reduce_config_selectorItEEZNS1_11reduce_implILb1ES3_PtS7_tN6thrust23THRUST_200600_302600_NS4plusItEEEE10hipError_tPvRmT1_T2_T3_mT4_P12ihipStream_tbEUlT_E1_NS1_11comp_targetILNS1_3genE9ELNS1_11target_archE1100ELNS1_3gpuE3ELNS1_3repE0EEENS1_30default_config_static_selectorELNS0_4arch9wavefront6targetE1EEEvSF_.num_vgpr, 0
	.set _ZN7rocprim17ROCPRIM_400000_NS6detail17trampoline_kernelINS0_14default_configENS1_22reduce_config_selectorItEEZNS1_11reduce_implILb1ES3_PtS7_tN6thrust23THRUST_200600_302600_NS4plusItEEEE10hipError_tPvRmT1_T2_T3_mT4_P12ihipStream_tbEUlT_E1_NS1_11comp_targetILNS1_3genE9ELNS1_11target_archE1100ELNS1_3gpuE3ELNS1_3repE0EEENS1_30default_config_static_selectorELNS0_4arch9wavefront6targetE1EEEvSF_.num_agpr, 0
	.set _ZN7rocprim17ROCPRIM_400000_NS6detail17trampoline_kernelINS0_14default_configENS1_22reduce_config_selectorItEEZNS1_11reduce_implILb1ES3_PtS7_tN6thrust23THRUST_200600_302600_NS4plusItEEEE10hipError_tPvRmT1_T2_T3_mT4_P12ihipStream_tbEUlT_E1_NS1_11comp_targetILNS1_3genE9ELNS1_11target_archE1100ELNS1_3gpuE3ELNS1_3repE0EEENS1_30default_config_static_selectorELNS0_4arch9wavefront6targetE1EEEvSF_.numbered_sgpr, 0
	.set _ZN7rocprim17ROCPRIM_400000_NS6detail17trampoline_kernelINS0_14default_configENS1_22reduce_config_selectorItEEZNS1_11reduce_implILb1ES3_PtS7_tN6thrust23THRUST_200600_302600_NS4plusItEEEE10hipError_tPvRmT1_T2_T3_mT4_P12ihipStream_tbEUlT_E1_NS1_11comp_targetILNS1_3genE9ELNS1_11target_archE1100ELNS1_3gpuE3ELNS1_3repE0EEENS1_30default_config_static_selectorELNS0_4arch9wavefront6targetE1EEEvSF_.num_named_barrier, 0
	.set _ZN7rocprim17ROCPRIM_400000_NS6detail17trampoline_kernelINS0_14default_configENS1_22reduce_config_selectorItEEZNS1_11reduce_implILb1ES3_PtS7_tN6thrust23THRUST_200600_302600_NS4plusItEEEE10hipError_tPvRmT1_T2_T3_mT4_P12ihipStream_tbEUlT_E1_NS1_11comp_targetILNS1_3genE9ELNS1_11target_archE1100ELNS1_3gpuE3ELNS1_3repE0EEENS1_30default_config_static_selectorELNS0_4arch9wavefront6targetE1EEEvSF_.private_seg_size, 0
	.set _ZN7rocprim17ROCPRIM_400000_NS6detail17trampoline_kernelINS0_14default_configENS1_22reduce_config_selectorItEEZNS1_11reduce_implILb1ES3_PtS7_tN6thrust23THRUST_200600_302600_NS4plusItEEEE10hipError_tPvRmT1_T2_T3_mT4_P12ihipStream_tbEUlT_E1_NS1_11comp_targetILNS1_3genE9ELNS1_11target_archE1100ELNS1_3gpuE3ELNS1_3repE0EEENS1_30default_config_static_selectorELNS0_4arch9wavefront6targetE1EEEvSF_.uses_vcc, 0
	.set _ZN7rocprim17ROCPRIM_400000_NS6detail17trampoline_kernelINS0_14default_configENS1_22reduce_config_selectorItEEZNS1_11reduce_implILb1ES3_PtS7_tN6thrust23THRUST_200600_302600_NS4plusItEEEE10hipError_tPvRmT1_T2_T3_mT4_P12ihipStream_tbEUlT_E1_NS1_11comp_targetILNS1_3genE9ELNS1_11target_archE1100ELNS1_3gpuE3ELNS1_3repE0EEENS1_30default_config_static_selectorELNS0_4arch9wavefront6targetE1EEEvSF_.uses_flat_scratch, 0
	.set _ZN7rocprim17ROCPRIM_400000_NS6detail17trampoline_kernelINS0_14default_configENS1_22reduce_config_selectorItEEZNS1_11reduce_implILb1ES3_PtS7_tN6thrust23THRUST_200600_302600_NS4plusItEEEE10hipError_tPvRmT1_T2_T3_mT4_P12ihipStream_tbEUlT_E1_NS1_11comp_targetILNS1_3genE9ELNS1_11target_archE1100ELNS1_3gpuE3ELNS1_3repE0EEENS1_30default_config_static_selectorELNS0_4arch9wavefront6targetE1EEEvSF_.has_dyn_sized_stack, 0
	.set _ZN7rocprim17ROCPRIM_400000_NS6detail17trampoline_kernelINS0_14default_configENS1_22reduce_config_selectorItEEZNS1_11reduce_implILb1ES3_PtS7_tN6thrust23THRUST_200600_302600_NS4plusItEEEE10hipError_tPvRmT1_T2_T3_mT4_P12ihipStream_tbEUlT_E1_NS1_11comp_targetILNS1_3genE9ELNS1_11target_archE1100ELNS1_3gpuE3ELNS1_3repE0EEENS1_30default_config_static_selectorELNS0_4arch9wavefront6targetE1EEEvSF_.has_recursion, 0
	.set _ZN7rocprim17ROCPRIM_400000_NS6detail17trampoline_kernelINS0_14default_configENS1_22reduce_config_selectorItEEZNS1_11reduce_implILb1ES3_PtS7_tN6thrust23THRUST_200600_302600_NS4plusItEEEE10hipError_tPvRmT1_T2_T3_mT4_P12ihipStream_tbEUlT_E1_NS1_11comp_targetILNS1_3genE9ELNS1_11target_archE1100ELNS1_3gpuE3ELNS1_3repE0EEENS1_30default_config_static_selectorELNS0_4arch9wavefront6targetE1EEEvSF_.has_indirect_call, 0
	.section	.AMDGPU.csdata,"",@progbits
; Kernel info:
; codeLenInByte = 0
; TotalNumSgprs: 6
; NumVgprs: 0
; NumAgprs: 0
; TotalNumVgprs: 0
; ScratchSize: 0
; MemoryBound: 0
; FloatMode: 240
; IeeeMode: 1
; LDSByteSize: 0 bytes/workgroup (compile time only)
; SGPRBlocks: 0
; VGPRBlocks: 0
; NumSGPRsForWavesPerEU: 6
; NumVGPRsForWavesPerEU: 1
; AccumOffset: 4
; Occupancy: 8
; WaveLimiterHint : 0
; COMPUTE_PGM_RSRC2:SCRATCH_EN: 0
; COMPUTE_PGM_RSRC2:USER_SGPR: 2
; COMPUTE_PGM_RSRC2:TRAP_HANDLER: 0
; COMPUTE_PGM_RSRC2:TGID_X_EN: 1
; COMPUTE_PGM_RSRC2:TGID_Y_EN: 0
; COMPUTE_PGM_RSRC2:TGID_Z_EN: 0
; COMPUTE_PGM_RSRC2:TIDIG_COMP_CNT: 0
; COMPUTE_PGM_RSRC3_GFX90A:ACCUM_OFFSET: 0
; COMPUTE_PGM_RSRC3_GFX90A:TG_SPLIT: 0
	.section	.text._ZN7rocprim17ROCPRIM_400000_NS6detail17trampoline_kernelINS0_14default_configENS1_22reduce_config_selectorItEEZNS1_11reduce_implILb1ES3_PtS7_tN6thrust23THRUST_200600_302600_NS4plusItEEEE10hipError_tPvRmT1_T2_T3_mT4_P12ihipStream_tbEUlT_E1_NS1_11comp_targetILNS1_3genE8ELNS1_11target_archE1030ELNS1_3gpuE2ELNS1_3repE0EEENS1_30default_config_static_selectorELNS0_4arch9wavefront6targetE1EEEvSF_,"axG",@progbits,_ZN7rocprim17ROCPRIM_400000_NS6detail17trampoline_kernelINS0_14default_configENS1_22reduce_config_selectorItEEZNS1_11reduce_implILb1ES3_PtS7_tN6thrust23THRUST_200600_302600_NS4plusItEEEE10hipError_tPvRmT1_T2_T3_mT4_P12ihipStream_tbEUlT_E1_NS1_11comp_targetILNS1_3genE8ELNS1_11target_archE1030ELNS1_3gpuE2ELNS1_3repE0EEENS1_30default_config_static_selectorELNS0_4arch9wavefront6targetE1EEEvSF_,comdat
	.protected	_ZN7rocprim17ROCPRIM_400000_NS6detail17trampoline_kernelINS0_14default_configENS1_22reduce_config_selectorItEEZNS1_11reduce_implILb1ES3_PtS7_tN6thrust23THRUST_200600_302600_NS4plusItEEEE10hipError_tPvRmT1_T2_T3_mT4_P12ihipStream_tbEUlT_E1_NS1_11comp_targetILNS1_3genE8ELNS1_11target_archE1030ELNS1_3gpuE2ELNS1_3repE0EEENS1_30default_config_static_selectorELNS0_4arch9wavefront6targetE1EEEvSF_ ; -- Begin function _ZN7rocprim17ROCPRIM_400000_NS6detail17trampoline_kernelINS0_14default_configENS1_22reduce_config_selectorItEEZNS1_11reduce_implILb1ES3_PtS7_tN6thrust23THRUST_200600_302600_NS4plusItEEEE10hipError_tPvRmT1_T2_T3_mT4_P12ihipStream_tbEUlT_E1_NS1_11comp_targetILNS1_3genE8ELNS1_11target_archE1030ELNS1_3gpuE2ELNS1_3repE0EEENS1_30default_config_static_selectorELNS0_4arch9wavefront6targetE1EEEvSF_
	.globl	_ZN7rocprim17ROCPRIM_400000_NS6detail17trampoline_kernelINS0_14default_configENS1_22reduce_config_selectorItEEZNS1_11reduce_implILb1ES3_PtS7_tN6thrust23THRUST_200600_302600_NS4plusItEEEE10hipError_tPvRmT1_T2_T3_mT4_P12ihipStream_tbEUlT_E1_NS1_11comp_targetILNS1_3genE8ELNS1_11target_archE1030ELNS1_3gpuE2ELNS1_3repE0EEENS1_30default_config_static_selectorELNS0_4arch9wavefront6targetE1EEEvSF_
	.p2align	8
	.type	_ZN7rocprim17ROCPRIM_400000_NS6detail17trampoline_kernelINS0_14default_configENS1_22reduce_config_selectorItEEZNS1_11reduce_implILb1ES3_PtS7_tN6thrust23THRUST_200600_302600_NS4plusItEEEE10hipError_tPvRmT1_T2_T3_mT4_P12ihipStream_tbEUlT_E1_NS1_11comp_targetILNS1_3genE8ELNS1_11target_archE1030ELNS1_3gpuE2ELNS1_3repE0EEENS1_30default_config_static_selectorELNS0_4arch9wavefront6targetE1EEEvSF_,@function
_ZN7rocprim17ROCPRIM_400000_NS6detail17trampoline_kernelINS0_14default_configENS1_22reduce_config_selectorItEEZNS1_11reduce_implILb1ES3_PtS7_tN6thrust23THRUST_200600_302600_NS4plusItEEEE10hipError_tPvRmT1_T2_T3_mT4_P12ihipStream_tbEUlT_E1_NS1_11comp_targetILNS1_3genE8ELNS1_11target_archE1030ELNS1_3gpuE2ELNS1_3repE0EEENS1_30default_config_static_selectorELNS0_4arch9wavefront6targetE1EEEvSF_: ; @_ZN7rocprim17ROCPRIM_400000_NS6detail17trampoline_kernelINS0_14default_configENS1_22reduce_config_selectorItEEZNS1_11reduce_implILb1ES3_PtS7_tN6thrust23THRUST_200600_302600_NS4plusItEEEE10hipError_tPvRmT1_T2_T3_mT4_P12ihipStream_tbEUlT_E1_NS1_11comp_targetILNS1_3genE8ELNS1_11target_archE1030ELNS1_3gpuE2ELNS1_3repE0EEENS1_30default_config_static_selectorELNS0_4arch9wavefront6targetE1EEEvSF_
; %bb.0:
	.section	.rodata,"a",@progbits
	.p2align	6, 0x0
	.amdhsa_kernel _ZN7rocprim17ROCPRIM_400000_NS6detail17trampoline_kernelINS0_14default_configENS1_22reduce_config_selectorItEEZNS1_11reduce_implILb1ES3_PtS7_tN6thrust23THRUST_200600_302600_NS4plusItEEEE10hipError_tPvRmT1_T2_T3_mT4_P12ihipStream_tbEUlT_E1_NS1_11comp_targetILNS1_3genE8ELNS1_11target_archE1030ELNS1_3gpuE2ELNS1_3repE0EEENS1_30default_config_static_selectorELNS0_4arch9wavefront6targetE1EEEvSF_
		.amdhsa_group_segment_fixed_size 0
		.amdhsa_private_segment_fixed_size 0
		.amdhsa_kernarg_size 40
		.amdhsa_user_sgpr_count 2
		.amdhsa_user_sgpr_dispatch_ptr 0
		.amdhsa_user_sgpr_queue_ptr 0
		.amdhsa_user_sgpr_kernarg_segment_ptr 1
		.amdhsa_user_sgpr_dispatch_id 0
		.amdhsa_user_sgpr_kernarg_preload_length 0
		.amdhsa_user_sgpr_kernarg_preload_offset 0
		.amdhsa_user_sgpr_private_segment_size 0
		.amdhsa_uses_dynamic_stack 0
		.amdhsa_enable_private_segment 0
		.amdhsa_system_sgpr_workgroup_id_x 1
		.amdhsa_system_sgpr_workgroup_id_y 0
		.amdhsa_system_sgpr_workgroup_id_z 0
		.amdhsa_system_sgpr_workgroup_info 0
		.amdhsa_system_vgpr_workitem_id 0
		.amdhsa_next_free_vgpr 1
		.amdhsa_next_free_sgpr 0
		.amdhsa_accum_offset 4
		.amdhsa_reserve_vcc 0
		.amdhsa_float_round_mode_32 0
		.amdhsa_float_round_mode_16_64 0
		.amdhsa_float_denorm_mode_32 3
		.amdhsa_float_denorm_mode_16_64 3
		.amdhsa_dx10_clamp 1
		.amdhsa_ieee_mode 1
		.amdhsa_fp16_overflow 0
		.amdhsa_tg_split 0
		.amdhsa_exception_fp_ieee_invalid_op 0
		.amdhsa_exception_fp_denorm_src 0
		.amdhsa_exception_fp_ieee_div_zero 0
		.amdhsa_exception_fp_ieee_overflow 0
		.amdhsa_exception_fp_ieee_underflow 0
		.amdhsa_exception_fp_ieee_inexact 0
		.amdhsa_exception_int_div_zero 0
	.end_amdhsa_kernel
	.section	.text._ZN7rocprim17ROCPRIM_400000_NS6detail17trampoline_kernelINS0_14default_configENS1_22reduce_config_selectorItEEZNS1_11reduce_implILb1ES3_PtS7_tN6thrust23THRUST_200600_302600_NS4plusItEEEE10hipError_tPvRmT1_T2_T3_mT4_P12ihipStream_tbEUlT_E1_NS1_11comp_targetILNS1_3genE8ELNS1_11target_archE1030ELNS1_3gpuE2ELNS1_3repE0EEENS1_30default_config_static_selectorELNS0_4arch9wavefront6targetE1EEEvSF_,"axG",@progbits,_ZN7rocprim17ROCPRIM_400000_NS6detail17trampoline_kernelINS0_14default_configENS1_22reduce_config_selectorItEEZNS1_11reduce_implILb1ES3_PtS7_tN6thrust23THRUST_200600_302600_NS4plusItEEEE10hipError_tPvRmT1_T2_T3_mT4_P12ihipStream_tbEUlT_E1_NS1_11comp_targetILNS1_3genE8ELNS1_11target_archE1030ELNS1_3gpuE2ELNS1_3repE0EEENS1_30default_config_static_selectorELNS0_4arch9wavefront6targetE1EEEvSF_,comdat
.Lfunc_end167:
	.size	_ZN7rocprim17ROCPRIM_400000_NS6detail17trampoline_kernelINS0_14default_configENS1_22reduce_config_selectorItEEZNS1_11reduce_implILb1ES3_PtS7_tN6thrust23THRUST_200600_302600_NS4plusItEEEE10hipError_tPvRmT1_T2_T3_mT4_P12ihipStream_tbEUlT_E1_NS1_11comp_targetILNS1_3genE8ELNS1_11target_archE1030ELNS1_3gpuE2ELNS1_3repE0EEENS1_30default_config_static_selectorELNS0_4arch9wavefront6targetE1EEEvSF_, .Lfunc_end167-_ZN7rocprim17ROCPRIM_400000_NS6detail17trampoline_kernelINS0_14default_configENS1_22reduce_config_selectorItEEZNS1_11reduce_implILb1ES3_PtS7_tN6thrust23THRUST_200600_302600_NS4plusItEEEE10hipError_tPvRmT1_T2_T3_mT4_P12ihipStream_tbEUlT_E1_NS1_11comp_targetILNS1_3genE8ELNS1_11target_archE1030ELNS1_3gpuE2ELNS1_3repE0EEENS1_30default_config_static_selectorELNS0_4arch9wavefront6targetE1EEEvSF_
                                        ; -- End function
	.set _ZN7rocprim17ROCPRIM_400000_NS6detail17trampoline_kernelINS0_14default_configENS1_22reduce_config_selectorItEEZNS1_11reduce_implILb1ES3_PtS7_tN6thrust23THRUST_200600_302600_NS4plusItEEEE10hipError_tPvRmT1_T2_T3_mT4_P12ihipStream_tbEUlT_E1_NS1_11comp_targetILNS1_3genE8ELNS1_11target_archE1030ELNS1_3gpuE2ELNS1_3repE0EEENS1_30default_config_static_selectorELNS0_4arch9wavefront6targetE1EEEvSF_.num_vgpr, 0
	.set _ZN7rocprim17ROCPRIM_400000_NS6detail17trampoline_kernelINS0_14default_configENS1_22reduce_config_selectorItEEZNS1_11reduce_implILb1ES3_PtS7_tN6thrust23THRUST_200600_302600_NS4plusItEEEE10hipError_tPvRmT1_T2_T3_mT4_P12ihipStream_tbEUlT_E1_NS1_11comp_targetILNS1_3genE8ELNS1_11target_archE1030ELNS1_3gpuE2ELNS1_3repE0EEENS1_30default_config_static_selectorELNS0_4arch9wavefront6targetE1EEEvSF_.num_agpr, 0
	.set _ZN7rocprim17ROCPRIM_400000_NS6detail17trampoline_kernelINS0_14default_configENS1_22reduce_config_selectorItEEZNS1_11reduce_implILb1ES3_PtS7_tN6thrust23THRUST_200600_302600_NS4plusItEEEE10hipError_tPvRmT1_T2_T3_mT4_P12ihipStream_tbEUlT_E1_NS1_11comp_targetILNS1_3genE8ELNS1_11target_archE1030ELNS1_3gpuE2ELNS1_3repE0EEENS1_30default_config_static_selectorELNS0_4arch9wavefront6targetE1EEEvSF_.numbered_sgpr, 0
	.set _ZN7rocprim17ROCPRIM_400000_NS6detail17trampoline_kernelINS0_14default_configENS1_22reduce_config_selectorItEEZNS1_11reduce_implILb1ES3_PtS7_tN6thrust23THRUST_200600_302600_NS4plusItEEEE10hipError_tPvRmT1_T2_T3_mT4_P12ihipStream_tbEUlT_E1_NS1_11comp_targetILNS1_3genE8ELNS1_11target_archE1030ELNS1_3gpuE2ELNS1_3repE0EEENS1_30default_config_static_selectorELNS0_4arch9wavefront6targetE1EEEvSF_.num_named_barrier, 0
	.set _ZN7rocprim17ROCPRIM_400000_NS6detail17trampoline_kernelINS0_14default_configENS1_22reduce_config_selectorItEEZNS1_11reduce_implILb1ES3_PtS7_tN6thrust23THRUST_200600_302600_NS4plusItEEEE10hipError_tPvRmT1_T2_T3_mT4_P12ihipStream_tbEUlT_E1_NS1_11comp_targetILNS1_3genE8ELNS1_11target_archE1030ELNS1_3gpuE2ELNS1_3repE0EEENS1_30default_config_static_selectorELNS0_4arch9wavefront6targetE1EEEvSF_.private_seg_size, 0
	.set _ZN7rocprim17ROCPRIM_400000_NS6detail17trampoline_kernelINS0_14default_configENS1_22reduce_config_selectorItEEZNS1_11reduce_implILb1ES3_PtS7_tN6thrust23THRUST_200600_302600_NS4plusItEEEE10hipError_tPvRmT1_T2_T3_mT4_P12ihipStream_tbEUlT_E1_NS1_11comp_targetILNS1_3genE8ELNS1_11target_archE1030ELNS1_3gpuE2ELNS1_3repE0EEENS1_30default_config_static_selectorELNS0_4arch9wavefront6targetE1EEEvSF_.uses_vcc, 0
	.set _ZN7rocprim17ROCPRIM_400000_NS6detail17trampoline_kernelINS0_14default_configENS1_22reduce_config_selectorItEEZNS1_11reduce_implILb1ES3_PtS7_tN6thrust23THRUST_200600_302600_NS4plusItEEEE10hipError_tPvRmT1_T2_T3_mT4_P12ihipStream_tbEUlT_E1_NS1_11comp_targetILNS1_3genE8ELNS1_11target_archE1030ELNS1_3gpuE2ELNS1_3repE0EEENS1_30default_config_static_selectorELNS0_4arch9wavefront6targetE1EEEvSF_.uses_flat_scratch, 0
	.set _ZN7rocprim17ROCPRIM_400000_NS6detail17trampoline_kernelINS0_14default_configENS1_22reduce_config_selectorItEEZNS1_11reduce_implILb1ES3_PtS7_tN6thrust23THRUST_200600_302600_NS4plusItEEEE10hipError_tPvRmT1_T2_T3_mT4_P12ihipStream_tbEUlT_E1_NS1_11comp_targetILNS1_3genE8ELNS1_11target_archE1030ELNS1_3gpuE2ELNS1_3repE0EEENS1_30default_config_static_selectorELNS0_4arch9wavefront6targetE1EEEvSF_.has_dyn_sized_stack, 0
	.set _ZN7rocprim17ROCPRIM_400000_NS6detail17trampoline_kernelINS0_14default_configENS1_22reduce_config_selectorItEEZNS1_11reduce_implILb1ES3_PtS7_tN6thrust23THRUST_200600_302600_NS4plusItEEEE10hipError_tPvRmT1_T2_T3_mT4_P12ihipStream_tbEUlT_E1_NS1_11comp_targetILNS1_3genE8ELNS1_11target_archE1030ELNS1_3gpuE2ELNS1_3repE0EEENS1_30default_config_static_selectorELNS0_4arch9wavefront6targetE1EEEvSF_.has_recursion, 0
	.set _ZN7rocprim17ROCPRIM_400000_NS6detail17trampoline_kernelINS0_14default_configENS1_22reduce_config_selectorItEEZNS1_11reduce_implILb1ES3_PtS7_tN6thrust23THRUST_200600_302600_NS4plusItEEEE10hipError_tPvRmT1_T2_T3_mT4_P12ihipStream_tbEUlT_E1_NS1_11comp_targetILNS1_3genE8ELNS1_11target_archE1030ELNS1_3gpuE2ELNS1_3repE0EEENS1_30default_config_static_selectorELNS0_4arch9wavefront6targetE1EEEvSF_.has_indirect_call, 0
	.section	.AMDGPU.csdata,"",@progbits
; Kernel info:
; codeLenInByte = 0
; TotalNumSgprs: 6
; NumVgprs: 0
; NumAgprs: 0
; TotalNumVgprs: 0
; ScratchSize: 0
; MemoryBound: 0
; FloatMode: 240
; IeeeMode: 1
; LDSByteSize: 0 bytes/workgroup (compile time only)
; SGPRBlocks: 0
; VGPRBlocks: 0
; NumSGPRsForWavesPerEU: 6
; NumVGPRsForWavesPerEU: 1
; AccumOffset: 4
; Occupancy: 8
; WaveLimiterHint : 0
; COMPUTE_PGM_RSRC2:SCRATCH_EN: 0
; COMPUTE_PGM_RSRC2:USER_SGPR: 2
; COMPUTE_PGM_RSRC2:TRAP_HANDLER: 0
; COMPUTE_PGM_RSRC2:TGID_X_EN: 1
; COMPUTE_PGM_RSRC2:TGID_Y_EN: 0
; COMPUTE_PGM_RSRC2:TGID_Z_EN: 0
; COMPUTE_PGM_RSRC2:TIDIG_COMP_CNT: 0
; COMPUTE_PGM_RSRC3_GFX90A:ACCUM_OFFSET: 0
; COMPUTE_PGM_RSRC3_GFX90A:TG_SPLIT: 0
	.section	.text._ZN7rocprim17ROCPRIM_400000_NS6detail17trampoline_kernelINS0_14default_configENS1_22reduce_config_selectorItEEZNS1_11reduce_implILb1ES3_N6thrust23THRUST_200600_302600_NS6detail15normal_iteratorINS8_10device_ptrItEEEEPttNS8_4plusItEEEE10hipError_tPvRmT1_T2_T3_mT4_P12ihipStream_tbEUlT_E0_NS1_11comp_targetILNS1_3genE0ELNS1_11target_archE4294967295ELNS1_3gpuE0ELNS1_3repE0EEENS1_30default_config_static_selectorELNS0_4arch9wavefront6targetE1EEEvSK_,"axG",@progbits,_ZN7rocprim17ROCPRIM_400000_NS6detail17trampoline_kernelINS0_14default_configENS1_22reduce_config_selectorItEEZNS1_11reduce_implILb1ES3_N6thrust23THRUST_200600_302600_NS6detail15normal_iteratorINS8_10device_ptrItEEEEPttNS8_4plusItEEEE10hipError_tPvRmT1_T2_T3_mT4_P12ihipStream_tbEUlT_E0_NS1_11comp_targetILNS1_3genE0ELNS1_11target_archE4294967295ELNS1_3gpuE0ELNS1_3repE0EEENS1_30default_config_static_selectorELNS0_4arch9wavefront6targetE1EEEvSK_,comdat
	.protected	_ZN7rocprim17ROCPRIM_400000_NS6detail17trampoline_kernelINS0_14default_configENS1_22reduce_config_selectorItEEZNS1_11reduce_implILb1ES3_N6thrust23THRUST_200600_302600_NS6detail15normal_iteratorINS8_10device_ptrItEEEEPttNS8_4plusItEEEE10hipError_tPvRmT1_T2_T3_mT4_P12ihipStream_tbEUlT_E0_NS1_11comp_targetILNS1_3genE0ELNS1_11target_archE4294967295ELNS1_3gpuE0ELNS1_3repE0EEENS1_30default_config_static_selectorELNS0_4arch9wavefront6targetE1EEEvSK_ ; -- Begin function _ZN7rocprim17ROCPRIM_400000_NS6detail17trampoline_kernelINS0_14default_configENS1_22reduce_config_selectorItEEZNS1_11reduce_implILb1ES3_N6thrust23THRUST_200600_302600_NS6detail15normal_iteratorINS8_10device_ptrItEEEEPttNS8_4plusItEEEE10hipError_tPvRmT1_T2_T3_mT4_P12ihipStream_tbEUlT_E0_NS1_11comp_targetILNS1_3genE0ELNS1_11target_archE4294967295ELNS1_3gpuE0ELNS1_3repE0EEENS1_30default_config_static_selectorELNS0_4arch9wavefront6targetE1EEEvSK_
	.globl	_ZN7rocprim17ROCPRIM_400000_NS6detail17trampoline_kernelINS0_14default_configENS1_22reduce_config_selectorItEEZNS1_11reduce_implILb1ES3_N6thrust23THRUST_200600_302600_NS6detail15normal_iteratorINS8_10device_ptrItEEEEPttNS8_4plusItEEEE10hipError_tPvRmT1_T2_T3_mT4_P12ihipStream_tbEUlT_E0_NS1_11comp_targetILNS1_3genE0ELNS1_11target_archE4294967295ELNS1_3gpuE0ELNS1_3repE0EEENS1_30default_config_static_selectorELNS0_4arch9wavefront6targetE1EEEvSK_
	.p2align	8
	.type	_ZN7rocprim17ROCPRIM_400000_NS6detail17trampoline_kernelINS0_14default_configENS1_22reduce_config_selectorItEEZNS1_11reduce_implILb1ES3_N6thrust23THRUST_200600_302600_NS6detail15normal_iteratorINS8_10device_ptrItEEEEPttNS8_4plusItEEEE10hipError_tPvRmT1_T2_T3_mT4_P12ihipStream_tbEUlT_E0_NS1_11comp_targetILNS1_3genE0ELNS1_11target_archE4294967295ELNS1_3gpuE0ELNS1_3repE0EEENS1_30default_config_static_selectorELNS0_4arch9wavefront6targetE1EEEvSK_,@function
_ZN7rocprim17ROCPRIM_400000_NS6detail17trampoline_kernelINS0_14default_configENS1_22reduce_config_selectorItEEZNS1_11reduce_implILb1ES3_N6thrust23THRUST_200600_302600_NS6detail15normal_iteratorINS8_10device_ptrItEEEEPttNS8_4plusItEEEE10hipError_tPvRmT1_T2_T3_mT4_P12ihipStream_tbEUlT_E0_NS1_11comp_targetILNS1_3genE0ELNS1_11target_archE4294967295ELNS1_3gpuE0ELNS1_3repE0EEENS1_30default_config_static_selectorELNS0_4arch9wavefront6targetE1EEEvSK_: ; @_ZN7rocprim17ROCPRIM_400000_NS6detail17trampoline_kernelINS0_14default_configENS1_22reduce_config_selectorItEEZNS1_11reduce_implILb1ES3_N6thrust23THRUST_200600_302600_NS6detail15normal_iteratorINS8_10device_ptrItEEEEPttNS8_4plusItEEEE10hipError_tPvRmT1_T2_T3_mT4_P12ihipStream_tbEUlT_E0_NS1_11comp_targetILNS1_3genE0ELNS1_11target_archE4294967295ELNS1_3gpuE0ELNS1_3repE0EEENS1_30default_config_static_selectorELNS0_4arch9wavefront6targetE1EEEvSK_
; %bb.0:
	s_load_dwordx8 s[12:19], s[0:1], 0x0
	s_load_dwordx4 s[20:23], s[0:1], 0x20
	v_lshlrev_b32_e32 v6, 1, v0
	v_mbcnt_lo_u32_b32 v1, -1, 0
	s_waitcnt lgkmcnt(0)
	s_lshl_b64 s[4:5], s[14:15], 1
	s_add_u32 s10, s12, s4
	s_addc_u32 s11, s13, s5
	s_lshl_b32 s4, s2, 10
	s_mov_b32 s5, 0
	s_lshr_b64 s[6:7], s[16:17], 10
	s_lshl_b64 s[8:9], s[4:5], 1
	s_add_u32 s14, s10, s8
	s_mov_b32 s3, s5
	s_addc_u32 s15, s11, s9
	s_cmp_lg_u64 s[6:7], s[2:3]
	s_cbranch_scc0 .LBB168_6
; %bb.1:
	v_mov_b32_e32 v7, 0
	v_lshl_add_u64 v[2:3], s[14:15], 0, v[6:7]
	flat_load_ushort v5, v[2:3]
	flat_load_ushort v7, v[2:3] offset:256
	flat_load_ushort v8, v[2:3] offset:512
	;; [unrolled: 1-line block ×7, first 2 shown]
	v_mbcnt_hi_u32_b32 v3, -1, v1
	v_lshlrev_b32_e32 v4, 2, v3
	v_cmp_eq_u32_e32 vcc, 0, v3
	s_waitcnt vmcnt(0) lgkmcnt(0)
	v_add_u16_e32 v2, v7, v5
	v_add_u16_e32 v2, v2, v8
	;; [unrolled: 1-line block ×7, first 2 shown]
	v_or_b32_e32 v5, 0xfc, v4
	s_nop 0
	v_add_u16_dpp v2, v2, v2 quad_perm:[1,0,3,2] row_mask:0xf bank_mask:0xf bound_ctrl:1
	s_nop 1
	v_add_u16_dpp v2, v2, v2 quad_perm:[2,3,0,1] row_mask:0xf bank_mask:0xf bound_ctrl:1
	s_nop 1
	v_add_u16_dpp v2, v2, v2 row_ror:4 row_mask:0xf bank_mask:0xf bound_ctrl:1
	s_nop 1
	v_add_u16_dpp v2, v2, v2 row_ror:8 row_mask:0xf bank_mask:0xf bound_ctrl:1
	s_nop 1
	v_add_u16_dpp v2, v2, v2 row_bcast:15 row_mask:0xf bank_mask:0xf bound_ctrl:1
	s_nop 1
	v_add_u16_dpp v2, v2, v2 row_bcast:31 row_mask:0xf bank_mask:0xf bound_ctrl:1
	ds_bpermute_b32 v2, v5, v2
	s_and_saveexec_b64 s[6:7], vcc
	s_cbranch_execz .LBB168_3
; %bb.2:
	v_lshrrev_b32_e32 v5, 5, v0
	v_and_b32_e32 v5, 2, v5
	s_waitcnt lgkmcnt(0)
	ds_write_b16 v5, v2
.LBB168_3:
	s_or_b64 exec, exec, s[6:7]
	v_cmp_gt_u32_e32 vcc, 64, v0
	s_waitcnt lgkmcnt(0)
	s_barrier
	s_and_saveexec_b64 s[6:7], vcc
	s_cbranch_execz .LBB168_5
; %bb.4:
	v_and_b32_e32 v2, 1, v3
	v_lshlrev_b32_e32 v2, 1, v2
	ds_read_u16 v2, v2
	v_or_b32_e32 v3, 4, v4
	s_waitcnt lgkmcnt(0)
	v_and_b32_e32 v4, 0xffff, v2
	ds_bpermute_b32 v3, v3, v4
	s_waitcnt lgkmcnt(0)
	v_add_u16_e32 v2, v2, v3
.LBB168_5:
	s_or_b64 exec, exec, s[6:7]
	s_load_dword s26, s[0:1], 0x30
	s_branch .LBB168_28
.LBB168_6:
                                        ; implicit-def: $vgpr2
	s_load_dword s26, s[0:1], 0x30
	s_cbranch_execz .LBB168_28
; %bb.7:
	s_sub_i32 s27, s16, s4
	v_mov_b32_e32 v2, 0
	v_cmp_gt_u32_e32 vcc, s27, v0
	v_mov_b32_e32 v3, v2
	v_mov_b32_e32 v4, v2
	;; [unrolled: 1-line block ×3, first 2 shown]
	s_and_saveexec_b64 s[0:1], vcc
	s_cbranch_execz .LBB168_9
; %bb.8:
	v_mov_b32_e32 v7, v2
	v_lshl_add_u64 v[4:5], s[14:15], 0, v[6:7]
	flat_load_ushort v3, v[4:5]
	v_mov_b32_e32 v9, v2
	v_mov_b32_e32 v10, v2
	;; [unrolled: 1-line block ×3, first 2 shown]
	s_waitcnt vmcnt(0) lgkmcnt(0)
	v_and_b32_e32 v8, 0xffff, v3
	v_mov_b64_e32 v[2:3], v[8:9]
	v_mov_b64_e32 v[4:5], v[10:11]
.LBB168_9:
	s_or_b64 exec, exec, s[0:1]
	v_or_b32_e32 v7, 0x80, v0
	v_cmp_gt_u32_e32 vcc, s27, v7
	s_and_saveexec_b64 s[0:1], vcc
	s_cbranch_execz .LBB168_11
; %bb.10:
	v_mov_b32_e32 v7, 0
	v_lshl_add_u64 v[8:9], s[14:15], 0, v[6:7]
	flat_load_ushort v7, v[8:9] offset:256
	s_mov_b32 s4, 0x5040100
	s_waitcnt vmcnt(0) lgkmcnt(0)
	v_perm_b32 v2, v7, v2, s4
.LBB168_11:
	s_or_b64 exec, exec, s[0:1]
	v_or_b32_e32 v7, 0x100, v0
	v_cmp_gt_u32_e64 s[0:1], s27, v7
	s_and_saveexec_b64 s[4:5], s[0:1]
	s_cbranch_execz .LBB168_13
; %bb.12:
	v_mov_b32_e32 v7, 0
	v_lshl_add_u64 v[8:9], s[14:15], 0, v[6:7]
	flat_load_ushort v7, v[8:9] offset:512
	s_mov_b32 s6, 0xffff
	s_waitcnt vmcnt(0) lgkmcnt(0)
	v_bfi_b32 v3, s6, v7, v3
.LBB168_13:
	s_or_b64 exec, exec, s[4:5]
	v_or_b32_e32 v7, 0x180, v0
	v_cmp_gt_u32_e64 s[4:5], s27, v7
	s_and_saveexec_b64 s[6:7], s[4:5]
	s_cbranch_execz .LBB168_15
; %bb.14:
	v_mov_b32_e32 v7, 0
	v_lshl_add_u64 v[8:9], s[14:15], 0, v[6:7]
	flat_load_ushort v7, v[8:9] offset:768
	s_mov_b32 s8, 0x5040100
	s_waitcnt vmcnt(0) lgkmcnt(0)
	v_perm_b32 v3, v7, v3, s8
.LBB168_15:
	s_or_b64 exec, exec, s[6:7]
	v_or_b32_e32 v7, 0x200, v0
	v_cmp_gt_u32_e64 s[6:7], s27, v7
	s_and_saveexec_b64 s[8:9], s[6:7]
	s_cbranch_execz .LBB168_17
; %bb.16:
	v_mov_b32_e32 v7, 0
	v_lshl_add_u64 v[8:9], s[14:15], 0, v[6:7]
	flat_load_ushort v7, v[8:9] offset:1024
	s_mov_b32 s10, 0xffff
	s_waitcnt vmcnt(0) lgkmcnt(0)
	v_bfi_b32 v4, s10, v7, v4
.LBB168_17:
	s_or_b64 exec, exec, s[8:9]
	v_or_b32_e32 v7, 0x280, v0
	v_cmp_gt_u32_e64 s[8:9], s27, v7
	s_and_saveexec_b64 s[10:11], s[8:9]
	;; [unrolled: 26-line block ×3, first 2 shown]
	s_cbranch_execz .LBB168_23
; %bb.22:
	v_mov_b32_e32 v7, 0
	v_lshl_add_u64 v[6:7], s[14:15], 0, v[6:7]
	flat_load_ushort v6, v[6:7] offset:1792
	s_mov_b32 s14, 0x5040100
	s_waitcnt vmcnt(0) lgkmcnt(0)
	v_perm_b32 v5, v6, v5, s14
.LBB168_23:
	s_or_b64 exec, exec, s[24:25]
	v_mov_b32_e32 v6, 0
	v_cndmask_b32_sdwa v6, v6, v2, vcc dst_sel:DWORD dst_unused:UNUSED_PAD src0_sel:DWORD src1_sel:WORD_1
	v_add_u16_e32 v2, v6, v2
	v_cndmask_b32_e64 v6, 0, v3, s[0:1]
	v_lshrrev_b32_e32 v3, 16, v3
	v_add_u16_e32 v2, v2, v6
	v_cndmask_b32_e64 v3, 0, v3, s[4:5]
	v_add_u16_e32 v2, v2, v3
	v_cndmask_b32_e64 v3, 0, v4, s[6:7]
	v_add_u16_e32 v2, v2, v3
	v_lshrrev_b32_e32 v3, 16, v4
	v_cndmask_b32_e64 v3, 0, v3, s[8:9]
	v_add_u16_e32 v2, v2, v3
	v_cndmask_b32_e64 v3, 0, v5, s[10:11]
	v_mbcnt_hi_u32_b32 v1, -1, v1
	v_add_u16_e32 v2, v2, v3
	v_lshrrev_b32_e32 v3, 16, v5
	v_and_b32_e32 v4, 63, v1
	v_cndmask_b32_e64 v3, 0, v3, s[12:13]
	v_cmp_ne_u32_e32 vcc, 63, v4
	v_add_u16_e32 v2, v2, v3
	s_min_u32 s4, s27, 0x80
	v_addc_co_u32_e32 v3, vcc, 0, v1, vcc
	v_lshlrev_b32_e32 v3, 2, v3
	ds_bpermute_b32 v3, v3, v2
	v_and_b32_e32 v5, 64, v0
	v_sub_u32_e64 v5, s4, v5 clamp
	v_add_u32_e32 v6, 1, v4
	v_cmp_gt_u32_e64 s[0:1], 62, v4
	s_waitcnt lgkmcnt(0)
	v_add_u16_e32 v3, v2, v3
	v_cmp_lt_u32_e32 vcc, v6, v5
	v_cndmask_b32_e64 v6, 0, 2, s[0:1]
	v_add_lshl_u32 v6, v6, v1, 2
	v_cndmask_b32_e32 v3, v2, v3, vcc
	ds_bpermute_b32 v6, v6, v3
	v_add_u32_e32 v7, 2, v4
	v_cmp_lt_u32_e64 s[0:1], v7, v5
	v_add_u32_e32 v7, 4, v4
	s_waitcnt lgkmcnt(0)
	v_add_u16_e32 v6, v3, v6
	v_cndmask_b32_e64 v3, v3, v6, s[0:1]
	v_cmp_gt_u32_e64 s[0:1], 60, v4
	s_nop 1
	v_cndmask_b32_e64 v6, 0, 4, s[0:1]
	v_add_lshl_u32 v6, v6, v1, 2
	ds_bpermute_b32 v6, v6, v3
	v_cmp_lt_u32_e64 s[0:1], v7, v5
	v_add_u32_e32 v7, 8, v4
	s_waitcnt lgkmcnt(0)
	v_add_u16_e32 v6, v3, v6
	v_cndmask_b32_e64 v3, v3, v6, s[0:1]
	v_cmp_gt_u32_e64 s[0:1], 56, v4
	s_nop 1
	v_cndmask_b32_e64 v6, 0, 8, s[0:1]
	v_add_lshl_u32 v6, v6, v1, 2
	ds_bpermute_b32 v6, v6, v3
	v_cmp_lt_u32_e64 s[0:1], v7, v5
	v_add_u32_e32 v7, 16, v4
	s_waitcnt lgkmcnt(0)
	v_add_u16_e32 v6, v3, v6
	v_cndmask_b32_e64 v3, v3, v6, s[0:1]
	v_cmp_gt_u32_e64 s[0:1], 48, v4
	v_add_u32_e32 v4, 32, v4
	s_nop 0
	v_cndmask_b32_e64 v6, 0, 16, s[0:1]
	v_add_lshl_u32 v6, v6, v1, 2
	ds_bpermute_b32 v6, v6, v3
	v_cmp_lt_u32_e64 s[0:1], v7, v5
	s_waitcnt lgkmcnt(0)
	v_add_u16_e32 v6, v3, v6
	v_cndmask_b32_e64 v6, v3, v6, s[0:1]
	v_lshlrev_b32_e32 v3, 2, v1
	v_or_b32_e32 v7, 0x80, v3
	ds_bpermute_b32 v7, v7, v6
	v_cmp_lt_u32_e64 s[0:1], v4, v5
	s_waitcnt lgkmcnt(0)
	s_nop 0
	v_cndmask_b32_e64 v4, 0, v7, s[0:1]
	v_add_u16_e32 v4, v6, v4
	v_cndmask_b32_e32 v2, v2, v4, vcc
	v_cmp_eq_u32_e32 vcc, 0, v1
	s_and_saveexec_b64 s[0:1], vcc
; %bb.24:
	v_lshrrev_b32_e32 v4, 5, v0
	v_and_b32_e32 v4, 2, v4
	ds_write_b16 v4, v2 offset:4
; %bb.25:
	s_or_b64 exec, exec, s[0:1]
	v_cmp_gt_u32_e32 vcc, 2, v0
	s_waitcnt lgkmcnt(0)
	s_barrier
	s_and_saveexec_b64 s[0:1], vcc
	s_cbranch_execz .LBB168_27
; %bb.26:
	v_lshlrev_b32_e32 v2, 1, v1
	ds_read_u16 v2, v2 offset:4
	v_or_b32_e32 v3, 4, v3
	s_add_i32 s4, s4, 63
	v_and_b32_e32 v1, 1, v1
	s_lshr_b32 s4, s4, 6
	s_waitcnt lgkmcnt(0)
	v_and_b32_e32 v4, 0xffff, v2
	ds_bpermute_b32 v3, v3, v4
	v_add_u32_e32 v1, 1, v1
	v_cmp_gt_u32_e32 vcc, s4, v1
	s_waitcnt lgkmcnt(0)
	s_nop 0
	v_cndmask_b32_e32 v1, 0, v3, vcc
	v_add_u16_e32 v2, v1, v2
.LBB168_27:
	s_or_b64 exec, exec, s[0:1]
.LBB168_28:
	v_cmp_eq_u32_e32 vcc, 0, v0
	s_and_saveexec_b64 s[0:1], vcc
	s_cbranch_execnz .LBB168_30
; %bb.29:
	s_endpgm
.LBB168_30:
	s_mul_i32 s0, s22, s21
	s_mul_hi_u32 s1, s22, s20
	s_add_i32 s0, s1, s0
	s_mul_i32 s1, s23, s20
	s_add_i32 s1, s0, s1
	s_mul_i32 s0, s22, s20
	s_lshl_b64 s[0:1], s[0:1], 1
	s_add_u32 s4, s18, s0
	s_addc_u32 s5, s19, s1
	s_cmp_eq_u64 s[16:17], 0
	s_cselect_b64 vcc, -1, 0
	s_lshl_b64 s[0:1], s[2:3], 1
	s_waitcnt lgkmcnt(0)
	v_mov_b32_e32 v0, s26
	s_add_u32 s0, s4, s0
	v_cndmask_b32_e32 v0, v2, v0, vcc
	s_addc_u32 s1, s5, s1
	v_mov_b32_e32 v1, 0
	global_store_short v1, v0, s[0:1]
	s_endpgm
	.section	.rodata,"a",@progbits
	.p2align	6, 0x0
	.amdhsa_kernel _ZN7rocprim17ROCPRIM_400000_NS6detail17trampoline_kernelINS0_14default_configENS1_22reduce_config_selectorItEEZNS1_11reduce_implILb1ES3_N6thrust23THRUST_200600_302600_NS6detail15normal_iteratorINS8_10device_ptrItEEEEPttNS8_4plusItEEEE10hipError_tPvRmT1_T2_T3_mT4_P12ihipStream_tbEUlT_E0_NS1_11comp_targetILNS1_3genE0ELNS1_11target_archE4294967295ELNS1_3gpuE0ELNS1_3repE0EEENS1_30default_config_static_selectorELNS0_4arch9wavefront6targetE1EEEvSK_
		.amdhsa_group_segment_fixed_size 8
		.amdhsa_private_segment_fixed_size 0
		.amdhsa_kernarg_size 56
		.amdhsa_user_sgpr_count 2
		.amdhsa_user_sgpr_dispatch_ptr 0
		.amdhsa_user_sgpr_queue_ptr 0
		.amdhsa_user_sgpr_kernarg_segment_ptr 1
		.amdhsa_user_sgpr_dispatch_id 0
		.amdhsa_user_sgpr_kernarg_preload_length 0
		.amdhsa_user_sgpr_kernarg_preload_offset 0
		.amdhsa_user_sgpr_private_segment_size 0
		.amdhsa_uses_dynamic_stack 0
		.amdhsa_enable_private_segment 0
		.amdhsa_system_sgpr_workgroup_id_x 1
		.amdhsa_system_sgpr_workgroup_id_y 0
		.amdhsa_system_sgpr_workgroup_id_z 0
		.amdhsa_system_sgpr_workgroup_info 0
		.amdhsa_system_vgpr_workitem_id 0
		.amdhsa_next_free_vgpr 14
		.amdhsa_next_free_sgpr 28
		.amdhsa_accum_offset 16
		.amdhsa_reserve_vcc 1
		.amdhsa_float_round_mode_32 0
		.amdhsa_float_round_mode_16_64 0
		.amdhsa_float_denorm_mode_32 3
		.amdhsa_float_denorm_mode_16_64 3
		.amdhsa_dx10_clamp 1
		.amdhsa_ieee_mode 1
		.amdhsa_fp16_overflow 0
		.amdhsa_tg_split 0
		.amdhsa_exception_fp_ieee_invalid_op 0
		.amdhsa_exception_fp_denorm_src 0
		.amdhsa_exception_fp_ieee_div_zero 0
		.amdhsa_exception_fp_ieee_overflow 0
		.amdhsa_exception_fp_ieee_underflow 0
		.amdhsa_exception_fp_ieee_inexact 0
		.amdhsa_exception_int_div_zero 0
	.end_amdhsa_kernel
	.section	.text._ZN7rocprim17ROCPRIM_400000_NS6detail17trampoline_kernelINS0_14default_configENS1_22reduce_config_selectorItEEZNS1_11reduce_implILb1ES3_N6thrust23THRUST_200600_302600_NS6detail15normal_iteratorINS8_10device_ptrItEEEEPttNS8_4plusItEEEE10hipError_tPvRmT1_T2_T3_mT4_P12ihipStream_tbEUlT_E0_NS1_11comp_targetILNS1_3genE0ELNS1_11target_archE4294967295ELNS1_3gpuE0ELNS1_3repE0EEENS1_30default_config_static_selectorELNS0_4arch9wavefront6targetE1EEEvSK_,"axG",@progbits,_ZN7rocprim17ROCPRIM_400000_NS6detail17trampoline_kernelINS0_14default_configENS1_22reduce_config_selectorItEEZNS1_11reduce_implILb1ES3_N6thrust23THRUST_200600_302600_NS6detail15normal_iteratorINS8_10device_ptrItEEEEPttNS8_4plusItEEEE10hipError_tPvRmT1_T2_T3_mT4_P12ihipStream_tbEUlT_E0_NS1_11comp_targetILNS1_3genE0ELNS1_11target_archE4294967295ELNS1_3gpuE0ELNS1_3repE0EEENS1_30default_config_static_selectorELNS0_4arch9wavefront6targetE1EEEvSK_,comdat
.Lfunc_end168:
	.size	_ZN7rocprim17ROCPRIM_400000_NS6detail17trampoline_kernelINS0_14default_configENS1_22reduce_config_selectorItEEZNS1_11reduce_implILb1ES3_N6thrust23THRUST_200600_302600_NS6detail15normal_iteratorINS8_10device_ptrItEEEEPttNS8_4plusItEEEE10hipError_tPvRmT1_T2_T3_mT4_P12ihipStream_tbEUlT_E0_NS1_11comp_targetILNS1_3genE0ELNS1_11target_archE4294967295ELNS1_3gpuE0ELNS1_3repE0EEENS1_30default_config_static_selectorELNS0_4arch9wavefront6targetE1EEEvSK_, .Lfunc_end168-_ZN7rocprim17ROCPRIM_400000_NS6detail17trampoline_kernelINS0_14default_configENS1_22reduce_config_selectorItEEZNS1_11reduce_implILb1ES3_N6thrust23THRUST_200600_302600_NS6detail15normal_iteratorINS8_10device_ptrItEEEEPttNS8_4plusItEEEE10hipError_tPvRmT1_T2_T3_mT4_P12ihipStream_tbEUlT_E0_NS1_11comp_targetILNS1_3genE0ELNS1_11target_archE4294967295ELNS1_3gpuE0ELNS1_3repE0EEENS1_30default_config_static_selectorELNS0_4arch9wavefront6targetE1EEEvSK_
                                        ; -- End function
	.set _ZN7rocprim17ROCPRIM_400000_NS6detail17trampoline_kernelINS0_14default_configENS1_22reduce_config_selectorItEEZNS1_11reduce_implILb1ES3_N6thrust23THRUST_200600_302600_NS6detail15normal_iteratorINS8_10device_ptrItEEEEPttNS8_4plusItEEEE10hipError_tPvRmT1_T2_T3_mT4_P12ihipStream_tbEUlT_E0_NS1_11comp_targetILNS1_3genE0ELNS1_11target_archE4294967295ELNS1_3gpuE0ELNS1_3repE0EEENS1_30default_config_static_selectorELNS0_4arch9wavefront6targetE1EEEvSK_.num_vgpr, 14
	.set _ZN7rocprim17ROCPRIM_400000_NS6detail17trampoline_kernelINS0_14default_configENS1_22reduce_config_selectorItEEZNS1_11reduce_implILb1ES3_N6thrust23THRUST_200600_302600_NS6detail15normal_iteratorINS8_10device_ptrItEEEEPttNS8_4plusItEEEE10hipError_tPvRmT1_T2_T3_mT4_P12ihipStream_tbEUlT_E0_NS1_11comp_targetILNS1_3genE0ELNS1_11target_archE4294967295ELNS1_3gpuE0ELNS1_3repE0EEENS1_30default_config_static_selectorELNS0_4arch9wavefront6targetE1EEEvSK_.num_agpr, 0
	.set _ZN7rocprim17ROCPRIM_400000_NS6detail17trampoline_kernelINS0_14default_configENS1_22reduce_config_selectorItEEZNS1_11reduce_implILb1ES3_N6thrust23THRUST_200600_302600_NS6detail15normal_iteratorINS8_10device_ptrItEEEEPttNS8_4plusItEEEE10hipError_tPvRmT1_T2_T3_mT4_P12ihipStream_tbEUlT_E0_NS1_11comp_targetILNS1_3genE0ELNS1_11target_archE4294967295ELNS1_3gpuE0ELNS1_3repE0EEENS1_30default_config_static_selectorELNS0_4arch9wavefront6targetE1EEEvSK_.numbered_sgpr, 28
	.set _ZN7rocprim17ROCPRIM_400000_NS6detail17trampoline_kernelINS0_14default_configENS1_22reduce_config_selectorItEEZNS1_11reduce_implILb1ES3_N6thrust23THRUST_200600_302600_NS6detail15normal_iteratorINS8_10device_ptrItEEEEPttNS8_4plusItEEEE10hipError_tPvRmT1_T2_T3_mT4_P12ihipStream_tbEUlT_E0_NS1_11comp_targetILNS1_3genE0ELNS1_11target_archE4294967295ELNS1_3gpuE0ELNS1_3repE0EEENS1_30default_config_static_selectorELNS0_4arch9wavefront6targetE1EEEvSK_.num_named_barrier, 0
	.set _ZN7rocprim17ROCPRIM_400000_NS6detail17trampoline_kernelINS0_14default_configENS1_22reduce_config_selectorItEEZNS1_11reduce_implILb1ES3_N6thrust23THRUST_200600_302600_NS6detail15normal_iteratorINS8_10device_ptrItEEEEPttNS8_4plusItEEEE10hipError_tPvRmT1_T2_T3_mT4_P12ihipStream_tbEUlT_E0_NS1_11comp_targetILNS1_3genE0ELNS1_11target_archE4294967295ELNS1_3gpuE0ELNS1_3repE0EEENS1_30default_config_static_selectorELNS0_4arch9wavefront6targetE1EEEvSK_.private_seg_size, 0
	.set _ZN7rocprim17ROCPRIM_400000_NS6detail17trampoline_kernelINS0_14default_configENS1_22reduce_config_selectorItEEZNS1_11reduce_implILb1ES3_N6thrust23THRUST_200600_302600_NS6detail15normal_iteratorINS8_10device_ptrItEEEEPttNS8_4plusItEEEE10hipError_tPvRmT1_T2_T3_mT4_P12ihipStream_tbEUlT_E0_NS1_11comp_targetILNS1_3genE0ELNS1_11target_archE4294967295ELNS1_3gpuE0ELNS1_3repE0EEENS1_30default_config_static_selectorELNS0_4arch9wavefront6targetE1EEEvSK_.uses_vcc, 1
	.set _ZN7rocprim17ROCPRIM_400000_NS6detail17trampoline_kernelINS0_14default_configENS1_22reduce_config_selectorItEEZNS1_11reduce_implILb1ES3_N6thrust23THRUST_200600_302600_NS6detail15normal_iteratorINS8_10device_ptrItEEEEPttNS8_4plusItEEEE10hipError_tPvRmT1_T2_T3_mT4_P12ihipStream_tbEUlT_E0_NS1_11comp_targetILNS1_3genE0ELNS1_11target_archE4294967295ELNS1_3gpuE0ELNS1_3repE0EEENS1_30default_config_static_selectorELNS0_4arch9wavefront6targetE1EEEvSK_.uses_flat_scratch, 0
	.set _ZN7rocprim17ROCPRIM_400000_NS6detail17trampoline_kernelINS0_14default_configENS1_22reduce_config_selectorItEEZNS1_11reduce_implILb1ES3_N6thrust23THRUST_200600_302600_NS6detail15normal_iteratorINS8_10device_ptrItEEEEPttNS8_4plusItEEEE10hipError_tPvRmT1_T2_T3_mT4_P12ihipStream_tbEUlT_E0_NS1_11comp_targetILNS1_3genE0ELNS1_11target_archE4294967295ELNS1_3gpuE0ELNS1_3repE0EEENS1_30default_config_static_selectorELNS0_4arch9wavefront6targetE1EEEvSK_.has_dyn_sized_stack, 0
	.set _ZN7rocprim17ROCPRIM_400000_NS6detail17trampoline_kernelINS0_14default_configENS1_22reduce_config_selectorItEEZNS1_11reduce_implILb1ES3_N6thrust23THRUST_200600_302600_NS6detail15normal_iteratorINS8_10device_ptrItEEEEPttNS8_4plusItEEEE10hipError_tPvRmT1_T2_T3_mT4_P12ihipStream_tbEUlT_E0_NS1_11comp_targetILNS1_3genE0ELNS1_11target_archE4294967295ELNS1_3gpuE0ELNS1_3repE0EEENS1_30default_config_static_selectorELNS0_4arch9wavefront6targetE1EEEvSK_.has_recursion, 0
	.set _ZN7rocprim17ROCPRIM_400000_NS6detail17trampoline_kernelINS0_14default_configENS1_22reduce_config_selectorItEEZNS1_11reduce_implILb1ES3_N6thrust23THRUST_200600_302600_NS6detail15normal_iteratorINS8_10device_ptrItEEEEPttNS8_4plusItEEEE10hipError_tPvRmT1_T2_T3_mT4_P12ihipStream_tbEUlT_E0_NS1_11comp_targetILNS1_3genE0ELNS1_11target_archE4294967295ELNS1_3gpuE0ELNS1_3repE0EEENS1_30default_config_static_selectorELNS0_4arch9wavefront6targetE1EEEvSK_.has_indirect_call, 0
	.section	.AMDGPU.csdata,"",@progbits
; Kernel info:
; codeLenInByte = 1684
; TotalNumSgprs: 34
; NumVgprs: 14
; NumAgprs: 0
; TotalNumVgprs: 14
; ScratchSize: 0
; MemoryBound: 0
; FloatMode: 240
; IeeeMode: 1
; LDSByteSize: 8 bytes/workgroup (compile time only)
; SGPRBlocks: 4
; VGPRBlocks: 1
; NumSGPRsForWavesPerEU: 34
; NumVGPRsForWavesPerEU: 14
; AccumOffset: 16
; Occupancy: 8
; WaveLimiterHint : 1
; COMPUTE_PGM_RSRC2:SCRATCH_EN: 0
; COMPUTE_PGM_RSRC2:USER_SGPR: 2
; COMPUTE_PGM_RSRC2:TRAP_HANDLER: 0
; COMPUTE_PGM_RSRC2:TGID_X_EN: 1
; COMPUTE_PGM_RSRC2:TGID_Y_EN: 0
; COMPUTE_PGM_RSRC2:TGID_Z_EN: 0
; COMPUTE_PGM_RSRC2:TIDIG_COMP_CNT: 0
; COMPUTE_PGM_RSRC3_GFX90A:ACCUM_OFFSET: 3
; COMPUTE_PGM_RSRC3_GFX90A:TG_SPLIT: 0
	.section	.text._ZN7rocprim17ROCPRIM_400000_NS6detail17trampoline_kernelINS0_14default_configENS1_22reduce_config_selectorItEEZNS1_11reduce_implILb1ES3_N6thrust23THRUST_200600_302600_NS6detail15normal_iteratorINS8_10device_ptrItEEEEPttNS8_4plusItEEEE10hipError_tPvRmT1_T2_T3_mT4_P12ihipStream_tbEUlT_E0_NS1_11comp_targetILNS1_3genE5ELNS1_11target_archE942ELNS1_3gpuE9ELNS1_3repE0EEENS1_30default_config_static_selectorELNS0_4arch9wavefront6targetE1EEEvSK_,"axG",@progbits,_ZN7rocprim17ROCPRIM_400000_NS6detail17trampoline_kernelINS0_14default_configENS1_22reduce_config_selectorItEEZNS1_11reduce_implILb1ES3_N6thrust23THRUST_200600_302600_NS6detail15normal_iteratorINS8_10device_ptrItEEEEPttNS8_4plusItEEEE10hipError_tPvRmT1_T2_T3_mT4_P12ihipStream_tbEUlT_E0_NS1_11comp_targetILNS1_3genE5ELNS1_11target_archE942ELNS1_3gpuE9ELNS1_3repE0EEENS1_30default_config_static_selectorELNS0_4arch9wavefront6targetE1EEEvSK_,comdat
	.protected	_ZN7rocprim17ROCPRIM_400000_NS6detail17trampoline_kernelINS0_14default_configENS1_22reduce_config_selectorItEEZNS1_11reduce_implILb1ES3_N6thrust23THRUST_200600_302600_NS6detail15normal_iteratorINS8_10device_ptrItEEEEPttNS8_4plusItEEEE10hipError_tPvRmT1_T2_T3_mT4_P12ihipStream_tbEUlT_E0_NS1_11comp_targetILNS1_3genE5ELNS1_11target_archE942ELNS1_3gpuE9ELNS1_3repE0EEENS1_30default_config_static_selectorELNS0_4arch9wavefront6targetE1EEEvSK_ ; -- Begin function _ZN7rocprim17ROCPRIM_400000_NS6detail17trampoline_kernelINS0_14default_configENS1_22reduce_config_selectorItEEZNS1_11reduce_implILb1ES3_N6thrust23THRUST_200600_302600_NS6detail15normal_iteratorINS8_10device_ptrItEEEEPttNS8_4plusItEEEE10hipError_tPvRmT1_T2_T3_mT4_P12ihipStream_tbEUlT_E0_NS1_11comp_targetILNS1_3genE5ELNS1_11target_archE942ELNS1_3gpuE9ELNS1_3repE0EEENS1_30default_config_static_selectorELNS0_4arch9wavefront6targetE1EEEvSK_
	.globl	_ZN7rocprim17ROCPRIM_400000_NS6detail17trampoline_kernelINS0_14default_configENS1_22reduce_config_selectorItEEZNS1_11reduce_implILb1ES3_N6thrust23THRUST_200600_302600_NS6detail15normal_iteratorINS8_10device_ptrItEEEEPttNS8_4plusItEEEE10hipError_tPvRmT1_T2_T3_mT4_P12ihipStream_tbEUlT_E0_NS1_11comp_targetILNS1_3genE5ELNS1_11target_archE942ELNS1_3gpuE9ELNS1_3repE0EEENS1_30default_config_static_selectorELNS0_4arch9wavefront6targetE1EEEvSK_
	.p2align	8
	.type	_ZN7rocprim17ROCPRIM_400000_NS6detail17trampoline_kernelINS0_14default_configENS1_22reduce_config_selectorItEEZNS1_11reduce_implILb1ES3_N6thrust23THRUST_200600_302600_NS6detail15normal_iteratorINS8_10device_ptrItEEEEPttNS8_4plusItEEEE10hipError_tPvRmT1_T2_T3_mT4_P12ihipStream_tbEUlT_E0_NS1_11comp_targetILNS1_3genE5ELNS1_11target_archE942ELNS1_3gpuE9ELNS1_3repE0EEENS1_30default_config_static_selectorELNS0_4arch9wavefront6targetE1EEEvSK_,@function
_ZN7rocprim17ROCPRIM_400000_NS6detail17trampoline_kernelINS0_14default_configENS1_22reduce_config_selectorItEEZNS1_11reduce_implILb1ES3_N6thrust23THRUST_200600_302600_NS6detail15normal_iteratorINS8_10device_ptrItEEEEPttNS8_4plusItEEEE10hipError_tPvRmT1_T2_T3_mT4_P12ihipStream_tbEUlT_E0_NS1_11comp_targetILNS1_3genE5ELNS1_11target_archE942ELNS1_3gpuE9ELNS1_3repE0EEENS1_30default_config_static_selectorELNS0_4arch9wavefront6targetE1EEEvSK_: ; @_ZN7rocprim17ROCPRIM_400000_NS6detail17trampoline_kernelINS0_14default_configENS1_22reduce_config_selectorItEEZNS1_11reduce_implILb1ES3_N6thrust23THRUST_200600_302600_NS6detail15normal_iteratorINS8_10device_ptrItEEEEPttNS8_4plusItEEEE10hipError_tPvRmT1_T2_T3_mT4_P12ihipStream_tbEUlT_E0_NS1_11comp_targetILNS1_3genE5ELNS1_11target_archE942ELNS1_3gpuE9ELNS1_3repE0EEENS1_30default_config_static_selectorELNS0_4arch9wavefront6targetE1EEEvSK_
; %bb.0:
	.section	.rodata,"a",@progbits
	.p2align	6, 0x0
	.amdhsa_kernel _ZN7rocprim17ROCPRIM_400000_NS6detail17trampoline_kernelINS0_14default_configENS1_22reduce_config_selectorItEEZNS1_11reduce_implILb1ES3_N6thrust23THRUST_200600_302600_NS6detail15normal_iteratorINS8_10device_ptrItEEEEPttNS8_4plusItEEEE10hipError_tPvRmT1_T2_T3_mT4_P12ihipStream_tbEUlT_E0_NS1_11comp_targetILNS1_3genE5ELNS1_11target_archE942ELNS1_3gpuE9ELNS1_3repE0EEENS1_30default_config_static_selectorELNS0_4arch9wavefront6targetE1EEEvSK_
		.amdhsa_group_segment_fixed_size 0
		.amdhsa_private_segment_fixed_size 0
		.amdhsa_kernarg_size 56
		.amdhsa_user_sgpr_count 2
		.amdhsa_user_sgpr_dispatch_ptr 0
		.amdhsa_user_sgpr_queue_ptr 0
		.amdhsa_user_sgpr_kernarg_segment_ptr 1
		.amdhsa_user_sgpr_dispatch_id 0
		.amdhsa_user_sgpr_kernarg_preload_length 0
		.amdhsa_user_sgpr_kernarg_preload_offset 0
		.amdhsa_user_sgpr_private_segment_size 0
		.amdhsa_uses_dynamic_stack 0
		.amdhsa_enable_private_segment 0
		.amdhsa_system_sgpr_workgroup_id_x 1
		.amdhsa_system_sgpr_workgroup_id_y 0
		.amdhsa_system_sgpr_workgroup_id_z 0
		.amdhsa_system_sgpr_workgroup_info 0
		.amdhsa_system_vgpr_workitem_id 0
		.amdhsa_next_free_vgpr 1
		.amdhsa_next_free_sgpr 0
		.amdhsa_accum_offset 4
		.amdhsa_reserve_vcc 0
		.amdhsa_float_round_mode_32 0
		.amdhsa_float_round_mode_16_64 0
		.amdhsa_float_denorm_mode_32 3
		.amdhsa_float_denorm_mode_16_64 3
		.amdhsa_dx10_clamp 1
		.amdhsa_ieee_mode 1
		.amdhsa_fp16_overflow 0
		.amdhsa_tg_split 0
		.amdhsa_exception_fp_ieee_invalid_op 0
		.amdhsa_exception_fp_denorm_src 0
		.amdhsa_exception_fp_ieee_div_zero 0
		.amdhsa_exception_fp_ieee_overflow 0
		.amdhsa_exception_fp_ieee_underflow 0
		.amdhsa_exception_fp_ieee_inexact 0
		.amdhsa_exception_int_div_zero 0
	.end_amdhsa_kernel
	.section	.text._ZN7rocprim17ROCPRIM_400000_NS6detail17trampoline_kernelINS0_14default_configENS1_22reduce_config_selectorItEEZNS1_11reduce_implILb1ES3_N6thrust23THRUST_200600_302600_NS6detail15normal_iteratorINS8_10device_ptrItEEEEPttNS8_4plusItEEEE10hipError_tPvRmT1_T2_T3_mT4_P12ihipStream_tbEUlT_E0_NS1_11comp_targetILNS1_3genE5ELNS1_11target_archE942ELNS1_3gpuE9ELNS1_3repE0EEENS1_30default_config_static_selectorELNS0_4arch9wavefront6targetE1EEEvSK_,"axG",@progbits,_ZN7rocprim17ROCPRIM_400000_NS6detail17trampoline_kernelINS0_14default_configENS1_22reduce_config_selectorItEEZNS1_11reduce_implILb1ES3_N6thrust23THRUST_200600_302600_NS6detail15normal_iteratorINS8_10device_ptrItEEEEPttNS8_4plusItEEEE10hipError_tPvRmT1_T2_T3_mT4_P12ihipStream_tbEUlT_E0_NS1_11comp_targetILNS1_3genE5ELNS1_11target_archE942ELNS1_3gpuE9ELNS1_3repE0EEENS1_30default_config_static_selectorELNS0_4arch9wavefront6targetE1EEEvSK_,comdat
.Lfunc_end169:
	.size	_ZN7rocprim17ROCPRIM_400000_NS6detail17trampoline_kernelINS0_14default_configENS1_22reduce_config_selectorItEEZNS1_11reduce_implILb1ES3_N6thrust23THRUST_200600_302600_NS6detail15normal_iteratorINS8_10device_ptrItEEEEPttNS8_4plusItEEEE10hipError_tPvRmT1_T2_T3_mT4_P12ihipStream_tbEUlT_E0_NS1_11comp_targetILNS1_3genE5ELNS1_11target_archE942ELNS1_3gpuE9ELNS1_3repE0EEENS1_30default_config_static_selectorELNS0_4arch9wavefront6targetE1EEEvSK_, .Lfunc_end169-_ZN7rocprim17ROCPRIM_400000_NS6detail17trampoline_kernelINS0_14default_configENS1_22reduce_config_selectorItEEZNS1_11reduce_implILb1ES3_N6thrust23THRUST_200600_302600_NS6detail15normal_iteratorINS8_10device_ptrItEEEEPttNS8_4plusItEEEE10hipError_tPvRmT1_T2_T3_mT4_P12ihipStream_tbEUlT_E0_NS1_11comp_targetILNS1_3genE5ELNS1_11target_archE942ELNS1_3gpuE9ELNS1_3repE0EEENS1_30default_config_static_selectorELNS0_4arch9wavefront6targetE1EEEvSK_
                                        ; -- End function
	.set _ZN7rocprim17ROCPRIM_400000_NS6detail17trampoline_kernelINS0_14default_configENS1_22reduce_config_selectorItEEZNS1_11reduce_implILb1ES3_N6thrust23THRUST_200600_302600_NS6detail15normal_iteratorINS8_10device_ptrItEEEEPttNS8_4plusItEEEE10hipError_tPvRmT1_T2_T3_mT4_P12ihipStream_tbEUlT_E0_NS1_11comp_targetILNS1_3genE5ELNS1_11target_archE942ELNS1_3gpuE9ELNS1_3repE0EEENS1_30default_config_static_selectorELNS0_4arch9wavefront6targetE1EEEvSK_.num_vgpr, 0
	.set _ZN7rocprim17ROCPRIM_400000_NS6detail17trampoline_kernelINS0_14default_configENS1_22reduce_config_selectorItEEZNS1_11reduce_implILb1ES3_N6thrust23THRUST_200600_302600_NS6detail15normal_iteratorINS8_10device_ptrItEEEEPttNS8_4plusItEEEE10hipError_tPvRmT1_T2_T3_mT4_P12ihipStream_tbEUlT_E0_NS1_11comp_targetILNS1_3genE5ELNS1_11target_archE942ELNS1_3gpuE9ELNS1_3repE0EEENS1_30default_config_static_selectorELNS0_4arch9wavefront6targetE1EEEvSK_.num_agpr, 0
	.set _ZN7rocprim17ROCPRIM_400000_NS6detail17trampoline_kernelINS0_14default_configENS1_22reduce_config_selectorItEEZNS1_11reduce_implILb1ES3_N6thrust23THRUST_200600_302600_NS6detail15normal_iteratorINS8_10device_ptrItEEEEPttNS8_4plusItEEEE10hipError_tPvRmT1_T2_T3_mT4_P12ihipStream_tbEUlT_E0_NS1_11comp_targetILNS1_3genE5ELNS1_11target_archE942ELNS1_3gpuE9ELNS1_3repE0EEENS1_30default_config_static_selectorELNS0_4arch9wavefront6targetE1EEEvSK_.numbered_sgpr, 0
	.set _ZN7rocprim17ROCPRIM_400000_NS6detail17trampoline_kernelINS0_14default_configENS1_22reduce_config_selectorItEEZNS1_11reduce_implILb1ES3_N6thrust23THRUST_200600_302600_NS6detail15normal_iteratorINS8_10device_ptrItEEEEPttNS8_4plusItEEEE10hipError_tPvRmT1_T2_T3_mT4_P12ihipStream_tbEUlT_E0_NS1_11comp_targetILNS1_3genE5ELNS1_11target_archE942ELNS1_3gpuE9ELNS1_3repE0EEENS1_30default_config_static_selectorELNS0_4arch9wavefront6targetE1EEEvSK_.num_named_barrier, 0
	.set _ZN7rocprim17ROCPRIM_400000_NS6detail17trampoline_kernelINS0_14default_configENS1_22reduce_config_selectorItEEZNS1_11reduce_implILb1ES3_N6thrust23THRUST_200600_302600_NS6detail15normal_iteratorINS8_10device_ptrItEEEEPttNS8_4plusItEEEE10hipError_tPvRmT1_T2_T3_mT4_P12ihipStream_tbEUlT_E0_NS1_11comp_targetILNS1_3genE5ELNS1_11target_archE942ELNS1_3gpuE9ELNS1_3repE0EEENS1_30default_config_static_selectorELNS0_4arch9wavefront6targetE1EEEvSK_.private_seg_size, 0
	.set _ZN7rocprim17ROCPRIM_400000_NS6detail17trampoline_kernelINS0_14default_configENS1_22reduce_config_selectorItEEZNS1_11reduce_implILb1ES3_N6thrust23THRUST_200600_302600_NS6detail15normal_iteratorINS8_10device_ptrItEEEEPttNS8_4plusItEEEE10hipError_tPvRmT1_T2_T3_mT4_P12ihipStream_tbEUlT_E0_NS1_11comp_targetILNS1_3genE5ELNS1_11target_archE942ELNS1_3gpuE9ELNS1_3repE0EEENS1_30default_config_static_selectorELNS0_4arch9wavefront6targetE1EEEvSK_.uses_vcc, 0
	.set _ZN7rocprim17ROCPRIM_400000_NS6detail17trampoline_kernelINS0_14default_configENS1_22reduce_config_selectorItEEZNS1_11reduce_implILb1ES3_N6thrust23THRUST_200600_302600_NS6detail15normal_iteratorINS8_10device_ptrItEEEEPttNS8_4plusItEEEE10hipError_tPvRmT1_T2_T3_mT4_P12ihipStream_tbEUlT_E0_NS1_11comp_targetILNS1_3genE5ELNS1_11target_archE942ELNS1_3gpuE9ELNS1_3repE0EEENS1_30default_config_static_selectorELNS0_4arch9wavefront6targetE1EEEvSK_.uses_flat_scratch, 0
	.set _ZN7rocprim17ROCPRIM_400000_NS6detail17trampoline_kernelINS0_14default_configENS1_22reduce_config_selectorItEEZNS1_11reduce_implILb1ES3_N6thrust23THRUST_200600_302600_NS6detail15normal_iteratorINS8_10device_ptrItEEEEPttNS8_4plusItEEEE10hipError_tPvRmT1_T2_T3_mT4_P12ihipStream_tbEUlT_E0_NS1_11comp_targetILNS1_3genE5ELNS1_11target_archE942ELNS1_3gpuE9ELNS1_3repE0EEENS1_30default_config_static_selectorELNS0_4arch9wavefront6targetE1EEEvSK_.has_dyn_sized_stack, 0
	.set _ZN7rocprim17ROCPRIM_400000_NS6detail17trampoline_kernelINS0_14default_configENS1_22reduce_config_selectorItEEZNS1_11reduce_implILb1ES3_N6thrust23THRUST_200600_302600_NS6detail15normal_iteratorINS8_10device_ptrItEEEEPttNS8_4plusItEEEE10hipError_tPvRmT1_T2_T3_mT4_P12ihipStream_tbEUlT_E0_NS1_11comp_targetILNS1_3genE5ELNS1_11target_archE942ELNS1_3gpuE9ELNS1_3repE0EEENS1_30default_config_static_selectorELNS0_4arch9wavefront6targetE1EEEvSK_.has_recursion, 0
	.set _ZN7rocprim17ROCPRIM_400000_NS6detail17trampoline_kernelINS0_14default_configENS1_22reduce_config_selectorItEEZNS1_11reduce_implILb1ES3_N6thrust23THRUST_200600_302600_NS6detail15normal_iteratorINS8_10device_ptrItEEEEPttNS8_4plusItEEEE10hipError_tPvRmT1_T2_T3_mT4_P12ihipStream_tbEUlT_E0_NS1_11comp_targetILNS1_3genE5ELNS1_11target_archE942ELNS1_3gpuE9ELNS1_3repE0EEENS1_30default_config_static_selectorELNS0_4arch9wavefront6targetE1EEEvSK_.has_indirect_call, 0
	.section	.AMDGPU.csdata,"",@progbits
; Kernel info:
; codeLenInByte = 0
; TotalNumSgprs: 6
; NumVgprs: 0
; NumAgprs: 0
; TotalNumVgprs: 0
; ScratchSize: 0
; MemoryBound: 0
; FloatMode: 240
; IeeeMode: 1
; LDSByteSize: 0 bytes/workgroup (compile time only)
; SGPRBlocks: 0
; VGPRBlocks: 0
; NumSGPRsForWavesPerEU: 6
; NumVGPRsForWavesPerEU: 1
; AccumOffset: 4
; Occupancy: 8
; WaveLimiterHint : 0
; COMPUTE_PGM_RSRC2:SCRATCH_EN: 0
; COMPUTE_PGM_RSRC2:USER_SGPR: 2
; COMPUTE_PGM_RSRC2:TRAP_HANDLER: 0
; COMPUTE_PGM_RSRC2:TGID_X_EN: 1
; COMPUTE_PGM_RSRC2:TGID_Y_EN: 0
; COMPUTE_PGM_RSRC2:TGID_Z_EN: 0
; COMPUTE_PGM_RSRC2:TIDIG_COMP_CNT: 0
; COMPUTE_PGM_RSRC3_GFX90A:ACCUM_OFFSET: 0
; COMPUTE_PGM_RSRC3_GFX90A:TG_SPLIT: 0
	.section	.text._ZN7rocprim17ROCPRIM_400000_NS6detail17trampoline_kernelINS0_14default_configENS1_22reduce_config_selectorItEEZNS1_11reduce_implILb1ES3_N6thrust23THRUST_200600_302600_NS6detail15normal_iteratorINS8_10device_ptrItEEEEPttNS8_4plusItEEEE10hipError_tPvRmT1_T2_T3_mT4_P12ihipStream_tbEUlT_E0_NS1_11comp_targetILNS1_3genE4ELNS1_11target_archE910ELNS1_3gpuE8ELNS1_3repE0EEENS1_30default_config_static_selectorELNS0_4arch9wavefront6targetE1EEEvSK_,"axG",@progbits,_ZN7rocprim17ROCPRIM_400000_NS6detail17trampoline_kernelINS0_14default_configENS1_22reduce_config_selectorItEEZNS1_11reduce_implILb1ES3_N6thrust23THRUST_200600_302600_NS6detail15normal_iteratorINS8_10device_ptrItEEEEPttNS8_4plusItEEEE10hipError_tPvRmT1_T2_T3_mT4_P12ihipStream_tbEUlT_E0_NS1_11comp_targetILNS1_3genE4ELNS1_11target_archE910ELNS1_3gpuE8ELNS1_3repE0EEENS1_30default_config_static_selectorELNS0_4arch9wavefront6targetE1EEEvSK_,comdat
	.protected	_ZN7rocprim17ROCPRIM_400000_NS6detail17trampoline_kernelINS0_14default_configENS1_22reduce_config_selectorItEEZNS1_11reduce_implILb1ES3_N6thrust23THRUST_200600_302600_NS6detail15normal_iteratorINS8_10device_ptrItEEEEPttNS8_4plusItEEEE10hipError_tPvRmT1_T2_T3_mT4_P12ihipStream_tbEUlT_E0_NS1_11comp_targetILNS1_3genE4ELNS1_11target_archE910ELNS1_3gpuE8ELNS1_3repE0EEENS1_30default_config_static_selectorELNS0_4arch9wavefront6targetE1EEEvSK_ ; -- Begin function _ZN7rocprim17ROCPRIM_400000_NS6detail17trampoline_kernelINS0_14default_configENS1_22reduce_config_selectorItEEZNS1_11reduce_implILb1ES3_N6thrust23THRUST_200600_302600_NS6detail15normal_iteratorINS8_10device_ptrItEEEEPttNS8_4plusItEEEE10hipError_tPvRmT1_T2_T3_mT4_P12ihipStream_tbEUlT_E0_NS1_11comp_targetILNS1_3genE4ELNS1_11target_archE910ELNS1_3gpuE8ELNS1_3repE0EEENS1_30default_config_static_selectorELNS0_4arch9wavefront6targetE1EEEvSK_
	.globl	_ZN7rocprim17ROCPRIM_400000_NS6detail17trampoline_kernelINS0_14default_configENS1_22reduce_config_selectorItEEZNS1_11reduce_implILb1ES3_N6thrust23THRUST_200600_302600_NS6detail15normal_iteratorINS8_10device_ptrItEEEEPttNS8_4plusItEEEE10hipError_tPvRmT1_T2_T3_mT4_P12ihipStream_tbEUlT_E0_NS1_11comp_targetILNS1_3genE4ELNS1_11target_archE910ELNS1_3gpuE8ELNS1_3repE0EEENS1_30default_config_static_selectorELNS0_4arch9wavefront6targetE1EEEvSK_
	.p2align	8
	.type	_ZN7rocprim17ROCPRIM_400000_NS6detail17trampoline_kernelINS0_14default_configENS1_22reduce_config_selectorItEEZNS1_11reduce_implILb1ES3_N6thrust23THRUST_200600_302600_NS6detail15normal_iteratorINS8_10device_ptrItEEEEPttNS8_4plusItEEEE10hipError_tPvRmT1_T2_T3_mT4_P12ihipStream_tbEUlT_E0_NS1_11comp_targetILNS1_3genE4ELNS1_11target_archE910ELNS1_3gpuE8ELNS1_3repE0EEENS1_30default_config_static_selectorELNS0_4arch9wavefront6targetE1EEEvSK_,@function
_ZN7rocprim17ROCPRIM_400000_NS6detail17trampoline_kernelINS0_14default_configENS1_22reduce_config_selectorItEEZNS1_11reduce_implILb1ES3_N6thrust23THRUST_200600_302600_NS6detail15normal_iteratorINS8_10device_ptrItEEEEPttNS8_4plusItEEEE10hipError_tPvRmT1_T2_T3_mT4_P12ihipStream_tbEUlT_E0_NS1_11comp_targetILNS1_3genE4ELNS1_11target_archE910ELNS1_3gpuE8ELNS1_3repE0EEENS1_30default_config_static_selectorELNS0_4arch9wavefront6targetE1EEEvSK_: ; @_ZN7rocprim17ROCPRIM_400000_NS6detail17trampoline_kernelINS0_14default_configENS1_22reduce_config_selectorItEEZNS1_11reduce_implILb1ES3_N6thrust23THRUST_200600_302600_NS6detail15normal_iteratorINS8_10device_ptrItEEEEPttNS8_4plusItEEEE10hipError_tPvRmT1_T2_T3_mT4_P12ihipStream_tbEUlT_E0_NS1_11comp_targetILNS1_3genE4ELNS1_11target_archE910ELNS1_3gpuE8ELNS1_3repE0EEENS1_30default_config_static_selectorELNS0_4arch9wavefront6targetE1EEEvSK_
; %bb.0:
	.section	.rodata,"a",@progbits
	.p2align	6, 0x0
	.amdhsa_kernel _ZN7rocprim17ROCPRIM_400000_NS6detail17trampoline_kernelINS0_14default_configENS1_22reduce_config_selectorItEEZNS1_11reduce_implILb1ES3_N6thrust23THRUST_200600_302600_NS6detail15normal_iteratorINS8_10device_ptrItEEEEPttNS8_4plusItEEEE10hipError_tPvRmT1_T2_T3_mT4_P12ihipStream_tbEUlT_E0_NS1_11comp_targetILNS1_3genE4ELNS1_11target_archE910ELNS1_3gpuE8ELNS1_3repE0EEENS1_30default_config_static_selectorELNS0_4arch9wavefront6targetE1EEEvSK_
		.amdhsa_group_segment_fixed_size 0
		.amdhsa_private_segment_fixed_size 0
		.amdhsa_kernarg_size 56
		.amdhsa_user_sgpr_count 2
		.amdhsa_user_sgpr_dispatch_ptr 0
		.amdhsa_user_sgpr_queue_ptr 0
		.amdhsa_user_sgpr_kernarg_segment_ptr 1
		.amdhsa_user_sgpr_dispatch_id 0
		.amdhsa_user_sgpr_kernarg_preload_length 0
		.amdhsa_user_sgpr_kernarg_preload_offset 0
		.amdhsa_user_sgpr_private_segment_size 0
		.amdhsa_uses_dynamic_stack 0
		.amdhsa_enable_private_segment 0
		.amdhsa_system_sgpr_workgroup_id_x 1
		.amdhsa_system_sgpr_workgroup_id_y 0
		.amdhsa_system_sgpr_workgroup_id_z 0
		.amdhsa_system_sgpr_workgroup_info 0
		.amdhsa_system_vgpr_workitem_id 0
		.amdhsa_next_free_vgpr 1
		.amdhsa_next_free_sgpr 0
		.amdhsa_accum_offset 4
		.amdhsa_reserve_vcc 0
		.amdhsa_float_round_mode_32 0
		.amdhsa_float_round_mode_16_64 0
		.amdhsa_float_denorm_mode_32 3
		.amdhsa_float_denorm_mode_16_64 3
		.amdhsa_dx10_clamp 1
		.amdhsa_ieee_mode 1
		.amdhsa_fp16_overflow 0
		.amdhsa_tg_split 0
		.amdhsa_exception_fp_ieee_invalid_op 0
		.amdhsa_exception_fp_denorm_src 0
		.amdhsa_exception_fp_ieee_div_zero 0
		.amdhsa_exception_fp_ieee_overflow 0
		.amdhsa_exception_fp_ieee_underflow 0
		.amdhsa_exception_fp_ieee_inexact 0
		.amdhsa_exception_int_div_zero 0
	.end_amdhsa_kernel
	.section	.text._ZN7rocprim17ROCPRIM_400000_NS6detail17trampoline_kernelINS0_14default_configENS1_22reduce_config_selectorItEEZNS1_11reduce_implILb1ES3_N6thrust23THRUST_200600_302600_NS6detail15normal_iteratorINS8_10device_ptrItEEEEPttNS8_4plusItEEEE10hipError_tPvRmT1_T2_T3_mT4_P12ihipStream_tbEUlT_E0_NS1_11comp_targetILNS1_3genE4ELNS1_11target_archE910ELNS1_3gpuE8ELNS1_3repE0EEENS1_30default_config_static_selectorELNS0_4arch9wavefront6targetE1EEEvSK_,"axG",@progbits,_ZN7rocprim17ROCPRIM_400000_NS6detail17trampoline_kernelINS0_14default_configENS1_22reduce_config_selectorItEEZNS1_11reduce_implILb1ES3_N6thrust23THRUST_200600_302600_NS6detail15normal_iteratorINS8_10device_ptrItEEEEPttNS8_4plusItEEEE10hipError_tPvRmT1_T2_T3_mT4_P12ihipStream_tbEUlT_E0_NS1_11comp_targetILNS1_3genE4ELNS1_11target_archE910ELNS1_3gpuE8ELNS1_3repE0EEENS1_30default_config_static_selectorELNS0_4arch9wavefront6targetE1EEEvSK_,comdat
.Lfunc_end170:
	.size	_ZN7rocprim17ROCPRIM_400000_NS6detail17trampoline_kernelINS0_14default_configENS1_22reduce_config_selectorItEEZNS1_11reduce_implILb1ES3_N6thrust23THRUST_200600_302600_NS6detail15normal_iteratorINS8_10device_ptrItEEEEPttNS8_4plusItEEEE10hipError_tPvRmT1_T2_T3_mT4_P12ihipStream_tbEUlT_E0_NS1_11comp_targetILNS1_3genE4ELNS1_11target_archE910ELNS1_3gpuE8ELNS1_3repE0EEENS1_30default_config_static_selectorELNS0_4arch9wavefront6targetE1EEEvSK_, .Lfunc_end170-_ZN7rocprim17ROCPRIM_400000_NS6detail17trampoline_kernelINS0_14default_configENS1_22reduce_config_selectorItEEZNS1_11reduce_implILb1ES3_N6thrust23THRUST_200600_302600_NS6detail15normal_iteratorINS8_10device_ptrItEEEEPttNS8_4plusItEEEE10hipError_tPvRmT1_T2_T3_mT4_P12ihipStream_tbEUlT_E0_NS1_11comp_targetILNS1_3genE4ELNS1_11target_archE910ELNS1_3gpuE8ELNS1_3repE0EEENS1_30default_config_static_selectorELNS0_4arch9wavefront6targetE1EEEvSK_
                                        ; -- End function
	.set _ZN7rocprim17ROCPRIM_400000_NS6detail17trampoline_kernelINS0_14default_configENS1_22reduce_config_selectorItEEZNS1_11reduce_implILb1ES3_N6thrust23THRUST_200600_302600_NS6detail15normal_iteratorINS8_10device_ptrItEEEEPttNS8_4plusItEEEE10hipError_tPvRmT1_T2_T3_mT4_P12ihipStream_tbEUlT_E0_NS1_11comp_targetILNS1_3genE4ELNS1_11target_archE910ELNS1_3gpuE8ELNS1_3repE0EEENS1_30default_config_static_selectorELNS0_4arch9wavefront6targetE1EEEvSK_.num_vgpr, 0
	.set _ZN7rocprim17ROCPRIM_400000_NS6detail17trampoline_kernelINS0_14default_configENS1_22reduce_config_selectorItEEZNS1_11reduce_implILb1ES3_N6thrust23THRUST_200600_302600_NS6detail15normal_iteratorINS8_10device_ptrItEEEEPttNS8_4plusItEEEE10hipError_tPvRmT1_T2_T3_mT4_P12ihipStream_tbEUlT_E0_NS1_11comp_targetILNS1_3genE4ELNS1_11target_archE910ELNS1_3gpuE8ELNS1_3repE0EEENS1_30default_config_static_selectorELNS0_4arch9wavefront6targetE1EEEvSK_.num_agpr, 0
	.set _ZN7rocprim17ROCPRIM_400000_NS6detail17trampoline_kernelINS0_14default_configENS1_22reduce_config_selectorItEEZNS1_11reduce_implILb1ES3_N6thrust23THRUST_200600_302600_NS6detail15normal_iteratorINS8_10device_ptrItEEEEPttNS8_4plusItEEEE10hipError_tPvRmT1_T2_T3_mT4_P12ihipStream_tbEUlT_E0_NS1_11comp_targetILNS1_3genE4ELNS1_11target_archE910ELNS1_3gpuE8ELNS1_3repE0EEENS1_30default_config_static_selectorELNS0_4arch9wavefront6targetE1EEEvSK_.numbered_sgpr, 0
	.set _ZN7rocprim17ROCPRIM_400000_NS6detail17trampoline_kernelINS0_14default_configENS1_22reduce_config_selectorItEEZNS1_11reduce_implILb1ES3_N6thrust23THRUST_200600_302600_NS6detail15normal_iteratorINS8_10device_ptrItEEEEPttNS8_4plusItEEEE10hipError_tPvRmT1_T2_T3_mT4_P12ihipStream_tbEUlT_E0_NS1_11comp_targetILNS1_3genE4ELNS1_11target_archE910ELNS1_3gpuE8ELNS1_3repE0EEENS1_30default_config_static_selectorELNS0_4arch9wavefront6targetE1EEEvSK_.num_named_barrier, 0
	.set _ZN7rocprim17ROCPRIM_400000_NS6detail17trampoline_kernelINS0_14default_configENS1_22reduce_config_selectorItEEZNS1_11reduce_implILb1ES3_N6thrust23THRUST_200600_302600_NS6detail15normal_iteratorINS8_10device_ptrItEEEEPttNS8_4plusItEEEE10hipError_tPvRmT1_T2_T3_mT4_P12ihipStream_tbEUlT_E0_NS1_11comp_targetILNS1_3genE4ELNS1_11target_archE910ELNS1_3gpuE8ELNS1_3repE0EEENS1_30default_config_static_selectorELNS0_4arch9wavefront6targetE1EEEvSK_.private_seg_size, 0
	.set _ZN7rocprim17ROCPRIM_400000_NS6detail17trampoline_kernelINS0_14default_configENS1_22reduce_config_selectorItEEZNS1_11reduce_implILb1ES3_N6thrust23THRUST_200600_302600_NS6detail15normal_iteratorINS8_10device_ptrItEEEEPttNS8_4plusItEEEE10hipError_tPvRmT1_T2_T3_mT4_P12ihipStream_tbEUlT_E0_NS1_11comp_targetILNS1_3genE4ELNS1_11target_archE910ELNS1_3gpuE8ELNS1_3repE0EEENS1_30default_config_static_selectorELNS0_4arch9wavefront6targetE1EEEvSK_.uses_vcc, 0
	.set _ZN7rocprim17ROCPRIM_400000_NS6detail17trampoline_kernelINS0_14default_configENS1_22reduce_config_selectorItEEZNS1_11reduce_implILb1ES3_N6thrust23THRUST_200600_302600_NS6detail15normal_iteratorINS8_10device_ptrItEEEEPttNS8_4plusItEEEE10hipError_tPvRmT1_T2_T3_mT4_P12ihipStream_tbEUlT_E0_NS1_11comp_targetILNS1_3genE4ELNS1_11target_archE910ELNS1_3gpuE8ELNS1_3repE0EEENS1_30default_config_static_selectorELNS0_4arch9wavefront6targetE1EEEvSK_.uses_flat_scratch, 0
	.set _ZN7rocprim17ROCPRIM_400000_NS6detail17trampoline_kernelINS0_14default_configENS1_22reduce_config_selectorItEEZNS1_11reduce_implILb1ES3_N6thrust23THRUST_200600_302600_NS6detail15normal_iteratorINS8_10device_ptrItEEEEPttNS8_4plusItEEEE10hipError_tPvRmT1_T2_T3_mT4_P12ihipStream_tbEUlT_E0_NS1_11comp_targetILNS1_3genE4ELNS1_11target_archE910ELNS1_3gpuE8ELNS1_3repE0EEENS1_30default_config_static_selectorELNS0_4arch9wavefront6targetE1EEEvSK_.has_dyn_sized_stack, 0
	.set _ZN7rocprim17ROCPRIM_400000_NS6detail17trampoline_kernelINS0_14default_configENS1_22reduce_config_selectorItEEZNS1_11reduce_implILb1ES3_N6thrust23THRUST_200600_302600_NS6detail15normal_iteratorINS8_10device_ptrItEEEEPttNS8_4plusItEEEE10hipError_tPvRmT1_T2_T3_mT4_P12ihipStream_tbEUlT_E0_NS1_11comp_targetILNS1_3genE4ELNS1_11target_archE910ELNS1_3gpuE8ELNS1_3repE0EEENS1_30default_config_static_selectorELNS0_4arch9wavefront6targetE1EEEvSK_.has_recursion, 0
	.set _ZN7rocprim17ROCPRIM_400000_NS6detail17trampoline_kernelINS0_14default_configENS1_22reduce_config_selectorItEEZNS1_11reduce_implILb1ES3_N6thrust23THRUST_200600_302600_NS6detail15normal_iteratorINS8_10device_ptrItEEEEPttNS8_4plusItEEEE10hipError_tPvRmT1_T2_T3_mT4_P12ihipStream_tbEUlT_E0_NS1_11comp_targetILNS1_3genE4ELNS1_11target_archE910ELNS1_3gpuE8ELNS1_3repE0EEENS1_30default_config_static_selectorELNS0_4arch9wavefront6targetE1EEEvSK_.has_indirect_call, 0
	.section	.AMDGPU.csdata,"",@progbits
; Kernel info:
; codeLenInByte = 0
; TotalNumSgprs: 6
; NumVgprs: 0
; NumAgprs: 0
; TotalNumVgprs: 0
; ScratchSize: 0
; MemoryBound: 0
; FloatMode: 240
; IeeeMode: 1
; LDSByteSize: 0 bytes/workgroup (compile time only)
; SGPRBlocks: 0
; VGPRBlocks: 0
; NumSGPRsForWavesPerEU: 6
; NumVGPRsForWavesPerEU: 1
; AccumOffset: 4
; Occupancy: 8
; WaveLimiterHint : 0
; COMPUTE_PGM_RSRC2:SCRATCH_EN: 0
; COMPUTE_PGM_RSRC2:USER_SGPR: 2
; COMPUTE_PGM_RSRC2:TRAP_HANDLER: 0
; COMPUTE_PGM_RSRC2:TGID_X_EN: 1
; COMPUTE_PGM_RSRC2:TGID_Y_EN: 0
; COMPUTE_PGM_RSRC2:TGID_Z_EN: 0
; COMPUTE_PGM_RSRC2:TIDIG_COMP_CNT: 0
; COMPUTE_PGM_RSRC3_GFX90A:ACCUM_OFFSET: 0
; COMPUTE_PGM_RSRC3_GFX90A:TG_SPLIT: 0
	.section	.text._ZN7rocprim17ROCPRIM_400000_NS6detail17trampoline_kernelINS0_14default_configENS1_22reduce_config_selectorItEEZNS1_11reduce_implILb1ES3_N6thrust23THRUST_200600_302600_NS6detail15normal_iteratorINS8_10device_ptrItEEEEPttNS8_4plusItEEEE10hipError_tPvRmT1_T2_T3_mT4_P12ihipStream_tbEUlT_E0_NS1_11comp_targetILNS1_3genE3ELNS1_11target_archE908ELNS1_3gpuE7ELNS1_3repE0EEENS1_30default_config_static_selectorELNS0_4arch9wavefront6targetE1EEEvSK_,"axG",@progbits,_ZN7rocprim17ROCPRIM_400000_NS6detail17trampoline_kernelINS0_14default_configENS1_22reduce_config_selectorItEEZNS1_11reduce_implILb1ES3_N6thrust23THRUST_200600_302600_NS6detail15normal_iteratorINS8_10device_ptrItEEEEPttNS8_4plusItEEEE10hipError_tPvRmT1_T2_T3_mT4_P12ihipStream_tbEUlT_E0_NS1_11comp_targetILNS1_3genE3ELNS1_11target_archE908ELNS1_3gpuE7ELNS1_3repE0EEENS1_30default_config_static_selectorELNS0_4arch9wavefront6targetE1EEEvSK_,comdat
	.protected	_ZN7rocprim17ROCPRIM_400000_NS6detail17trampoline_kernelINS0_14default_configENS1_22reduce_config_selectorItEEZNS1_11reduce_implILb1ES3_N6thrust23THRUST_200600_302600_NS6detail15normal_iteratorINS8_10device_ptrItEEEEPttNS8_4plusItEEEE10hipError_tPvRmT1_T2_T3_mT4_P12ihipStream_tbEUlT_E0_NS1_11comp_targetILNS1_3genE3ELNS1_11target_archE908ELNS1_3gpuE7ELNS1_3repE0EEENS1_30default_config_static_selectorELNS0_4arch9wavefront6targetE1EEEvSK_ ; -- Begin function _ZN7rocprim17ROCPRIM_400000_NS6detail17trampoline_kernelINS0_14default_configENS1_22reduce_config_selectorItEEZNS1_11reduce_implILb1ES3_N6thrust23THRUST_200600_302600_NS6detail15normal_iteratorINS8_10device_ptrItEEEEPttNS8_4plusItEEEE10hipError_tPvRmT1_T2_T3_mT4_P12ihipStream_tbEUlT_E0_NS1_11comp_targetILNS1_3genE3ELNS1_11target_archE908ELNS1_3gpuE7ELNS1_3repE0EEENS1_30default_config_static_selectorELNS0_4arch9wavefront6targetE1EEEvSK_
	.globl	_ZN7rocprim17ROCPRIM_400000_NS6detail17trampoline_kernelINS0_14default_configENS1_22reduce_config_selectorItEEZNS1_11reduce_implILb1ES3_N6thrust23THRUST_200600_302600_NS6detail15normal_iteratorINS8_10device_ptrItEEEEPttNS8_4plusItEEEE10hipError_tPvRmT1_T2_T3_mT4_P12ihipStream_tbEUlT_E0_NS1_11comp_targetILNS1_3genE3ELNS1_11target_archE908ELNS1_3gpuE7ELNS1_3repE0EEENS1_30default_config_static_selectorELNS0_4arch9wavefront6targetE1EEEvSK_
	.p2align	8
	.type	_ZN7rocprim17ROCPRIM_400000_NS6detail17trampoline_kernelINS0_14default_configENS1_22reduce_config_selectorItEEZNS1_11reduce_implILb1ES3_N6thrust23THRUST_200600_302600_NS6detail15normal_iteratorINS8_10device_ptrItEEEEPttNS8_4plusItEEEE10hipError_tPvRmT1_T2_T3_mT4_P12ihipStream_tbEUlT_E0_NS1_11comp_targetILNS1_3genE3ELNS1_11target_archE908ELNS1_3gpuE7ELNS1_3repE0EEENS1_30default_config_static_selectorELNS0_4arch9wavefront6targetE1EEEvSK_,@function
_ZN7rocprim17ROCPRIM_400000_NS6detail17trampoline_kernelINS0_14default_configENS1_22reduce_config_selectorItEEZNS1_11reduce_implILb1ES3_N6thrust23THRUST_200600_302600_NS6detail15normal_iteratorINS8_10device_ptrItEEEEPttNS8_4plusItEEEE10hipError_tPvRmT1_T2_T3_mT4_P12ihipStream_tbEUlT_E0_NS1_11comp_targetILNS1_3genE3ELNS1_11target_archE908ELNS1_3gpuE7ELNS1_3repE0EEENS1_30default_config_static_selectorELNS0_4arch9wavefront6targetE1EEEvSK_: ; @_ZN7rocprim17ROCPRIM_400000_NS6detail17trampoline_kernelINS0_14default_configENS1_22reduce_config_selectorItEEZNS1_11reduce_implILb1ES3_N6thrust23THRUST_200600_302600_NS6detail15normal_iteratorINS8_10device_ptrItEEEEPttNS8_4plusItEEEE10hipError_tPvRmT1_T2_T3_mT4_P12ihipStream_tbEUlT_E0_NS1_11comp_targetILNS1_3genE3ELNS1_11target_archE908ELNS1_3gpuE7ELNS1_3repE0EEENS1_30default_config_static_selectorELNS0_4arch9wavefront6targetE1EEEvSK_
; %bb.0:
	.section	.rodata,"a",@progbits
	.p2align	6, 0x0
	.amdhsa_kernel _ZN7rocprim17ROCPRIM_400000_NS6detail17trampoline_kernelINS0_14default_configENS1_22reduce_config_selectorItEEZNS1_11reduce_implILb1ES3_N6thrust23THRUST_200600_302600_NS6detail15normal_iteratorINS8_10device_ptrItEEEEPttNS8_4plusItEEEE10hipError_tPvRmT1_T2_T3_mT4_P12ihipStream_tbEUlT_E0_NS1_11comp_targetILNS1_3genE3ELNS1_11target_archE908ELNS1_3gpuE7ELNS1_3repE0EEENS1_30default_config_static_selectorELNS0_4arch9wavefront6targetE1EEEvSK_
		.amdhsa_group_segment_fixed_size 0
		.amdhsa_private_segment_fixed_size 0
		.amdhsa_kernarg_size 56
		.amdhsa_user_sgpr_count 2
		.amdhsa_user_sgpr_dispatch_ptr 0
		.amdhsa_user_sgpr_queue_ptr 0
		.amdhsa_user_sgpr_kernarg_segment_ptr 1
		.amdhsa_user_sgpr_dispatch_id 0
		.amdhsa_user_sgpr_kernarg_preload_length 0
		.amdhsa_user_sgpr_kernarg_preload_offset 0
		.amdhsa_user_sgpr_private_segment_size 0
		.amdhsa_uses_dynamic_stack 0
		.amdhsa_enable_private_segment 0
		.amdhsa_system_sgpr_workgroup_id_x 1
		.amdhsa_system_sgpr_workgroup_id_y 0
		.amdhsa_system_sgpr_workgroup_id_z 0
		.amdhsa_system_sgpr_workgroup_info 0
		.amdhsa_system_vgpr_workitem_id 0
		.amdhsa_next_free_vgpr 1
		.amdhsa_next_free_sgpr 0
		.amdhsa_accum_offset 4
		.amdhsa_reserve_vcc 0
		.amdhsa_float_round_mode_32 0
		.amdhsa_float_round_mode_16_64 0
		.amdhsa_float_denorm_mode_32 3
		.amdhsa_float_denorm_mode_16_64 3
		.amdhsa_dx10_clamp 1
		.amdhsa_ieee_mode 1
		.amdhsa_fp16_overflow 0
		.amdhsa_tg_split 0
		.amdhsa_exception_fp_ieee_invalid_op 0
		.amdhsa_exception_fp_denorm_src 0
		.amdhsa_exception_fp_ieee_div_zero 0
		.amdhsa_exception_fp_ieee_overflow 0
		.amdhsa_exception_fp_ieee_underflow 0
		.amdhsa_exception_fp_ieee_inexact 0
		.amdhsa_exception_int_div_zero 0
	.end_amdhsa_kernel
	.section	.text._ZN7rocprim17ROCPRIM_400000_NS6detail17trampoline_kernelINS0_14default_configENS1_22reduce_config_selectorItEEZNS1_11reduce_implILb1ES3_N6thrust23THRUST_200600_302600_NS6detail15normal_iteratorINS8_10device_ptrItEEEEPttNS8_4plusItEEEE10hipError_tPvRmT1_T2_T3_mT4_P12ihipStream_tbEUlT_E0_NS1_11comp_targetILNS1_3genE3ELNS1_11target_archE908ELNS1_3gpuE7ELNS1_3repE0EEENS1_30default_config_static_selectorELNS0_4arch9wavefront6targetE1EEEvSK_,"axG",@progbits,_ZN7rocprim17ROCPRIM_400000_NS6detail17trampoline_kernelINS0_14default_configENS1_22reduce_config_selectorItEEZNS1_11reduce_implILb1ES3_N6thrust23THRUST_200600_302600_NS6detail15normal_iteratorINS8_10device_ptrItEEEEPttNS8_4plusItEEEE10hipError_tPvRmT1_T2_T3_mT4_P12ihipStream_tbEUlT_E0_NS1_11comp_targetILNS1_3genE3ELNS1_11target_archE908ELNS1_3gpuE7ELNS1_3repE0EEENS1_30default_config_static_selectorELNS0_4arch9wavefront6targetE1EEEvSK_,comdat
.Lfunc_end171:
	.size	_ZN7rocprim17ROCPRIM_400000_NS6detail17trampoline_kernelINS0_14default_configENS1_22reduce_config_selectorItEEZNS1_11reduce_implILb1ES3_N6thrust23THRUST_200600_302600_NS6detail15normal_iteratorINS8_10device_ptrItEEEEPttNS8_4plusItEEEE10hipError_tPvRmT1_T2_T3_mT4_P12ihipStream_tbEUlT_E0_NS1_11comp_targetILNS1_3genE3ELNS1_11target_archE908ELNS1_3gpuE7ELNS1_3repE0EEENS1_30default_config_static_selectorELNS0_4arch9wavefront6targetE1EEEvSK_, .Lfunc_end171-_ZN7rocprim17ROCPRIM_400000_NS6detail17trampoline_kernelINS0_14default_configENS1_22reduce_config_selectorItEEZNS1_11reduce_implILb1ES3_N6thrust23THRUST_200600_302600_NS6detail15normal_iteratorINS8_10device_ptrItEEEEPttNS8_4plusItEEEE10hipError_tPvRmT1_T2_T3_mT4_P12ihipStream_tbEUlT_E0_NS1_11comp_targetILNS1_3genE3ELNS1_11target_archE908ELNS1_3gpuE7ELNS1_3repE0EEENS1_30default_config_static_selectorELNS0_4arch9wavefront6targetE1EEEvSK_
                                        ; -- End function
	.set _ZN7rocprim17ROCPRIM_400000_NS6detail17trampoline_kernelINS0_14default_configENS1_22reduce_config_selectorItEEZNS1_11reduce_implILb1ES3_N6thrust23THRUST_200600_302600_NS6detail15normal_iteratorINS8_10device_ptrItEEEEPttNS8_4plusItEEEE10hipError_tPvRmT1_T2_T3_mT4_P12ihipStream_tbEUlT_E0_NS1_11comp_targetILNS1_3genE3ELNS1_11target_archE908ELNS1_3gpuE7ELNS1_3repE0EEENS1_30default_config_static_selectorELNS0_4arch9wavefront6targetE1EEEvSK_.num_vgpr, 0
	.set _ZN7rocprim17ROCPRIM_400000_NS6detail17trampoline_kernelINS0_14default_configENS1_22reduce_config_selectorItEEZNS1_11reduce_implILb1ES3_N6thrust23THRUST_200600_302600_NS6detail15normal_iteratorINS8_10device_ptrItEEEEPttNS8_4plusItEEEE10hipError_tPvRmT1_T2_T3_mT4_P12ihipStream_tbEUlT_E0_NS1_11comp_targetILNS1_3genE3ELNS1_11target_archE908ELNS1_3gpuE7ELNS1_3repE0EEENS1_30default_config_static_selectorELNS0_4arch9wavefront6targetE1EEEvSK_.num_agpr, 0
	.set _ZN7rocprim17ROCPRIM_400000_NS6detail17trampoline_kernelINS0_14default_configENS1_22reduce_config_selectorItEEZNS1_11reduce_implILb1ES3_N6thrust23THRUST_200600_302600_NS6detail15normal_iteratorINS8_10device_ptrItEEEEPttNS8_4plusItEEEE10hipError_tPvRmT1_T2_T3_mT4_P12ihipStream_tbEUlT_E0_NS1_11comp_targetILNS1_3genE3ELNS1_11target_archE908ELNS1_3gpuE7ELNS1_3repE0EEENS1_30default_config_static_selectorELNS0_4arch9wavefront6targetE1EEEvSK_.numbered_sgpr, 0
	.set _ZN7rocprim17ROCPRIM_400000_NS6detail17trampoline_kernelINS0_14default_configENS1_22reduce_config_selectorItEEZNS1_11reduce_implILb1ES3_N6thrust23THRUST_200600_302600_NS6detail15normal_iteratorINS8_10device_ptrItEEEEPttNS8_4plusItEEEE10hipError_tPvRmT1_T2_T3_mT4_P12ihipStream_tbEUlT_E0_NS1_11comp_targetILNS1_3genE3ELNS1_11target_archE908ELNS1_3gpuE7ELNS1_3repE0EEENS1_30default_config_static_selectorELNS0_4arch9wavefront6targetE1EEEvSK_.num_named_barrier, 0
	.set _ZN7rocprim17ROCPRIM_400000_NS6detail17trampoline_kernelINS0_14default_configENS1_22reduce_config_selectorItEEZNS1_11reduce_implILb1ES3_N6thrust23THRUST_200600_302600_NS6detail15normal_iteratorINS8_10device_ptrItEEEEPttNS8_4plusItEEEE10hipError_tPvRmT1_T2_T3_mT4_P12ihipStream_tbEUlT_E0_NS1_11comp_targetILNS1_3genE3ELNS1_11target_archE908ELNS1_3gpuE7ELNS1_3repE0EEENS1_30default_config_static_selectorELNS0_4arch9wavefront6targetE1EEEvSK_.private_seg_size, 0
	.set _ZN7rocprim17ROCPRIM_400000_NS6detail17trampoline_kernelINS0_14default_configENS1_22reduce_config_selectorItEEZNS1_11reduce_implILb1ES3_N6thrust23THRUST_200600_302600_NS6detail15normal_iteratorINS8_10device_ptrItEEEEPttNS8_4plusItEEEE10hipError_tPvRmT1_T2_T3_mT4_P12ihipStream_tbEUlT_E0_NS1_11comp_targetILNS1_3genE3ELNS1_11target_archE908ELNS1_3gpuE7ELNS1_3repE0EEENS1_30default_config_static_selectorELNS0_4arch9wavefront6targetE1EEEvSK_.uses_vcc, 0
	.set _ZN7rocprim17ROCPRIM_400000_NS6detail17trampoline_kernelINS0_14default_configENS1_22reduce_config_selectorItEEZNS1_11reduce_implILb1ES3_N6thrust23THRUST_200600_302600_NS6detail15normal_iteratorINS8_10device_ptrItEEEEPttNS8_4plusItEEEE10hipError_tPvRmT1_T2_T3_mT4_P12ihipStream_tbEUlT_E0_NS1_11comp_targetILNS1_3genE3ELNS1_11target_archE908ELNS1_3gpuE7ELNS1_3repE0EEENS1_30default_config_static_selectorELNS0_4arch9wavefront6targetE1EEEvSK_.uses_flat_scratch, 0
	.set _ZN7rocprim17ROCPRIM_400000_NS6detail17trampoline_kernelINS0_14default_configENS1_22reduce_config_selectorItEEZNS1_11reduce_implILb1ES3_N6thrust23THRUST_200600_302600_NS6detail15normal_iteratorINS8_10device_ptrItEEEEPttNS8_4plusItEEEE10hipError_tPvRmT1_T2_T3_mT4_P12ihipStream_tbEUlT_E0_NS1_11comp_targetILNS1_3genE3ELNS1_11target_archE908ELNS1_3gpuE7ELNS1_3repE0EEENS1_30default_config_static_selectorELNS0_4arch9wavefront6targetE1EEEvSK_.has_dyn_sized_stack, 0
	.set _ZN7rocprim17ROCPRIM_400000_NS6detail17trampoline_kernelINS0_14default_configENS1_22reduce_config_selectorItEEZNS1_11reduce_implILb1ES3_N6thrust23THRUST_200600_302600_NS6detail15normal_iteratorINS8_10device_ptrItEEEEPttNS8_4plusItEEEE10hipError_tPvRmT1_T2_T3_mT4_P12ihipStream_tbEUlT_E0_NS1_11comp_targetILNS1_3genE3ELNS1_11target_archE908ELNS1_3gpuE7ELNS1_3repE0EEENS1_30default_config_static_selectorELNS0_4arch9wavefront6targetE1EEEvSK_.has_recursion, 0
	.set _ZN7rocprim17ROCPRIM_400000_NS6detail17trampoline_kernelINS0_14default_configENS1_22reduce_config_selectorItEEZNS1_11reduce_implILb1ES3_N6thrust23THRUST_200600_302600_NS6detail15normal_iteratorINS8_10device_ptrItEEEEPttNS8_4plusItEEEE10hipError_tPvRmT1_T2_T3_mT4_P12ihipStream_tbEUlT_E0_NS1_11comp_targetILNS1_3genE3ELNS1_11target_archE908ELNS1_3gpuE7ELNS1_3repE0EEENS1_30default_config_static_selectorELNS0_4arch9wavefront6targetE1EEEvSK_.has_indirect_call, 0
	.section	.AMDGPU.csdata,"",@progbits
; Kernel info:
; codeLenInByte = 0
; TotalNumSgprs: 6
; NumVgprs: 0
; NumAgprs: 0
; TotalNumVgprs: 0
; ScratchSize: 0
; MemoryBound: 0
; FloatMode: 240
; IeeeMode: 1
; LDSByteSize: 0 bytes/workgroup (compile time only)
; SGPRBlocks: 0
; VGPRBlocks: 0
; NumSGPRsForWavesPerEU: 6
; NumVGPRsForWavesPerEU: 1
; AccumOffset: 4
; Occupancy: 8
; WaveLimiterHint : 0
; COMPUTE_PGM_RSRC2:SCRATCH_EN: 0
; COMPUTE_PGM_RSRC2:USER_SGPR: 2
; COMPUTE_PGM_RSRC2:TRAP_HANDLER: 0
; COMPUTE_PGM_RSRC2:TGID_X_EN: 1
; COMPUTE_PGM_RSRC2:TGID_Y_EN: 0
; COMPUTE_PGM_RSRC2:TGID_Z_EN: 0
; COMPUTE_PGM_RSRC2:TIDIG_COMP_CNT: 0
; COMPUTE_PGM_RSRC3_GFX90A:ACCUM_OFFSET: 0
; COMPUTE_PGM_RSRC3_GFX90A:TG_SPLIT: 0
	.section	.text._ZN7rocprim17ROCPRIM_400000_NS6detail17trampoline_kernelINS0_14default_configENS1_22reduce_config_selectorItEEZNS1_11reduce_implILb1ES3_N6thrust23THRUST_200600_302600_NS6detail15normal_iteratorINS8_10device_ptrItEEEEPttNS8_4plusItEEEE10hipError_tPvRmT1_T2_T3_mT4_P12ihipStream_tbEUlT_E0_NS1_11comp_targetILNS1_3genE2ELNS1_11target_archE906ELNS1_3gpuE6ELNS1_3repE0EEENS1_30default_config_static_selectorELNS0_4arch9wavefront6targetE1EEEvSK_,"axG",@progbits,_ZN7rocprim17ROCPRIM_400000_NS6detail17trampoline_kernelINS0_14default_configENS1_22reduce_config_selectorItEEZNS1_11reduce_implILb1ES3_N6thrust23THRUST_200600_302600_NS6detail15normal_iteratorINS8_10device_ptrItEEEEPttNS8_4plusItEEEE10hipError_tPvRmT1_T2_T3_mT4_P12ihipStream_tbEUlT_E0_NS1_11comp_targetILNS1_3genE2ELNS1_11target_archE906ELNS1_3gpuE6ELNS1_3repE0EEENS1_30default_config_static_selectorELNS0_4arch9wavefront6targetE1EEEvSK_,comdat
	.protected	_ZN7rocprim17ROCPRIM_400000_NS6detail17trampoline_kernelINS0_14default_configENS1_22reduce_config_selectorItEEZNS1_11reduce_implILb1ES3_N6thrust23THRUST_200600_302600_NS6detail15normal_iteratorINS8_10device_ptrItEEEEPttNS8_4plusItEEEE10hipError_tPvRmT1_T2_T3_mT4_P12ihipStream_tbEUlT_E0_NS1_11comp_targetILNS1_3genE2ELNS1_11target_archE906ELNS1_3gpuE6ELNS1_3repE0EEENS1_30default_config_static_selectorELNS0_4arch9wavefront6targetE1EEEvSK_ ; -- Begin function _ZN7rocprim17ROCPRIM_400000_NS6detail17trampoline_kernelINS0_14default_configENS1_22reduce_config_selectorItEEZNS1_11reduce_implILb1ES3_N6thrust23THRUST_200600_302600_NS6detail15normal_iteratorINS8_10device_ptrItEEEEPttNS8_4plusItEEEE10hipError_tPvRmT1_T2_T3_mT4_P12ihipStream_tbEUlT_E0_NS1_11comp_targetILNS1_3genE2ELNS1_11target_archE906ELNS1_3gpuE6ELNS1_3repE0EEENS1_30default_config_static_selectorELNS0_4arch9wavefront6targetE1EEEvSK_
	.globl	_ZN7rocprim17ROCPRIM_400000_NS6detail17trampoline_kernelINS0_14default_configENS1_22reduce_config_selectorItEEZNS1_11reduce_implILb1ES3_N6thrust23THRUST_200600_302600_NS6detail15normal_iteratorINS8_10device_ptrItEEEEPttNS8_4plusItEEEE10hipError_tPvRmT1_T2_T3_mT4_P12ihipStream_tbEUlT_E0_NS1_11comp_targetILNS1_3genE2ELNS1_11target_archE906ELNS1_3gpuE6ELNS1_3repE0EEENS1_30default_config_static_selectorELNS0_4arch9wavefront6targetE1EEEvSK_
	.p2align	8
	.type	_ZN7rocprim17ROCPRIM_400000_NS6detail17trampoline_kernelINS0_14default_configENS1_22reduce_config_selectorItEEZNS1_11reduce_implILb1ES3_N6thrust23THRUST_200600_302600_NS6detail15normal_iteratorINS8_10device_ptrItEEEEPttNS8_4plusItEEEE10hipError_tPvRmT1_T2_T3_mT4_P12ihipStream_tbEUlT_E0_NS1_11comp_targetILNS1_3genE2ELNS1_11target_archE906ELNS1_3gpuE6ELNS1_3repE0EEENS1_30default_config_static_selectorELNS0_4arch9wavefront6targetE1EEEvSK_,@function
_ZN7rocprim17ROCPRIM_400000_NS6detail17trampoline_kernelINS0_14default_configENS1_22reduce_config_selectorItEEZNS1_11reduce_implILb1ES3_N6thrust23THRUST_200600_302600_NS6detail15normal_iteratorINS8_10device_ptrItEEEEPttNS8_4plusItEEEE10hipError_tPvRmT1_T2_T3_mT4_P12ihipStream_tbEUlT_E0_NS1_11comp_targetILNS1_3genE2ELNS1_11target_archE906ELNS1_3gpuE6ELNS1_3repE0EEENS1_30default_config_static_selectorELNS0_4arch9wavefront6targetE1EEEvSK_: ; @_ZN7rocprim17ROCPRIM_400000_NS6detail17trampoline_kernelINS0_14default_configENS1_22reduce_config_selectorItEEZNS1_11reduce_implILb1ES3_N6thrust23THRUST_200600_302600_NS6detail15normal_iteratorINS8_10device_ptrItEEEEPttNS8_4plusItEEEE10hipError_tPvRmT1_T2_T3_mT4_P12ihipStream_tbEUlT_E0_NS1_11comp_targetILNS1_3genE2ELNS1_11target_archE906ELNS1_3gpuE6ELNS1_3repE0EEENS1_30default_config_static_selectorELNS0_4arch9wavefront6targetE1EEEvSK_
; %bb.0:
	.section	.rodata,"a",@progbits
	.p2align	6, 0x0
	.amdhsa_kernel _ZN7rocprim17ROCPRIM_400000_NS6detail17trampoline_kernelINS0_14default_configENS1_22reduce_config_selectorItEEZNS1_11reduce_implILb1ES3_N6thrust23THRUST_200600_302600_NS6detail15normal_iteratorINS8_10device_ptrItEEEEPttNS8_4plusItEEEE10hipError_tPvRmT1_T2_T3_mT4_P12ihipStream_tbEUlT_E0_NS1_11comp_targetILNS1_3genE2ELNS1_11target_archE906ELNS1_3gpuE6ELNS1_3repE0EEENS1_30default_config_static_selectorELNS0_4arch9wavefront6targetE1EEEvSK_
		.amdhsa_group_segment_fixed_size 0
		.amdhsa_private_segment_fixed_size 0
		.amdhsa_kernarg_size 56
		.amdhsa_user_sgpr_count 2
		.amdhsa_user_sgpr_dispatch_ptr 0
		.amdhsa_user_sgpr_queue_ptr 0
		.amdhsa_user_sgpr_kernarg_segment_ptr 1
		.amdhsa_user_sgpr_dispatch_id 0
		.amdhsa_user_sgpr_kernarg_preload_length 0
		.amdhsa_user_sgpr_kernarg_preload_offset 0
		.amdhsa_user_sgpr_private_segment_size 0
		.amdhsa_uses_dynamic_stack 0
		.amdhsa_enable_private_segment 0
		.amdhsa_system_sgpr_workgroup_id_x 1
		.amdhsa_system_sgpr_workgroup_id_y 0
		.amdhsa_system_sgpr_workgroup_id_z 0
		.amdhsa_system_sgpr_workgroup_info 0
		.amdhsa_system_vgpr_workitem_id 0
		.amdhsa_next_free_vgpr 1
		.amdhsa_next_free_sgpr 0
		.amdhsa_accum_offset 4
		.amdhsa_reserve_vcc 0
		.amdhsa_float_round_mode_32 0
		.amdhsa_float_round_mode_16_64 0
		.amdhsa_float_denorm_mode_32 3
		.amdhsa_float_denorm_mode_16_64 3
		.amdhsa_dx10_clamp 1
		.amdhsa_ieee_mode 1
		.amdhsa_fp16_overflow 0
		.amdhsa_tg_split 0
		.amdhsa_exception_fp_ieee_invalid_op 0
		.amdhsa_exception_fp_denorm_src 0
		.amdhsa_exception_fp_ieee_div_zero 0
		.amdhsa_exception_fp_ieee_overflow 0
		.amdhsa_exception_fp_ieee_underflow 0
		.amdhsa_exception_fp_ieee_inexact 0
		.amdhsa_exception_int_div_zero 0
	.end_amdhsa_kernel
	.section	.text._ZN7rocprim17ROCPRIM_400000_NS6detail17trampoline_kernelINS0_14default_configENS1_22reduce_config_selectorItEEZNS1_11reduce_implILb1ES3_N6thrust23THRUST_200600_302600_NS6detail15normal_iteratorINS8_10device_ptrItEEEEPttNS8_4plusItEEEE10hipError_tPvRmT1_T2_T3_mT4_P12ihipStream_tbEUlT_E0_NS1_11comp_targetILNS1_3genE2ELNS1_11target_archE906ELNS1_3gpuE6ELNS1_3repE0EEENS1_30default_config_static_selectorELNS0_4arch9wavefront6targetE1EEEvSK_,"axG",@progbits,_ZN7rocprim17ROCPRIM_400000_NS6detail17trampoline_kernelINS0_14default_configENS1_22reduce_config_selectorItEEZNS1_11reduce_implILb1ES3_N6thrust23THRUST_200600_302600_NS6detail15normal_iteratorINS8_10device_ptrItEEEEPttNS8_4plusItEEEE10hipError_tPvRmT1_T2_T3_mT4_P12ihipStream_tbEUlT_E0_NS1_11comp_targetILNS1_3genE2ELNS1_11target_archE906ELNS1_3gpuE6ELNS1_3repE0EEENS1_30default_config_static_selectorELNS0_4arch9wavefront6targetE1EEEvSK_,comdat
.Lfunc_end172:
	.size	_ZN7rocprim17ROCPRIM_400000_NS6detail17trampoline_kernelINS0_14default_configENS1_22reduce_config_selectorItEEZNS1_11reduce_implILb1ES3_N6thrust23THRUST_200600_302600_NS6detail15normal_iteratorINS8_10device_ptrItEEEEPttNS8_4plusItEEEE10hipError_tPvRmT1_T2_T3_mT4_P12ihipStream_tbEUlT_E0_NS1_11comp_targetILNS1_3genE2ELNS1_11target_archE906ELNS1_3gpuE6ELNS1_3repE0EEENS1_30default_config_static_selectorELNS0_4arch9wavefront6targetE1EEEvSK_, .Lfunc_end172-_ZN7rocprim17ROCPRIM_400000_NS6detail17trampoline_kernelINS0_14default_configENS1_22reduce_config_selectorItEEZNS1_11reduce_implILb1ES3_N6thrust23THRUST_200600_302600_NS6detail15normal_iteratorINS8_10device_ptrItEEEEPttNS8_4plusItEEEE10hipError_tPvRmT1_T2_T3_mT4_P12ihipStream_tbEUlT_E0_NS1_11comp_targetILNS1_3genE2ELNS1_11target_archE906ELNS1_3gpuE6ELNS1_3repE0EEENS1_30default_config_static_selectorELNS0_4arch9wavefront6targetE1EEEvSK_
                                        ; -- End function
	.set _ZN7rocprim17ROCPRIM_400000_NS6detail17trampoline_kernelINS0_14default_configENS1_22reduce_config_selectorItEEZNS1_11reduce_implILb1ES3_N6thrust23THRUST_200600_302600_NS6detail15normal_iteratorINS8_10device_ptrItEEEEPttNS8_4plusItEEEE10hipError_tPvRmT1_T2_T3_mT4_P12ihipStream_tbEUlT_E0_NS1_11comp_targetILNS1_3genE2ELNS1_11target_archE906ELNS1_3gpuE6ELNS1_3repE0EEENS1_30default_config_static_selectorELNS0_4arch9wavefront6targetE1EEEvSK_.num_vgpr, 0
	.set _ZN7rocprim17ROCPRIM_400000_NS6detail17trampoline_kernelINS0_14default_configENS1_22reduce_config_selectorItEEZNS1_11reduce_implILb1ES3_N6thrust23THRUST_200600_302600_NS6detail15normal_iteratorINS8_10device_ptrItEEEEPttNS8_4plusItEEEE10hipError_tPvRmT1_T2_T3_mT4_P12ihipStream_tbEUlT_E0_NS1_11comp_targetILNS1_3genE2ELNS1_11target_archE906ELNS1_3gpuE6ELNS1_3repE0EEENS1_30default_config_static_selectorELNS0_4arch9wavefront6targetE1EEEvSK_.num_agpr, 0
	.set _ZN7rocprim17ROCPRIM_400000_NS6detail17trampoline_kernelINS0_14default_configENS1_22reduce_config_selectorItEEZNS1_11reduce_implILb1ES3_N6thrust23THRUST_200600_302600_NS6detail15normal_iteratorINS8_10device_ptrItEEEEPttNS8_4plusItEEEE10hipError_tPvRmT1_T2_T3_mT4_P12ihipStream_tbEUlT_E0_NS1_11comp_targetILNS1_3genE2ELNS1_11target_archE906ELNS1_3gpuE6ELNS1_3repE0EEENS1_30default_config_static_selectorELNS0_4arch9wavefront6targetE1EEEvSK_.numbered_sgpr, 0
	.set _ZN7rocprim17ROCPRIM_400000_NS6detail17trampoline_kernelINS0_14default_configENS1_22reduce_config_selectorItEEZNS1_11reduce_implILb1ES3_N6thrust23THRUST_200600_302600_NS6detail15normal_iteratorINS8_10device_ptrItEEEEPttNS8_4plusItEEEE10hipError_tPvRmT1_T2_T3_mT4_P12ihipStream_tbEUlT_E0_NS1_11comp_targetILNS1_3genE2ELNS1_11target_archE906ELNS1_3gpuE6ELNS1_3repE0EEENS1_30default_config_static_selectorELNS0_4arch9wavefront6targetE1EEEvSK_.num_named_barrier, 0
	.set _ZN7rocprim17ROCPRIM_400000_NS6detail17trampoline_kernelINS0_14default_configENS1_22reduce_config_selectorItEEZNS1_11reduce_implILb1ES3_N6thrust23THRUST_200600_302600_NS6detail15normal_iteratorINS8_10device_ptrItEEEEPttNS8_4plusItEEEE10hipError_tPvRmT1_T2_T3_mT4_P12ihipStream_tbEUlT_E0_NS1_11comp_targetILNS1_3genE2ELNS1_11target_archE906ELNS1_3gpuE6ELNS1_3repE0EEENS1_30default_config_static_selectorELNS0_4arch9wavefront6targetE1EEEvSK_.private_seg_size, 0
	.set _ZN7rocprim17ROCPRIM_400000_NS6detail17trampoline_kernelINS0_14default_configENS1_22reduce_config_selectorItEEZNS1_11reduce_implILb1ES3_N6thrust23THRUST_200600_302600_NS6detail15normal_iteratorINS8_10device_ptrItEEEEPttNS8_4plusItEEEE10hipError_tPvRmT1_T2_T3_mT4_P12ihipStream_tbEUlT_E0_NS1_11comp_targetILNS1_3genE2ELNS1_11target_archE906ELNS1_3gpuE6ELNS1_3repE0EEENS1_30default_config_static_selectorELNS0_4arch9wavefront6targetE1EEEvSK_.uses_vcc, 0
	.set _ZN7rocprim17ROCPRIM_400000_NS6detail17trampoline_kernelINS0_14default_configENS1_22reduce_config_selectorItEEZNS1_11reduce_implILb1ES3_N6thrust23THRUST_200600_302600_NS6detail15normal_iteratorINS8_10device_ptrItEEEEPttNS8_4plusItEEEE10hipError_tPvRmT1_T2_T3_mT4_P12ihipStream_tbEUlT_E0_NS1_11comp_targetILNS1_3genE2ELNS1_11target_archE906ELNS1_3gpuE6ELNS1_3repE0EEENS1_30default_config_static_selectorELNS0_4arch9wavefront6targetE1EEEvSK_.uses_flat_scratch, 0
	.set _ZN7rocprim17ROCPRIM_400000_NS6detail17trampoline_kernelINS0_14default_configENS1_22reduce_config_selectorItEEZNS1_11reduce_implILb1ES3_N6thrust23THRUST_200600_302600_NS6detail15normal_iteratorINS8_10device_ptrItEEEEPttNS8_4plusItEEEE10hipError_tPvRmT1_T2_T3_mT4_P12ihipStream_tbEUlT_E0_NS1_11comp_targetILNS1_3genE2ELNS1_11target_archE906ELNS1_3gpuE6ELNS1_3repE0EEENS1_30default_config_static_selectorELNS0_4arch9wavefront6targetE1EEEvSK_.has_dyn_sized_stack, 0
	.set _ZN7rocprim17ROCPRIM_400000_NS6detail17trampoline_kernelINS0_14default_configENS1_22reduce_config_selectorItEEZNS1_11reduce_implILb1ES3_N6thrust23THRUST_200600_302600_NS6detail15normal_iteratorINS8_10device_ptrItEEEEPttNS8_4plusItEEEE10hipError_tPvRmT1_T2_T3_mT4_P12ihipStream_tbEUlT_E0_NS1_11comp_targetILNS1_3genE2ELNS1_11target_archE906ELNS1_3gpuE6ELNS1_3repE0EEENS1_30default_config_static_selectorELNS0_4arch9wavefront6targetE1EEEvSK_.has_recursion, 0
	.set _ZN7rocprim17ROCPRIM_400000_NS6detail17trampoline_kernelINS0_14default_configENS1_22reduce_config_selectorItEEZNS1_11reduce_implILb1ES3_N6thrust23THRUST_200600_302600_NS6detail15normal_iteratorINS8_10device_ptrItEEEEPttNS8_4plusItEEEE10hipError_tPvRmT1_T2_T3_mT4_P12ihipStream_tbEUlT_E0_NS1_11comp_targetILNS1_3genE2ELNS1_11target_archE906ELNS1_3gpuE6ELNS1_3repE0EEENS1_30default_config_static_selectorELNS0_4arch9wavefront6targetE1EEEvSK_.has_indirect_call, 0
	.section	.AMDGPU.csdata,"",@progbits
; Kernel info:
; codeLenInByte = 0
; TotalNumSgprs: 6
; NumVgprs: 0
; NumAgprs: 0
; TotalNumVgprs: 0
; ScratchSize: 0
; MemoryBound: 0
; FloatMode: 240
; IeeeMode: 1
; LDSByteSize: 0 bytes/workgroup (compile time only)
; SGPRBlocks: 0
; VGPRBlocks: 0
; NumSGPRsForWavesPerEU: 6
; NumVGPRsForWavesPerEU: 1
; AccumOffset: 4
; Occupancy: 8
; WaveLimiterHint : 0
; COMPUTE_PGM_RSRC2:SCRATCH_EN: 0
; COMPUTE_PGM_RSRC2:USER_SGPR: 2
; COMPUTE_PGM_RSRC2:TRAP_HANDLER: 0
; COMPUTE_PGM_RSRC2:TGID_X_EN: 1
; COMPUTE_PGM_RSRC2:TGID_Y_EN: 0
; COMPUTE_PGM_RSRC2:TGID_Z_EN: 0
; COMPUTE_PGM_RSRC2:TIDIG_COMP_CNT: 0
; COMPUTE_PGM_RSRC3_GFX90A:ACCUM_OFFSET: 0
; COMPUTE_PGM_RSRC3_GFX90A:TG_SPLIT: 0
	.section	.text._ZN7rocprim17ROCPRIM_400000_NS6detail17trampoline_kernelINS0_14default_configENS1_22reduce_config_selectorItEEZNS1_11reduce_implILb1ES3_N6thrust23THRUST_200600_302600_NS6detail15normal_iteratorINS8_10device_ptrItEEEEPttNS8_4plusItEEEE10hipError_tPvRmT1_T2_T3_mT4_P12ihipStream_tbEUlT_E0_NS1_11comp_targetILNS1_3genE10ELNS1_11target_archE1201ELNS1_3gpuE5ELNS1_3repE0EEENS1_30default_config_static_selectorELNS0_4arch9wavefront6targetE1EEEvSK_,"axG",@progbits,_ZN7rocprim17ROCPRIM_400000_NS6detail17trampoline_kernelINS0_14default_configENS1_22reduce_config_selectorItEEZNS1_11reduce_implILb1ES3_N6thrust23THRUST_200600_302600_NS6detail15normal_iteratorINS8_10device_ptrItEEEEPttNS8_4plusItEEEE10hipError_tPvRmT1_T2_T3_mT4_P12ihipStream_tbEUlT_E0_NS1_11comp_targetILNS1_3genE10ELNS1_11target_archE1201ELNS1_3gpuE5ELNS1_3repE0EEENS1_30default_config_static_selectorELNS0_4arch9wavefront6targetE1EEEvSK_,comdat
	.protected	_ZN7rocprim17ROCPRIM_400000_NS6detail17trampoline_kernelINS0_14default_configENS1_22reduce_config_selectorItEEZNS1_11reduce_implILb1ES3_N6thrust23THRUST_200600_302600_NS6detail15normal_iteratorINS8_10device_ptrItEEEEPttNS8_4plusItEEEE10hipError_tPvRmT1_T2_T3_mT4_P12ihipStream_tbEUlT_E0_NS1_11comp_targetILNS1_3genE10ELNS1_11target_archE1201ELNS1_3gpuE5ELNS1_3repE0EEENS1_30default_config_static_selectorELNS0_4arch9wavefront6targetE1EEEvSK_ ; -- Begin function _ZN7rocprim17ROCPRIM_400000_NS6detail17trampoline_kernelINS0_14default_configENS1_22reduce_config_selectorItEEZNS1_11reduce_implILb1ES3_N6thrust23THRUST_200600_302600_NS6detail15normal_iteratorINS8_10device_ptrItEEEEPttNS8_4plusItEEEE10hipError_tPvRmT1_T2_T3_mT4_P12ihipStream_tbEUlT_E0_NS1_11comp_targetILNS1_3genE10ELNS1_11target_archE1201ELNS1_3gpuE5ELNS1_3repE0EEENS1_30default_config_static_selectorELNS0_4arch9wavefront6targetE1EEEvSK_
	.globl	_ZN7rocprim17ROCPRIM_400000_NS6detail17trampoline_kernelINS0_14default_configENS1_22reduce_config_selectorItEEZNS1_11reduce_implILb1ES3_N6thrust23THRUST_200600_302600_NS6detail15normal_iteratorINS8_10device_ptrItEEEEPttNS8_4plusItEEEE10hipError_tPvRmT1_T2_T3_mT4_P12ihipStream_tbEUlT_E0_NS1_11comp_targetILNS1_3genE10ELNS1_11target_archE1201ELNS1_3gpuE5ELNS1_3repE0EEENS1_30default_config_static_selectorELNS0_4arch9wavefront6targetE1EEEvSK_
	.p2align	8
	.type	_ZN7rocprim17ROCPRIM_400000_NS6detail17trampoline_kernelINS0_14default_configENS1_22reduce_config_selectorItEEZNS1_11reduce_implILb1ES3_N6thrust23THRUST_200600_302600_NS6detail15normal_iteratorINS8_10device_ptrItEEEEPttNS8_4plusItEEEE10hipError_tPvRmT1_T2_T3_mT4_P12ihipStream_tbEUlT_E0_NS1_11comp_targetILNS1_3genE10ELNS1_11target_archE1201ELNS1_3gpuE5ELNS1_3repE0EEENS1_30default_config_static_selectorELNS0_4arch9wavefront6targetE1EEEvSK_,@function
_ZN7rocprim17ROCPRIM_400000_NS6detail17trampoline_kernelINS0_14default_configENS1_22reduce_config_selectorItEEZNS1_11reduce_implILb1ES3_N6thrust23THRUST_200600_302600_NS6detail15normal_iteratorINS8_10device_ptrItEEEEPttNS8_4plusItEEEE10hipError_tPvRmT1_T2_T3_mT4_P12ihipStream_tbEUlT_E0_NS1_11comp_targetILNS1_3genE10ELNS1_11target_archE1201ELNS1_3gpuE5ELNS1_3repE0EEENS1_30default_config_static_selectorELNS0_4arch9wavefront6targetE1EEEvSK_: ; @_ZN7rocprim17ROCPRIM_400000_NS6detail17trampoline_kernelINS0_14default_configENS1_22reduce_config_selectorItEEZNS1_11reduce_implILb1ES3_N6thrust23THRUST_200600_302600_NS6detail15normal_iteratorINS8_10device_ptrItEEEEPttNS8_4plusItEEEE10hipError_tPvRmT1_T2_T3_mT4_P12ihipStream_tbEUlT_E0_NS1_11comp_targetILNS1_3genE10ELNS1_11target_archE1201ELNS1_3gpuE5ELNS1_3repE0EEENS1_30default_config_static_selectorELNS0_4arch9wavefront6targetE1EEEvSK_
; %bb.0:
	.section	.rodata,"a",@progbits
	.p2align	6, 0x0
	.amdhsa_kernel _ZN7rocprim17ROCPRIM_400000_NS6detail17trampoline_kernelINS0_14default_configENS1_22reduce_config_selectorItEEZNS1_11reduce_implILb1ES3_N6thrust23THRUST_200600_302600_NS6detail15normal_iteratorINS8_10device_ptrItEEEEPttNS8_4plusItEEEE10hipError_tPvRmT1_T2_T3_mT4_P12ihipStream_tbEUlT_E0_NS1_11comp_targetILNS1_3genE10ELNS1_11target_archE1201ELNS1_3gpuE5ELNS1_3repE0EEENS1_30default_config_static_selectorELNS0_4arch9wavefront6targetE1EEEvSK_
		.amdhsa_group_segment_fixed_size 0
		.amdhsa_private_segment_fixed_size 0
		.amdhsa_kernarg_size 56
		.amdhsa_user_sgpr_count 2
		.amdhsa_user_sgpr_dispatch_ptr 0
		.amdhsa_user_sgpr_queue_ptr 0
		.amdhsa_user_sgpr_kernarg_segment_ptr 1
		.amdhsa_user_sgpr_dispatch_id 0
		.amdhsa_user_sgpr_kernarg_preload_length 0
		.amdhsa_user_sgpr_kernarg_preload_offset 0
		.amdhsa_user_sgpr_private_segment_size 0
		.amdhsa_uses_dynamic_stack 0
		.amdhsa_enable_private_segment 0
		.amdhsa_system_sgpr_workgroup_id_x 1
		.amdhsa_system_sgpr_workgroup_id_y 0
		.amdhsa_system_sgpr_workgroup_id_z 0
		.amdhsa_system_sgpr_workgroup_info 0
		.amdhsa_system_vgpr_workitem_id 0
		.amdhsa_next_free_vgpr 1
		.amdhsa_next_free_sgpr 0
		.amdhsa_accum_offset 4
		.amdhsa_reserve_vcc 0
		.amdhsa_float_round_mode_32 0
		.amdhsa_float_round_mode_16_64 0
		.amdhsa_float_denorm_mode_32 3
		.amdhsa_float_denorm_mode_16_64 3
		.amdhsa_dx10_clamp 1
		.amdhsa_ieee_mode 1
		.amdhsa_fp16_overflow 0
		.amdhsa_tg_split 0
		.amdhsa_exception_fp_ieee_invalid_op 0
		.amdhsa_exception_fp_denorm_src 0
		.amdhsa_exception_fp_ieee_div_zero 0
		.amdhsa_exception_fp_ieee_overflow 0
		.amdhsa_exception_fp_ieee_underflow 0
		.amdhsa_exception_fp_ieee_inexact 0
		.amdhsa_exception_int_div_zero 0
	.end_amdhsa_kernel
	.section	.text._ZN7rocprim17ROCPRIM_400000_NS6detail17trampoline_kernelINS0_14default_configENS1_22reduce_config_selectorItEEZNS1_11reduce_implILb1ES3_N6thrust23THRUST_200600_302600_NS6detail15normal_iteratorINS8_10device_ptrItEEEEPttNS8_4plusItEEEE10hipError_tPvRmT1_T2_T3_mT4_P12ihipStream_tbEUlT_E0_NS1_11comp_targetILNS1_3genE10ELNS1_11target_archE1201ELNS1_3gpuE5ELNS1_3repE0EEENS1_30default_config_static_selectorELNS0_4arch9wavefront6targetE1EEEvSK_,"axG",@progbits,_ZN7rocprim17ROCPRIM_400000_NS6detail17trampoline_kernelINS0_14default_configENS1_22reduce_config_selectorItEEZNS1_11reduce_implILb1ES3_N6thrust23THRUST_200600_302600_NS6detail15normal_iteratorINS8_10device_ptrItEEEEPttNS8_4plusItEEEE10hipError_tPvRmT1_T2_T3_mT4_P12ihipStream_tbEUlT_E0_NS1_11comp_targetILNS1_3genE10ELNS1_11target_archE1201ELNS1_3gpuE5ELNS1_3repE0EEENS1_30default_config_static_selectorELNS0_4arch9wavefront6targetE1EEEvSK_,comdat
.Lfunc_end173:
	.size	_ZN7rocprim17ROCPRIM_400000_NS6detail17trampoline_kernelINS0_14default_configENS1_22reduce_config_selectorItEEZNS1_11reduce_implILb1ES3_N6thrust23THRUST_200600_302600_NS6detail15normal_iteratorINS8_10device_ptrItEEEEPttNS8_4plusItEEEE10hipError_tPvRmT1_T2_T3_mT4_P12ihipStream_tbEUlT_E0_NS1_11comp_targetILNS1_3genE10ELNS1_11target_archE1201ELNS1_3gpuE5ELNS1_3repE0EEENS1_30default_config_static_selectorELNS0_4arch9wavefront6targetE1EEEvSK_, .Lfunc_end173-_ZN7rocprim17ROCPRIM_400000_NS6detail17trampoline_kernelINS0_14default_configENS1_22reduce_config_selectorItEEZNS1_11reduce_implILb1ES3_N6thrust23THRUST_200600_302600_NS6detail15normal_iteratorINS8_10device_ptrItEEEEPttNS8_4plusItEEEE10hipError_tPvRmT1_T2_T3_mT4_P12ihipStream_tbEUlT_E0_NS1_11comp_targetILNS1_3genE10ELNS1_11target_archE1201ELNS1_3gpuE5ELNS1_3repE0EEENS1_30default_config_static_selectorELNS0_4arch9wavefront6targetE1EEEvSK_
                                        ; -- End function
	.set _ZN7rocprim17ROCPRIM_400000_NS6detail17trampoline_kernelINS0_14default_configENS1_22reduce_config_selectorItEEZNS1_11reduce_implILb1ES3_N6thrust23THRUST_200600_302600_NS6detail15normal_iteratorINS8_10device_ptrItEEEEPttNS8_4plusItEEEE10hipError_tPvRmT1_T2_T3_mT4_P12ihipStream_tbEUlT_E0_NS1_11comp_targetILNS1_3genE10ELNS1_11target_archE1201ELNS1_3gpuE5ELNS1_3repE0EEENS1_30default_config_static_selectorELNS0_4arch9wavefront6targetE1EEEvSK_.num_vgpr, 0
	.set _ZN7rocprim17ROCPRIM_400000_NS6detail17trampoline_kernelINS0_14default_configENS1_22reduce_config_selectorItEEZNS1_11reduce_implILb1ES3_N6thrust23THRUST_200600_302600_NS6detail15normal_iteratorINS8_10device_ptrItEEEEPttNS8_4plusItEEEE10hipError_tPvRmT1_T2_T3_mT4_P12ihipStream_tbEUlT_E0_NS1_11comp_targetILNS1_3genE10ELNS1_11target_archE1201ELNS1_3gpuE5ELNS1_3repE0EEENS1_30default_config_static_selectorELNS0_4arch9wavefront6targetE1EEEvSK_.num_agpr, 0
	.set _ZN7rocprim17ROCPRIM_400000_NS6detail17trampoline_kernelINS0_14default_configENS1_22reduce_config_selectorItEEZNS1_11reduce_implILb1ES3_N6thrust23THRUST_200600_302600_NS6detail15normal_iteratorINS8_10device_ptrItEEEEPttNS8_4plusItEEEE10hipError_tPvRmT1_T2_T3_mT4_P12ihipStream_tbEUlT_E0_NS1_11comp_targetILNS1_3genE10ELNS1_11target_archE1201ELNS1_3gpuE5ELNS1_3repE0EEENS1_30default_config_static_selectorELNS0_4arch9wavefront6targetE1EEEvSK_.numbered_sgpr, 0
	.set _ZN7rocprim17ROCPRIM_400000_NS6detail17trampoline_kernelINS0_14default_configENS1_22reduce_config_selectorItEEZNS1_11reduce_implILb1ES3_N6thrust23THRUST_200600_302600_NS6detail15normal_iteratorINS8_10device_ptrItEEEEPttNS8_4plusItEEEE10hipError_tPvRmT1_T2_T3_mT4_P12ihipStream_tbEUlT_E0_NS1_11comp_targetILNS1_3genE10ELNS1_11target_archE1201ELNS1_3gpuE5ELNS1_3repE0EEENS1_30default_config_static_selectorELNS0_4arch9wavefront6targetE1EEEvSK_.num_named_barrier, 0
	.set _ZN7rocprim17ROCPRIM_400000_NS6detail17trampoline_kernelINS0_14default_configENS1_22reduce_config_selectorItEEZNS1_11reduce_implILb1ES3_N6thrust23THRUST_200600_302600_NS6detail15normal_iteratorINS8_10device_ptrItEEEEPttNS8_4plusItEEEE10hipError_tPvRmT1_T2_T3_mT4_P12ihipStream_tbEUlT_E0_NS1_11comp_targetILNS1_3genE10ELNS1_11target_archE1201ELNS1_3gpuE5ELNS1_3repE0EEENS1_30default_config_static_selectorELNS0_4arch9wavefront6targetE1EEEvSK_.private_seg_size, 0
	.set _ZN7rocprim17ROCPRIM_400000_NS6detail17trampoline_kernelINS0_14default_configENS1_22reduce_config_selectorItEEZNS1_11reduce_implILb1ES3_N6thrust23THRUST_200600_302600_NS6detail15normal_iteratorINS8_10device_ptrItEEEEPttNS8_4plusItEEEE10hipError_tPvRmT1_T2_T3_mT4_P12ihipStream_tbEUlT_E0_NS1_11comp_targetILNS1_3genE10ELNS1_11target_archE1201ELNS1_3gpuE5ELNS1_3repE0EEENS1_30default_config_static_selectorELNS0_4arch9wavefront6targetE1EEEvSK_.uses_vcc, 0
	.set _ZN7rocprim17ROCPRIM_400000_NS6detail17trampoline_kernelINS0_14default_configENS1_22reduce_config_selectorItEEZNS1_11reduce_implILb1ES3_N6thrust23THRUST_200600_302600_NS6detail15normal_iteratorINS8_10device_ptrItEEEEPttNS8_4plusItEEEE10hipError_tPvRmT1_T2_T3_mT4_P12ihipStream_tbEUlT_E0_NS1_11comp_targetILNS1_3genE10ELNS1_11target_archE1201ELNS1_3gpuE5ELNS1_3repE0EEENS1_30default_config_static_selectorELNS0_4arch9wavefront6targetE1EEEvSK_.uses_flat_scratch, 0
	.set _ZN7rocprim17ROCPRIM_400000_NS6detail17trampoline_kernelINS0_14default_configENS1_22reduce_config_selectorItEEZNS1_11reduce_implILb1ES3_N6thrust23THRUST_200600_302600_NS6detail15normal_iteratorINS8_10device_ptrItEEEEPttNS8_4plusItEEEE10hipError_tPvRmT1_T2_T3_mT4_P12ihipStream_tbEUlT_E0_NS1_11comp_targetILNS1_3genE10ELNS1_11target_archE1201ELNS1_3gpuE5ELNS1_3repE0EEENS1_30default_config_static_selectorELNS0_4arch9wavefront6targetE1EEEvSK_.has_dyn_sized_stack, 0
	.set _ZN7rocprim17ROCPRIM_400000_NS6detail17trampoline_kernelINS0_14default_configENS1_22reduce_config_selectorItEEZNS1_11reduce_implILb1ES3_N6thrust23THRUST_200600_302600_NS6detail15normal_iteratorINS8_10device_ptrItEEEEPttNS8_4plusItEEEE10hipError_tPvRmT1_T2_T3_mT4_P12ihipStream_tbEUlT_E0_NS1_11comp_targetILNS1_3genE10ELNS1_11target_archE1201ELNS1_3gpuE5ELNS1_3repE0EEENS1_30default_config_static_selectorELNS0_4arch9wavefront6targetE1EEEvSK_.has_recursion, 0
	.set _ZN7rocprim17ROCPRIM_400000_NS6detail17trampoline_kernelINS0_14default_configENS1_22reduce_config_selectorItEEZNS1_11reduce_implILb1ES3_N6thrust23THRUST_200600_302600_NS6detail15normal_iteratorINS8_10device_ptrItEEEEPttNS8_4plusItEEEE10hipError_tPvRmT1_T2_T3_mT4_P12ihipStream_tbEUlT_E0_NS1_11comp_targetILNS1_3genE10ELNS1_11target_archE1201ELNS1_3gpuE5ELNS1_3repE0EEENS1_30default_config_static_selectorELNS0_4arch9wavefront6targetE1EEEvSK_.has_indirect_call, 0
	.section	.AMDGPU.csdata,"",@progbits
; Kernel info:
; codeLenInByte = 0
; TotalNumSgprs: 6
; NumVgprs: 0
; NumAgprs: 0
; TotalNumVgprs: 0
; ScratchSize: 0
; MemoryBound: 0
; FloatMode: 240
; IeeeMode: 1
; LDSByteSize: 0 bytes/workgroup (compile time only)
; SGPRBlocks: 0
; VGPRBlocks: 0
; NumSGPRsForWavesPerEU: 6
; NumVGPRsForWavesPerEU: 1
; AccumOffset: 4
; Occupancy: 8
; WaveLimiterHint : 0
; COMPUTE_PGM_RSRC2:SCRATCH_EN: 0
; COMPUTE_PGM_RSRC2:USER_SGPR: 2
; COMPUTE_PGM_RSRC2:TRAP_HANDLER: 0
; COMPUTE_PGM_RSRC2:TGID_X_EN: 1
; COMPUTE_PGM_RSRC2:TGID_Y_EN: 0
; COMPUTE_PGM_RSRC2:TGID_Z_EN: 0
; COMPUTE_PGM_RSRC2:TIDIG_COMP_CNT: 0
; COMPUTE_PGM_RSRC3_GFX90A:ACCUM_OFFSET: 0
; COMPUTE_PGM_RSRC3_GFX90A:TG_SPLIT: 0
	.section	.text._ZN7rocprim17ROCPRIM_400000_NS6detail17trampoline_kernelINS0_14default_configENS1_22reduce_config_selectorItEEZNS1_11reduce_implILb1ES3_N6thrust23THRUST_200600_302600_NS6detail15normal_iteratorINS8_10device_ptrItEEEEPttNS8_4plusItEEEE10hipError_tPvRmT1_T2_T3_mT4_P12ihipStream_tbEUlT_E0_NS1_11comp_targetILNS1_3genE10ELNS1_11target_archE1200ELNS1_3gpuE4ELNS1_3repE0EEENS1_30default_config_static_selectorELNS0_4arch9wavefront6targetE1EEEvSK_,"axG",@progbits,_ZN7rocprim17ROCPRIM_400000_NS6detail17trampoline_kernelINS0_14default_configENS1_22reduce_config_selectorItEEZNS1_11reduce_implILb1ES3_N6thrust23THRUST_200600_302600_NS6detail15normal_iteratorINS8_10device_ptrItEEEEPttNS8_4plusItEEEE10hipError_tPvRmT1_T2_T3_mT4_P12ihipStream_tbEUlT_E0_NS1_11comp_targetILNS1_3genE10ELNS1_11target_archE1200ELNS1_3gpuE4ELNS1_3repE0EEENS1_30default_config_static_selectorELNS0_4arch9wavefront6targetE1EEEvSK_,comdat
	.protected	_ZN7rocprim17ROCPRIM_400000_NS6detail17trampoline_kernelINS0_14default_configENS1_22reduce_config_selectorItEEZNS1_11reduce_implILb1ES3_N6thrust23THRUST_200600_302600_NS6detail15normal_iteratorINS8_10device_ptrItEEEEPttNS8_4plusItEEEE10hipError_tPvRmT1_T2_T3_mT4_P12ihipStream_tbEUlT_E0_NS1_11comp_targetILNS1_3genE10ELNS1_11target_archE1200ELNS1_3gpuE4ELNS1_3repE0EEENS1_30default_config_static_selectorELNS0_4arch9wavefront6targetE1EEEvSK_ ; -- Begin function _ZN7rocprim17ROCPRIM_400000_NS6detail17trampoline_kernelINS0_14default_configENS1_22reduce_config_selectorItEEZNS1_11reduce_implILb1ES3_N6thrust23THRUST_200600_302600_NS6detail15normal_iteratorINS8_10device_ptrItEEEEPttNS8_4plusItEEEE10hipError_tPvRmT1_T2_T3_mT4_P12ihipStream_tbEUlT_E0_NS1_11comp_targetILNS1_3genE10ELNS1_11target_archE1200ELNS1_3gpuE4ELNS1_3repE0EEENS1_30default_config_static_selectorELNS0_4arch9wavefront6targetE1EEEvSK_
	.globl	_ZN7rocprim17ROCPRIM_400000_NS6detail17trampoline_kernelINS0_14default_configENS1_22reduce_config_selectorItEEZNS1_11reduce_implILb1ES3_N6thrust23THRUST_200600_302600_NS6detail15normal_iteratorINS8_10device_ptrItEEEEPttNS8_4plusItEEEE10hipError_tPvRmT1_T2_T3_mT4_P12ihipStream_tbEUlT_E0_NS1_11comp_targetILNS1_3genE10ELNS1_11target_archE1200ELNS1_3gpuE4ELNS1_3repE0EEENS1_30default_config_static_selectorELNS0_4arch9wavefront6targetE1EEEvSK_
	.p2align	8
	.type	_ZN7rocprim17ROCPRIM_400000_NS6detail17trampoline_kernelINS0_14default_configENS1_22reduce_config_selectorItEEZNS1_11reduce_implILb1ES3_N6thrust23THRUST_200600_302600_NS6detail15normal_iteratorINS8_10device_ptrItEEEEPttNS8_4plusItEEEE10hipError_tPvRmT1_T2_T3_mT4_P12ihipStream_tbEUlT_E0_NS1_11comp_targetILNS1_3genE10ELNS1_11target_archE1200ELNS1_3gpuE4ELNS1_3repE0EEENS1_30default_config_static_selectorELNS0_4arch9wavefront6targetE1EEEvSK_,@function
_ZN7rocprim17ROCPRIM_400000_NS6detail17trampoline_kernelINS0_14default_configENS1_22reduce_config_selectorItEEZNS1_11reduce_implILb1ES3_N6thrust23THRUST_200600_302600_NS6detail15normal_iteratorINS8_10device_ptrItEEEEPttNS8_4plusItEEEE10hipError_tPvRmT1_T2_T3_mT4_P12ihipStream_tbEUlT_E0_NS1_11comp_targetILNS1_3genE10ELNS1_11target_archE1200ELNS1_3gpuE4ELNS1_3repE0EEENS1_30default_config_static_selectorELNS0_4arch9wavefront6targetE1EEEvSK_: ; @_ZN7rocprim17ROCPRIM_400000_NS6detail17trampoline_kernelINS0_14default_configENS1_22reduce_config_selectorItEEZNS1_11reduce_implILb1ES3_N6thrust23THRUST_200600_302600_NS6detail15normal_iteratorINS8_10device_ptrItEEEEPttNS8_4plusItEEEE10hipError_tPvRmT1_T2_T3_mT4_P12ihipStream_tbEUlT_E0_NS1_11comp_targetILNS1_3genE10ELNS1_11target_archE1200ELNS1_3gpuE4ELNS1_3repE0EEENS1_30default_config_static_selectorELNS0_4arch9wavefront6targetE1EEEvSK_
; %bb.0:
	.section	.rodata,"a",@progbits
	.p2align	6, 0x0
	.amdhsa_kernel _ZN7rocprim17ROCPRIM_400000_NS6detail17trampoline_kernelINS0_14default_configENS1_22reduce_config_selectorItEEZNS1_11reduce_implILb1ES3_N6thrust23THRUST_200600_302600_NS6detail15normal_iteratorINS8_10device_ptrItEEEEPttNS8_4plusItEEEE10hipError_tPvRmT1_T2_T3_mT4_P12ihipStream_tbEUlT_E0_NS1_11comp_targetILNS1_3genE10ELNS1_11target_archE1200ELNS1_3gpuE4ELNS1_3repE0EEENS1_30default_config_static_selectorELNS0_4arch9wavefront6targetE1EEEvSK_
		.amdhsa_group_segment_fixed_size 0
		.amdhsa_private_segment_fixed_size 0
		.amdhsa_kernarg_size 56
		.amdhsa_user_sgpr_count 2
		.amdhsa_user_sgpr_dispatch_ptr 0
		.amdhsa_user_sgpr_queue_ptr 0
		.amdhsa_user_sgpr_kernarg_segment_ptr 1
		.amdhsa_user_sgpr_dispatch_id 0
		.amdhsa_user_sgpr_kernarg_preload_length 0
		.amdhsa_user_sgpr_kernarg_preload_offset 0
		.amdhsa_user_sgpr_private_segment_size 0
		.amdhsa_uses_dynamic_stack 0
		.amdhsa_enable_private_segment 0
		.amdhsa_system_sgpr_workgroup_id_x 1
		.amdhsa_system_sgpr_workgroup_id_y 0
		.amdhsa_system_sgpr_workgroup_id_z 0
		.amdhsa_system_sgpr_workgroup_info 0
		.amdhsa_system_vgpr_workitem_id 0
		.amdhsa_next_free_vgpr 1
		.amdhsa_next_free_sgpr 0
		.amdhsa_accum_offset 4
		.amdhsa_reserve_vcc 0
		.amdhsa_float_round_mode_32 0
		.amdhsa_float_round_mode_16_64 0
		.amdhsa_float_denorm_mode_32 3
		.amdhsa_float_denorm_mode_16_64 3
		.amdhsa_dx10_clamp 1
		.amdhsa_ieee_mode 1
		.amdhsa_fp16_overflow 0
		.amdhsa_tg_split 0
		.amdhsa_exception_fp_ieee_invalid_op 0
		.amdhsa_exception_fp_denorm_src 0
		.amdhsa_exception_fp_ieee_div_zero 0
		.amdhsa_exception_fp_ieee_overflow 0
		.amdhsa_exception_fp_ieee_underflow 0
		.amdhsa_exception_fp_ieee_inexact 0
		.amdhsa_exception_int_div_zero 0
	.end_amdhsa_kernel
	.section	.text._ZN7rocprim17ROCPRIM_400000_NS6detail17trampoline_kernelINS0_14default_configENS1_22reduce_config_selectorItEEZNS1_11reduce_implILb1ES3_N6thrust23THRUST_200600_302600_NS6detail15normal_iteratorINS8_10device_ptrItEEEEPttNS8_4plusItEEEE10hipError_tPvRmT1_T2_T3_mT4_P12ihipStream_tbEUlT_E0_NS1_11comp_targetILNS1_3genE10ELNS1_11target_archE1200ELNS1_3gpuE4ELNS1_3repE0EEENS1_30default_config_static_selectorELNS0_4arch9wavefront6targetE1EEEvSK_,"axG",@progbits,_ZN7rocprim17ROCPRIM_400000_NS6detail17trampoline_kernelINS0_14default_configENS1_22reduce_config_selectorItEEZNS1_11reduce_implILb1ES3_N6thrust23THRUST_200600_302600_NS6detail15normal_iteratorINS8_10device_ptrItEEEEPttNS8_4plusItEEEE10hipError_tPvRmT1_T2_T3_mT4_P12ihipStream_tbEUlT_E0_NS1_11comp_targetILNS1_3genE10ELNS1_11target_archE1200ELNS1_3gpuE4ELNS1_3repE0EEENS1_30default_config_static_selectorELNS0_4arch9wavefront6targetE1EEEvSK_,comdat
.Lfunc_end174:
	.size	_ZN7rocprim17ROCPRIM_400000_NS6detail17trampoline_kernelINS0_14default_configENS1_22reduce_config_selectorItEEZNS1_11reduce_implILb1ES3_N6thrust23THRUST_200600_302600_NS6detail15normal_iteratorINS8_10device_ptrItEEEEPttNS8_4plusItEEEE10hipError_tPvRmT1_T2_T3_mT4_P12ihipStream_tbEUlT_E0_NS1_11comp_targetILNS1_3genE10ELNS1_11target_archE1200ELNS1_3gpuE4ELNS1_3repE0EEENS1_30default_config_static_selectorELNS0_4arch9wavefront6targetE1EEEvSK_, .Lfunc_end174-_ZN7rocprim17ROCPRIM_400000_NS6detail17trampoline_kernelINS0_14default_configENS1_22reduce_config_selectorItEEZNS1_11reduce_implILb1ES3_N6thrust23THRUST_200600_302600_NS6detail15normal_iteratorINS8_10device_ptrItEEEEPttNS8_4plusItEEEE10hipError_tPvRmT1_T2_T3_mT4_P12ihipStream_tbEUlT_E0_NS1_11comp_targetILNS1_3genE10ELNS1_11target_archE1200ELNS1_3gpuE4ELNS1_3repE0EEENS1_30default_config_static_selectorELNS0_4arch9wavefront6targetE1EEEvSK_
                                        ; -- End function
	.set _ZN7rocprim17ROCPRIM_400000_NS6detail17trampoline_kernelINS0_14default_configENS1_22reduce_config_selectorItEEZNS1_11reduce_implILb1ES3_N6thrust23THRUST_200600_302600_NS6detail15normal_iteratorINS8_10device_ptrItEEEEPttNS8_4plusItEEEE10hipError_tPvRmT1_T2_T3_mT4_P12ihipStream_tbEUlT_E0_NS1_11comp_targetILNS1_3genE10ELNS1_11target_archE1200ELNS1_3gpuE4ELNS1_3repE0EEENS1_30default_config_static_selectorELNS0_4arch9wavefront6targetE1EEEvSK_.num_vgpr, 0
	.set _ZN7rocprim17ROCPRIM_400000_NS6detail17trampoline_kernelINS0_14default_configENS1_22reduce_config_selectorItEEZNS1_11reduce_implILb1ES3_N6thrust23THRUST_200600_302600_NS6detail15normal_iteratorINS8_10device_ptrItEEEEPttNS8_4plusItEEEE10hipError_tPvRmT1_T2_T3_mT4_P12ihipStream_tbEUlT_E0_NS1_11comp_targetILNS1_3genE10ELNS1_11target_archE1200ELNS1_3gpuE4ELNS1_3repE0EEENS1_30default_config_static_selectorELNS0_4arch9wavefront6targetE1EEEvSK_.num_agpr, 0
	.set _ZN7rocprim17ROCPRIM_400000_NS6detail17trampoline_kernelINS0_14default_configENS1_22reduce_config_selectorItEEZNS1_11reduce_implILb1ES3_N6thrust23THRUST_200600_302600_NS6detail15normal_iteratorINS8_10device_ptrItEEEEPttNS8_4plusItEEEE10hipError_tPvRmT1_T2_T3_mT4_P12ihipStream_tbEUlT_E0_NS1_11comp_targetILNS1_3genE10ELNS1_11target_archE1200ELNS1_3gpuE4ELNS1_3repE0EEENS1_30default_config_static_selectorELNS0_4arch9wavefront6targetE1EEEvSK_.numbered_sgpr, 0
	.set _ZN7rocprim17ROCPRIM_400000_NS6detail17trampoline_kernelINS0_14default_configENS1_22reduce_config_selectorItEEZNS1_11reduce_implILb1ES3_N6thrust23THRUST_200600_302600_NS6detail15normal_iteratorINS8_10device_ptrItEEEEPttNS8_4plusItEEEE10hipError_tPvRmT1_T2_T3_mT4_P12ihipStream_tbEUlT_E0_NS1_11comp_targetILNS1_3genE10ELNS1_11target_archE1200ELNS1_3gpuE4ELNS1_3repE0EEENS1_30default_config_static_selectorELNS0_4arch9wavefront6targetE1EEEvSK_.num_named_barrier, 0
	.set _ZN7rocprim17ROCPRIM_400000_NS6detail17trampoline_kernelINS0_14default_configENS1_22reduce_config_selectorItEEZNS1_11reduce_implILb1ES3_N6thrust23THRUST_200600_302600_NS6detail15normal_iteratorINS8_10device_ptrItEEEEPttNS8_4plusItEEEE10hipError_tPvRmT1_T2_T3_mT4_P12ihipStream_tbEUlT_E0_NS1_11comp_targetILNS1_3genE10ELNS1_11target_archE1200ELNS1_3gpuE4ELNS1_3repE0EEENS1_30default_config_static_selectorELNS0_4arch9wavefront6targetE1EEEvSK_.private_seg_size, 0
	.set _ZN7rocprim17ROCPRIM_400000_NS6detail17trampoline_kernelINS0_14default_configENS1_22reduce_config_selectorItEEZNS1_11reduce_implILb1ES3_N6thrust23THRUST_200600_302600_NS6detail15normal_iteratorINS8_10device_ptrItEEEEPttNS8_4plusItEEEE10hipError_tPvRmT1_T2_T3_mT4_P12ihipStream_tbEUlT_E0_NS1_11comp_targetILNS1_3genE10ELNS1_11target_archE1200ELNS1_3gpuE4ELNS1_3repE0EEENS1_30default_config_static_selectorELNS0_4arch9wavefront6targetE1EEEvSK_.uses_vcc, 0
	.set _ZN7rocprim17ROCPRIM_400000_NS6detail17trampoline_kernelINS0_14default_configENS1_22reduce_config_selectorItEEZNS1_11reduce_implILb1ES3_N6thrust23THRUST_200600_302600_NS6detail15normal_iteratorINS8_10device_ptrItEEEEPttNS8_4plusItEEEE10hipError_tPvRmT1_T2_T3_mT4_P12ihipStream_tbEUlT_E0_NS1_11comp_targetILNS1_3genE10ELNS1_11target_archE1200ELNS1_3gpuE4ELNS1_3repE0EEENS1_30default_config_static_selectorELNS0_4arch9wavefront6targetE1EEEvSK_.uses_flat_scratch, 0
	.set _ZN7rocprim17ROCPRIM_400000_NS6detail17trampoline_kernelINS0_14default_configENS1_22reduce_config_selectorItEEZNS1_11reduce_implILb1ES3_N6thrust23THRUST_200600_302600_NS6detail15normal_iteratorINS8_10device_ptrItEEEEPttNS8_4plusItEEEE10hipError_tPvRmT1_T2_T3_mT4_P12ihipStream_tbEUlT_E0_NS1_11comp_targetILNS1_3genE10ELNS1_11target_archE1200ELNS1_3gpuE4ELNS1_3repE0EEENS1_30default_config_static_selectorELNS0_4arch9wavefront6targetE1EEEvSK_.has_dyn_sized_stack, 0
	.set _ZN7rocprim17ROCPRIM_400000_NS6detail17trampoline_kernelINS0_14default_configENS1_22reduce_config_selectorItEEZNS1_11reduce_implILb1ES3_N6thrust23THRUST_200600_302600_NS6detail15normal_iteratorINS8_10device_ptrItEEEEPttNS8_4plusItEEEE10hipError_tPvRmT1_T2_T3_mT4_P12ihipStream_tbEUlT_E0_NS1_11comp_targetILNS1_3genE10ELNS1_11target_archE1200ELNS1_3gpuE4ELNS1_3repE0EEENS1_30default_config_static_selectorELNS0_4arch9wavefront6targetE1EEEvSK_.has_recursion, 0
	.set _ZN7rocprim17ROCPRIM_400000_NS6detail17trampoline_kernelINS0_14default_configENS1_22reduce_config_selectorItEEZNS1_11reduce_implILb1ES3_N6thrust23THRUST_200600_302600_NS6detail15normal_iteratorINS8_10device_ptrItEEEEPttNS8_4plusItEEEE10hipError_tPvRmT1_T2_T3_mT4_P12ihipStream_tbEUlT_E0_NS1_11comp_targetILNS1_3genE10ELNS1_11target_archE1200ELNS1_3gpuE4ELNS1_3repE0EEENS1_30default_config_static_selectorELNS0_4arch9wavefront6targetE1EEEvSK_.has_indirect_call, 0
	.section	.AMDGPU.csdata,"",@progbits
; Kernel info:
; codeLenInByte = 0
; TotalNumSgprs: 6
; NumVgprs: 0
; NumAgprs: 0
; TotalNumVgprs: 0
; ScratchSize: 0
; MemoryBound: 0
; FloatMode: 240
; IeeeMode: 1
; LDSByteSize: 0 bytes/workgroup (compile time only)
; SGPRBlocks: 0
; VGPRBlocks: 0
; NumSGPRsForWavesPerEU: 6
; NumVGPRsForWavesPerEU: 1
; AccumOffset: 4
; Occupancy: 8
; WaveLimiterHint : 0
; COMPUTE_PGM_RSRC2:SCRATCH_EN: 0
; COMPUTE_PGM_RSRC2:USER_SGPR: 2
; COMPUTE_PGM_RSRC2:TRAP_HANDLER: 0
; COMPUTE_PGM_RSRC2:TGID_X_EN: 1
; COMPUTE_PGM_RSRC2:TGID_Y_EN: 0
; COMPUTE_PGM_RSRC2:TGID_Z_EN: 0
; COMPUTE_PGM_RSRC2:TIDIG_COMP_CNT: 0
; COMPUTE_PGM_RSRC3_GFX90A:ACCUM_OFFSET: 0
; COMPUTE_PGM_RSRC3_GFX90A:TG_SPLIT: 0
	.section	.text._ZN7rocprim17ROCPRIM_400000_NS6detail17trampoline_kernelINS0_14default_configENS1_22reduce_config_selectorItEEZNS1_11reduce_implILb1ES3_N6thrust23THRUST_200600_302600_NS6detail15normal_iteratorINS8_10device_ptrItEEEEPttNS8_4plusItEEEE10hipError_tPvRmT1_T2_T3_mT4_P12ihipStream_tbEUlT_E0_NS1_11comp_targetILNS1_3genE9ELNS1_11target_archE1100ELNS1_3gpuE3ELNS1_3repE0EEENS1_30default_config_static_selectorELNS0_4arch9wavefront6targetE1EEEvSK_,"axG",@progbits,_ZN7rocprim17ROCPRIM_400000_NS6detail17trampoline_kernelINS0_14default_configENS1_22reduce_config_selectorItEEZNS1_11reduce_implILb1ES3_N6thrust23THRUST_200600_302600_NS6detail15normal_iteratorINS8_10device_ptrItEEEEPttNS8_4plusItEEEE10hipError_tPvRmT1_T2_T3_mT4_P12ihipStream_tbEUlT_E0_NS1_11comp_targetILNS1_3genE9ELNS1_11target_archE1100ELNS1_3gpuE3ELNS1_3repE0EEENS1_30default_config_static_selectorELNS0_4arch9wavefront6targetE1EEEvSK_,comdat
	.protected	_ZN7rocprim17ROCPRIM_400000_NS6detail17trampoline_kernelINS0_14default_configENS1_22reduce_config_selectorItEEZNS1_11reduce_implILb1ES3_N6thrust23THRUST_200600_302600_NS6detail15normal_iteratorINS8_10device_ptrItEEEEPttNS8_4plusItEEEE10hipError_tPvRmT1_T2_T3_mT4_P12ihipStream_tbEUlT_E0_NS1_11comp_targetILNS1_3genE9ELNS1_11target_archE1100ELNS1_3gpuE3ELNS1_3repE0EEENS1_30default_config_static_selectorELNS0_4arch9wavefront6targetE1EEEvSK_ ; -- Begin function _ZN7rocprim17ROCPRIM_400000_NS6detail17trampoline_kernelINS0_14default_configENS1_22reduce_config_selectorItEEZNS1_11reduce_implILb1ES3_N6thrust23THRUST_200600_302600_NS6detail15normal_iteratorINS8_10device_ptrItEEEEPttNS8_4plusItEEEE10hipError_tPvRmT1_T2_T3_mT4_P12ihipStream_tbEUlT_E0_NS1_11comp_targetILNS1_3genE9ELNS1_11target_archE1100ELNS1_3gpuE3ELNS1_3repE0EEENS1_30default_config_static_selectorELNS0_4arch9wavefront6targetE1EEEvSK_
	.globl	_ZN7rocprim17ROCPRIM_400000_NS6detail17trampoline_kernelINS0_14default_configENS1_22reduce_config_selectorItEEZNS1_11reduce_implILb1ES3_N6thrust23THRUST_200600_302600_NS6detail15normal_iteratorINS8_10device_ptrItEEEEPttNS8_4plusItEEEE10hipError_tPvRmT1_T2_T3_mT4_P12ihipStream_tbEUlT_E0_NS1_11comp_targetILNS1_3genE9ELNS1_11target_archE1100ELNS1_3gpuE3ELNS1_3repE0EEENS1_30default_config_static_selectorELNS0_4arch9wavefront6targetE1EEEvSK_
	.p2align	8
	.type	_ZN7rocprim17ROCPRIM_400000_NS6detail17trampoline_kernelINS0_14default_configENS1_22reduce_config_selectorItEEZNS1_11reduce_implILb1ES3_N6thrust23THRUST_200600_302600_NS6detail15normal_iteratorINS8_10device_ptrItEEEEPttNS8_4plusItEEEE10hipError_tPvRmT1_T2_T3_mT4_P12ihipStream_tbEUlT_E0_NS1_11comp_targetILNS1_3genE9ELNS1_11target_archE1100ELNS1_3gpuE3ELNS1_3repE0EEENS1_30default_config_static_selectorELNS0_4arch9wavefront6targetE1EEEvSK_,@function
_ZN7rocprim17ROCPRIM_400000_NS6detail17trampoline_kernelINS0_14default_configENS1_22reduce_config_selectorItEEZNS1_11reduce_implILb1ES3_N6thrust23THRUST_200600_302600_NS6detail15normal_iteratorINS8_10device_ptrItEEEEPttNS8_4plusItEEEE10hipError_tPvRmT1_T2_T3_mT4_P12ihipStream_tbEUlT_E0_NS1_11comp_targetILNS1_3genE9ELNS1_11target_archE1100ELNS1_3gpuE3ELNS1_3repE0EEENS1_30default_config_static_selectorELNS0_4arch9wavefront6targetE1EEEvSK_: ; @_ZN7rocprim17ROCPRIM_400000_NS6detail17trampoline_kernelINS0_14default_configENS1_22reduce_config_selectorItEEZNS1_11reduce_implILb1ES3_N6thrust23THRUST_200600_302600_NS6detail15normal_iteratorINS8_10device_ptrItEEEEPttNS8_4plusItEEEE10hipError_tPvRmT1_T2_T3_mT4_P12ihipStream_tbEUlT_E0_NS1_11comp_targetILNS1_3genE9ELNS1_11target_archE1100ELNS1_3gpuE3ELNS1_3repE0EEENS1_30default_config_static_selectorELNS0_4arch9wavefront6targetE1EEEvSK_
; %bb.0:
	.section	.rodata,"a",@progbits
	.p2align	6, 0x0
	.amdhsa_kernel _ZN7rocprim17ROCPRIM_400000_NS6detail17trampoline_kernelINS0_14default_configENS1_22reduce_config_selectorItEEZNS1_11reduce_implILb1ES3_N6thrust23THRUST_200600_302600_NS6detail15normal_iteratorINS8_10device_ptrItEEEEPttNS8_4plusItEEEE10hipError_tPvRmT1_T2_T3_mT4_P12ihipStream_tbEUlT_E0_NS1_11comp_targetILNS1_3genE9ELNS1_11target_archE1100ELNS1_3gpuE3ELNS1_3repE0EEENS1_30default_config_static_selectorELNS0_4arch9wavefront6targetE1EEEvSK_
		.amdhsa_group_segment_fixed_size 0
		.amdhsa_private_segment_fixed_size 0
		.amdhsa_kernarg_size 56
		.amdhsa_user_sgpr_count 2
		.amdhsa_user_sgpr_dispatch_ptr 0
		.amdhsa_user_sgpr_queue_ptr 0
		.amdhsa_user_sgpr_kernarg_segment_ptr 1
		.amdhsa_user_sgpr_dispatch_id 0
		.amdhsa_user_sgpr_kernarg_preload_length 0
		.amdhsa_user_sgpr_kernarg_preload_offset 0
		.amdhsa_user_sgpr_private_segment_size 0
		.amdhsa_uses_dynamic_stack 0
		.amdhsa_enable_private_segment 0
		.amdhsa_system_sgpr_workgroup_id_x 1
		.amdhsa_system_sgpr_workgroup_id_y 0
		.amdhsa_system_sgpr_workgroup_id_z 0
		.amdhsa_system_sgpr_workgroup_info 0
		.amdhsa_system_vgpr_workitem_id 0
		.amdhsa_next_free_vgpr 1
		.amdhsa_next_free_sgpr 0
		.amdhsa_accum_offset 4
		.amdhsa_reserve_vcc 0
		.amdhsa_float_round_mode_32 0
		.amdhsa_float_round_mode_16_64 0
		.amdhsa_float_denorm_mode_32 3
		.amdhsa_float_denorm_mode_16_64 3
		.amdhsa_dx10_clamp 1
		.amdhsa_ieee_mode 1
		.amdhsa_fp16_overflow 0
		.amdhsa_tg_split 0
		.amdhsa_exception_fp_ieee_invalid_op 0
		.amdhsa_exception_fp_denorm_src 0
		.amdhsa_exception_fp_ieee_div_zero 0
		.amdhsa_exception_fp_ieee_overflow 0
		.amdhsa_exception_fp_ieee_underflow 0
		.amdhsa_exception_fp_ieee_inexact 0
		.amdhsa_exception_int_div_zero 0
	.end_amdhsa_kernel
	.section	.text._ZN7rocprim17ROCPRIM_400000_NS6detail17trampoline_kernelINS0_14default_configENS1_22reduce_config_selectorItEEZNS1_11reduce_implILb1ES3_N6thrust23THRUST_200600_302600_NS6detail15normal_iteratorINS8_10device_ptrItEEEEPttNS8_4plusItEEEE10hipError_tPvRmT1_T2_T3_mT4_P12ihipStream_tbEUlT_E0_NS1_11comp_targetILNS1_3genE9ELNS1_11target_archE1100ELNS1_3gpuE3ELNS1_3repE0EEENS1_30default_config_static_selectorELNS0_4arch9wavefront6targetE1EEEvSK_,"axG",@progbits,_ZN7rocprim17ROCPRIM_400000_NS6detail17trampoline_kernelINS0_14default_configENS1_22reduce_config_selectorItEEZNS1_11reduce_implILb1ES3_N6thrust23THRUST_200600_302600_NS6detail15normal_iteratorINS8_10device_ptrItEEEEPttNS8_4plusItEEEE10hipError_tPvRmT1_T2_T3_mT4_P12ihipStream_tbEUlT_E0_NS1_11comp_targetILNS1_3genE9ELNS1_11target_archE1100ELNS1_3gpuE3ELNS1_3repE0EEENS1_30default_config_static_selectorELNS0_4arch9wavefront6targetE1EEEvSK_,comdat
.Lfunc_end175:
	.size	_ZN7rocprim17ROCPRIM_400000_NS6detail17trampoline_kernelINS0_14default_configENS1_22reduce_config_selectorItEEZNS1_11reduce_implILb1ES3_N6thrust23THRUST_200600_302600_NS6detail15normal_iteratorINS8_10device_ptrItEEEEPttNS8_4plusItEEEE10hipError_tPvRmT1_T2_T3_mT4_P12ihipStream_tbEUlT_E0_NS1_11comp_targetILNS1_3genE9ELNS1_11target_archE1100ELNS1_3gpuE3ELNS1_3repE0EEENS1_30default_config_static_selectorELNS0_4arch9wavefront6targetE1EEEvSK_, .Lfunc_end175-_ZN7rocprim17ROCPRIM_400000_NS6detail17trampoline_kernelINS0_14default_configENS1_22reduce_config_selectorItEEZNS1_11reduce_implILb1ES3_N6thrust23THRUST_200600_302600_NS6detail15normal_iteratorINS8_10device_ptrItEEEEPttNS8_4plusItEEEE10hipError_tPvRmT1_T2_T3_mT4_P12ihipStream_tbEUlT_E0_NS1_11comp_targetILNS1_3genE9ELNS1_11target_archE1100ELNS1_3gpuE3ELNS1_3repE0EEENS1_30default_config_static_selectorELNS0_4arch9wavefront6targetE1EEEvSK_
                                        ; -- End function
	.set _ZN7rocprim17ROCPRIM_400000_NS6detail17trampoline_kernelINS0_14default_configENS1_22reduce_config_selectorItEEZNS1_11reduce_implILb1ES3_N6thrust23THRUST_200600_302600_NS6detail15normal_iteratorINS8_10device_ptrItEEEEPttNS8_4plusItEEEE10hipError_tPvRmT1_T2_T3_mT4_P12ihipStream_tbEUlT_E0_NS1_11comp_targetILNS1_3genE9ELNS1_11target_archE1100ELNS1_3gpuE3ELNS1_3repE0EEENS1_30default_config_static_selectorELNS0_4arch9wavefront6targetE1EEEvSK_.num_vgpr, 0
	.set _ZN7rocprim17ROCPRIM_400000_NS6detail17trampoline_kernelINS0_14default_configENS1_22reduce_config_selectorItEEZNS1_11reduce_implILb1ES3_N6thrust23THRUST_200600_302600_NS6detail15normal_iteratorINS8_10device_ptrItEEEEPttNS8_4plusItEEEE10hipError_tPvRmT1_T2_T3_mT4_P12ihipStream_tbEUlT_E0_NS1_11comp_targetILNS1_3genE9ELNS1_11target_archE1100ELNS1_3gpuE3ELNS1_3repE0EEENS1_30default_config_static_selectorELNS0_4arch9wavefront6targetE1EEEvSK_.num_agpr, 0
	.set _ZN7rocprim17ROCPRIM_400000_NS6detail17trampoline_kernelINS0_14default_configENS1_22reduce_config_selectorItEEZNS1_11reduce_implILb1ES3_N6thrust23THRUST_200600_302600_NS6detail15normal_iteratorINS8_10device_ptrItEEEEPttNS8_4plusItEEEE10hipError_tPvRmT1_T2_T3_mT4_P12ihipStream_tbEUlT_E0_NS1_11comp_targetILNS1_3genE9ELNS1_11target_archE1100ELNS1_3gpuE3ELNS1_3repE0EEENS1_30default_config_static_selectorELNS0_4arch9wavefront6targetE1EEEvSK_.numbered_sgpr, 0
	.set _ZN7rocprim17ROCPRIM_400000_NS6detail17trampoline_kernelINS0_14default_configENS1_22reduce_config_selectorItEEZNS1_11reduce_implILb1ES3_N6thrust23THRUST_200600_302600_NS6detail15normal_iteratorINS8_10device_ptrItEEEEPttNS8_4plusItEEEE10hipError_tPvRmT1_T2_T3_mT4_P12ihipStream_tbEUlT_E0_NS1_11comp_targetILNS1_3genE9ELNS1_11target_archE1100ELNS1_3gpuE3ELNS1_3repE0EEENS1_30default_config_static_selectorELNS0_4arch9wavefront6targetE1EEEvSK_.num_named_barrier, 0
	.set _ZN7rocprim17ROCPRIM_400000_NS6detail17trampoline_kernelINS0_14default_configENS1_22reduce_config_selectorItEEZNS1_11reduce_implILb1ES3_N6thrust23THRUST_200600_302600_NS6detail15normal_iteratorINS8_10device_ptrItEEEEPttNS8_4plusItEEEE10hipError_tPvRmT1_T2_T3_mT4_P12ihipStream_tbEUlT_E0_NS1_11comp_targetILNS1_3genE9ELNS1_11target_archE1100ELNS1_3gpuE3ELNS1_3repE0EEENS1_30default_config_static_selectorELNS0_4arch9wavefront6targetE1EEEvSK_.private_seg_size, 0
	.set _ZN7rocprim17ROCPRIM_400000_NS6detail17trampoline_kernelINS0_14default_configENS1_22reduce_config_selectorItEEZNS1_11reduce_implILb1ES3_N6thrust23THRUST_200600_302600_NS6detail15normal_iteratorINS8_10device_ptrItEEEEPttNS8_4plusItEEEE10hipError_tPvRmT1_T2_T3_mT4_P12ihipStream_tbEUlT_E0_NS1_11comp_targetILNS1_3genE9ELNS1_11target_archE1100ELNS1_3gpuE3ELNS1_3repE0EEENS1_30default_config_static_selectorELNS0_4arch9wavefront6targetE1EEEvSK_.uses_vcc, 0
	.set _ZN7rocprim17ROCPRIM_400000_NS6detail17trampoline_kernelINS0_14default_configENS1_22reduce_config_selectorItEEZNS1_11reduce_implILb1ES3_N6thrust23THRUST_200600_302600_NS6detail15normal_iteratorINS8_10device_ptrItEEEEPttNS8_4plusItEEEE10hipError_tPvRmT1_T2_T3_mT4_P12ihipStream_tbEUlT_E0_NS1_11comp_targetILNS1_3genE9ELNS1_11target_archE1100ELNS1_3gpuE3ELNS1_3repE0EEENS1_30default_config_static_selectorELNS0_4arch9wavefront6targetE1EEEvSK_.uses_flat_scratch, 0
	.set _ZN7rocprim17ROCPRIM_400000_NS6detail17trampoline_kernelINS0_14default_configENS1_22reduce_config_selectorItEEZNS1_11reduce_implILb1ES3_N6thrust23THRUST_200600_302600_NS6detail15normal_iteratorINS8_10device_ptrItEEEEPttNS8_4plusItEEEE10hipError_tPvRmT1_T2_T3_mT4_P12ihipStream_tbEUlT_E0_NS1_11comp_targetILNS1_3genE9ELNS1_11target_archE1100ELNS1_3gpuE3ELNS1_3repE0EEENS1_30default_config_static_selectorELNS0_4arch9wavefront6targetE1EEEvSK_.has_dyn_sized_stack, 0
	.set _ZN7rocprim17ROCPRIM_400000_NS6detail17trampoline_kernelINS0_14default_configENS1_22reduce_config_selectorItEEZNS1_11reduce_implILb1ES3_N6thrust23THRUST_200600_302600_NS6detail15normal_iteratorINS8_10device_ptrItEEEEPttNS8_4plusItEEEE10hipError_tPvRmT1_T2_T3_mT4_P12ihipStream_tbEUlT_E0_NS1_11comp_targetILNS1_3genE9ELNS1_11target_archE1100ELNS1_3gpuE3ELNS1_3repE0EEENS1_30default_config_static_selectorELNS0_4arch9wavefront6targetE1EEEvSK_.has_recursion, 0
	.set _ZN7rocprim17ROCPRIM_400000_NS6detail17trampoline_kernelINS0_14default_configENS1_22reduce_config_selectorItEEZNS1_11reduce_implILb1ES3_N6thrust23THRUST_200600_302600_NS6detail15normal_iteratorINS8_10device_ptrItEEEEPttNS8_4plusItEEEE10hipError_tPvRmT1_T2_T3_mT4_P12ihipStream_tbEUlT_E0_NS1_11comp_targetILNS1_3genE9ELNS1_11target_archE1100ELNS1_3gpuE3ELNS1_3repE0EEENS1_30default_config_static_selectorELNS0_4arch9wavefront6targetE1EEEvSK_.has_indirect_call, 0
	.section	.AMDGPU.csdata,"",@progbits
; Kernel info:
; codeLenInByte = 0
; TotalNumSgprs: 6
; NumVgprs: 0
; NumAgprs: 0
; TotalNumVgprs: 0
; ScratchSize: 0
; MemoryBound: 0
; FloatMode: 240
; IeeeMode: 1
; LDSByteSize: 0 bytes/workgroup (compile time only)
; SGPRBlocks: 0
; VGPRBlocks: 0
; NumSGPRsForWavesPerEU: 6
; NumVGPRsForWavesPerEU: 1
; AccumOffset: 4
; Occupancy: 8
; WaveLimiterHint : 0
; COMPUTE_PGM_RSRC2:SCRATCH_EN: 0
; COMPUTE_PGM_RSRC2:USER_SGPR: 2
; COMPUTE_PGM_RSRC2:TRAP_HANDLER: 0
; COMPUTE_PGM_RSRC2:TGID_X_EN: 1
; COMPUTE_PGM_RSRC2:TGID_Y_EN: 0
; COMPUTE_PGM_RSRC2:TGID_Z_EN: 0
; COMPUTE_PGM_RSRC2:TIDIG_COMP_CNT: 0
; COMPUTE_PGM_RSRC3_GFX90A:ACCUM_OFFSET: 0
; COMPUTE_PGM_RSRC3_GFX90A:TG_SPLIT: 0
	.section	.text._ZN7rocprim17ROCPRIM_400000_NS6detail17trampoline_kernelINS0_14default_configENS1_22reduce_config_selectorItEEZNS1_11reduce_implILb1ES3_N6thrust23THRUST_200600_302600_NS6detail15normal_iteratorINS8_10device_ptrItEEEEPttNS8_4plusItEEEE10hipError_tPvRmT1_T2_T3_mT4_P12ihipStream_tbEUlT_E0_NS1_11comp_targetILNS1_3genE8ELNS1_11target_archE1030ELNS1_3gpuE2ELNS1_3repE0EEENS1_30default_config_static_selectorELNS0_4arch9wavefront6targetE1EEEvSK_,"axG",@progbits,_ZN7rocprim17ROCPRIM_400000_NS6detail17trampoline_kernelINS0_14default_configENS1_22reduce_config_selectorItEEZNS1_11reduce_implILb1ES3_N6thrust23THRUST_200600_302600_NS6detail15normal_iteratorINS8_10device_ptrItEEEEPttNS8_4plusItEEEE10hipError_tPvRmT1_T2_T3_mT4_P12ihipStream_tbEUlT_E0_NS1_11comp_targetILNS1_3genE8ELNS1_11target_archE1030ELNS1_3gpuE2ELNS1_3repE0EEENS1_30default_config_static_selectorELNS0_4arch9wavefront6targetE1EEEvSK_,comdat
	.protected	_ZN7rocprim17ROCPRIM_400000_NS6detail17trampoline_kernelINS0_14default_configENS1_22reduce_config_selectorItEEZNS1_11reduce_implILb1ES3_N6thrust23THRUST_200600_302600_NS6detail15normal_iteratorINS8_10device_ptrItEEEEPttNS8_4plusItEEEE10hipError_tPvRmT1_T2_T3_mT4_P12ihipStream_tbEUlT_E0_NS1_11comp_targetILNS1_3genE8ELNS1_11target_archE1030ELNS1_3gpuE2ELNS1_3repE0EEENS1_30default_config_static_selectorELNS0_4arch9wavefront6targetE1EEEvSK_ ; -- Begin function _ZN7rocprim17ROCPRIM_400000_NS6detail17trampoline_kernelINS0_14default_configENS1_22reduce_config_selectorItEEZNS1_11reduce_implILb1ES3_N6thrust23THRUST_200600_302600_NS6detail15normal_iteratorINS8_10device_ptrItEEEEPttNS8_4plusItEEEE10hipError_tPvRmT1_T2_T3_mT4_P12ihipStream_tbEUlT_E0_NS1_11comp_targetILNS1_3genE8ELNS1_11target_archE1030ELNS1_3gpuE2ELNS1_3repE0EEENS1_30default_config_static_selectorELNS0_4arch9wavefront6targetE1EEEvSK_
	.globl	_ZN7rocprim17ROCPRIM_400000_NS6detail17trampoline_kernelINS0_14default_configENS1_22reduce_config_selectorItEEZNS1_11reduce_implILb1ES3_N6thrust23THRUST_200600_302600_NS6detail15normal_iteratorINS8_10device_ptrItEEEEPttNS8_4plusItEEEE10hipError_tPvRmT1_T2_T3_mT4_P12ihipStream_tbEUlT_E0_NS1_11comp_targetILNS1_3genE8ELNS1_11target_archE1030ELNS1_3gpuE2ELNS1_3repE0EEENS1_30default_config_static_selectorELNS0_4arch9wavefront6targetE1EEEvSK_
	.p2align	8
	.type	_ZN7rocprim17ROCPRIM_400000_NS6detail17trampoline_kernelINS0_14default_configENS1_22reduce_config_selectorItEEZNS1_11reduce_implILb1ES3_N6thrust23THRUST_200600_302600_NS6detail15normal_iteratorINS8_10device_ptrItEEEEPttNS8_4plusItEEEE10hipError_tPvRmT1_T2_T3_mT4_P12ihipStream_tbEUlT_E0_NS1_11comp_targetILNS1_3genE8ELNS1_11target_archE1030ELNS1_3gpuE2ELNS1_3repE0EEENS1_30default_config_static_selectorELNS0_4arch9wavefront6targetE1EEEvSK_,@function
_ZN7rocprim17ROCPRIM_400000_NS6detail17trampoline_kernelINS0_14default_configENS1_22reduce_config_selectorItEEZNS1_11reduce_implILb1ES3_N6thrust23THRUST_200600_302600_NS6detail15normal_iteratorINS8_10device_ptrItEEEEPttNS8_4plusItEEEE10hipError_tPvRmT1_T2_T3_mT4_P12ihipStream_tbEUlT_E0_NS1_11comp_targetILNS1_3genE8ELNS1_11target_archE1030ELNS1_3gpuE2ELNS1_3repE0EEENS1_30default_config_static_selectorELNS0_4arch9wavefront6targetE1EEEvSK_: ; @_ZN7rocprim17ROCPRIM_400000_NS6detail17trampoline_kernelINS0_14default_configENS1_22reduce_config_selectorItEEZNS1_11reduce_implILb1ES3_N6thrust23THRUST_200600_302600_NS6detail15normal_iteratorINS8_10device_ptrItEEEEPttNS8_4plusItEEEE10hipError_tPvRmT1_T2_T3_mT4_P12ihipStream_tbEUlT_E0_NS1_11comp_targetILNS1_3genE8ELNS1_11target_archE1030ELNS1_3gpuE2ELNS1_3repE0EEENS1_30default_config_static_selectorELNS0_4arch9wavefront6targetE1EEEvSK_
; %bb.0:
	.section	.rodata,"a",@progbits
	.p2align	6, 0x0
	.amdhsa_kernel _ZN7rocprim17ROCPRIM_400000_NS6detail17trampoline_kernelINS0_14default_configENS1_22reduce_config_selectorItEEZNS1_11reduce_implILb1ES3_N6thrust23THRUST_200600_302600_NS6detail15normal_iteratorINS8_10device_ptrItEEEEPttNS8_4plusItEEEE10hipError_tPvRmT1_T2_T3_mT4_P12ihipStream_tbEUlT_E0_NS1_11comp_targetILNS1_3genE8ELNS1_11target_archE1030ELNS1_3gpuE2ELNS1_3repE0EEENS1_30default_config_static_selectorELNS0_4arch9wavefront6targetE1EEEvSK_
		.amdhsa_group_segment_fixed_size 0
		.amdhsa_private_segment_fixed_size 0
		.amdhsa_kernarg_size 56
		.amdhsa_user_sgpr_count 2
		.amdhsa_user_sgpr_dispatch_ptr 0
		.amdhsa_user_sgpr_queue_ptr 0
		.amdhsa_user_sgpr_kernarg_segment_ptr 1
		.amdhsa_user_sgpr_dispatch_id 0
		.amdhsa_user_sgpr_kernarg_preload_length 0
		.amdhsa_user_sgpr_kernarg_preload_offset 0
		.amdhsa_user_sgpr_private_segment_size 0
		.amdhsa_uses_dynamic_stack 0
		.amdhsa_enable_private_segment 0
		.amdhsa_system_sgpr_workgroup_id_x 1
		.amdhsa_system_sgpr_workgroup_id_y 0
		.amdhsa_system_sgpr_workgroup_id_z 0
		.amdhsa_system_sgpr_workgroup_info 0
		.amdhsa_system_vgpr_workitem_id 0
		.amdhsa_next_free_vgpr 1
		.amdhsa_next_free_sgpr 0
		.amdhsa_accum_offset 4
		.amdhsa_reserve_vcc 0
		.amdhsa_float_round_mode_32 0
		.amdhsa_float_round_mode_16_64 0
		.amdhsa_float_denorm_mode_32 3
		.amdhsa_float_denorm_mode_16_64 3
		.amdhsa_dx10_clamp 1
		.amdhsa_ieee_mode 1
		.amdhsa_fp16_overflow 0
		.amdhsa_tg_split 0
		.amdhsa_exception_fp_ieee_invalid_op 0
		.amdhsa_exception_fp_denorm_src 0
		.amdhsa_exception_fp_ieee_div_zero 0
		.amdhsa_exception_fp_ieee_overflow 0
		.amdhsa_exception_fp_ieee_underflow 0
		.amdhsa_exception_fp_ieee_inexact 0
		.amdhsa_exception_int_div_zero 0
	.end_amdhsa_kernel
	.section	.text._ZN7rocprim17ROCPRIM_400000_NS6detail17trampoline_kernelINS0_14default_configENS1_22reduce_config_selectorItEEZNS1_11reduce_implILb1ES3_N6thrust23THRUST_200600_302600_NS6detail15normal_iteratorINS8_10device_ptrItEEEEPttNS8_4plusItEEEE10hipError_tPvRmT1_T2_T3_mT4_P12ihipStream_tbEUlT_E0_NS1_11comp_targetILNS1_3genE8ELNS1_11target_archE1030ELNS1_3gpuE2ELNS1_3repE0EEENS1_30default_config_static_selectorELNS0_4arch9wavefront6targetE1EEEvSK_,"axG",@progbits,_ZN7rocprim17ROCPRIM_400000_NS6detail17trampoline_kernelINS0_14default_configENS1_22reduce_config_selectorItEEZNS1_11reduce_implILb1ES3_N6thrust23THRUST_200600_302600_NS6detail15normal_iteratorINS8_10device_ptrItEEEEPttNS8_4plusItEEEE10hipError_tPvRmT1_T2_T3_mT4_P12ihipStream_tbEUlT_E0_NS1_11comp_targetILNS1_3genE8ELNS1_11target_archE1030ELNS1_3gpuE2ELNS1_3repE0EEENS1_30default_config_static_selectorELNS0_4arch9wavefront6targetE1EEEvSK_,comdat
.Lfunc_end176:
	.size	_ZN7rocprim17ROCPRIM_400000_NS6detail17trampoline_kernelINS0_14default_configENS1_22reduce_config_selectorItEEZNS1_11reduce_implILb1ES3_N6thrust23THRUST_200600_302600_NS6detail15normal_iteratorINS8_10device_ptrItEEEEPttNS8_4plusItEEEE10hipError_tPvRmT1_T2_T3_mT4_P12ihipStream_tbEUlT_E0_NS1_11comp_targetILNS1_3genE8ELNS1_11target_archE1030ELNS1_3gpuE2ELNS1_3repE0EEENS1_30default_config_static_selectorELNS0_4arch9wavefront6targetE1EEEvSK_, .Lfunc_end176-_ZN7rocprim17ROCPRIM_400000_NS6detail17trampoline_kernelINS0_14default_configENS1_22reduce_config_selectorItEEZNS1_11reduce_implILb1ES3_N6thrust23THRUST_200600_302600_NS6detail15normal_iteratorINS8_10device_ptrItEEEEPttNS8_4plusItEEEE10hipError_tPvRmT1_T2_T3_mT4_P12ihipStream_tbEUlT_E0_NS1_11comp_targetILNS1_3genE8ELNS1_11target_archE1030ELNS1_3gpuE2ELNS1_3repE0EEENS1_30default_config_static_selectorELNS0_4arch9wavefront6targetE1EEEvSK_
                                        ; -- End function
	.set _ZN7rocprim17ROCPRIM_400000_NS6detail17trampoline_kernelINS0_14default_configENS1_22reduce_config_selectorItEEZNS1_11reduce_implILb1ES3_N6thrust23THRUST_200600_302600_NS6detail15normal_iteratorINS8_10device_ptrItEEEEPttNS8_4plusItEEEE10hipError_tPvRmT1_T2_T3_mT4_P12ihipStream_tbEUlT_E0_NS1_11comp_targetILNS1_3genE8ELNS1_11target_archE1030ELNS1_3gpuE2ELNS1_3repE0EEENS1_30default_config_static_selectorELNS0_4arch9wavefront6targetE1EEEvSK_.num_vgpr, 0
	.set _ZN7rocprim17ROCPRIM_400000_NS6detail17trampoline_kernelINS0_14default_configENS1_22reduce_config_selectorItEEZNS1_11reduce_implILb1ES3_N6thrust23THRUST_200600_302600_NS6detail15normal_iteratorINS8_10device_ptrItEEEEPttNS8_4plusItEEEE10hipError_tPvRmT1_T2_T3_mT4_P12ihipStream_tbEUlT_E0_NS1_11comp_targetILNS1_3genE8ELNS1_11target_archE1030ELNS1_3gpuE2ELNS1_3repE0EEENS1_30default_config_static_selectorELNS0_4arch9wavefront6targetE1EEEvSK_.num_agpr, 0
	.set _ZN7rocprim17ROCPRIM_400000_NS6detail17trampoline_kernelINS0_14default_configENS1_22reduce_config_selectorItEEZNS1_11reduce_implILb1ES3_N6thrust23THRUST_200600_302600_NS6detail15normal_iteratorINS8_10device_ptrItEEEEPttNS8_4plusItEEEE10hipError_tPvRmT1_T2_T3_mT4_P12ihipStream_tbEUlT_E0_NS1_11comp_targetILNS1_3genE8ELNS1_11target_archE1030ELNS1_3gpuE2ELNS1_3repE0EEENS1_30default_config_static_selectorELNS0_4arch9wavefront6targetE1EEEvSK_.numbered_sgpr, 0
	.set _ZN7rocprim17ROCPRIM_400000_NS6detail17trampoline_kernelINS0_14default_configENS1_22reduce_config_selectorItEEZNS1_11reduce_implILb1ES3_N6thrust23THRUST_200600_302600_NS6detail15normal_iteratorINS8_10device_ptrItEEEEPttNS8_4plusItEEEE10hipError_tPvRmT1_T2_T3_mT4_P12ihipStream_tbEUlT_E0_NS1_11comp_targetILNS1_3genE8ELNS1_11target_archE1030ELNS1_3gpuE2ELNS1_3repE0EEENS1_30default_config_static_selectorELNS0_4arch9wavefront6targetE1EEEvSK_.num_named_barrier, 0
	.set _ZN7rocprim17ROCPRIM_400000_NS6detail17trampoline_kernelINS0_14default_configENS1_22reduce_config_selectorItEEZNS1_11reduce_implILb1ES3_N6thrust23THRUST_200600_302600_NS6detail15normal_iteratorINS8_10device_ptrItEEEEPttNS8_4plusItEEEE10hipError_tPvRmT1_T2_T3_mT4_P12ihipStream_tbEUlT_E0_NS1_11comp_targetILNS1_3genE8ELNS1_11target_archE1030ELNS1_3gpuE2ELNS1_3repE0EEENS1_30default_config_static_selectorELNS0_4arch9wavefront6targetE1EEEvSK_.private_seg_size, 0
	.set _ZN7rocprim17ROCPRIM_400000_NS6detail17trampoline_kernelINS0_14default_configENS1_22reduce_config_selectorItEEZNS1_11reduce_implILb1ES3_N6thrust23THRUST_200600_302600_NS6detail15normal_iteratorINS8_10device_ptrItEEEEPttNS8_4plusItEEEE10hipError_tPvRmT1_T2_T3_mT4_P12ihipStream_tbEUlT_E0_NS1_11comp_targetILNS1_3genE8ELNS1_11target_archE1030ELNS1_3gpuE2ELNS1_3repE0EEENS1_30default_config_static_selectorELNS0_4arch9wavefront6targetE1EEEvSK_.uses_vcc, 0
	.set _ZN7rocprim17ROCPRIM_400000_NS6detail17trampoline_kernelINS0_14default_configENS1_22reduce_config_selectorItEEZNS1_11reduce_implILb1ES3_N6thrust23THRUST_200600_302600_NS6detail15normal_iteratorINS8_10device_ptrItEEEEPttNS8_4plusItEEEE10hipError_tPvRmT1_T2_T3_mT4_P12ihipStream_tbEUlT_E0_NS1_11comp_targetILNS1_3genE8ELNS1_11target_archE1030ELNS1_3gpuE2ELNS1_3repE0EEENS1_30default_config_static_selectorELNS0_4arch9wavefront6targetE1EEEvSK_.uses_flat_scratch, 0
	.set _ZN7rocprim17ROCPRIM_400000_NS6detail17trampoline_kernelINS0_14default_configENS1_22reduce_config_selectorItEEZNS1_11reduce_implILb1ES3_N6thrust23THRUST_200600_302600_NS6detail15normal_iteratorINS8_10device_ptrItEEEEPttNS8_4plusItEEEE10hipError_tPvRmT1_T2_T3_mT4_P12ihipStream_tbEUlT_E0_NS1_11comp_targetILNS1_3genE8ELNS1_11target_archE1030ELNS1_3gpuE2ELNS1_3repE0EEENS1_30default_config_static_selectorELNS0_4arch9wavefront6targetE1EEEvSK_.has_dyn_sized_stack, 0
	.set _ZN7rocprim17ROCPRIM_400000_NS6detail17trampoline_kernelINS0_14default_configENS1_22reduce_config_selectorItEEZNS1_11reduce_implILb1ES3_N6thrust23THRUST_200600_302600_NS6detail15normal_iteratorINS8_10device_ptrItEEEEPttNS8_4plusItEEEE10hipError_tPvRmT1_T2_T3_mT4_P12ihipStream_tbEUlT_E0_NS1_11comp_targetILNS1_3genE8ELNS1_11target_archE1030ELNS1_3gpuE2ELNS1_3repE0EEENS1_30default_config_static_selectorELNS0_4arch9wavefront6targetE1EEEvSK_.has_recursion, 0
	.set _ZN7rocprim17ROCPRIM_400000_NS6detail17trampoline_kernelINS0_14default_configENS1_22reduce_config_selectorItEEZNS1_11reduce_implILb1ES3_N6thrust23THRUST_200600_302600_NS6detail15normal_iteratorINS8_10device_ptrItEEEEPttNS8_4plusItEEEE10hipError_tPvRmT1_T2_T3_mT4_P12ihipStream_tbEUlT_E0_NS1_11comp_targetILNS1_3genE8ELNS1_11target_archE1030ELNS1_3gpuE2ELNS1_3repE0EEENS1_30default_config_static_selectorELNS0_4arch9wavefront6targetE1EEEvSK_.has_indirect_call, 0
	.section	.AMDGPU.csdata,"",@progbits
; Kernel info:
; codeLenInByte = 0
; TotalNumSgprs: 6
; NumVgprs: 0
; NumAgprs: 0
; TotalNumVgprs: 0
; ScratchSize: 0
; MemoryBound: 0
; FloatMode: 240
; IeeeMode: 1
; LDSByteSize: 0 bytes/workgroup (compile time only)
; SGPRBlocks: 0
; VGPRBlocks: 0
; NumSGPRsForWavesPerEU: 6
; NumVGPRsForWavesPerEU: 1
; AccumOffset: 4
; Occupancy: 8
; WaveLimiterHint : 0
; COMPUTE_PGM_RSRC2:SCRATCH_EN: 0
; COMPUTE_PGM_RSRC2:USER_SGPR: 2
; COMPUTE_PGM_RSRC2:TRAP_HANDLER: 0
; COMPUTE_PGM_RSRC2:TGID_X_EN: 1
; COMPUTE_PGM_RSRC2:TGID_Y_EN: 0
; COMPUTE_PGM_RSRC2:TGID_Z_EN: 0
; COMPUTE_PGM_RSRC2:TIDIG_COMP_CNT: 0
; COMPUTE_PGM_RSRC3_GFX90A:ACCUM_OFFSET: 0
; COMPUTE_PGM_RSRC3_GFX90A:TG_SPLIT: 0
	.section	.text._ZN7rocprim17ROCPRIM_400000_NS6detail17trampoline_kernelINS0_14default_configENS1_22reduce_config_selectorItEEZNS1_11reduce_implILb1ES3_N6thrust23THRUST_200600_302600_NS6detail15normal_iteratorINS8_10device_ptrItEEEEPttNS8_4plusItEEEE10hipError_tPvRmT1_T2_T3_mT4_P12ihipStream_tbEUlT_E1_NS1_11comp_targetILNS1_3genE0ELNS1_11target_archE4294967295ELNS1_3gpuE0ELNS1_3repE0EEENS1_30default_config_static_selectorELNS0_4arch9wavefront6targetE1EEEvSK_,"axG",@progbits,_ZN7rocprim17ROCPRIM_400000_NS6detail17trampoline_kernelINS0_14default_configENS1_22reduce_config_selectorItEEZNS1_11reduce_implILb1ES3_N6thrust23THRUST_200600_302600_NS6detail15normal_iteratorINS8_10device_ptrItEEEEPttNS8_4plusItEEEE10hipError_tPvRmT1_T2_T3_mT4_P12ihipStream_tbEUlT_E1_NS1_11comp_targetILNS1_3genE0ELNS1_11target_archE4294967295ELNS1_3gpuE0ELNS1_3repE0EEENS1_30default_config_static_selectorELNS0_4arch9wavefront6targetE1EEEvSK_,comdat
	.protected	_ZN7rocprim17ROCPRIM_400000_NS6detail17trampoline_kernelINS0_14default_configENS1_22reduce_config_selectorItEEZNS1_11reduce_implILb1ES3_N6thrust23THRUST_200600_302600_NS6detail15normal_iteratorINS8_10device_ptrItEEEEPttNS8_4plusItEEEE10hipError_tPvRmT1_T2_T3_mT4_P12ihipStream_tbEUlT_E1_NS1_11comp_targetILNS1_3genE0ELNS1_11target_archE4294967295ELNS1_3gpuE0ELNS1_3repE0EEENS1_30default_config_static_selectorELNS0_4arch9wavefront6targetE1EEEvSK_ ; -- Begin function _ZN7rocprim17ROCPRIM_400000_NS6detail17trampoline_kernelINS0_14default_configENS1_22reduce_config_selectorItEEZNS1_11reduce_implILb1ES3_N6thrust23THRUST_200600_302600_NS6detail15normal_iteratorINS8_10device_ptrItEEEEPttNS8_4plusItEEEE10hipError_tPvRmT1_T2_T3_mT4_P12ihipStream_tbEUlT_E1_NS1_11comp_targetILNS1_3genE0ELNS1_11target_archE4294967295ELNS1_3gpuE0ELNS1_3repE0EEENS1_30default_config_static_selectorELNS0_4arch9wavefront6targetE1EEEvSK_
	.globl	_ZN7rocprim17ROCPRIM_400000_NS6detail17trampoline_kernelINS0_14default_configENS1_22reduce_config_selectorItEEZNS1_11reduce_implILb1ES3_N6thrust23THRUST_200600_302600_NS6detail15normal_iteratorINS8_10device_ptrItEEEEPttNS8_4plusItEEEE10hipError_tPvRmT1_T2_T3_mT4_P12ihipStream_tbEUlT_E1_NS1_11comp_targetILNS1_3genE0ELNS1_11target_archE4294967295ELNS1_3gpuE0ELNS1_3repE0EEENS1_30default_config_static_selectorELNS0_4arch9wavefront6targetE1EEEvSK_
	.p2align	8
	.type	_ZN7rocprim17ROCPRIM_400000_NS6detail17trampoline_kernelINS0_14default_configENS1_22reduce_config_selectorItEEZNS1_11reduce_implILb1ES3_N6thrust23THRUST_200600_302600_NS6detail15normal_iteratorINS8_10device_ptrItEEEEPttNS8_4plusItEEEE10hipError_tPvRmT1_T2_T3_mT4_P12ihipStream_tbEUlT_E1_NS1_11comp_targetILNS1_3genE0ELNS1_11target_archE4294967295ELNS1_3gpuE0ELNS1_3repE0EEENS1_30default_config_static_selectorELNS0_4arch9wavefront6targetE1EEEvSK_,@function
_ZN7rocprim17ROCPRIM_400000_NS6detail17trampoline_kernelINS0_14default_configENS1_22reduce_config_selectorItEEZNS1_11reduce_implILb1ES3_N6thrust23THRUST_200600_302600_NS6detail15normal_iteratorINS8_10device_ptrItEEEEPttNS8_4plusItEEEE10hipError_tPvRmT1_T2_T3_mT4_P12ihipStream_tbEUlT_E1_NS1_11comp_targetILNS1_3genE0ELNS1_11target_archE4294967295ELNS1_3gpuE0ELNS1_3repE0EEENS1_30default_config_static_selectorELNS0_4arch9wavefront6targetE1EEEvSK_: ; @_ZN7rocprim17ROCPRIM_400000_NS6detail17trampoline_kernelINS0_14default_configENS1_22reduce_config_selectorItEEZNS1_11reduce_implILb1ES3_N6thrust23THRUST_200600_302600_NS6detail15normal_iteratorINS8_10device_ptrItEEEEPttNS8_4plusItEEEE10hipError_tPvRmT1_T2_T3_mT4_P12ihipStream_tbEUlT_E1_NS1_11comp_targetILNS1_3genE0ELNS1_11target_archE4294967295ELNS1_3gpuE0ELNS1_3repE0EEENS1_30default_config_static_selectorELNS0_4arch9wavefront6targetE1EEEvSK_
; %bb.0:
	s_load_dword s33, s[0:1], 0x4
	s_load_dwordx4 s[68:71], s[0:1], 0x8
	s_waitcnt lgkmcnt(0)
	s_cmp_lt_i32 s33, 8
	s_cbranch_scc1 .LBB177_12
; %bb.1:
	s_cmp_gt_i32 s33, 31
	s_cbranch_scc0 .LBB177_13
; %bb.2:
	s_cmp_gt_i32 s33, 63
	s_cbranch_scc0 .LBB177_22
; %bb.3:
	s_cmp_eq_u32 s33, 64
	s_mov_b64 s[40:41], 0
	s_cbranch_scc0 .LBB177_23
; %bb.4:
	s_mov_b32 s3, 0
	s_lshl_b32 s4, s2, 13
	s_mov_b32 s5, s3
	s_lshr_b64 s[6:7], s[70:71], 13
	s_lshl_b64 s[8:9], s[4:5], 1
	s_add_u32 s42, s68, s8
	s_addc_u32 s43, s69, s9
	s_cmp_lg_u64 s[6:7], s[2:3]
	s_cbranch_scc0 .LBB177_34
; %bb.5:
	v_lshlrev_b32_e32 v2, 1, v0
	global_load_ushort v1, v2, s[42:43]
	global_load_ushort v10, v2, s[42:43] offset:256
	global_load_ushort v11, v2, s[42:43] offset:512
	;; [unrolled: 1-line block ×8, first 2 shown]
	v_mov_b32_e32 v3, 0
	v_lshl_add_u64 v[4:5], s[42:43], 0, v[2:3]
	s_movk_i32 s5, 0x1000
	v_add_co_u32_e32 v6, vcc, s5, v4
	s_movk_i32 s5, 0x2000
	s_nop 0
	v_addc_co_u32_e32 v7, vcc, 0, v5, vcc
	v_add_co_u32_e32 v8, vcc, s5, v4
	s_movk_i32 s5, 0x3000
	s_nop 0
	v_addc_co_u32_e32 v9, vcc, 0, v5, vcc
	global_load_ushort v18, v2, s[42:43] offset:2304
	global_load_ushort v19, v2, s[42:43] offset:2560
	;; [unrolled: 1-line block ×7, first 2 shown]
	global_load_ushort v25, v[8:9], off offset:-4096
	global_load_ushort v26, v[6:7], off offset:256
	global_load_ushort v27, v[6:7], off offset:512
	;; [unrolled: 1-line block ×7, first 2 shown]
                                        ; kill: killed $vgpr2
	global_load_ushort v33, v[6:7], off offset:2048
	global_load_ushort v34, v[6:7], off offset:2304
	;; [unrolled: 1-line block ×8, first 2 shown]
	global_load_ushort v41, v[8:9], off
	global_load_ushort v42, v[8:9], off offset:256
	global_load_ushort v43, v[8:9], off offset:512
	;; [unrolled: 1-line block ×6, first 2 shown]
                                        ; kill: killed $vgpr6 killed $vgpr7
	global_load_ushort v6, v[8:9], off offset:1792
	global_load_ushort v7, v[8:9], off offset:2048
	;; [unrolled: 1-line block ×9, first 2 shown]
	v_add_co_u32_e32 v2, vcc, s5, v4
	s_waitcnt vmcnt(46)
	v_add_u16_e32 v1, v10, v1
	v_addc_co_u32_e32 v3, vcc, 0, v5, vcc
	global_load_ushort v4, v[2:3], off
	global_load_ushort v5, v[2:3], off offset:256
	global_load_ushort v8, v[2:3], off offset:512
	;; [unrolled: 1-line block ×14, first 2 shown]
	s_nop 0
	global_load_ushort v2, v[2:3], off offset:3840
	s_waitcnt vmcnt(61)
	v_add_u16_e32 v1, v1, v11
	s_waitcnt vmcnt(60)
	v_add_u16_e32 v1, v1, v12
	;; [unrolled: 2-line block ×62, first 2 shown]
	v_mbcnt_lo_u32_b32 v2, -1, 0
	v_mbcnt_hi_u32_b32 v2, -1, v2
	v_add_u16_dpp v1, v1, v1 quad_perm:[1,0,3,2] row_mask:0xf bank_mask:0xf bound_ctrl:1
	v_lshlrev_b32_e32 v3, 2, v2
	v_or_b32_e32 v4, 0xfc, v3
	v_add_u16_dpp v1, v1, v1 quad_perm:[2,3,0,1] row_mask:0xf bank_mask:0xf bound_ctrl:1
	v_cmp_eq_u32_e32 vcc, 0, v2
	s_nop 0
	v_add_u16_dpp v1, v1, v1 row_ror:4 row_mask:0xf bank_mask:0xf bound_ctrl:1
	s_nop 1
	v_add_u16_dpp v1, v1, v1 row_ror:8 row_mask:0xf bank_mask:0xf bound_ctrl:1
	s_nop 1
	v_add_u16_dpp v1, v1, v1 row_bcast:15 row_mask:0xf bank_mask:0xf bound_ctrl:1
	s_nop 1
	v_add_u16_dpp v1, v1, v1 row_bcast:31 row_mask:0xf bank_mask:0xf bound_ctrl:1
	ds_bpermute_b32 v1, v4, v1
	s_and_saveexec_b64 s[6:7], vcc
	s_cbranch_execz .LBB177_7
; %bb.6:
	v_lshrrev_b32_e32 v4, 5, v0
	v_and_b32_e32 v4, 2, v4
	s_waitcnt lgkmcnt(0)
	ds_write_b16 v4, v1 offset:20
.LBB177_7:
	s_or_b64 exec, exec, s[6:7]
	v_cmp_gt_u32_e32 vcc, 64, v0
	s_waitcnt lgkmcnt(0)
	s_barrier
	s_and_saveexec_b64 s[6:7], vcc
	s_cbranch_execz .LBB177_9
; %bb.8:
	v_and_b32_e32 v1, 1, v2
	v_lshlrev_b32_e32 v1, 1, v1
	ds_read_u16 v1, v1 offset:20
	v_or_b32_e32 v2, 4, v3
	s_waitcnt lgkmcnt(0)
	v_and_b32_e32 v3, 0xffff, v1
	ds_bpermute_b32 v2, v2, v3
	s_waitcnt lgkmcnt(0)
	v_add_u16_e32 v1, v1, v2
.LBB177_9:
	s_or_b64 exec, exec, s[6:7]
.LBB177_10:
	v_cmp_eq_u32_e64 s[4:5], 0, v0
	s_and_b64 vcc, exec, s[40:41]
	s_cbranch_vccnz .LBB177_24
.LBB177_11:
	s_branch .LBB177_288
.LBB177_12:
	s_mov_b64 s[4:5], 0
                                        ; implicit-def: $vgpr1
	s_cbranch_execz .LBB177_371
	s_branch .LBB177_289
.LBB177_13:
	s_mov_b64 s[4:5], 0
                                        ; implicit-def: $vgpr1
	s_cbranch_execz .LBB177_288
; %bb.14:
	s_cmp_gt_i32 s33, 15
	s_cbranch_scc0 .LBB177_31
; %bb.15:
	s_cmp_eq_u32 s33, 16
	s_cbranch_scc0 .LBB177_32
; %bb.16:
	s_mov_b32 s3, 0
	s_lshl_b32 s4, s2, 11
	s_mov_b32 s5, s3
	s_lshr_b64 s[6:7], s[70:71], 11
	s_lshl_b64 s[8:9], s[4:5], 1
	s_add_u32 s34, s68, s8
	s_addc_u32 s35, s69, s9
	s_cmp_lg_u64 s[6:7], s[2:3]
	s_cbranch_scc0 .LBB177_168
; %bb.17:
	v_lshlrev_b32_e32 v1, 1, v0
	global_load_ushort v4, v1, s[34:35]
	global_load_ushort v5, v1, s[34:35] offset:256
	global_load_ushort v6, v1, s[34:35] offset:512
	;; [unrolled: 1-line block ×14, first 2 shown]
	s_nop 0
	global_load_ushort v1, v1, s[34:35] offset:3840
	v_mbcnt_lo_u32_b32 v2, -1, 0
	v_mbcnt_hi_u32_b32 v2, -1, v2
	v_lshlrev_b32_e32 v3, 2, v2
	v_cmp_eq_u32_e32 vcc, 0, v2
	s_waitcnt vmcnt(14)
	v_add_u16_e32 v4, v5, v4
	s_waitcnt vmcnt(13)
	v_add_u16_e32 v4, v4, v6
	;; [unrolled: 2-line block ×15, first 2 shown]
	v_or_b32_e32 v4, 0xfc, v3
	s_nop 0
	v_add_u16_dpp v1, v1, v1 quad_perm:[1,0,3,2] row_mask:0xf bank_mask:0xf bound_ctrl:1
	s_nop 1
	v_add_u16_dpp v1, v1, v1 quad_perm:[2,3,0,1] row_mask:0xf bank_mask:0xf bound_ctrl:1
	s_nop 1
	v_add_u16_dpp v1, v1, v1 row_ror:4 row_mask:0xf bank_mask:0xf bound_ctrl:1
	s_nop 1
	v_add_u16_dpp v1, v1, v1 row_ror:8 row_mask:0xf bank_mask:0xf bound_ctrl:1
	s_nop 1
	v_add_u16_dpp v1, v1, v1 row_bcast:15 row_mask:0xf bank_mask:0xf bound_ctrl:1
	s_nop 1
	v_add_u16_dpp v1, v1, v1 row_bcast:31 row_mask:0xf bank_mask:0xf bound_ctrl:1
	ds_bpermute_b32 v1, v4, v1
	s_and_saveexec_b64 s[6:7], vcc
	s_cbranch_execz .LBB177_19
; %bb.18:
	v_lshrrev_b32_e32 v4, 5, v0
	v_and_b32_e32 v4, 2, v4
	s_waitcnt lgkmcnt(0)
	ds_write_b16 v4, v1
.LBB177_19:
	s_or_b64 exec, exec, s[6:7]
	v_cmp_gt_u32_e32 vcc, 64, v0
	s_waitcnt lgkmcnt(0)
	s_barrier
	s_and_saveexec_b64 s[6:7], vcc
	s_cbranch_execz .LBB177_21
; %bb.20:
	v_and_b32_e32 v1, 1, v2
	v_lshlrev_b32_e32 v1, 1, v1
	ds_read_u16 v1, v1
	v_or_b32_e32 v2, 4, v3
	s_waitcnt lgkmcnt(0)
	v_and_b32_e32 v3, 0xffff, v1
	ds_bpermute_b32 v2, v2, v3
	s_waitcnt lgkmcnt(0)
	v_add_u16_e32 v1, v1, v2
.LBB177_21:
	s_or_b64 exec, exec, s[6:7]
	s_mov_b64 s[6:7], 0
	s_branch .LBB177_169
.LBB177_22:
	s_mov_b64 s[40:41], -1
.LBB177_23:
	s_mov_b64 s[4:5], 0
                                        ; implicit-def: $vgpr1
	s_and_b64 vcc, exec, s[40:41]
	s_cbranch_vccz .LBB177_11
.LBB177_24:
	s_cmp_eq_u32 s33, 32
	s_cbranch_scc0 .LBB177_33
; %bb.25:
	s_mov_b32 s3, 0
	s_lshl_b32 s4, s2, 12
	s_mov_b32 s5, s3
	s_lshr_b64 s[6:7], s[70:71], 12
	s_lshl_b64 s[8:9], s[4:5], 1
	s_add_u32 s66, s68, s8
	s_addc_u32 s67, s69, s9
	s_cmp_lg_u64 s[6:7], s[2:3]
	s_cbranch_scc0 .LBB177_216
; %bb.26:
	v_lshlrev_b32_e32 v2, 1, v0
	global_load_ushort v1, v2, s[66:67]
	global_load_ushort v6, v2, s[66:67] offset:256
	global_load_ushort v7, v2, s[66:67] offset:512
	;; [unrolled: 1-line block ×15, first 2 shown]
	v_mov_b32_e32 v3, 0
	v_lshl_add_u64 v[4:5], s[66:67], 0, v[2:3]
	s_movk_i32 s5, 0x1000
	v_add_co_u32_e32 v2, vcc, s5, v4
	s_waitcnt vmcnt(14)
	v_add_u16_e32 v1, v6, v1
	v_addc_co_u32_e32 v3, vcc, 0, v5, vcc
	global_load_ushort v4, v[2:3], off
	global_load_ushort v5, v[2:3], off offset:256
	global_load_ushort v21, v[2:3], off offset:512
	;; [unrolled: 1-line block ×15, first 2 shown]
	s_waitcnt vmcnt(29)
	v_add_u16_e32 v1, v1, v7
	s_waitcnt vmcnt(28)
	v_add_u16_e32 v1, v1, v8
	;; [unrolled: 2-line block ×14, first 2 shown]
	v_mbcnt_lo_u32_b32 v2, -1, 0
	v_mbcnt_hi_u32_b32 v2, -1, v2
	v_lshlrev_b32_e32 v3, 2, v2
	v_cmp_eq_u32_e32 vcc, 0, v2
	s_waitcnt vmcnt(15)
	v_add_u16_e32 v1, v1, v4
	s_waitcnt vmcnt(14)
	v_add_u16_e32 v1, v1, v5
	;; [unrolled: 2-line block ×16, first 2 shown]
	v_or_b32_e32 v4, 0xfc, v3
	s_nop 0
	v_add_u16_dpp v1, v1, v1 quad_perm:[1,0,3,2] row_mask:0xf bank_mask:0xf bound_ctrl:1
	s_nop 1
	v_add_u16_dpp v1, v1, v1 quad_perm:[2,3,0,1] row_mask:0xf bank_mask:0xf bound_ctrl:1
	s_nop 1
	v_add_u16_dpp v1, v1, v1 row_ror:4 row_mask:0xf bank_mask:0xf bound_ctrl:1
	s_nop 1
	v_add_u16_dpp v1, v1, v1 row_ror:8 row_mask:0xf bank_mask:0xf bound_ctrl:1
	s_nop 1
	v_add_u16_dpp v1, v1, v1 row_bcast:15 row_mask:0xf bank_mask:0xf bound_ctrl:1
	s_nop 1
	v_add_u16_dpp v1, v1, v1 row_bcast:31 row_mask:0xf bank_mask:0xf bound_ctrl:1
	ds_bpermute_b32 v1, v4, v1
	s_and_saveexec_b64 s[6:7], vcc
	s_cbranch_execz .LBB177_28
; %bb.27:
	v_lshrrev_b32_e32 v4, 5, v0
	v_and_b32_e32 v4, 2, v4
	s_waitcnt lgkmcnt(0)
	ds_write_b16 v4, v1 offset:12
.LBB177_28:
	s_or_b64 exec, exec, s[6:7]
	v_cmp_gt_u32_e32 vcc, 64, v0
	s_waitcnt lgkmcnt(0)
	s_barrier
	s_and_saveexec_b64 s[6:7], vcc
	s_cbranch_execz .LBB177_30
; %bb.29:
	v_and_b32_e32 v1, 1, v2
	v_lshlrev_b32_e32 v1, 1, v1
	ds_read_u16 v1, v1 offset:12
	v_or_b32_e32 v2, 4, v3
	s_waitcnt lgkmcnt(0)
	v_and_b32_e32 v3, 0xffff, v1
	ds_bpermute_b32 v2, v2, v3
	s_waitcnt lgkmcnt(0)
	v_add_u16_e32 v1, v1, v2
.LBB177_30:
	s_or_b64 exec, exec, s[6:7]
	s_mov_b64 s[6:7], 0
	s_branch .LBB177_217
.LBB177_31:
                                        ; implicit-def: $vgpr1
	s_cbranch_execz .LBB177_288
	s_branch .LBB177_208
.LBB177_32:
                                        ; implicit-def: $vgpr1
	s_branch .LBB177_288
.LBB177_33:
                                        ; implicit-def: $vgpr1
	s_branch .LBB177_288
.LBB177_34:
                                        ; implicit-def: $vgpr1
	s_cbranch_execz .LBB177_10
; %bb.35:
	s_sub_i32 s46, s70, s4
	s_mov_b32 s4, 0
	s_mov_b32 s18, s4
	;; [unrolled: 1-line block ×16, first 2 shown]
	v_mov_b64_e32 v[32:33], s[18:19]
	v_mov_b64_e32 v[18:19], s[4:5]
	;; [unrolled: 1-line block ×9, first 2 shown]
	v_cmp_gt_u32_e32 vcc, s46, v0
	v_mov_b64_e32 v[4:5], v[20:21]
	v_mov_b64_e32 v[6:7], v[22:23]
	;; [unrolled: 1-line block ×7, first 2 shown]
	s_and_saveexec_b64 s[4:5], vcc
	s_cbranch_execz .LBB177_37
; %bb.36:
	v_lshlrev_b32_e32 v1, 1, v0
	global_load_ushort v1, v1, s[42:43]
	v_mov_b32_e32 v19, 0
	v_mov_b32_e32 v20, v19
	;; [unrolled: 1-line block ×31, first 2 shown]
	s_waitcnt vmcnt(0)
	v_and_b32_e32 v18, 0xffff, v1
.LBB177_37:
	s_or_b64 exec, exec, s[4:5]
	v_or_b32_e32 v1, 0x80, v0
	v_cmp_gt_u32_e32 vcc, s46, v1
	s_and_saveexec_b64 s[4:5], vcc
	s_cbranch_execz .LBB177_39
; %bb.38:
	v_lshlrev_b32_e32 v1, 1, v0
	global_load_ushort v1, v1, s[42:43] offset:256
	s_mov_b32 s6, 0x5040100
	s_waitcnt vmcnt(0)
	v_perm_b32 v18, v1, v18, s6
.LBB177_39:
	s_or_b64 exec, exec, s[4:5]
	v_or_b32_e32 v1, 0x100, v0
	v_cmp_gt_u32_e64 s[6:7], s46, v1
	s_mov_b64 s[4:5], exec
                                        ; implicit-def: $vgpr66 : SGPR spill to VGPR lane
	s_nop 0
	v_writelane_b32 v66, s6, 0
	s_nop 1
	v_writelane_b32 v66, s7, 1
	s_and_b64 s[6:7], s[4:5], s[6:7]
	s_mov_b64 exec, s[6:7]
	s_cbranch_execz .LBB177_41
; %bb.40:
	v_lshlrev_b32_e32 v1, 1, v0
	global_load_ushort v1, v1, s[42:43] offset:512
	s_mov_b32 s6, 0xffff
	s_waitcnt vmcnt(0)
	v_bfi_b32 v19, s6, v1, v19
.LBB177_41:
	s_or_b64 exec, exec, s[4:5]
	v_or_b32_e32 v1, 0x180, v0
	v_cmp_gt_u32_e64 s[6:7], s46, v1
	s_mov_b64 s[4:5], exec
	s_nop 0
	v_writelane_b32 v66, s6, 2
	s_nop 1
	v_writelane_b32 v66, s7, 3
	s_and_b64 s[6:7], s[4:5], s[6:7]
	s_mov_b64 exec, s[6:7]
	s_cbranch_execz .LBB177_43
; %bb.42:
	v_lshlrev_b32_e32 v1, 1, v0
	global_load_ushort v1, v1, s[42:43] offset:768
	s_mov_b32 s6, 0x5040100
	s_waitcnt vmcnt(0)
	v_perm_b32 v19, v1, v19, s6
.LBB177_43:
	s_or_b64 exec, exec, s[4:5]
	v_or_b32_e32 v1, 0x200, v0
	v_cmp_gt_u32_e64 s[6:7], s46, v1
	s_mov_b64 s[4:5], exec
	s_nop 0
	v_writelane_b32 v66, s6, 4
	s_nop 1
	v_writelane_b32 v66, s7, 5
	s_and_b64 s[6:7], s[4:5], s[6:7]
	s_mov_b64 exec, s[6:7]
	s_cbranch_execz .LBB177_45
; %bb.44:
	v_lshlrev_b32_e32 v1, 1, v0
	global_load_ushort v1, v1, s[42:43] offset:1024
	s_mov_b32 s6, 0xffff
	s_waitcnt vmcnt(0)
	v_bfi_b32 v20, s6, v1, v20
.LBB177_45:
	s_or_b64 exec, exec, s[4:5]
	v_or_b32_e32 v1, 0x280, v0
	v_cmp_gt_u32_e64 s[6:7], s46, v1
	s_mov_b64 s[4:5], exec
	s_nop 0
	v_writelane_b32 v66, s6, 6
	s_nop 1
	v_writelane_b32 v66, s7, 7
	s_and_b64 s[6:7], s[4:5], s[6:7]
	s_mov_b64 exec, s[6:7]
	s_cbranch_execz .LBB177_47
; %bb.46:
	v_lshlrev_b32_e32 v1, 1, v0
	global_load_ushort v1, v1, s[42:43] offset:1280
	s_mov_b32 s6, 0x5040100
	s_waitcnt vmcnt(0)
	v_perm_b32 v20, v1, v20, s6
.LBB177_47:
	s_or_b64 exec, exec, s[4:5]
	v_or_b32_e32 v1, 0x300, v0
	v_cmp_gt_u32_e64 s[6:7], s46, v1
	s_mov_b64 s[4:5], exec
	;; [unrolled: 36-line block ×7, first 2 shown]
	s_nop 0
	v_writelane_b32 v66, s6, 28
	s_nop 1
	v_writelane_b32 v66, s7, 29
	s_and_b64 s[6:7], s[4:5], s[6:7]
	s_mov_b64 exec, s[6:7]
	s_cbranch_execz .LBB177_69
; %bb.68:
	v_lshlrev_b32_e32 v1, 1, v1
	global_load_ushort v1, v1, s[42:43]
	s_mov_b32 s6, 0xffff
	s_waitcnt vmcnt(0)
	v_bfi_b32 v26, s6, v1, v26
.LBB177_69:
	s_or_b64 exec, exec, s[4:5]
	v_or_b32_e32 v1, 0x880, v0
	v_cmp_gt_u32_e64 s[6:7], s46, v1
	s_mov_b64 s[4:5], exec
	s_nop 0
	v_writelane_b32 v66, s6, 30
	s_nop 1
	v_writelane_b32 v66, s7, 31
	s_and_b64 s[6:7], s[4:5], s[6:7]
	s_mov_b64 exec, s[6:7]
	s_cbranch_execz .LBB177_71
; %bb.70:
	v_lshlrev_b32_e32 v1, 1, v1
	global_load_ushort v1, v1, s[42:43]
	s_mov_b32 s6, 0x5040100
	s_waitcnt vmcnt(0)
	v_perm_b32 v26, v1, v26, s6
.LBB177_71:
	s_or_b64 exec, exec, s[4:5]
	v_or_b32_e32 v1, 0x900, v0
	v_cmp_gt_u32_e64 s[6:7], s46, v1
	s_mov_b64 s[4:5], exec
	s_nop 0
	v_writelane_b32 v66, s6, 32
	s_nop 1
	v_writelane_b32 v66, s7, 33
	s_and_b64 s[6:7], s[4:5], s[6:7]
	s_mov_b64 exec, s[6:7]
	s_cbranch_execz .LBB177_73
; %bb.72:
	v_lshlrev_b32_e32 v1, 1, v1
	global_load_ushort v1, v1, s[42:43]
	s_mov_b32 s6, 0xffff
	s_waitcnt vmcnt(0)
	v_bfi_b32 v27, s6, v1, v27
.LBB177_73:
	s_or_b64 exec, exec, s[4:5]
	v_or_b32_e32 v1, 0x980, v0
	v_cmp_gt_u32_e64 s[6:7], s46, v1
	s_mov_b64 s[4:5], exec
	s_nop 0
	v_writelane_b32 v66, s6, 34
	s_nop 1
	v_writelane_b32 v66, s7, 35
	s_and_b64 s[6:7], s[4:5], s[6:7]
	s_mov_b64 exec, s[6:7]
	s_cbranch_execz .LBB177_75
; %bb.74:
	v_lshlrev_b32_e32 v1, 1, v1
	global_load_ushort v1, v1, s[42:43]
	s_mov_b32 s6, 0x5040100
	s_waitcnt vmcnt(0)
	v_perm_b32 v27, v1, v27, s6
.LBB177_75:
	s_or_b64 exec, exec, s[4:5]
	v_or_b32_e32 v1, 0xa00, v0
	v_cmp_gt_u32_e64 s[6:7], s46, v1
	s_mov_b64 s[4:5], exec
	;; [unrolled: 36-line block ×3, first 2 shown]
	s_nop 0
	v_writelane_b32 v66, s6, 40
	s_nop 1
	v_writelane_b32 v66, s7, 41
	s_and_b64 s[6:7], s[4:5], s[6:7]
	s_mov_b64 exec, s[6:7]
	s_cbranch_execz .LBB177_81
; %bb.80:
	v_lshlrev_b32_e32 v1, 1, v1
	global_load_ushort v1, v1, s[42:43]
	s_mov_b32 s6, 0xffff
	s_waitcnt vmcnt(0)
	v_bfi_b32 v29, s6, v1, v29
.LBB177_81:
	s_or_b64 exec, exec, s[4:5]
	v_or_b32_e32 v1, 0xb80, v0
	v_cmp_gt_u32_e64 s[6:7], s46, v1
	s_mov_b64 s[4:5], exec
	s_nop 0
	v_writelane_b32 v66, s6, 42
	s_nop 1
	v_writelane_b32 v66, s7, 43
	s_and_b64 s[6:7], s[4:5], s[6:7]
	s_mov_b64 exec, s[6:7]
	s_cbranch_execz .LBB177_83
; %bb.82:
	v_lshlrev_b32_e32 v1, 1, v1
	global_load_ushort v1, v1, s[42:43]
	s_mov_b32 s6, 0x5040100
	s_waitcnt vmcnt(0)
	v_perm_b32 v29, v1, v29, s6
.LBB177_83:
	s_or_b64 exec, exec, s[4:5]
	v_or_b32_e32 v1, 0xc00, v0
	v_cmp_gt_u32_e64 s[50:51], s46, v1
	s_and_saveexec_b64 s[4:5], s[50:51]
	s_cbranch_execz .LBB177_85
; %bb.84:
	v_lshlrev_b32_e32 v1, 1, v1
	global_load_ushort v1, v1, s[42:43]
	s_mov_b32 s6, 0xffff
	s_waitcnt vmcnt(0)
	v_bfi_b32 v30, s6, v1, v30
.LBB177_85:
	s_or_b64 exec, exec, s[4:5]
	v_or_b32_e32 v1, 0xc80, v0
	v_cmp_gt_u32_e64 s[52:53], s46, v1
	s_and_saveexec_b64 s[4:5], s[52:53]
	s_cbranch_execz .LBB177_87
; %bb.86:
	v_lshlrev_b32_e32 v1, 1, v1
	global_load_ushort v1, v1, s[42:43]
	s_mov_b32 s6, 0x5040100
	s_waitcnt vmcnt(0)
	v_perm_b32 v30, v1, v30, s6
.LBB177_87:
	s_or_b64 exec, exec, s[4:5]
	v_or_b32_e32 v1, 0xd00, v0
	v_cmp_gt_u32_e64 s[54:55], s46, v1
	s_and_saveexec_b64 s[4:5], s[54:55]
	s_cbranch_execz .LBB177_89
; %bb.88:
	v_lshlrev_b32_e32 v1, 1, v1
	global_load_ushort v1, v1, s[42:43]
	s_mov_b32 s6, 0xffff
	s_waitcnt vmcnt(0)
	v_bfi_b32 v31, s6, v1, v31
.LBB177_89:
	s_or_b64 exec, exec, s[4:5]
	v_or_b32_e32 v1, 0xd80, v0
	v_cmp_gt_u32_e64 s[56:57], s46, v1
	s_and_saveexec_b64 s[4:5], s[56:57]
	;; [unrolled: 24-line block ×20, first 2 shown]
	s_cbranch_execz .LBB177_163
; %bb.162:
	v_lshlrev_b32_e32 v1, 1, v1
	global_load_ushort v1, v1, s[42:43]
	s_mov_b32 s42, 0x5040100
	s_waitcnt vmcnt(0)
	v_perm_b32 v17, v1, v17, s42
.LBB177_163:
	s_or_b64 exec, exec, s[44:45]
	v_readlane_b32 s42, v66, 0
	v_readlane_b32 s43, v66, 1
	v_mov_b32_e32 v1, 0
	v_cndmask_b32_sdwa v1, v1, v18, vcc dst_sel:DWORD dst_unused:UNUSED_PAD src0_sel:DWORD src1_sel:WORD_1
	v_cndmask_b32_e64 v34, 0, v19, s[42:43]
	v_readlane_b32 s42, v66, 2
	v_lshrrev_b32_e32 v19, 16, v19
	v_readlane_b32 s43, v66, 3
	v_add_u16_e32 v1, v1, v18
	v_add_u16_e32 v1, v1, v34
	v_cndmask_b32_e64 v19, 0, v19, s[42:43]
	v_readlane_b32 s42, v66, 4
	v_readlane_b32 s43, v66, 5
	v_add_u16_e32 v1, v1, v19
	s_nop 0
	v_cndmask_b32_e64 v35, 0, v20, s[42:43]
	v_readlane_b32 s42, v66, 6
	v_lshrrev_b32_e32 v20, 16, v20
	v_readlane_b32 s43, v66, 7
	v_add_u16_e32 v1, v1, v35
	s_nop 0
	v_cndmask_b32_e64 v20, 0, v20, s[42:43]
	v_readlane_b32 s42, v66, 8
	v_readlane_b32 s43, v66, 9
	v_add_u16_e32 v1, v1, v20
	s_nop 0
	v_cndmask_b32_e64 v36, 0, v21, s[42:43]
	v_readlane_b32 s42, v66, 10
	v_lshrrev_b32_e32 v21, 16, v21
	v_readlane_b32 s43, v66, 11
	v_add_u16_e32 v1, v1, v36
	s_nop 0
	;; [unrolled: 11-line block ×9, first 2 shown]
	v_cndmask_b32_e64 v28, 0, v28, s[42:43]
	v_readlane_b32 s42, v66, 40
	v_readlane_b32 s43, v66, 41
	v_add_u16_e32 v1, v1, v28
	s_nop 0
	v_cndmask_b32_e64 v18, 0, v29, s[42:43]
	v_readlane_b32 s42, v66, 42
	v_add_u16_e32 v1, v1, v18
	v_lshrrev_b32_e32 v18, 16, v29
	v_readlane_b32 s43, v66, 43
	s_nop 1
	v_cndmask_b32_e64 v18, 0, v18, s[42:43]
	v_add_u16_e32 v1, v1, v18
	v_cndmask_b32_e64 v18, 0, v30, s[50:51]
	v_add_u16_e32 v1, v1, v18
	v_lshrrev_b32_e32 v18, 16, v30
	v_cndmask_b32_e64 v18, 0, v18, s[52:53]
	v_add_u16_e32 v1, v1, v18
	v_cndmask_b32_e64 v18, 0, v31, s[54:55]
	v_add_u16_e32 v1, v1, v18
	v_lshrrev_b32_e32 v18, 16, v31
	;; [unrolled: 5-line block ×4, first 2 shown]
	v_cndmask_b32_e64 v18, 0, v18, s[64:65]
	v_add_u16_e32 v1, v1, v18
	v_cndmask_b32_e64 v18, 0, v2, s[66:67]
	v_lshrrev_b32_e32 v2, 16, v2
	v_add_u16_e32 v1, v1, v18
	v_cndmask_b32_e64 v2, 0, v2, s[36:37]
	v_add_u16_e32 v1, v1, v2
	v_cndmask_b32_e64 v2, 0, v3, s[38:39]
	v_add_u16_e32 v1, v1, v2
	v_lshrrev_b32_e32 v2, 16, v3
	v_cndmask_b32_e64 v2, 0, v2, s[72:73]
	v_add_u16_e32 v1, v1, v2
	v_cndmask_b32_e64 v2, 0, v4, s[74:75]
	v_add_u16_e32 v1, v1, v2
	v_lshrrev_b32_e32 v2, 16, v4
	v_cndmask_b32_e64 v2, 0, v2, s[76:77]
	v_add_u16_e32 v1, v1, v2
	v_cndmask_b32_e64 v2, 0, v5, s[78:79]
	v_add_u16_e32 v1, v1, v2
	v_lshrrev_b32_e32 v2, 16, v5
	v_cndmask_b32_e64 v2, 0, v2, s[80:81]
	v_add_u16_e32 v1, v1, v2
	v_cndmask_b32_e64 v2, 0, v6, s[82:83]
	v_add_u16_e32 v1, v1, v2
	v_lshrrev_b32_e32 v2, 16, v6
	v_cndmask_b32_e64 v2, 0, v2, s[84:85]
	v_add_u16_e32 v1, v1, v2
	v_cndmask_b32_e64 v2, 0, v7, s[86:87]
	v_add_u16_e32 v1, v1, v2
	v_lshrrev_b32_e32 v2, 16, v7
	v_cndmask_b32_e64 v2, 0, v2, s[88:89]
	v_add_u16_e32 v1, v1, v2
	v_cndmask_b32_e64 v2, 0, v8, s[90:91]
	v_add_u16_e32 v1, v1, v2
	v_lshrrev_b32_e32 v2, 16, v8
	v_cndmask_b32_e64 v2, 0, v2, s[92:93]
	v_add_u16_e32 v1, v1, v2
	v_cndmask_b32_e64 v2, 0, v9, s[94:95]
	v_add_u16_e32 v1, v1, v2
	v_lshrrev_b32_e32 v2, 16, v9
	v_cndmask_b32_e64 v2, 0, v2, s[96:97]
	v_add_u16_e32 v1, v1, v2
	v_cndmask_b32_e64 v2, 0, v10, s[98:99]
	v_add_u16_e32 v1, v1, v2
	v_lshrrev_b32_e32 v2, 16, v10
	v_cndmask_b32_e64 v2, 0, v2, s[4:5]
	v_add_u16_e32 v1, v1, v2
	v_cndmask_b32_e64 v2, 0, v11, s[6:7]
	v_add_u16_e32 v1, v1, v2
	v_lshrrev_b32_e32 v2, 16, v11
	v_cndmask_b32_e64 v2, 0, v2, s[8:9]
	v_add_u16_e32 v1, v1, v2
	v_cndmask_b32_e64 v2, 0, v12, s[10:11]
	v_add_u16_e32 v1, v1, v2
	v_lshrrev_b32_e32 v2, 16, v12
	v_cndmask_b32_e64 v2, 0, v2, s[12:13]
	v_add_u16_e32 v1, v1, v2
	v_cndmask_b32_e64 v2, 0, v13, s[14:15]
	v_add_u16_e32 v1, v1, v2
	v_lshrrev_b32_e32 v2, 16, v13
	v_cndmask_b32_e64 v2, 0, v2, s[16:17]
	v_add_u16_e32 v1, v1, v2
	v_cndmask_b32_e64 v2, 0, v14, s[18:19]
	v_add_u16_e32 v1, v1, v2
	v_lshrrev_b32_e32 v2, 16, v14
	v_cndmask_b32_e64 v2, 0, v2, s[20:21]
	v_add_u16_e32 v1, v1, v2
	v_cndmask_b32_e64 v2, 0, v15, s[22:23]
	v_add_u16_e32 v1, v1, v2
	v_lshrrev_b32_e32 v2, 16, v15
	v_cndmask_b32_e64 v2, 0, v2, s[24:25]
	v_add_u16_e32 v1, v1, v2
	v_cndmask_b32_e64 v2, 0, v16, s[26:27]
	v_add_u16_e32 v1, v1, v2
	v_lshrrev_b32_e32 v2, 16, v16
	v_cndmask_b32_e64 v2, 0, v2, s[28:29]
	v_add_u16_e32 v1, v1, v2
	v_cndmask_b32_e64 v2, 0, v17, s[30:31]
	v_add_u16_e32 v1, v1, v2
	v_lshrrev_b32_e32 v2, 16, v17
	v_cndmask_b32_e64 v2, 0, v2, s[34:35]
	v_add_u16_e32 v1, v1, v2
	v_mbcnt_lo_u32_b32 v2, -1, 0
	v_mbcnt_hi_u32_b32 v2, -1, v2
	v_and_b32_e32 v4, 63, v2
	v_cmp_ne_u32_e32 vcc, 63, v4
	s_min_u32 s6, s46, 0x80
	v_and_b32_e32 v5, 64, v0
	v_addc_co_u32_e32 v3, vcc, 0, v2, vcc
	v_lshlrev_b32_e32 v3, 2, v3
	ds_bpermute_b32 v3, v3, v1
	v_sub_u32_e64 v5, s6, v5 clamp
	v_add_u32_e32 v6, 1, v4
	v_cmp_gt_u32_e64 s[4:5], 62, v4
	v_cmp_lt_u32_e32 vcc, v6, v5
	s_waitcnt lgkmcnt(0)
	v_add_u16_e32 v3, v1, v3
	v_cndmask_b32_e64 v6, 0, 2, s[4:5]
	v_cndmask_b32_e32 v3, v1, v3, vcc
	v_add_lshl_u32 v6, v6, v2, 2
	ds_bpermute_b32 v6, v6, v3
	v_add_u32_e32 v7, 2, v4
	v_cmp_lt_u32_e64 s[4:5], v7, v5
	v_add_u32_e32 v7, 4, v4
	s_waitcnt lgkmcnt(0)
	v_add_u16_e32 v6, v3, v6
	v_cndmask_b32_e64 v3, v3, v6, s[4:5]
	v_cmp_gt_u32_e64 s[4:5], 60, v4
	s_nop 1
	v_cndmask_b32_e64 v6, 0, 4, s[4:5]
	v_add_lshl_u32 v6, v6, v2, 2
	ds_bpermute_b32 v6, v6, v3
	v_cmp_lt_u32_e64 s[4:5], v7, v5
	v_add_u32_e32 v7, 8, v4
	s_waitcnt lgkmcnt(0)
	v_add_u16_e32 v6, v3, v6
	v_cndmask_b32_e64 v3, v3, v6, s[4:5]
	v_cmp_gt_u32_e64 s[4:5], 56, v4
	s_nop 1
	v_cndmask_b32_e64 v6, 0, 8, s[4:5]
	v_add_lshl_u32 v6, v6, v2, 2
	ds_bpermute_b32 v6, v6, v3
	v_cmp_lt_u32_e64 s[4:5], v7, v5
	v_add_u32_e32 v7, 16, v4
	s_waitcnt lgkmcnt(0)
	v_add_u16_e32 v6, v3, v6
	v_cndmask_b32_e64 v3, v3, v6, s[4:5]
	v_cmp_gt_u32_e64 s[4:5], 48, v4
	v_add_u32_e32 v4, 32, v4
	s_nop 0
	v_cndmask_b32_e64 v6, 0, 16, s[4:5]
	v_add_lshl_u32 v6, v6, v2, 2
	ds_bpermute_b32 v6, v6, v3
	v_cmp_lt_u32_e64 s[4:5], v7, v5
	s_waitcnt lgkmcnt(0)
	v_add_u16_e32 v6, v3, v6
	v_cndmask_b32_e64 v6, v3, v6, s[4:5]
	v_lshlrev_b32_e32 v3, 2, v2
	v_or_b32_e32 v7, 0x80, v3
	ds_bpermute_b32 v7, v7, v6
	v_cmp_lt_u32_e64 s[4:5], v4, v5
	s_waitcnt lgkmcnt(0)
	s_nop 0
	v_cndmask_b32_e64 v4, 0, v7, s[4:5]
	v_add_u16_e32 v4, v6, v4
	v_cndmask_b32_e32 v1, v1, v4, vcc
	v_cmp_eq_u32_e32 vcc, 0, v2
	s_and_saveexec_b64 s[4:5], vcc
; %bb.164:
	v_lshrrev_b32_e32 v4, 5, v0
	v_and_b32_e32 v4, 2, v4
	ds_write_b16 v4, v1 offset:28
; %bb.165:
	s_or_b64 exec, exec, s[4:5]
	v_cmp_gt_u32_e32 vcc, 2, v0
	s_waitcnt lgkmcnt(0)
	s_barrier
	s_and_saveexec_b64 s[4:5], vcc
	s_cbranch_execz .LBB177_167
; %bb.166:
	v_lshlrev_b32_e32 v1, 1, v2
	ds_read_u16 v1, v1 offset:28
	v_or_b32_e32 v3, 4, v3
	s_add_i32 s6, s6, 63
	v_and_b32_e32 v2, 1, v2
	s_lshr_b32 s6, s6, 6
	s_waitcnt lgkmcnt(0)
	v_and_b32_e32 v4, 0xffff, v1
	ds_bpermute_b32 v3, v3, v4
	v_add_u32_e32 v2, 1, v2
	v_cmp_gt_u32_e32 vcc, s6, v2
	s_waitcnt lgkmcnt(0)
	s_nop 0
	v_cndmask_b32_e32 v2, 0, v3, vcc
	v_add_u16_e32 v1, v2, v1
.LBB177_167:
	s_or_b64 exec, exec, s[4:5]
	v_cmp_eq_u32_e64 s[4:5], 0, v0
	s_and_b64 vcc, exec, s[40:41]
	s_cbranch_vccnz .LBB177_24
	s_branch .LBB177_11
.LBB177_168:
	s_mov_b64 s[6:7], -1
                                        ; implicit-def: $vgpr1
.LBB177_169:
	s_and_b64 vcc, exec, s[6:7]
	s_cbranch_vccz .LBB177_207
; %bb.170:
	s_sub_i32 s38, s70, s4
	v_mov_b32_e32 v2, 0
	v_cmp_gt_u32_e32 vcc, s38, v0
	v_mov_b32_e32 v3, v2
	v_mov_b32_e32 v4, v2
	;; [unrolled: 1-line block ×7, first 2 shown]
	s_and_saveexec_b64 s[4:5], vcc
	s_cbranch_execz .LBB177_172
; %bb.171:
	v_lshlrev_b32_e32 v1, 1, v0
	global_load_ushort v1, v1, s[34:35]
	v_mov_b32_e32 v5, v2
	v_mov_b32_e32 v6, v2
	v_mov_b32_e32 v7, v2
	v_mov_b32_e32 v8, v2
	v_mov_b32_e32 v9, v2
	v_mov_b32_e32 v10, v2
	v_mov_b32_e32 v11, v2
	s_waitcnt vmcnt(0)
	v_and_b32_e32 v4, 0xffff, v1
	v_mov_b64_e32 v[2:3], v[4:5]
	v_mov_b64_e32 v[4:5], v[6:7]
	;; [unrolled: 1-line block ×4, first 2 shown]
.LBB177_172:
	s_or_b64 exec, exec, s[4:5]
	v_or_b32_e32 v1, 0x80, v0
	v_cmp_gt_u32_e32 vcc, s38, v1
	s_and_saveexec_b64 s[4:5], vcc
	s_cbranch_execz .LBB177_174
; %bb.173:
	v_lshlrev_b32_e32 v1, 1, v0
	global_load_ushort v1, v1, s[34:35] offset:256
	s_mov_b32 s6, 0x5040100
	s_waitcnt vmcnt(0)
	v_perm_b32 v2, v1, v2, s6
.LBB177_174:
	s_or_b64 exec, exec, s[4:5]
	v_or_b32_e32 v1, 0x100, v0
	v_cmp_gt_u32_e64 s[4:5], s38, v1
	s_and_saveexec_b64 s[6:7], s[4:5]
	s_cbranch_execz .LBB177_176
; %bb.175:
	v_lshlrev_b32_e32 v1, 1, v0
	global_load_ushort v1, v1, s[34:35] offset:512
	s_mov_b32 s8, 0xffff
	s_waitcnt vmcnt(0)
	v_bfi_b32 v3, s8, v1, v3
.LBB177_176:
	s_or_b64 exec, exec, s[6:7]
	v_or_b32_e32 v1, 0x180, v0
	v_cmp_gt_u32_e64 s[6:7], s38, v1
	s_and_saveexec_b64 s[8:9], s[6:7]
	s_cbranch_execz .LBB177_178
; %bb.177:
	v_lshlrev_b32_e32 v1, 1, v0
	global_load_ushort v1, v1, s[34:35] offset:768
	s_mov_b32 s10, 0x5040100
	s_waitcnt vmcnt(0)
	v_perm_b32 v3, v1, v3, s10
.LBB177_178:
	s_or_b64 exec, exec, s[8:9]
	v_or_b32_e32 v1, 0x200, v0
	v_cmp_gt_u32_e64 s[8:9], s38, v1
	s_and_saveexec_b64 s[10:11], s[8:9]
	s_cbranch_execz .LBB177_180
; %bb.179:
	v_lshlrev_b32_e32 v1, 1, v0
	global_load_ushort v1, v1, s[34:35] offset:1024
	s_mov_b32 s12, 0xffff
	s_waitcnt vmcnt(0)
	v_bfi_b32 v4, s12, v1, v4
.LBB177_180:
	s_or_b64 exec, exec, s[10:11]
	v_or_b32_e32 v1, 0x280, v0
	v_cmp_gt_u32_e64 s[10:11], s38, v1
	s_and_saveexec_b64 s[12:13], s[10:11]
	;; [unrolled: 24-line block ×7, first 2 shown]
	s_cbranch_execz .LBB177_202
; %bb.201:
	v_lshlrev_b32_e32 v1, 1, v0
	global_load_ushort v1, v1, s[34:35] offset:3840
	s_mov_b32 s34, 0x5040100
	s_waitcnt vmcnt(0)
	v_perm_b32 v9, v1, v9, s34
.LBB177_202:
	s_or_b64 exec, exec, s[36:37]
	v_mov_b32_e32 v1, 0
	v_cndmask_b32_sdwa v1, v1, v2, vcc dst_sel:DWORD dst_unused:UNUSED_PAD src0_sel:DWORD src1_sel:WORD_1
	v_add_u16_e32 v1, v1, v2
	v_cndmask_b32_e64 v2, 0, v3, s[4:5]
	v_add_u16_e32 v1, v1, v2
	v_lshrrev_b32_e32 v2, 16, v3
	v_cndmask_b32_e64 v2, 0, v2, s[6:7]
	v_add_u16_e32 v1, v1, v2
	v_cndmask_b32_e64 v2, 0, v4, s[8:9]
	v_add_u16_e32 v1, v1, v2
	v_lshrrev_b32_e32 v2, 16, v4
	v_cndmask_b32_e64 v2, 0, v2, s[10:11]
	;; [unrolled: 5-line block ×7, first 2 shown]
	v_add_u16_e32 v1, v1, v2
	v_mbcnt_lo_u32_b32 v2, -1, 0
	v_mbcnt_hi_u32_b32 v2, -1, v2
	v_and_b32_e32 v4, 63, v2
	v_cmp_ne_u32_e32 vcc, 63, v4
	s_min_u32 s6, s38, 0x80
	v_and_b32_e32 v5, 64, v0
	v_addc_co_u32_e32 v3, vcc, 0, v2, vcc
	v_lshlrev_b32_e32 v3, 2, v3
	ds_bpermute_b32 v3, v3, v1
	v_sub_u32_e64 v5, s6, v5 clamp
	v_add_u32_e32 v6, 1, v4
	v_cmp_gt_u32_e64 s[4:5], 62, v4
	v_cmp_lt_u32_e32 vcc, v6, v5
	s_waitcnt lgkmcnt(0)
	v_add_u16_e32 v3, v1, v3
	v_cndmask_b32_e64 v6, 0, 2, s[4:5]
	v_cndmask_b32_e32 v3, v1, v3, vcc
	v_add_lshl_u32 v6, v6, v2, 2
	ds_bpermute_b32 v6, v6, v3
	v_add_u32_e32 v7, 2, v4
	v_cmp_lt_u32_e64 s[4:5], v7, v5
	v_add_u32_e32 v7, 4, v4
	s_waitcnt lgkmcnt(0)
	v_add_u16_e32 v6, v3, v6
	v_cndmask_b32_e64 v3, v3, v6, s[4:5]
	v_cmp_gt_u32_e64 s[4:5], 60, v4
	s_nop 1
	v_cndmask_b32_e64 v6, 0, 4, s[4:5]
	v_add_lshl_u32 v6, v6, v2, 2
	ds_bpermute_b32 v6, v6, v3
	v_cmp_lt_u32_e64 s[4:5], v7, v5
	v_add_u32_e32 v7, 8, v4
	s_waitcnt lgkmcnt(0)
	v_add_u16_e32 v6, v3, v6
	v_cndmask_b32_e64 v3, v3, v6, s[4:5]
	v_cmp_gt_u32_e64 s[4:5], 56, v4
	s_nop 1
	v_cndmask_b32_e64 v6, 0, 8, s[4:5]
	v_add_lshl_u32 v6, v6, v2, 2
	ds_bpermute_b32 v6, v6, v3
	v_cmp_lt_u32_e64 s[4:5], v7, v5
	v_add_u32_e32 v7, 16, v4
	s_waitcnt lgkmcnt(0)
	v_add_u16_e32 v6, v3, v6
	v_cndmask_b32_e64 v3, v3, v6, s[4:5]
	v_cmp_gt_u32_e64 s[4:5], 48, v4
	v_add_u32_e32 v4, 32, v4
	s_nop 0
	v_cndmask_b32_e64 v6, 0, 16, s[4:5]
	v_add_lshl_u32 v6, v6, v2, 2
	ds_bpermute_b32 v6, v6, v3
	v_cmp_lt_u32_e64 s[4:5], v7, v5
	s_waitcnt lgkmcnt(0)
	v_add_u16_e32 v6, v3, v6
	v_cndmask_b32_e64 v6, v3, v6, s[4:5]
	v_lshlrev_b32_e32 v3, 2, v2
	v_or_b32_e32 v7, 0x80, v3
	ds_bpermute_b32 v7, v7, v6
	v_cmp_lt_u32_e64 s[4:5], v4, v5
	s_waitcnt lgkmcnt(0)
	s_nop 0
	v_cndmask_b32_e64 v4, 0, v7, s[4:5]
	v_add_u16_e32 v4, v6, v4
	v_cndmask_b32_e32 v1, v1, v4, vcc
	v_cmp_eq_u32_e32 vcc, 0, v2
	s_and_saveexec_b64 s[4:5], vcc
; %bb.203:
	v_lshrrev_b32_e32 v4, 5, v0
	v_and_b32_e32 v4, 2, v4
	ds_write_b16 v4, v1 offset:28
; %bb.204:
	s_or_b64 exec, exec, s[4:5]
	v_cmp_gt_u32_e32 vcc, 2, v0
	s_waitcnt lgkmcnt(0)
	s_barrier
	s_and_saveexec_b64 s[4:5], vcc
	s_cbranch_execz .LBB177_206
; %bb.205:
	v_lshlrev_b32_e32 v1, 1, v2
	ds_read_u16 v1, v1 offset:28
	v_or_b32_e32 v3, 4, v3
	s_add_i32 s6, s6, 63
	v_and_b32_e32 v2, 1, v2
	s_lshr_b32 s6, s6, 6
	s_waitcnt lgkmcnt(0)
	v_and_b32_e32 v4, 0xffff, v1
	ds_bpermute_b32 v3, v3, v4
	v_add_u32_e32 v2, 1, v2
	v_cmp_gt_u32_e32 vcc, s6, v2
	s_waitcnt lgkmcnt(0)
	s_nop 0
	v_cndmask_b32_e32 v2, 0, v3, vcc
	v_add_u16_e32 v1, v2, v1
.LBB177_206:
	s_or_b64 exec, exec, s[4:5]
.LBB177_207:
	v_cmp_eq_u32_e64 s[4:5], 0, v0
	s_branch .LBB177_288
.LBB177_208:
	s_cmp_eq_u32 s33, 8
	s_cbranch_scc0 .LBB177_215
; %bb.209:
	s_mov_b32 s3, 0
	s_lshl_b32 s4, s2, 10
	s_mov_b32 s5, s3
	s_lshr_b64 s[6:7], s[70:71], 10
	s_lshl_b64 s[8:9], s[4:5], 1
	s_add_u32 s16, s68, s8
	s_addc_u32 s17, s69, s9
	s_cmp_lg_u64 s[6:7], s[2:3]
	s_cbranch_scc0 .LBB177_309
; %bb.210:
	v_lshlrev_b32_e32 v1, 1, v0
	global_load_ushort v4, v1, s[16:17]
	global_load_ushort v5, v1, s[16:17] offset:256
	global_load_ushort v6, v1, s[16:17] offset:512
	;; [unrolled: 1-line block ×7, first 2 shown]
	v_mbcnt_lo_u32_b32 v1, -1, 0
	v_mbcnt_hi_u32_b32 v2, -1, v1
	v_lshlrev_b32_e32 v3, 2, v2
	v_cmp_eq_u32_e32 vcc, 0, v2
	s_waitcnt vmcnt(6)
	v_add_u16_e32 v1, v5, v4
	s_waitcnt vmcnt(5)
	v_add_u16_e32 v1, v1, v6
	s_waitcnt vmcnt(4)
	v_add_u16_e32 v1, v1, v7
	s_waitcnt vmcnt(3)
	v_add_u16_e32 v1, v1, v8
	s_waitcnt vmcnt(2)
	v_add_u16_e32 v1, v1, v9
	s_waitcnt vmcnt(1)
	v_add_u16_e32 v1, v1, v10
	s_waitcnt vmcnt(0)
	v_add_u16_e32 v1, v1, v11
	v_or_b32_e32 v4, 0xfc, v3
	s_nop 0
	v_add_u16_dpp v1, v1, v1 quad_perm:[1,0,3,2] row_mask:0xf bank_mask:0xf bound_ctrl:1
	s_nop 1
	v_add_u16_dpp v1, v1, v1 quad_perm:[2,3,0,1] row_mask:0xf bank_mask:0xf bound_ctrl:1
	s_nop 1
	v_add_u16_dpp v1, v1, v1 row_ror:4 row_mask:0xf bank_mask:0xf bound_ctrl:1
	s_nop 1
	v_add_u16_dpp v1, v1, v1 row_ror:8 row_mask:0xf bank_mask:0xf bound_ctrl:1
	s_nop 1
	v_add_u16_dpp v1, v1, v1 row_bcast:15 row_mask:0xf bank_mask:0xf bound_ctrl:1
	s_nop 1
	v_add_u16_dpp v1, v1, v1 row_bcast:31 row_mask:0xf bank_mask:0xf bound_ctrl:1
	ds_bpermute_b32 v1, v4, v1
	s_and_saveexec_b64 s[6:7], vcc
	s_cbranch_execz .LBB177_212
; %bb.211:
	v_lshrrev_b32_e32 v4, 5, v0
	v_and_b32_e32 v4, 2, v4
	s_waitcnt lgkmcnt(0)
	ds_write_b16 v4, v1 offset:24
.LBB177_212:
	s_or_b64 exec, exec, s[6:7]
	v_cmp_gt_u32_e32 vcc, 64, v0
	s_waitcnt lgkmcnt(0)
	s_barrier
	s_and_saveexec_b64 s[6:7], vcc
	s_cbranch_execz .LBB177_214
; %bb.213:
	v_and_b32_e32 v1, 1, v2
	v_lshlrev_b32_e32 v1, 1, v1
	ds_read_u16 v1, v1 offset:24
	v_or_b32_e32 v2, 4, v3
	s_waitcnt lgkmcnt(0)
	v_and_b32_e32 v3, 0xffff, v1
	ds_bpermute_b32 v2, v2, v3
	s_waitcnt lgkmcnt(0)
	v_add_u16_e32 v1, v1, v2
.LBB177_214:
	s_or_b64 exec, exec, s[6:7]
	s_mov_b64 s[6:7], 0
	s_branch .LBB177_310
.LBB177_215:
                                        ; implicit-def: $vgpr1
	s_branch .LBB177_371
.LBB177_216:
	s_mov_b64 s[6:7], -1
                                        ; implicit-def: $vgpr1
.LBB177_217:
	s_and_b64 vcc, exec, s[6:7]
	s_cbranch_vccz .LBB177_287
; %bb.218:
	s_sub_i32 s74, s70, s4
	v_mov_b32_e32 v2, 0
	v_cmp_gt_u32_e32 vcc, s74, v0
	v_mov_b32_e32 v3, v2
	v_mov_b32_e32 v4, v2
	;; [unrolled: 1-line block ×15, first 2 shown]
	s_and_saveexec_b64 s[4:5], vcc
	s_cbranch_execz .LBB177_220
; %bb.219:
	v_lshlrev_b32_e32 v1, 1, v0
	global_load_ushort v1, v1, s[66:67]
	v_mov_b32_e32 v5, v2
	v_mov_b32_e32 v6, v2
	;; [unrolled: 1-line block ×15, first 2 shown]
	s_waitcnt vmcnt(0)
	v_and_b32_e32 v4, 0xffff, v1
	v_mov_b64_e32 v[2:3], v[4:5]
	v_mov_b64_e32 v[4:5], v[6:7]
	;; [unrolled: 1-line block ×8, first 2 shown]
.LBB177_220:
	s_or_b64 exec, exec, s[4:5]
	v_or_b32_e32 v1, 0x80, v0
	v_cmp_gt_u32_e32 vcc, s74, v1
	s_and_saveexec_b64 s[4:5], vcc
	s_cbranch_execz .LBB177_222
; %bb.221:
	v_lshlrev_b32_e32 v1, 1, v0
	global_load_ushort v1, v1, s[66:67] offset:256
	s_mov_b32 s6, 0x5040100
	s_waitcnt vmcnt(0)
	v_perm_b32 v2, v1, v2, s6
.LBB177_222:
	s_or_b64 exec, exec, s[4:5]
	v_or_b32_e32 v1, 0x100, v0
	v_cmp_gt_u32_e64 s[4:5], s74, v1
	s_and_saveexec_b64 s[6:7], s[4:5]
	s_cbranch_execz .LBB177_224
; %bb.223:
	v_lshlrev_b32_e32 v1, 1, v0
	global_load_ushort v1, v1, s[66:67] offset:512
	s_mov_b32 s8, 0xffff
	s_waitcnt vmcnt(0)
	v_bfi_b32 v3, s8, v1, v3
.LBB177_224:
	s_or_b64 exec, exec, s[6:7]
	v_or_b32_e32 v1, 0x180, v0
	v_cmp_gt_u32_e64 s[6:7], s74, v1
	s_and_saveexec_b64 s[8:9], s[6:7]
	s_cbranch_execz .LBB177_226
; %bb.225:
	v_lshlrev_b32_e32 v1, 1, v0
	global_load_ushort v1, v1, s[66:67] offset:768
	s_mov_b32 s10, 0x5040100
	s_waitcnt vmcnt(0)
	v_perm_b32 v3, v1, v3, s10
.LBB177_226:
	s_or_b64 exec, exec, s[8:9]
	v_or_b32_e32 v1, 0x200, v0
	v_cmp_gt_u32_e64 s[8:9], s74, v1
	s_and_saveexec_b64 s[10:11], s[8:9]
	s_cbranch_execz .LBB177_228
; %bb.227:
	v_lshlrev_b32_e32 v1, 1, v0
	global_load_ushort v1, v1, s[66:67] offset:1024
	s_mov_b32 s12, 0xffff
	s_waitcnt vmcnt(0)
	v_bfi_b32 v4, s12, v1, v4
.LBB177_228:
	s_or_b64 exec, exec, s[10:11]
	v_or_b32_e32 v1, 0x280, v0
	v_cmp_gt_u32_e64 s[10:11], s74, v1
	s_and_saveexec_b64 s[12:13], s[10:11]
	;; [unrolled: 24-line block ×7, first 2 shown]
	s_cbranch_execz .LBB177_250
; %bb.249:
	v_lshlrev_b32_e32 v1, 1, v0
	global_load_ushort v1, v1, s[66:67] offset:3840
	s_mov_b32 s36, 0x5040100
	s_waitcnt vmcnt(0)
	v_perm_b32 v9, v1, v9, s36
.LBB177_250:
	s_or_b64 exec, exec, s[34:35]
	v_or_b32_e32 v1, 0x800, v0
	v_cmp_gt_u32_e64 s[34:35], s74, v1
	s_and_saveexec_b64 s[36:37], s[34:35]
	s_cbranch_execz .LBB177_252
; %bb.251:
	v_lshlrev_b32_e32 v1, 1, v1
	global_load_ushort v1, v1, s[66:67]
	s_mov_b32 s38, 0xffff
	s_waitcnt vmcnt(0)
	v_bfi_b32 v10, s38, v1, v10
.LBB177_252:
	s_or_b64 exec, exec, s[36:37]
	v_or_b32_e32 v1, 0x880, v0
	v_cmp_gt_u32_e64 s[36:37], s74, v1
	s_and_saveexec_b64 s[38:39], s[36:37]
	s_cbranch_execz .LBB177_254
; %bb.253:
	v_lshlrev_b32_e32 v1, 1, v1
	global_load_ushort v1, v1, s[66:67]
	s_mov_b32 s40, 0x5040100
	s_waitcnt vmcnt(0)
	v_perm_b32 v10, v1, v10, s40
.LBB177_254:
	s_or_b64 exec, exec, s[38:39]
	v_or_b32_e32 v1, 0x900, v0
	v_cmp_gt_u32_e64 s[38:39], s74, v1
	s_and_saveexec_b64 s[40:41], s[38:39]
	s_cbranch_execz .LBB177_256
; %bb.255:
	v_lshlrev_b32_e32 v1, 1, v1
	global_load_ushort v1, v1, s[66:67]
	s_mov_b32 s42, 0xffff
	s_waitcnt vmcnt(0)
	v_bfi_b32 v11, s42, v1, v11
.LBB177_256:
	s_or_b64 exec, exec, s[40:41]
	v_or_b32_e32 v1, 0x980, v0
	v_cmp_gt_u32_e64 s[40:41], s74, v1
	s_and_saveexec_b64 s[42:43], s[40:41]
	s_cbranch_execz .LBB177_258
; %bb.257:
	v_lshlrev_b32_e32 v1, 1, v1
	global_load_ushort v1, v1, s[66:67]
	s_mov_b32 s44, 0x5040100
	s_waitcnt vmcnt(0)
	v_perm_b32 v11, v1, v11, s44
.LBB177_258:
	;; [unrolled: 24-line block ×8, first 2 shown]
	s_or_b64 exec, exec, s[72:73]
	v_mov_b32_e32 v1, 0
	v_cndmask_b32_sdwa v1, v1, v2, vcc dst_sel:DWORD dst_unused:UNUSED_PAD src0_sel:DWORD src1_sel:WORD_1
	v_add_u16_e32 v1, v1, v2
	v_cndmask_b32_e64 v2, 0, v3, s[4:5]
	v_add_u16_e32 v1, v1, v2
	v_lshrrev_b32_e32 v2, 16, v3
	v_cndmask_b32_e64 v2, 0, v2, s[6:7]
	v_add_u16_e32 v1, v1, v2
	v_cndmask_b32_e64 v2, 0, v4, s[8:9]
	v_add_u16_e32 v1, v1, v2
	v_lshrrev_b32_e32 v2, 16, v4
	v_cndmask_b32_e64 v2, 0, v2, s[10:11]
	;; [unrolled: 5-line block ×15, first 2 shown]
	v_add_u16_e32 v1, v1, v2
	v_mbcnt_lo_u32_b32 v2, -1, 0
	v_mbcnt_hi_u32_b32 v2, -1, v2
	v_and_b32_e32 v4, 63, v2
	v_cmp_ne_u32_e32 vcc, 63, v4
	s_min_u32 s6, s74, 0x80
	v_and_b32_e32 v5, 64, v0
	v_addc_co_u32_e32 v3, vcc, 0, v2, vcc
	v_lshlrev_b32_e32 v3, 2, v3
	ds_bpermute_b32 v3, v3, v1
	v_sub_u32_e64 v5, s6, v5 clamp
	v_add_u32_e32 v6, 1, v4
	v_cmp_gt_u32_e64 s[4:5], 62, v4
	v_cmp_lt_u32_e32 vcc, v6, v5
	s_waitcnt lgkmcnt(0)
	v_add_u16_e32 v3, v1, v3
	v_cndmask_b32_e64 v6, 0, 2, s[4:5]
	v_cndmask_b32_e32 v3, v1, v3, vcc
	v_add_lshl_u32 v6, v6, v2, 2
	ds_bpermute_b32 v6, v6, v3
	v_add_u32_e32 v7, 2, v4
	v_cmp_lt_u32_e64 s[4:5], v7, v5
	v_add_u32_e32 v7, 4, v4
	s_waitcnt lgkmcnt(0)
	v_add_u16_e32 v6, v3, v6
	v_cndmask_b32_e64 v3, v3, v6, s[4:5]
	v_cmp_gt_u32_e64 s[4:5], 60, v4
	s_nop 1
	v_cndmask_b32_e64 v6, 0, 4, s[4:5]
	v_add_lshl_u32 v6, v6, v2, 2
	ds_bpermute_b32 v6, v6, v3
	v_cmp_lt_u32_e64 s[4:5], v7, v5
	v_add_u32_e32 v7, 8, v4
	s_waitcnt lgkmcnt(0)
	v_add_u16_e32 v6, v3, v6
	v_cndmask_b32_e64 v3, v3, v6, s[4:5]
	v_cmp_gt_u32_e64 s[4:5], 56, v4
	s_nop 1
	v_cndmask_b32_e64 v6, 0, 8, s[4:5]
	v_add_lshl_u32 v6, v6, v2, 2
	ds_bpermute_b32 v6, v6, v3
	v_cmp_lt_u32_e64 s[4:5], v7, v5
	v_add_u32_e32 v7, 16, v4
	s_waitcnt lgkmcnt(0)
	v_add_u16_e32 v6, v3, v6
	v_cndmask_b32_e64 v3, v3, v6, s[4:5]
	v_cmp_gt_u32_e64 s[4:5], 48, v4
	v_add_u32_e32 v4, 32, v4
	s_nop 0
	v_cndmask_b32_e64 v6, 0, 16, s[4:5]
	v_add_lshl_u32 v6, v6, v2, 2
	ds_bpermute_b32 v6, v6, v3
	v_cmp_lt_u32_e64 s[4:5], v7, v5
	s_waitcnt lgkmcnt(0)
	v_add_u16_e32 v6, v3, v6
	v_cndmask_b32_e64 v6, v3, v6, s[4:5]
	v_lshlrev_b32_e32 v3, 2, v2
	v_or_b32_e32 v7, 0x80, v3
	ds_bpermute_b32 v7, v7, v6
	v_cmp_lt_u32_e64 s[4:5], v4, v5
	s_waitcnt lgkmcnt(0)
	s_nop 0
	v_cndmask_b32_e64 v4, 0, v7, s[4:5]
	v_add_u16_e32 v4, v6, v4
	v_cndmask_b32_e32 v1, v1, v4, vcc
	v_cmp_eq_u32_e32 vcc, 0, v2
	s_and_saveexec_b64 s[4:5], vcc
; %bb.283:
	v_lshrrev_b32_e32 v4, 5, v0
	v_and_b32_e32 v4, 2, v4
	ds_write_b16 v4, v1 offset:28
; %bb.284:
	s_or_b64 exec, exec, s[4:5]
	v_cmp_gt_u32_e32 vcc, 2, v0
	s_waitcnt lgkmcnt(0)
	s_barrier
	s_and_saveexec_b64 s[4:5], vcc
	s_cbranch_execz .LBB177_286
; %bb.285:
	v_lshlrev_b32_e32 v1, 1, v2
	ds_read_u16 v1, v1 offset:28
	v_or_b32_e32 v3, 4, v3
	s_add_i32 s6, s6, 63
	v_and_b32_e32 v2, 1, v2
	s_lshr_b32 s6, s6, 6
	s_waitcnt lgkmcnt(0)
	v_and_b32_e32 v4, 0xffff, v1
	ds_bpermute_b32 v3, v3, v4
	v_add_u32_e32 v2, 1, v2
	v_cmp_gt_u32_e32 vcc, s6, v2
	s_waitcnt lgkmcnt(0)
	s_nop 0
	v_cndmask_b32_e32 v2, 0, v3, vcc
	v_add_u16_e32 v1, v2, v1
.LBB177_286:
	s_or_b64 exec, exec, s[4:5]
.LBB177_287:
	v_cmp_eq_u32_e64 s[4:5], 0, v0
.LBB177_288:
	s_branch .LBB177_371
.LBB177_289:
	s_cmp_gt_i32 s33, 1
	s_cbranch_scc0 .LBB177_298
; %bb.290:
	s_cmp_gt_i32 s33, 3
	s_cbranch_scc0 .LBB177_299
; %bb.291:
	s_cmp_eq_u32 s33, 4
	s_cbranch_scc0 .LBB177_307
; %bb.292:
	s_mov_b32 s3, 0
	s_lshl_b32 s4, s2, 9
	s_mov_b32 s5, s3
	s_lshr_b64 s[6:7], s[70:71], 9
	s_lshl_b64 s[8:9], s[4:5], 1
	s_add_u32 s8, s68, s8
	s_addc_u32 s9, s69, s9
	s_cmp_lg_u64 s[6:7], s[2:3]
	s_cbranch_scc0 .LBB177_333
; %bb.293:
	v_lshlrev_b32_e32 v1, 1, v0
	global_load_ushort v4, v1, s[8:9]
	global_load_ushort v5, v1, s[8:9] offset:256
	global_load_ushort v6, v1, s[8:9] offset:512
	;; [unrolled: 1-line block ×3, first 2 shown]
	v_mbcnt_lo_u32_b32 v1, -1, 0
	v_mbcnt_hi_u32_b32 v2, -1, v1
	v_lshlrev_b32_e32 v3, 2, v2
	v_cmp_eq_u32_e32 vcc, 0, v2
	s_waitcnt vmcnt(2)
	v_add_u16_e32 v1, v5, v4
	s_waitcnt vmcnt(1)
	v_add_u16_e32 v1, v1, v6
	s_waitcnt vmcnt(0)
	v_add_u16_e32 v1, v1, v7
	v_or_b32_e32 v4, 0xfc, v3
	s_nop 0
	v_add_u16_dpp v1, v1, v1 quad_perm:[1,0,3,2] row_mask:0xf bank_mask:0xf bound_ctrl:1
	s_nop 1
	v_add_u16_dpp v1, v1, v1 quad_perm:[2,3,0,1] row_mask:0xf bank_mask:0xf bound_ctrl:1
	s_nop 1
	v_add_u16_dpp v1, v1, v1 row_ror:4 row_mask:0xf bank_mask:0xf bound_ctrl:1
	s_nop 1
	v_add_u16_dpp v1, v1, v1 row_ror:8 row_mask:0xf bank_mask:0xf bound_ctrl:1
	s_nop 1
	v_add_u16_dpp v1, v1, v1 row_bcast:15 row_mask:0xf bank_mask:0xf bound_ctrl:1
	s_nop 1
	v_add_u16_dpp v1, v1, v1 row_bcast:31 row_mask:0xf bank_mask:0xf bound_ctrl:1
	ds_bpermute_b32 v1, v4, v1
	s_and_saveexec_b64 s[6:7], vcc
	s_cbranch_execz .LBB177_295
; %bb.294:
	v_lshrrev_b32_e32 v4, 5, v0
	v_and_b32_e32 v4, 2, v4
	s_waitcnt lgkmcnt(0)
	ds_write_b16 v4, v1 offset:16
.LBB177_295:
	s_or_b64 exec, exec, s[6:7]
	v_cmp_gt_u32_e32 vcc, 64, v0
	s_waitcnt lgkmcnt(0)
	s_barrier
	s_and_saveexec_b64 s[6:7], vcc
	s_cbranch_execz .LBB177_297
; %bb.296:
	v_and_b32_e32 v1, 1, v2
	v_lshlrev_b32_e32 v1, 1, v1
	ds_read_u16 v1, v1 offset:16
	v_or_b32_e32 v2, 4, v3
	s_waitcnt lgkmcnt(0)
	v_and_b32_e32 v3, 0xffff, v1
	ds_bpermute_b32 v2, v2, v3
	s_waitcnt lgkmcnt(0)
	v_add_u16_e32 v1, v1, v2
.LBB177_297:
	s_or_b64 exec, exec, s[6:7]
	s_mov_b64 s[6:7], 0
	s_branch .LBB177_334
.LBB177_298:
                                        ; implicit-def: $vgpr1
	s_cbranch_execnz .LBB177_362
	s_branch .LBB177_371
.LBB177_299:
                                        ; implicit-def: $vgpr1
	s_cbranch_execz .LBB177_349
; %bb.300:
	s_cmp_eq_u32 s33, 2
	s_cbranch_scc0 .LBB177_308
; %bb.301:
	s_mov_b32 s3, 0
	s_lshl_b32 s6, s2, 8
	s_mov_b32 s7, s3
	s_lshr_b64 s[8:9], s[70:71], 8
	s_lshl_b64 s[4:5], s[6:7], 1
	s_add_u32 s4, s68, s4
	s_addc_u32 s5, s69, s5
	s_cmp_lg_u64 s[8:9], s[2:3]
	s_cbranch_scc0 .LBB177_350
; %bb.302:
	v_lshlrev_b32_e32 v1, 1, v0
	global_load_ushort v4, v1, s[4:5]
	global_load_ushort v5, v1, s[4:5] offset:256
	v_mbcnt_lo_u32_b32 v1, -1, 0
	v_mbcnt_hi_u32_b32 v2, -1, v1
	v_lshlrev_b32_e32 v3, 2, v2
	v_cmp_eq_u32_e32 vcc, 0, v2
	s_waitcnt vmcnt(0)
	v_add_u16_e32 v1, v5, v4
	s_nop 1
	v_add_u16_dpp v1, v1, v1 quad_perm:[1,0,3,2] row_mask:0xf bank_mask:0xf bound_ctrl:1
	v_or_b32_e32 v4, 0xfc, v3
	s_nop 0
	v_add_u16_dpp v1, v1, v1 quad_perm:[2,3,0,1] row_mask:0xf bank_mask:0xf bound_ctrl:1
	s_nop 1
	v_add_u16_dpp v1, v1, v1 row_ror:4 row_mask:0xf bank_mask:0xf bound_ctrl:1
	s_nop 1
	v_add_u16_dpp v1, v1, v1 row_ror:8 row_mask:0xf bank_mask:0xf bound_ctrl:1
	s_nop 1
	v_add_u16_dpp v1, v1, v1 row_bcast:15 row_mask:0xf bank_mask:0xf bound_ctrl:1
	s_nop 1
	v_add_u16_dpp v1, v1, v1 row_bcast:31 row_mask:0xf bank_mask:0xf bound_ctrl:1
	ds_bpermute_b32 v1, v4, v1
	s_and_saveexec_b64 s[8:9], vcc
	s_cbranch_execz .LBB177_304
; %bb.303:
	v_lshrrev_b32_e32 v4, 5, v0
	v_and_b32_e32 v4, 2, v4
	s_waitcnt lgkmcnt(0)
	ds_write_b16 v4, v1 offset:8
.LBB177_304:
	s_or_b64 exec, exec, s[8:9]
	v_cmp_gt_u32_e32 vcc, 64, v0
	s_waitcnt lgkmcnt(0)
	s_barrier
	s_and_saveexec_b64 s[8:9], vcc
	s_cbranch_execz .LBB177_306
; %bb.305:
	v_and_b32_e32 v1, 1, v2
	v_lshlrev_b32_e32 v1, 1, v1
	ds_read_u16 v1, v1 offset:8
	v_or_b32_e32 v2, 4, v3
	s_waitcnt lgkmcnt(0)
	v_and_b32_e32 v3, 0xffff, v1
	ds_bpermute_b32 v2, v2, v3
	s_waitcnt lgkmcnt(0)
	v_add_u16_e32 v1, v1, v2
.LBB177_306:
	s_or_b64 exec, exec, s[8:9]
	s_mov_b64 s[8:9], 0
	s_branch .LBB177_351
.LBB177_307:
                                        ; implicit-def: $vgpr1
	s_branch .LBB177_349
.LBB177_308:
                                        ; implicit-def: $vgpr1
	s_branch .LBB177_371
.LBB177_309:
	s_mov_b64 s[6:7], -1
                                        ; implicit-def: $vgpr1
.LBB177_310:
	s_and_b64 vcc, exec, s[6:7]
	s_cbranch_vccz .LBB177_332
; %bb.311:
	s_sub_i32 s20, s70, s4
	v_mov_b32_e32 v2, 0
	v_cmp_gt_u32_e32 vcc, s20, v0
	v_mov_b32_e32 v3, v2
	v_mov_b32_e32 v4, v2
	;; [unrolled: 1-line block ×3, first 2 shown]
	s_and_saveexec_b64 s[4:5], vcc
	s_cbranch_execz .LBB177_313
; %bb.312:
	v_lshlrev_b32_e32 v1, 1, v0
	global_load_ushort v1, v1, s[16:17]
	v_mov_b32_e32 v5, v2
	v_mov_b32_e32 v6, v2
	;; [unrolled: 1-line block ×3, first 2 shown]
	s_waitcnt vmcnt(0)
	v_and_b32_e32 v4, 0xffff, v1
	v_mov_b64_e32 v[2:3], v[4:5]
	v_mov_b64_e32 v[4:5], v[6:7]
.LBB177_313:
	s_or_b64 exec, exec, s[4:5]
	v_or_b32_e32 v1, 0x80, v0
	v_cmp_gt_u32_e32 vcc, s20, v1
	s_and_saveexec_b64 s[4:5], vcc
	s_cbranch_execz .LBB177_315
; %bb.314:
	v_lshlrev_b32_e32 v1, 1, v0
	global_load_ushort v1, v1, s[16:17] offset:256
	s_mov_b32 s6, 0x5040100
	s_waitcnt vmcnt(0)
	v_perm_b32 v2, v1, v2, s6
.LBB177_315:
	s_or_b64 exec, exec, s[4:5]
	v_or_b32_e32 v1, 0x100, v0
	v_cmp_gt_u32_e64 s[4:5], s20, v1
	s_and_saveexec_b64 s[6:7], s[4:5]
	s_cbranch_execz .LBB177_317
; %bb.316:
	v_lshlrev_b32_e32 v1, 1, v0
	global_load_ushort v1, v1, s[16:17] offset:512
	s_mov_b32 s8, 0xffff
	s_waitcnt vmcnt(0)
	v_bfi_b32 v3, s8, v1, v3
.LBB177_317:
	s_or_b64 exec, exec, s[6:7]
	v_or_b32_e32 v1, 0x180, v0
	v_cmp_gt_u32_e64 s[6:7], s20, v1
	s_and_saveexec_b64 s[8:9], s[6:7]
	s_cbranch_execz .LBB177_319
; %bb.318:
	v_lshlrev_b32_e32 v1, 1, v0
	global_load_ushort v1, v1, s[16:17] offset:768
	s_mov_b32 s10, 0x5040100
	s_waitcnt vmcnt(0)
	v_perm_b32 v3, v1, v3, s10
.LBB177_319:
	s_or_b64 exec, exec, s[8:9]
	v_or_b32_e32 v1, 0x200, v0
	v_cmp_gt_u32_e64 s[8:9], s20, v1
	s_and_saveexec_b64 s[10:11], s[8:9]
	s_cbranch_execz .LBB177_321
; %bb.320:
	v_lshlrev_b32_e32 v1, 1, v0
	global_load_ushort v1, v1, s[16:17] offset:1024
	s_mov_b32 s12, 0xffff
	s_waitcnt vmcnt(0)
	v_bfi_b32 v4, s12, v1, v4
.LBB177_321:
	s_or_b64 exec, exec, s[10:11]
	v_or_b32_e32 v1, 0x280, v0
	v_cmp_gt_u32_e64 s[10:11], s20, v1
	s_and_saveexec_b64 s[12:13], s[10:11]
	;; [unrolled: 24-line block ×3, first 2 shown]
	s_cbranch_execz .LBB177_327
; %bb.326:
	v_lshlrev_b32_e32 v1, 1, v0
	global_load_ushort v1, v1, s[16:17] offset:1792
	s_mov_b32 s16, 0x5040100
	s_waitcnt vmcnt(0)
	v_perm_b32 v5, v1, v5, s16
.LBB177_327:
	s_or_b64 exec, exec, s[18:19]
	v_mov_b32_e32 v1, 0
	v_cndmask_b32_sdwa v1, v1, v2, vcc dst_sel:DWORD dst_unused:UNUSED_PAD src0_sel:DWORD src1_sel:WORD_1
	v_add_u16_e32 v1, v1, v2
	v_cndmask_b32_e64 v2, 0, v3, s[4:5]
	v_add_u16_e32 v1, v1, v2
	v_lshrrev_b32_e32 v2, 16, v3
	v_cndmask_b32_e64 v2, 0, v2, s[6:7]
	v_add_u16_e32 v1, v1, v2
	v_cndmask_b32_e64 v2, 0, v4, s[8:9]
	v_add_u16_e32 v1, v1, v2
	v_lshrrev_b32_e32 v2, 16, v4
	v_cndmask_b32_e64 v2, 0, v2, s[10:11]
	;; [unrolled: 5-line block ×3, first 2 shown]
	v_add_u16_e32 v1, v1, v2
	v_mbcnt_lo_u32_b32 v2, -1, 0
	v_mbcnt_hi_u32_b32 v2, -1, v2
	v_and_b32_e32 v4, 63, v2
	v_cmp_ne_u32_e32 vcc, 63, v4
	s_min_u32 s6, s20, 0x80
	v_and_b32_e32 v5, 64, v0
	v_addc_co_u32_e32 v3, vcc, 0, v2, vcc
	v_lshlrev_b32_e32 v3, 2, v3
	ds_bpermute_b32 v3, v3, v1
	v_sub_u32_e64 v5, s6, v5 clamp
	v_add_u32_e32 v6, 1, v4
	v_cmp_gt_u32_e64 s[4:5], 62, v4
	v_cmp_lt_u32_e32 vcc, v6, v5
	s_waitcnt lgkmcnt(0)
	v_add_u16_e32 v3, v1, v3
	v_cndmask_b32_e64 v6, 0, 2, s[4:5]
	v_cndmask_b32_e32 v3, v1, v3, vcc
	v_add_lshl_u32 v6, v6, v2, 2
	ds_bpermute_b32 v6, v6, v3
	v_add_u32_e32 v7, 2, v4
	v_cmp_lt_u32_e64 s[4:5], v7, v5
	v_add_u32_e32 v7, 4, v4
	s_waitcnt lgkmcnt(0)
	v_add_u16_e32 v6, v3, v6
	v_cndmask_b32_e64 v3, v3, v6, s[4:5]
	v_cmp_gt_u32_e64 s[4:5], 60, v4
	s_nop 1
	v_cndmask_b32_e64 v6, 0, 4, s[4:5]
	v_add_lshl_u32 v6, v6, v2, 2
	ds_bpermute_b32 v6, v6, v3
	v_cmp_lt_u32_e64 s[4:5], v7, v5
	v_add_u32_e32 v7, 8, v4
	s_waitcnt lgkmcnt(0)
	v_add_u16_e32 v6, v3, v6
	v_cndmask_b32_e64 v3, v3, v6, s[4:5]
	v_cmp_gt_u32_e64 s[4:5], 56, v4
	s_nop 1
	v_cndmask_b32_e64 v6, 0, 8, s[4:5]
	v_add_lshl_u32 v6, v6, v2, 2
	ds_bpermute_b32 v6, v6, v3
	v_cmp_lt_u32_e64 s[4:5], v7, v5
	v_add_u32_e32 v7, 16, v4
	s_waitcnt lgkmcnt(0)
	v_add_u16_e32 v6, v3, v6
	v_cndmask_b32_e64 v3, v3, v6, s[4:5]
	v_cmp_gt_u32_e64 s[4:5], 48, v4
	v_add_u32_e32 v4, 32, v4
	s_nop 0
	v_cndmask_b32_e64 v6, 0, 16, s[4:5]
	v_add_lshl_u32 v6, v6, v2, 2
	ds_bpermute_b32 v6, v6, v3
	v_cmp_lt_u32_e64 s[4:5], v7, v5
	s_waitcnt lgkmcnt(0)
	v_add_u16_e32 v6, v3, v6
	v_cndmask_b32_e64 v6, v3, v6, s[4:5]
	v_lshlrev_b32_e32 v3, 2, v2
	v_or_b32_e32 v7, 0x80, v3
	ds_bpermute_b32 v7, v7, v6
	v_cmp_lt_u32_e64 s[4:5], v4, v5
	s_waitcnt lgkmcnt(0)
	s_nop 0
	v_cndmask_b32_e64 v4, 0, v7, s[4:5]
	v_add_u16_e32 v4, v6, v4
	v_cndmask_b32_e32 v1, v1, v4, vcc
	v_cmp_eq_u32_e32 vcc, 0, v2
	s_and_saveexec_b64 s[4:5], vcc
; %bb.328:
	v_lshrrev_b32_e32 v4, 5, v0
	v_and_b32_e32 v4, 2, v4
	ds_write_b16 v4, v1 offset:28
; %bb.329:
	s_or_b64 exec, exec, s[4:5]
	v_cmp_gt_u32_e32 vcc, 2, v0
	s_waitcnt lgkmcnt(0)
	s_barrier
	s_and_saveexec_b64 s[4:5], vcc
	s_cbranch_execz .LBB177_331
; %bb.330:
	v_lshlrev_b32_e32 v1, 1, v2
	ds_read_u16 v1, v1 offset:28
	v_or_b32_e32 v3, 4, v3
	s_add_i32 s6, s6, 63
	v_and_b32_e32 v2, 1, v2
	s_lshr_b32 s6, s6, 6
	s_waitcnt lgkmcnt(0)
	v_and_b32_e32 v4, 0xffff, v1
	ds_bpermute_b32 v3, v3, v4
	v_add_u32_e32 v2, 1, v2
	v_cmp_gt_u32_e32 vcc, s6, v2
	s_waitcnt lgkmcnt(0)
	s_nop 0
	v_cndmask_b32_e32 v2, 0, v3, vcc
	v_add_u16_e32 v1, v2, v1
.LBB177_331:
	s_or_b64 exec, exec, s[4:5]
.LBB177_332:
	v_cmp_eq_u32_e64 s[4:5], 0, v0
	s_branch .LBB177_371
.LBB177_333:
	s_mov_b64 s[6:7], -1
                                        ; implicit-def: $vgpr1
.LBB177_334:
	s_and_b64 vcc, exec, s[6:7]
	s_cbranch_vccz .LBB177_348
; %bb.335:
	s_sub_i32 s12, s70, s4
	v_mov_b32_e32 v2, 0
	v_cmp_gt_u32_e32 vcc, s12, v0
	v_mov_b32_e32 v3, v2
	s_and_saveexec_b64 s[4:5], vcc
	s_cbranch_execz .LBB177_337
; %bb.336:
	v_lshlrev_b32_e32 v1, 1, v0
	global_load_ushort v1, v1, s[8:9]
	v_mov_b32_e32 v5, v2
	s_waitcnt vmcnt(0)
	v_and_b32_e32 v4, 0xffff, v1
	v_mov_b64_e32 v[2:3], v[4:5]
.LBB177_337:
	s_or_b64 exec, exec, s[4:5]
	v_or_b32_e32 v1, 0x80, v0
	v_cmp_gt_u32_e32 vcc, s12, v1
	s_and_saveexec_b64 s[4:5], vcc
	s_cbranch_execz .LBB177_339
; %bb.338:
	v_lshlrev_b32_e32 v1, 1, v0
	global_load_ushort v1, v1, s[8:9] offset:256
	s_mov_b32 s6, 0x5040100
	s_waitcnt vmcnt(0)
	v_perm_b32 v2, v1, v2, s6
.LBB177_339:
	s_or_b64 exec, exec, s[4:5]
	v_or_b32_e32 v1, 0x100, v0
	v_cmp_gt_u32_e64 s[4:5], s12, v1
	s_and_saveexec_b64 s[6:7], s[4:5]
	s_cbranch_execz .LBB177_341
; %bb.340:
	v_lshlrev_b32_e32 v1, 1, v0
	global_load_ushort v1, v1, s[8:9] offset:512
	s_mov_b32 s10, 0xffff
	s_waitcnt vmcnt(0)
	v_bfi_b32 v3, s10, v1, v3
.LBB177_341:
	s_or_b64 exec, exec, s[6:7]
	v_or_b32_e32 v1, 0x180, v0
	v_cmp_gt_u32_e64 s[6:7], s12, v1
	s_and_saveexec_b64 s[10:11], s[6:7]
	s_cbranch_execz .LBB177_343
; %bb.342:
	v_lshlrev_b32_e32 v1, 1, v0
	global_load_ushort v1, v1, s[8:9] offset:768
	s_mov_b32 s8, 0x5040100
	s_waitcnt vmcnt(0)
	v_perm_b32 v3, v1, v3, s8
.LBB177_343:
	s_or_b64 exec, exec, s[10:11]
	v_mov_b32_e32 v1, 0
	v_cndmask_b32_sdwa v1, v1, v2, vcc dst_sel:DWORD dst_unused:UNUSED_PAD src0_sel:DWORD src1_sel:WORD_1
	v_add_u16_e32 v1, v1, v2
	v_cndmask_b32_e64 v2, 0, v3, s[4:5]
	v_add_u16_e32 v1, v1, v2
	v_lshrrev_b32_e32 v2, 16, v3
	v_cndmask_b32_e64 v2, 0, v2, s[6:7]
	v_add_u16_e32 v1, v1, v2
	v_mbcnt_lo_u32_b32 v2, -1, 0
	v_mbcnt_hi_u32_b32 v2, -1, v2
	v_and_b32_e32 v4, 63, v2
	v_cmp_ne_u32_e32 vcc, 63, v4
	s_min_u32 s6, s12, 0x80
	v_and_b32_e32 v5, 64, v0
	v_addc_co_u32_e32 v3, vcc, 0, v2, vcc
	v_lshlrev_b32_e32 v3, 2, v3
	ds_bpermute_b32 v3, v3, v1
	v_sub_u32_e64 v5, s6, v5 clamp
	v_add_u32_e32 v6, 1, v4
	v_cmp_gt_u32_e64 s[4:5], 62, v4
	v_cmp_lt_u32_e32 vcc, v6, v5
	s_waitcnt lgkmcnt(0)
	v_add_u16_e32 v3, v1, v3
	v_cndmask_b32_e64 v6, 0, 2, s[4:5]
	v_cndmask_b32_e32 v3, v1, v3, vcc
	v_add_lshl_u32 v6, v6, v2, 2
	ds_bpermute_b32 v6, v6, v3
	v_add_u32_e32 v7, 2, v4
	v_cmp_lt_u32_e64 s[4:5], v7, v5
	v_add_u32_e32 v7, 4, v4
	s_waitcnt lgkmcnt(0)
	v_add_u16_e32 v6, v3, v6
	v_cndmask_b32_e64 v3, v3, v6, s[4:5]
	v_cmp_gt_u32_e64 s[4:5], 60, v4
	s_nop 1
	v_cndmask_b32_e64 v6, 0, 4, s[4:5]
	v_add_lshl_u32 v6, v6, v2, 2
	ds_bpermute_b32 v6, v6, v3
	v_cmp_lt_u32_e64 s[4:5], v7, v5
	v_add_u32_e32 v7, 8, v4
	s_waitcnt lgkmcnt(0)
	v_add_u16_e32 v6, v3, v6
	v_cndmask_b32_e64 v3, v3, v6, s[4:5]
	v_cmp_gt_u32_e64 s[4:5], 56, v4
	s_nop 1
	v_cndmask_b32_e64 v6, 0, 8, s[4:5]
	v_add_lshl_u32 v6, v6, v2, 2
	ds_bpermute_b32 v6, v6, v3
	v_cmp_lt_u32_e64 s[4:5], v7, v5
	v_add_u32_e32 v7, 16, v4
	s_waitcnt lgkmcnt(0)
	v_add_u16_e32 v6, v3, v6
	v_cndmask_b32_e64 v3, v3, v6, s[4:5]
	v_cmp_gt_u32_e64 s[4:5], 48, v4
	v_add_u32_e32 v4, 32, v4
	s_nop 0
	v_cndmask_b32_e64 v6, 0, 16, s[4:5]
	v_add_lshl_u32 v6, v6, v2, 2
	ds_bpermute_b32 v6, v6, v3
	v_cmp_lt_u32_e64 s[4:5], v7, v5
	s_waitcnt lgkmcnt(0)
	v_add_u16_e32 v6, v3, v6
	v_cndmask_b32_e64 v6, v3, v6, s[4:5]
	v_lshlrev_b32_e32 v3, 2, v2
	v_or_b32_e32 v7, 0x80, v3
	ds_bpermute_b32 v7, v7, v6
	v_cmp_lt_u32_e64 s[4:5], v4, v5
	s_waitcnt lgkmcnt(0)
	s_nop 0
	v_cndmask_b32_e64 v4, 0, v7, s[4:5]
	v_add_u16_e32 v4, v6, v4
	v_cndmask_b32_e32 v1, v1, v4, vcc
	v_cmp_eq_u32_e32 vcc, 0, v2
	s_and_saveexec_b64 s[4:5], vcc
; %bb.344:
	v_lshrrev_b32_e32 v4, 5, v0
	v_and_b32_e32 v4, 2, v4
	ds_write_b16 v4, v1 offset:28
; %bb.345:
	s_or_b64 exec, exec, s[4:5]
	v_cmp_gt_u32_e32 vcc, 2, v0
	s_waitcnt lgkmcnt(0)
	s_barrier
	s_and_saveexec_b64 s[4:5], vcc
	s_cbranch_execz .LBB177_347
; %bb.346:
	v_lshlrev_b32_e32 v1, 1, v2
	ds_read_u16 v1, v1 offset:28
	v_or_b32_e32 v3, 4, v3
	s_add_i32 s6, s6, 63
	v_and_b32_e32 v2, 1, v2
	s_lshr_b32 s6, s6, 6
	s_waitcnt lgkmcnt(0)
	v_and_b32_e32 v4, 0xffff, v1
	ds_bpermute_b32 v3, v3, v4
	v_add_u32_e32 v2, 1, v2
	v_cmp_gt_u32_e32 vcc, s6, v2
	s_waitcnt lgkmcnt(0)
	s_nop 0
	v_cndmask_b32_e32 v2, 0, v3, vcc
	v_add_u16_e32 v1, v2, v1
.LBB177_347:
	s_or_b64 exec, exec, s[4:5]
.LBB177_348:
	v_cmp_eq_u32_e64 s[4:5], 0, v0
.LBB177_349:
	s_branch .LBB177_371
.LBB177_350:
	s_mov_b64 s[8:9], -1
                                        ; implicit-def: $vgpr1
.LBB177_351:
	s_and_b64 vcc, exec, s[8:9]
	s_cbranch_vccz .LBB177_361
; %bb.352:
	s_sub_i32 s8, s70, s6
	v_cmp_gt_u32_e32 vcc, s8, v0
	v_mov_b32_e32 v1, 0
	s_and_saveexec_b64 s[6:7], vcc
	s_cbranch_execz .LBB177_354
; %bb.353:
	v_lshlrev_b32_e32 v1, 1, v0
	global_load_ushort v1, v1, s[4:5]
	s_waitcnt vmcnt(0)
	v_and_b32_e32 v1, 0xffff, v1
.LBB177_354:
	s_or_b64 exec, exec, s[6:7]
	v_or_b32_e32 v2, 0x80, v0
	v_cmp_gt_u32_e32 vcc, s8, v2
	s_and_saveexec_b64 s[6:7], vcc
	s_cbranch_execz .LBB177_356
; %bb.355:
	v_lshlrev_b32_e32 v2, 1, v0
	global_load_ushort v2, v2, s[4:5] offset:256
	s_mov_b32 s4, 0x5040100
	s_waitcnt vmcnt(0)
	v_perm_b32 v1, v2, v1, s4
.LBB177_356:
	s_or_b64 exec, exec, s[6:7]
	v_mov_b32_e32 v2, 0
	v_cndmask_b32_sdwa v2, v2, v1, vcc dst_sel:DWORD dst_unused:UNUSED_PAD src0_sel:DWORD src1_sel:WORD_1
	v_add_u16_e32 v1, v2, v1
	v_mbcnt_lo_u32_b32 v2, -1, 0
	v_mbcnt_hi_u32_b32 v2, -1, v2
	v_and_b32_e32 v4, 63, v2
	v_cmp_ne_u32_e32 vcc, 63, v4
	s_min_u32 s6, s8, 0x80
	v_and_b32_e32 v5, 64, v0
	v_addc_co_u32_e32 v3, vcc, 0, v2, vcc
	v_lshlrev_b32_e32 v3, 2, v3
	ds_bpermute_b32 v3, v3, v1
	v_sub_u32_e64 v5, s6, v5 clamp
	v_add_u32_e32 v6, 1, v4
	v_cmp_gt_u32_e64 s[4:5], 62, v4
	v_cmp_lt_u32_e32 vcc, v6, v5
	s_waitcnt lgkmcnt(0)
	v_add_u16_e32 v3, v1, v3
	v_cndmask_b32_e64 v6, 0, 2, s[4:5]
	v_cndmask_b32_e32 v3, v1, v3, vcc
	v_add_lshl_u32 v6, v6, v2, 2
	ds_bpermute_b32 v6, v6, v3
	v_add_u32_e32 v7, 2, v4
	v_cmp_lt_u32_e64 s[4:5], v7, v5
	v_add_u32_e32 v7, 4, v4
	s_waitcnt lgkmcnt(0)
	v_add_u16_e32 v6, v3, v6
	v_cndmask_b32_e64 v3, v3, v6, s[4:5]
	v_cmp_gt_u32_e64 s[4:5], 60, v4
	s_nop 1
	v_cndmask_b32_e64 v6, 0, 4, s[4:5]
	v_add_lshl_u32 v6, v6, v2, 2
	ds_bpermute_b32 v6, v6, v3
	v_cmp_lt_u32_e64 s[4:5], v7, v5
	v_add_u32_e32 v7, 8, v4
	s_waitcnt lgkmcnt(0)
	v_add_u16_e32 v6, v3, v6
	v_cndmask_b32_e64 v3, v3, v6, s[4:5]
	v_cmp_gt_u32_e64 s[4:5], 56, v4
	s_nop 1
	v_cndmask_b32_e64 v6, 0, 8, s[4:5]
	v_add_lshl_u32 v6, v6, v2, 2
	ds_bpermute_b32 v6, v6, v3
	v_cmp_lt_u32_e64 s[4:5], v7, v5
	v_add_u32_e32 v7, 16, v4
	s_waitcnt lgkmcnt(0)
	v_add_u16_e32 v6, v3, v6
	v_cndmask_b32_e64 v3, v3, v6, s[4:5]
	v_cmp_gt_u32_e64 s[4:5], 48, v4
	v_add_u32_e32 v4, 32, v4
	s_nop 0
	v_cndmask_b32_e64 v6, 0, 16, s[4:5]
	v_add_lshl_u32 v6, v6, v2, 2
	ds_bpermute_b32 v6, v6, v3
	v_cmp_lt_u32_e64 s[4:5], v7, v5
	s_waitcnt lgkmcnt(0)
	v_add_u16_e32 v6, v3, v6
	v_cndmask_b32_e64 v6, v3, v6, s[4:5]
	v_lshlrev_b32_e32 v3, 2, v2
	v_or_b32_e32 v7, 0x80, v3
	ds_bpermute_b32 v7, v7, v6
	v_cmp_lt_u32_e64 s[4:5], v4, v5
	s_waitcnt lgkmcnt(0)
	s_nop 0
	v_cndmask_b32_e64 v4, 0, v7, s[4:5]
	v_add_u16_e32 v4, v6, v4
	v_cndmask_b32_e32 v1, v1, v4, vcc
	v_cmp_eq_u32_e32 vcc, 0, v2
	s_and_saveexec_b64 s[4:5], vcc
; %bb.357:
	v_lshrrev_b32_e32 v4, 5, v0
	v_and_b32_e32 v4, 2, v4
	ds_write_b16 v4, v1 offset:28
; %bb.358:
	s_or_b64 exec, exec, s[4:5]
	v_cmp_gt_u32_e32 vcc, 2, v0
	s_waitcnt lgkmcnt(0)
	s_barrier
	s_and_saveexec_b64 s[4:5], vcc
	s_cbranch_execz .LBB177_360
; %bb.359:
	v_lshlrev_b32_e32 v1, 1, v2
	ds_read_u16 v1, v1 offset:28
	v_or_b32_e32 v3, 4, v3
	s_add_i32 s6, s6, 63
	v_and_b32_e32 v2, 1, v2
	s_lshr_b32 s6, s6, 6
	s_waitcnt lgkmcnt(0)
	v_and_b32_e32 v4, 0xffff, v1
	ds_bpermute_b32 v3, v3, v4
	v_add_u32_e32 v2, 1, v2
	v_cmp_gt_u32_e32 vcc, s6, v2
	s_waitcnt lgkmcnt(0)
	s_nop 0
	v_cndmask_b32_e32 v2, 0, v3, vcc
	v_add_u16_e32 v1, v2, v1
.LBB177_360:
	s_or_b64 exec, exec, s[4:5]
.LBB177_361:
	v_cmp_eq_u32_e64 s[4:5], 0, v0
	s_branch .LBB177_371
.LBB177_362:
	s_cmp_eq_u32 s33, 1
	s_cbranch_scc0 .LBB177_370
; %bb.363:
	s_mov_b32 s5, 0
	s_lshl_b32 s4, s2, 7
	s_mov_b32 s3, s5
	s_lshr_b64 s[6:7], s[70:71], 7
	s_cmp_lg_u64 s[6:7], s[2:3]
	v_mbcnt_lo_u32_b32 v2, -1, 0
	s_cbranch_scc0 .LBB177_374
; %bb.364:
	s_lshl_b64 s[6:7], s[4:5], 1
	s_add_u32 s6, s68, s6
	s_addc_u32 s7, s69, s7
	v_lshlrev_b32_e32 v1, 1, v0
	global_load_ushort v1, v1, s[6:7]
	v_mbcnt_hi_u32_b32 v3, -1, v2
	v_lshlrev_b32_e32 v4, 2, v3
	v_cmp_eq_u32_e32 vcc, 0, v3
	s_waitcnt vmcnt(0)
	v_and_b32_e32 v5, 0xffff, v1
	s_nop 1
	v_add_u16_dpp v1, v5, v1 quad_perm:[1,0,3,2] row_mask:0xf bank_mask:0xf bound_ctrl:1
	v_or_b32_e32 v5, 0xfc, v4
	s_nop 0
	v_add_u16_dpp v1, v1, v1 quad_perm:[2,3,0,1] row_mask:0xf bank_mask:0xf bound_ctrl:1
	s_nop 1
	v_add_u16_dpp v1, v1, v1 row_ror:4 row_mask:0xf bank_mask:0xf bound_ctrl:1
	s_nop 1
	v_add_u16_dpp v1, v1, v1 row_ror:8 row_mask:0xf bank_mask:0xf bound_ctrl:1
	s_nop 1
	v_add_u16_dpp v1, v1, v1 row_bcast:15 row_mask:0xf bank_mask:0xf bound_ctrl:1
	s_nop 1
	v_add_u16_dpp v1, v1, v1 row_bcast:31 row_mask:0xf bank_mask:0xf bound_ctrl:1
	ds_bpermute_b32 v1, v5, v1
	s_and_saveexec_b64 s[6:7], vcc
	s_cbranch_execz .LBB177_366
; %bb.365:
	v_lshrrev_b32_e32 v5, 5, v0
	v_and_b32_e32 v5, 2, v5
	s_waitcnt lgkmcnt(0)
	ds_write_b16 v5, v1 offset:4
.LBB177_366:
	s_or_b64 exec, exec, s[6:7]
	v_cmp_gt_u32_e32 vcc, 64, v0
	s_waitcnt lgkmcnt(0)
	s_barrier
	s_and_saveexec_b64 s[6:7], vcc
	s_cbranch_execz .LBB177_368
; %bb.367:
	v_and_b32_e32 v1, 1, v3
	v_lshlrev_b32_e32 v1, 1, v1
	ds_read_u16 v1, v1 offset:4
	v_or_b32_e32 v3, 4, v4
	s_waitcnt lgkmcnt(0)
	v_and_b32_e32 v4, 0xffff, v1
	ds_bpermute_b32 v3, v3, v4
	s_waitcnt lgkmcnt(0)
	v_add_u16_e32 v1, v1, v3
.LBB177_368:
	s_or_b64 exec, exec, s[6:7]
.LBB177_369:
	v_cmp_eq_u32_e64 s[4:5], 0, v0
	s_and_saveexec_b64 s[6:7], s[4:5]
	s_cbranch_execnz .LBB177_372
	s_branch .LBB177_373
.LBB177_370:
                                        ; implicit-def: $vgpr1
                                        ; implicit-def: $sgpr2_sgpr3
.LBB177_371:
	s_and_saveexec_b64 s[6:7], s[4:5]
	s_cbranch_execz .LBB177_373
.LBB177_372:
	s_load_dwordx2 s[4:5], s[0:1], 0x18
	s_load_dword s6, s[0:1], 0x20
	s_lshl_b64 s[0:1], s[2:3], 1
	v_mov_b32_e32 v0, 0
	s_waitcnt lgkmcnt(0)
	s_add_u32 s0, s4, s0
	s_addc_u32 s1, s5, s1
	s_cmp_lg_u64 s[70:71], 0
	s_cselect_b64 vcc, -1, 0
	v_cndmask_b32_e32 v1, 0, v1, vcc
	v_add_u16_e32 v1, s6, v1
	global_store_short v0, v1, s[0:1]
.LBB177_373:
	s_endpgm
.LBB177_374:
                                        ; implicit-def: $vgpr1
	s_cbranch_execz .LBB177_369
; %bb.375:
	s_sub_i32 s8, s70, s4
	v_cmp_gt_u32_e32 vcc, s8, v0
                                        ; implicit-def: $vgpr1
	s_and_saveexec_b64 s[6:7], vcc
	s_cbranch_execz .LBB177_377
; %bb.376:
	s_lshl_b64 s[4:5], s[4:5], 1
	s_add_u32 s4, s68, s4
	s_addc_u32 s5, s69, s5
	v_lshlrev_b32_e32 v1, 1, v0
	global_load_ushort v1, v1, s[4:5]
.LBB177_377:
	s_or_b64 exec, exec, s[6:7]
	v_mbcnt_hi_u32_b32 v2, -1, v2
	v_and_b32_e32 v4, 63, v2
	v_cmp_ne_u32_e32 vcc, 63, v4
	s_waitcnt vmcnt(0)
	v_and_b32_e32 v5, 0xffff, v1
	s_min_u32 s8, s8, 0x80
	v_addc_co_u32_e32 v3, vcc, 0, v2, vcc
	v_lshlrev_b32_e32 v3, 2, v3
	ds_bpermute_b32 v3, v3, v5
	v_and_b32_e32 v6, 64, v0
	v_sub_u32_e64 v6, s8, v6 clamp
	v_add_u32_e32 v7, 1, v4
	v_cmp_gt_u32_e64 s[4:5], 62, v4
	s_waitcnt lgkmcnt(0)
	v_add_u16_e32 v3, v1, v3
	v_cmp_lt_u32_e32 vcc, v7, v6
	v_cndmask_b32_e64 v7, 0, 2, s[4:5]
	v_add_lshl_u32 v7, v7, v2, 2
	v_cndmask_b32_e32 v5, v5, v3, vcc
	ds_bpermute_b32 v7, v7, v5
	v_cndmask_b32_e32 v3, v1, v3, vcc
	v_add_u32_e32 v8, 2, v4
	v_cmp_gt_u32_e64 s[6:7], 60, v4
	v_cmp_lt_u32_e64 s[4:5], v8, v6
	s_waitcnt lgkmcnt(0)
	v_add_u16_e32 v7, v3, v7
	v_cndmask_b32_e64 v8, 0, 4, s[6:7]
	v_cndmask_b32_e64 v5, v5, v7, s[4:5]
	v_add_lshl_u32 v8, v8, v2, 2
	ds_bpermute_b32 v8, v8, v5
	v_cndmask_b32_e64 v3, v3, v7, s[4:5]
	v_add_u32_e32 v7, 4, v4
	v_cmp_gt_u32_e64 s[6:7], 56, v4
	v_cmp_lt_u32_e64 s[4:5], v7, v6
	s_waitcnt lgkmcnt(0)
	v_add_u16_e32 v8, v3, v8
	v_cndmask_b32_e64 v7, 0, 8, s[6:7]
	v_cndmask_b32_e64 v5, v5, v8, s[4:5]
	v_add_lshl_u32 v7, v7, v2, 2
	ds_bpermute_b32 v7, v7, v5
	v_cndmask_b32_e64 v3, v3, v8, s[4:5]
	;; [unrolled: 10-line block ×3, first 2 shown]
	v_add_u32_e32 v3, 16, v4
	v_cmp_lt_u32_e64 s[4:5], v3, v6
	v_lshlrev_b32_e32 v3, 2, v2
	s_waitcnt lgkmcnt(0)
	v_add_u16_e32 v8, v7, v8
	v_cndmask_b32_e64 v5, v5, v8, s[4:5]
	v_or_b32_e32 v9, 0x80, v3
	ds_bpermute_b32 v5, v9, v5
	v_add_u32_e32 v4, 32, v4
	v_cndmask_b32_e64 v7, v7, v8, s[4:5]
	v_cmp_lt_u32_e64 s[4:5], v4, v6
	s_waitcnt lgkmcnt(0)
	s_nop 0
	v_cndmask_b32_e64 v4, 0, v5, s[4:5]
	v_add_u16_e32 v4, v7, v4
	v_cndmask_b32_e32 v1, v1, v4, vcc
	v_cmp_eq_u32_e32 vcc, 0, v2
	s_and_saveexec_b64 s[4:5], vcc
; %bb.378:
	v_lshrrev_b32_e32 v4, 5, v0
	v_and_b32_e32 v4, 2, v4
	ds_write_b16 v4, v1 offset:28
; %bb.379:
	s_or_b64 exec, exec, s[4:5]
	v_cmp_gt_u32_e32 vcc, 2, v0
	s_waitcnt lgkmcnt(0)
	s_barrier
	s_and_saveexec_b64 s[4:5], vcc
	s_cbranch_execz .LBB177_381
; %bb.380:
	v_lshlrev_b32_e32 v1, 1, v2
	ds_read_u16 v1, v1 offset:28
	v_or_b32_e32 v3, 4, v3
	s_add_i32 s8, s8, 63
	v_and_b32_e32 v2, 1, v2
	s_lshr_b32 s6, s8, 6
	s_waitcnt lgkmcnt(0)
	v_and_b32_e32 v4, 0xffff, v1
	ds_bpermute_b32 v3, v3, v4
	v_add_u32_e32 v2, 1, v2
	v_cmp_gt_u32_e32 vcc, s6, v2
	s_waitcnt lgkmcnt(0)
	s_nop 0
	v_cndmask_b32_e32 v2, 0, v3, vcc
	v_add_u16_e32 v1, v2, v1
.LBB177_381:
	s_or_b64 exec, exec, s[4:5]
	v_cmp_eq_u32_e64 s[4:5], 0, v0
	s_and_saveexec_b64 s[6:7], s[4:5]
	s_cbranch_execnz .LBB177_372
	s_branch .LBB177_373
	.section	.rodata,"a",@progbits
	.p2align	6, 0x0
	.amdhsa_kernel _ZN7rocprim17ROCPRIM_400000_NS6detail17trampoline_kernelINS0_14default_configENS1_22reduce_config_selectorItEEZNS1_11reduce_implILb1ES3_N6thrust23THRUST_200600_302600_NS6detail15normal_iteratorINS8_10device_ptrItEEEEPttNS8_4plusItEEEE10hipError_tPvRmT1_T2_T3_mT4_P12ihipStream_tbEUlT_E1_NS1_11comp_targetILNS1_3genE0ELNS1_11target_archE4294967295ELNS1_3gpuE0ELNS1_3repE0EEENS1_30default_config_static_selectorELNS0_4arch9wavefront6targetE1EEEvSK_
		.amdhsa_group_segment_fixed_size 32
		.amdhsa_private_segment_fixed_size 0
		.amdhsa_kernarg_size 40
		.amdhsa_user_sgpr_count 2
		.amdhsa_user_sgpr_dispatch_ptr 0
		.amdhsa_user_sgpr_queue_ptr 0
		.amdhsa_user_sgpr_kernarg_segment_ptr 1
		.amdhsa_user_sgpr_dispatch_id 0
		.amdhsa_user_sgpr_kernarg_preload_length 0
		.amdhsa_user_sgpr_kernarg_preload_offset 0
		.amdhsa_user_sgpr_private_segment_size 0
		.amdhsa_uses_dynamic_stack 0
		.amdhsa_enable_private_segment 0
		.amdhsa_system_sgpr_workgroup_id_x 1
		.amdhsa_system_sgpr_workgroup_id_y 0
		.amdhsa_system_sgpr_workgroup_id_z 0
		.amdhsa_system_sgpr_workgroup_info 0
		.amdhsa_system_vgpr_workitem_id 0
		.amdhsa_next_free_vgpr 67
		.amdhsa_next_free_sgpr 100
		.amdhsa_accum_offset 68
		.amdhsa_reserve_vcc 1
		.amdhsa_float_round_mode_32 0
		.amdhsa_float_round_mode_16_64 0
		.amdhsa_float_denorm_mode_32 3
		.amdhsa_float_denorm_mode_16_64 3
		.amdhsa_dx10_clamp 1
		.amdhsa_ieee_mode 1
		.amdhsa_fp16_overflow 0
		.amdhsa_tg_split 0
		.amdhsa_exception_fp_ieee_invalid_op 0
		.amdhsa_exception_fp_denorm_src 0
		.amdhsa_exception_fp_ieee_div_zero 0
		.amdhsa_exception_fp_ieee_overflow 0
		.amdhsa_exception_fp_ieee_underflow 0
		.amdhsa_exception_fp_ieee_inexact 0
		.amdhsa_exception_int_div_zero 0
	.end_amdhsa_kernel
	.section	.text._ZN7rocprim17ROCPRIM_400000_NS6detail17trampoline_kernelINS0_14default_configENS1_22reduce_config_selectorItEEZNS1_11reduce_implILb1ES3_N6thrust23THRUST_200600_302600_NS6detail15normal_iteratorINS8_10device_ptrItEEEEPttNS8_4plusItEEEE10hipError_tPvRmT1_T2_T3_mT4_P12ihipStream_tbEUlT_E1_NS1_11comp_targetILNS1_3genE0ELNS1_11target_archE4294967295ELNS1_3gpuE0ELNS1_3repE0EEENS1_30default_config_static_selectorELNS0_4arch9wavefront6targetE1EEEvSK_,"axG",@progbits,_ZN7rocprim17ROCPRIM_400000_NS6detail17trampoline_kernelINS0_14default_configENS1_22reduce_config_selectorItEEZNS1_11reduce_implILb1ES3_N6thrust23THRUST_200600_302600_NS6detail15normal_iteratorINS8_10device_ptrItEEEEPttNS8_4plusItEEEE10hipError_tPvRmT1_T2_T3_mT4_P12ihipStream_tbEUlT_E1_NS1_11comp_targetILNS1_3genE0ELNS1_11target_archE4294967295ELNS1_3gpuE0ELNS1_3repE0EEENS1_30default_config_static_selectorELNS0_4arch9wavefront6targetE1EEEvSK_,comdat
.Lfunc_end177:
	.size	_ZN7rocprim17ROCPRIM_400000_NS6detail17trampoline_kernelINS0_14default_configENS1_22reduce_config_selectorItEEZNS1_11reduce_implILb1ES3_N6thrust23THRUST_200600_302600_NS6detail15normal_iteratorINS8_10device_ptrItEEEEPttNS8_4plusItEEEE10hipError_tPvRmT1_T2_T3_mT4_P12ihipStream_tbEUlT_E1_NS1_11comp_targetILNS1_3genE0ELNS1_11target_archE4294967295ELNS1_3gpuE0ELNS1_3repE0EEENS1_30default_config_static_selectorELNS0_4arch9wavefront6targetE1EEEvSK_, .Lfunc_end177-_ZN7rocprim17ROCPRIM_400000_NS6detail17trampoline_kernelINS0_14default_configENS1_22reduce_config_selectorItEEZNS1_11reduce_implILb1ES3_N6thrust23THRUST_200600_302600_NS6detail15normal_iteratorINS8_10device_ptrItEEEEPttNS8_4plusItEEEE10hipError_tPvRmT1_T2_T3_mT4_P12ihipStream_tbEUlT_E1_NS1_11comp_targetILNS1_3genE0ELNS1_11target_archE4294967295ELNS1_3gpuE0ELNS1_3repE0EEENS1_30default_config_static_selectorELNS0_4arch9wavefront6targetE1EEEvSK_
                                        ; -- End function
	.set _ZN7rocprim17ROCPRIM_400000_NS6detail17trampoline_kernelINS0_14default_configENS1_22reduce_config_selectorItEEZNS1_11reduce_implILb1ES3_N6thrust23THRUST_200600_302600_NS6detail15normal_iteratorINS8_10device_ptrItEEEEPttNS8_4plusItEEEE10hipError_tPvRmT1_T2_T3_mT4_P12ihipStream_tbEUlT_E1_NS1_11comp_targetILNS1_3genE0ELNS1_11target_archE4294967295ELNS1_3gpuE0ELNS1_3repE0EEENS1_30default_config_static_selectorELNS0_4arch9wavefront6targetE1EEEvSK_.num_vgpr, 67
	.set _ZN7rocprim17ROCPRIM_400000_NS6detail17trampoline_kernelINS0_14default_configENS1_22reduce_config_selectorItEEZNS1_11reduce_implILb1ES3_N6thrust23THRUST_200600_302600_NS6detail15normal_iteratorINS8_10device_ptrItEEEEPttNS8_4plusItEEEE10hipError_tPvRmT1_T2_T3_mT4_P12ihipStream_tbEUlT_E1_NS1_11comp_targetILNS1_3genE0ELNS1_11target_archE4294967295ELNS1_3gpuE0ELNS1_3repE0EEENS1_30default_config_static_selectorELNS0_4arch9wavefront6targetE1EEEvSK_.num_agpr, 0
	.set _ZN7rocprim17ROCPRIM_400000_NS6detail17trampoline_kernelINS0_14default_configENS1_22reduce_config_selectorItEEZNS1_11reduce_implILb1ES3_N6thrust23THRUST_200600_302600_NS6detail15normal_iteratorINS8_10device_ptrItEEEEPttNS8_4plusItEEEE10hipError_tPvRmT1_T2_T3_mT4_P12ihipStream_tbEUlT_E1_NS1_11comp_targetILNS1_3genE0ELNS1_11target_archE4294967295ELNS1_3gpuE0ELNS1_3repE0EEENS1_30default_config_static_selectorELNS0_4arch9wavefront6targetE1EEEvSK_.numbered_sgpr, 100
	.set _ZN7rocprim17ROCPRIM_400000_NS6detail17trampoline_kernelINS0_14default_configENS1_22reduce_config_selectorItEEZNS1_11reduce_implILb1ES3_N6thrust23THRUST_200600_302600_NS6detail15normal_iteratorINS8_10device_ptrItEEEEPttNS8_4plusItEEEE10hipError_tPvRmT1_T2_T3_mT4_P12ihipStream_tbEUlT_E1_NS1_11comp_targetILNS1_3genE0ELNS1_11target_archE4294967295ELNS1_3gpuE0ELNS1_3repE0EEENS1_30default_config_static_selectorELNS0_4arch9wavefront6targetE1EEEvSK_.num_named_barrier, 0
	.set _ZN7rocprim17ROCPRIM_400000_NS6detail17trampoline_kernelINS0_14default_configENS1_22reduce_config_selectorItEEZNS1_11reduce_implILb1ES3_N6thrust23THRUST_200600_302600_NS6detail15normal_iteratorINS8_10device_ptrItEEEEPttNS8_4plusItEEEE10hipError_tPvRmT1_T2_T3_mT4_P12ihipStream_tbEUlT_E1_NS1_11comp_targetILNS1_3genE0ELNS1_11target_archE4294967295ELNS1_3gpuE0ELNS1_3repE0EEENS1_30default_config_static_selectorELNS0_4arch9wavefront6targetE1EEEvSK_.private_seg_size, 0
	.set _ZN7rocprim17ROCPRIM_400000_NS6detail17trampoline_kernelINS0_14default_configENS1_22reduce_config_selectorItEEZNS1_11reduce_implILb1ES3_N6thrust23THRUST_200600_302600_NS6detail15normal_iteratorINS8_10device_ptrItEEEEPttNS8_4plusItEEEE10hipError_tPvRmT1_T2_T3_mT4_P12ihipStream_tbEUlT_E1_NS1_11comp_targetILNS1_3genE0ELNS1_11target_archE4294967295ELNS1_3gpuE0ELNS1_3repE0EEENS1_30default_config_static_selectorELNS0_4arch9wavefront6targetE1EEEvSK_.uses_vcc, 1
	.set _ZN7rocprim17ROCPRIM_400000_NS6detail17trampoline_kernelINS0_14default_configENS1_22reduce_config_selectorItEEZNS1_11reduce_implILb1ES3_N6thrust23THRUST_200600_302600_NS6detail15normal_iteratorINS8_10device_ptrItEEEEPttNS8_4plusItEEEE10hipError_tPvRmT1_T2_T3_mT4_P12ihipStream_tbEUlT_E1_NS1_11comp_targetILNS1_3genE0ELNS1_11target_archE4294967295ELNS1_3gpuE0ELNS1_3repE0EEENS1_30default_config_static_selectorELNS0_4arch9wavefront6targetE1EEEvSK_.uses_flat_scratch, 0
	.set _ZN7rocprim17ROCPRIM_400000_NS6detail17trampoline_kernelINS0_14default_configENS1_22reduce_config_selectorItEEZNS1_11reduce_implILb1ES3_N6thrust23THRUST_200600_302600_NS6detail15normal_iteratorINS8_10device_ptrItEEEEPttNS8_4plusItEEEE10hipError_tPvRmT1_T2_T3_mT4_P12ihipStream_tbEUlT_E1_NS1_11comp_targetILNS1_3genE0ELNS1_11target_archE4294967295ELNS1_3gpuE0ELNS1_3repE0EEENS1_30default_config_static_selectorELNS0_4arch9wavefront6targetE1EEEvSK_.has_dyn_sized_stack, 0
	.set _ZN7rocprim17ROCPRIM_400000_NS6detail17trampoline_kernelINS0_14default_configENS1_22reduce_config_selectorItEEZNS1_11reduce_implILb1ES3_N6thrust23THRUST_200600_302600_NS6detail15normal_iteratorINS8_10device_ptrItEEEEPttNS8_4plusItEEEE10hipError_tPvRmT1_T2_T3_mT4_P12ihipStream_tbEUlT_E1_NS1_11comp_targetILNS1_3genE0ELNS1_11target_archE4294967295ELNS1_3gpuE0ELNS1_3repE0EEENS1_30default_config_static_selectorELNS0_4arch9wavefront6targetE1EEEvSK_.has_recursion, 0
	.set _ZN7rocprim17ROCPRIM_400000_NS6detail17trampoline_kernelINS0_14default_configENS1_22reduce_config_selectorItEEZNS1_11reduce_implILb1ES3_N6thrust23THRUST_200600_302600_NS6detail15normal_iteratorINS8_10device_ptrItEEEEPttNS8_4plusItEEEE10hipError_tPvRmT1_T2_T3_mT4_P12ihipStream_tbEUlT_E1_NS1_11comp_targetILNS1_3genE0ELNS1_11target_archE4294967295ELNS1_3gpuE0ELNS1_3repE0EEENS1_30default_config_static_selectorELNS0_4arch9wavefront6targetE1EEEvSK_.has_indirect_call, 0
	.section	.AMDGPU.csdata,"",@progbits
; Kernel info:
; codeLenInByte = 18848
; TotalNumSgprs: 106
; NumVgprs: 67
; NumAgprs: 0
; TotalNumVgprs: 67
; ScratchSize: 0
; MemoryBound: 0
; FloatMode: 240
; IeeeMode: 1
; LDSByteSize: 32 bytes/workgroup (compile time only)
; SGPRBlocks: 13
; VGPRBlocks: 8
; NumSGPRsForWavesPerEU: 106
; NumVGPRsForWavesPerEU: 67
; AccumOffset: 68
; Occupancy: 7
; WaveLimiterHint : 1
; COMPUTE_PGM_RSRC2:SCRATCH_EN: 0
; COMPUTE_PGM_RSRC2:USER_SGPR: 2
; COMPUTE_PGM_RSRC2:TRAP_HANDLER: 0
; COMPUTE_PGM_RSRC2:TGID_X_EN: 1
; COMPUTE_PGM_RSRC2:TGID_Y_EN: 0
; COMPUTE_PGM_RSRC2:TGID_Z_EN: 0
; COMPUTE_PGM_RSRC2:TIDIG_COMP_CNT: 0
; COMPUTE_PGM_RSRC3_GFX90A:ACCUM_OFFSET: 16
; COMPUTE_PGM_RSRC3_GFX90A:TG_SPLIT: 0
	.section	.text._ZN7rocprim17ROCPRIM_400000_NS6detail17trampoline_kernelINS0_14default_configENS1_22reduce_config_selectorItEEZNS1_11reduce_implILb1ES3_N6thrust23THRUST_200600_302600_NS6detail15normal_iteratorINS8_10device_ptrItEEEEPttNS8_4plusItEEEE10hipError_tPvRmT1_T2_T3_mT4_P12ihipStream_tbEUlT_E1_NS1_11comp_targetILNS1_3genE5ELNS1_11target_archE942ELNS1_3gpuE9ELNS1_3repE0EEENS1_30default_config_static_selectorELNS0_4arch9wavefront6targetE1EEEvSK_,"axG",@progbits,_ZN7rocprim17ROCPRIM_400000_NS6detail17trampoline_kernelINS0_14default_configENS1_22reduce_config_selectorItEEZNS1_11reduce_implILb1ES3_N6thrust23THRUST_200600_302600_NS6detail15normal_iteratorINS8_10device_ptrItEEEEPttNS8_4plusItEEEE10hipError_tPvRmT1_T2_T3_mT4_P12ihipStream_tbEUlT_E1_NS1_11comp_targetILNS1_3genE5ELNS1_11target_archE942ELNS1_3gpuE9ELNS1_3repE0EEENS1_30default_config_static_selectorELNS0_4arch9wavefront6targetE1EEEvSK_,comdat
	.protected	_ZN7rocprim17ROCPRIM_400000_NS6detail17trampoline_kernelINS0_14default_configENS1_22reduce_config_selectorItEEZNS1_11reduce_implILb1ES3_N6thrust23THRUST_200600_302600_NS6detail15normal_iteratorINS8_10device_ptrItEEEEPttNS8_4plusItEEEE10hipError_tPvRmT1_T2_T3_mT4_P12ihipStream_tbEUlT_E1_NS1_11comp_targetILNS1_3genE5ELNS1_11target_archE942ELNS1_3gpuE9ELNS1_3repE0EEENS1_30default_config_static_selectorELNS0_4arch9wavefront6targetE1EEEvSK_ ; -- Begin function _ZN7rocprim17ROCPRIM_400000_NS6detail17trampoline_kernelINS0_14default_configENS1_22reduce_config_selectorItEEZNS1_11reduce_implILb1ES3_N6thrust23THRUST_200600_302600_NS6detail15normal_iteratorINS8_10device_ptrItEEEEPttNS8_4plusItEEEE10hipError_tPvRmT1_T2_T3_mT4_P12ihipStream_tbEUlT_E1_NS1_11comp_targetILNS1_3genE5ELNS1_11target_archE942ELNS1_3gpuE9ELNS1_3repE0EEENS1_30default_config_static_selectorELNS0_4arch9wavefront6targetE1EEEvSK_
	.globl	_ZN7rocprim17ROCPRIM_400000_NS6detail17trampoline_kernelINS0_14default_configENS1_22reduce_config_selectorItEEZNS1_11reduce_implILb1ES3_N6thrust23THRUST_200600_302600_NS6detail15normal_iteratorINS8_10device_ptrItEEEEPttNS8_4plusItEEEE10hipError_tPvRmT1_T2_T3_mT4_P12ihipStream_tbEUlT_E1_NS1_11comp_targetILNS1_3genE5ELNS1_11target_archE942ELNS1_3gpuE9ELNS1_3repE0EEENS1_30default_config_static_selectorELNS0_4arch9wavefront6targetE1EEEvSK_
	.p2align	8
	.type	_ZN7rocprim17ROCPRIM_400000_NS6detail17trampoline_kernelINS0_14default_configENS1_22reduce_config_selectorItEEZNS1_11reduce_implILb1ES3_N6thrust23THRUST_200600_302600_NS6detail15normal_iteratorINS8_10device_ptrItEEEEPttNS8_4plusItEEEE10hipError_tPvRmT1_T2_T3_mT4_P12ihipStream_tbEUlT_E1_NS1_11comp_targetILNS1_3genE5ELNS1_11target_archE942ELNS1_3gpuE9ELNS1_3repE0EEENS1_30default_config_static_selectorELNS0_4arch9wavefront6targetE1EEEvSK_,@function
_ZN7rocprim17ROCPRIM_400000_NS6detail17trampoline_kernelINS0_14default_configENS1_22reduce_config_selectorItEEZNS1_11reduce_implILb1ES3_N6thrust23THRUST_200600_302600_NS6detail15normal_iteratorINS8_10device_ptrItEEEEPttNS8_4plusItEEEE10hipError_tPvRmT1_T2_T3_mT4_P12ihipStream_tbEUlT_E1_NS1_11comp_targetILNS1_3genE5ELNS1_11target_archE942ELNS1_3gpuE9ELNS1_3repE0EEENS1_30default_config_static_selectorELNS0_4arch9wavefront6targetE1EEEvSK_: ; @_ZN7rocprim17ROCPRIM_400000_NS6detail17trampoline_kernelINS0_14default_configENS1_22reduce_config_selectorItEEZNS1_11reduce_implILb1ES3_N6thrust23THRUST_200600_302600_NS6detail15normal_iteratorINS8_10device_ptrItEEEEPttNS8_4plusItEEEE10hipError_tPvRmT1_T2_T3_mT4_P12ihipStream_tbEUlT_E1_NS1_11comp_targetILNS1_3genE5ELNS1_11target_archE942ELNS1_3gpuE9ELNS1_3repE0EEENS1_30default_config_static_selectorELNS0_4arch9wavefront6targetE1EEEvSK_
; %bb.0:
	.section	.rodata,"a",@progbits
	.p2align	6, 0x0
	.amdhsa_kernel _ZN7rocprim17ROCPRIM_400000_NS6detail17trampoline_kernelINS0_14default_configENS1_22reduce_config_selectorItEEZNS1_11reduce_implILb1ES3_N6thrust23THRUST_200600_302600_NS6detail15normal_iteratorINS8_10device_ptrItEEEEPttNS8_4plusItEEEE10hipError_tPvRmT1_T2_T3_mT4_P12ihipStream_tbEUlT_E1_NS1_11comp_targetILNS1_3genE5ELNS1_11target_archE942ELNS1_3gpuE9ELNS1_3repE0EEENS1_30default_config_static_selectorELNS0_4arch9wavefront6targetE1EEEvSK_
		.amdhsa_group_segment_fixed_size 0
		.amdhsa_private_segment_fixed_size 0
		.amdhsa_kernarg_size 40
		.amdhsa_user_sgpr_count 2
		.amdhsa_user_sgpr_dispatch_ptr 0
		.amdhsa_user_sgpr_queue_ptr 0
		.amdhsa_user_sgpr_kernarg_segment_ptr 1
		.amdhsa_user_sgpr_dispatch_id 0
		.amdhsa_user_sgpr_kernarg_preload_length 0
		.amdhsa_user_sgpr_kernarg_preload_offset 0
		.amdhsa_user_sgpr_private_segment_size 0
		.amdhsa_uses_dynamic_stack 0
		.amdhsa_enable_private_segment 0
		.amdhsa_system_sgpr_workgroup_id_x 1
		.amdhsa_system_sgpr_workgroup_id_y 0
		.amdhsa_system_sgpr_workgroup_id_z 0
		.amdhsa_system_sgpr_workgroup_info 0
		.amdhsa_system_vgpr_workitem_id 0
		.amdhsa_next_free_vgpr 1
		.amdhsa_next_free_sgpr 0
		.amdhsa_accum_offset 4
		.amdhsa_reserve_vcc 0
		.amdhsa_float_round_mode_32 0
		.amdhsa_float_round_mode_16_64 0
		.amdhsa_float_denorm_mode_32 3
		.amdhsa_float_denorm_mode_16_64 3
		.amdhsa_dx10_clamp 1
		.amdhsa_ieee_mode 1
		.amdhsa_fp16_overflow 0
		.amdhsa_tg_split 0
		.amdhsa_exception_fp_ieee_invalid_op 0
		.amdhsa_exception_fp_denorm_src 0
		.amdhsa_exception_fp_ieee_div_zero 0
		.amdhsa_exception_fp_ieee_overflow 0
		.amdhsa_exception_fp_ieee_underflow 0
		.amdhsa_exception_fp_ieee_inexact 0
		.amdhsa_exception_int_div_zero 0
	.end_amdhsa_kernel
	.section	.text._ZN7rocprim17ROCPRIM_400000_NS6detail17trampoline_kernelINS0_14default_configENS1_22reduce_config_selectorItEEZNS1_11reduce_implILb1ES3_N6thrust23THRUST_200600_302600_NS6detail15normal_iteratorINS8_10device_ptrItEEEEPttNS8_4plusItEEEE10hipError_tPvRmT1_T2_T3_mT4_P12ihipStream_tbEUlT_E1_NS1_11comp_targetILNS1_3genE5ELNS1_11target_archE942ELNS1_3gpuE9ELNS1_3repE0EEENS1_30default_config_static_selectorELNS0_4arch9wavefront6targetE1EEEvSK_,"axG",@progbits,_ZN7rocprim17ROCPRIM_400000_NS6detail17trampoline_kernelINS0_14default_configENS1_22reduce_config_selectorItEEZNS1_11reduce_implILb1ES3_N6thrust23THRUST_200600_302600_NS6detail15normal_iteratorINS8_10device_ptrItEEEEPttNS8_4plusItEEEE10hipError_tPvRmT1_T2_T3_mT4_P12ihipStream_tbEUlT_E1_NS1_11comp_targetILNS1_3genE5ELNS1_11target_archE942ELNS1_3gpuE9ELNS1_3repE0EEENS1_30default_config_static_selectorELNS0_4arch9wavefront6targetE1EEEvSK_,comdat
.Lfunc_end178:
	.size	_ZN7rocprim17ROCPRIM_400000_NS6detail17trampoline_kernelINS0_14default_configENS1_22reduce_config_selectorItEEZNS1_11reduce_implILb1ES3_N6thrust23THRUST_200600_302600_NS6detail15normal_iteratorINS8_10device_ptrItEEEEPttNS8_4plusItEEEE10hipError_tPvRmT1_T2_T3_mT4_P12ihipStream_tbEUlT_E1_NS1_11comp_targetILNS1_3genE5ELNS1_11target_archE942ELNS1_3gpuE9ELNS1_3repE0EEENS1_30default_config_static_selectorELNS0_4arch9wavefront6targetE1EEEvSK_, .Lfunc_end178-_ZN7rocprim17ROCPRIM_400000_NS6detail17trampoline_kernelINS0_14default_configENS1_22reduce_config_selectorItEEZNS1_11reduce_implILb1ES3_N6thrust23THRUST_200600_302600_NS6detail15normal_iteratorINS8_10device_ptrItEEEEPttNS8_4plusItEEEE10hipError_tPvRmT1_T2_T3_mT4_P12ihipStream_tbEUlT_E1_NS1_11comp_targetILNS1_3genE5ELNS1_11target_archE942ELNS1_3gpuE9ELNS1_3repE0EEENS1_30default_config_static_selectorELNS0_4arch9wavefront6targetE1EEEvSK_
                                        ; -- End function
	.set _ZN7rocprim17ROCPRIM_400000_NS6detail17trampoline_kernelINS0_14default_configENS1_22reduce_config_selectorItEEZNS1_11reduce_implILb1ES3_N6thrust23THRUST_200600_302600_NS6detail15normal_iteratorINS8_10device_ptrItEEEEPttNS8_4plusItEEEE10hipError_tPvRmT1_T2_T3_mT4_P12ihipStream_tbEUlT_E1_NS1_11comp_targetILNS1_3genE5ELNS1_11target_archE942ELNS1_3gpuE9ELNS1_3repE0EEENS1_30default_config_static_selectorELNS0_4arch9wavefront6targetE1EEEvSK_.num_vgpr, 0
	.set _ZN7rocprim17ROCPRIM_400000_NS6detail17trampoline_kernelINS0_14default_configENS1_22reduce_config_selectorItEEZNS1_11reduce_implILb1ES3_N6thrust23THRUST_200600_302600_NS6detail15normal_iteratorINS8_10device_ptrItEEEEPttNS8_4plusItEEEE10hipError_tPvRmT1_T2_T3_mT4_P12ihipStream_tbEUlT_E1_NS1_11comp_targetILNS1_3genE5ELNS1_11target_archE942ELNS1_3gpuE9ELNS1_3repE0EEENS1_30default_config_static_selectorELNS0_4arch9wavefront6targetE1EEEvSK_.num_agpr, 0
	.set _ZN7rocprim17ROCPRIM_400000_NS6detail17trampoline_kernelINS0_14default_configENS1_22reduce_config_selectorItEEZNS1_11reduce_implILb1ES3_N6thrust23THRUST_200600_302600_NS6detail15normal_iteratorINS8_10device_ptrItEEEEPttNS8_4plusItEEEE10hipError_tPvRmT1_T2_T3_mT4_P12ihipStream_tbEUlT_E1_NS1_11comp_targetILNS1_3genE5ELNS1_11target_archE942ELNS1_3gpuE9ELNS1_3repE0EEENS1_30default_config_static_selectorELNS0_4arch9wavefront6targetE1EEEvSK_.numbered_sgpr, 0
	.set _ZN7rocprim17ROCPRIM_400000_NS6detail17trampoline_kernelINS0_14default_configENS1_22reduce_config_selectorItEEZNS1_11reduce_implILb1ES3_N6thrust23THRUST_200600_302600_NS6detail15normal_iteratorINS8_10device_ptrItEEEEPttNS8_4plusItEEEE10hipError_tPvRmT1_T2_T3_mT4_P12ihipStream_tbEUlT_E1_NS1_11comp_targetILNS1_3genE5ELNS1_11target_archE942ELNS1_3gpuE9ELNS1_3repE0EEENS1_30default_config_static_selectorELNS0_4arch9wavefront6targetE1EEEvSK_.num_named_barrier, 0
	.set _ZN7rocprim17ROCPRIM_400000_NS6detail17trampoline_kernelINS0_14default_configENS1_22reduce_config_selectorItEEZNS1_11reduce_implILb1ES3_N6thrust23THRUST_200600_302600_NS6detail15normal_iteratorINS8_10device_ptrItEEEEPttNS8_4plusItEEEE10hipError_tPvRmT1_T2_T3_mT4_P12ihipStream_tbEUlT_E1_NS1_11comp_targetILNS1_3genE5ELNS1_11target_archE942ELNS1_3gpuE9ELNS1_3repE0EEENS1_30default_config_static_selectorELNS0_4arch9wavefront6targetE1EEEvSK_.private_seg_size, 0
	.set _ZN7rocprim17ROCPRIM_400000_NS6detail17trampoline_kernelINS0_14default_configENS1_22reduce_config_selectorItEEZNS1_11reduce_implILb1ES3_N6thrust23THRUST_200600_302600_NS6detail15normal_iteratorINS8_10device_ptrItEEEEPttNS8_4plusItEEEE10hipError_tPvRmT1_T2_T3_mT4_P12ihipStream_tbEUlT_E1_NS1_11comp_targetILNS1_3genE5ELNS1_11target_archE942ELNS1_3gpuE9ELNS1_3repE0EEENS1_30default_config_static_selectorELNS0_4arch9wavefront6targetE1EEEvSK_.uses_vcc, 0
	.set _ZN7rocprim17ROCPRIM_400000_NS6detail17trampoline_kernelINS0_14default_configENS1_22reduce_config_selectorItEEZNS1_11reduce_implILb1ES3_N6thrust23THRUST_200600_302600_NS6detail15normal_iteratorINS8_10device_ptrItEEEEPttNS8_4plusItEEEE10hipError_tPvRmT1_T2_T3_mT4_P12ihipStream_tbEUlT_E1_NS1_11comp_targetILNS1_3genE5ELNS1_11target_archE942ELNS1_3gpuE9ELNS1_3repE0EEENS1_30default_config_static_selectorELNS0_4arch9wavefront6targetE1EEEvSK_.uses_flat_scratch, 0
	.set _ZN7rocprim17ROCPRIM_400000_NS6detail17trampoline_kernelINS0_14default_configENS1_22reduce_config_selectorItEEZNS1_11reduce_implILb1ES3_N6thrust23THRUST_200600_302600_NS6detail15normal_iteratorINS8_10device_ptrItEEEEPttNS8_4plusItEEEE10hipError_tPvRmT1_T2_T3_mT4_P12ihipStream_tbEUlT_E1_NS1_11comp_targetILNS1_3genE5ELNS1_11target_archE942ELNS1_3gpuE9ELNS1_3repE0EEENS1_30default_config_static_selectorELNS0_4arch9wavefront6targetE1EEEvSK_.has_dyn_sized_stack, 0
	.set _ZN7rocprim17ROCPRIM_400000_NS6detail17trampoline_kernelINS0_14default_configENS1_22reduce_config_selectorItEEZNS1_11reduce_implILb1ES3_N6thrust23THRUST_200600_302600_NS6detail15normal_iteratorINS8_10device_ptrItEEEEPttNS8_4plusItEEEE10hipError_tPvRmT1_T2_T3_mT4_P12ihipStream_tbEUlT_E1_NS1_11comp_targetILNS1_3genE5ELNS1_11target_archE942ELNS1_3gpuE9ELNS1_3repE0EEENS1_30default_config_static_selectorELNS0_4arch9wavefront6targetE1EEEvSK_.has_recursion, 0
	.set _ZN7rocprim17ROCPRIM_400000_NS6detail17trampoline_kernelINS0_14default_configENS1_22reduce_config_selectorItEEZNS1_11reduce_implILb1ES3_N6thrust23THRUST_200600_302600_NS6detail15normal_iteratorINS8_10device_ptrItEEEEPttNS8_4plusItEEEE10hipError_tPvRmT1_T2_T3_mT4_P12ihipStream_tbEUlT_E1_NS1_11comp_targetILNS1_3genE5ELNS1_11target_archE942ELNS1_3gpuE9ELNS1_3repE0EEENS1_30default_config_static_selectorELNS0_4arch9wavefront6targetE1EEEvSK_.has_indirect_call, 0
	.section	.AMDGPU.csdata,"",@progbits
; Kernel info:
; codeLenInByte = 0
; TotalNumSgprs: 6
; NumVgprs: 0
; NumAgprs: 0
; TotalNumVgprs: 0
; ScratchSize: 0
; MemoryBound: 0
; FloatMode: 240
; IeeeMode: 1
; LDSByteSize: 0 bytes/workgroup (compile time only)
; SGPRBlocks: 0
; VGPRBlocks: 0
; NumSGPRsForWavesPerEU: 6
; NumVGPRsForWavesPerEU: 1
; AccumOffset: 4
; Occupancy: 8
; WaveLimiterHint : 0
; COMPUTE_PGM_RSRC2:SCRATCH_EN: 0
; COMPUTE_PGM_RSRC2:USER_SGPR: 2
; COMPUTE_PGM_RSRC2:TRAP_HANDLER: 0
; COMPUTE_PGM_RSRC2:TGID_X_EN: 1
; COMPUTE_PGM_RSRC2:TGID_Y_EN: 0
; COMPUTE_PGM_RSRC2:TGID_Z_EN: 0
; COMPUTE_PGM_RSRC2:TIDIG_COMP_CNT: 0
; COMPUTE_PGM_RSRC3_GFX90A:ACCUM_OFFSET: 0
; COMPUTE_PGM_RSRC3_GFX90A:TG_SPLIT: 0
	.section	.text._ZN7rocprim17ROCPRIM_400000_NS6detail17trampoline_kernelINS0_14default_configENS1_22reduce_config_selectorItEEZNS1_11reduce_implILb1ES3_N6thrust23THRUST_200600_302600_NS6detail15normal_iteratorINS8_10device_ptrItEEEEPttNS8_4plusItEEEE10hipError_tPvRmT1_T2_T3_mT4_P12ihipStream_tbEUlT_E1_NS1_11comp_targetILNS1_3genE4ELNS1_11target_archE910ELNS1_3gpuE8ELNS1_3repE0EEENS1_30default_config_static_selectorELNS0_4arch9wavefront6targetE1EEEvSK_,"axG",@progbits,_ZN7rocprim17ROCPRIM_400000_NS6detail17trampoline_kernelINS0_14default_configENS1_22reduce_config_selectorItEEZNS1_11reduce_implILb1ES3_N6thrust23THRUST_200600_302600_NS6detail15normal_iteratorINS8_10device_ptrItEEEEPttNS8_4plusItEEEE10hipError_tPvRmT1_T2_T3_mT4_P12ihipStream_tbEUlT_E1_NS1_11comp_targetILNS1_3genE4ELNS1_11target_archE910ELNS1_3gpuE8ELNS1_3repE0EEENS1_30default_config_static_selectorELNS0_4arch9wavefront6targetE1EEEvSK_,comdat
	.protected	_ZN7rocprim17ROCPRIM_400000_NS6detail17trampoline_kernelINS0_14default_configENS1_22reduce_config_selectorItEEZNS1_11reduce_implILb1ES3_N6thrust23THRUST_200600_302600_NS6detail15normal_iteratorINS8_10device_ptrItEEEEPttNS8_4plusItEEEE10hipError_tPvRmT1_T2_T3_mT4_P12ihipStream_tbEUlT_E1_NS1_11comp_targetILNS1_3genE4ELNS1_11target_archE910ELNS1_3gpuE8ELNS1_3repE0EEENS1_30default_config_static_selectorELNS0_4arch9wavefront6targetE1EEEvSK_ ; -- Begin function _ZN7rocprim17ROCPRIM_400000_NS6detail17trampoline_kernelINS0_14default_configENS1_22reduce_config_selectorItEEZNS1_11reduce_implILb1ES3_N6thrust23THRUST_200600_302600_NS6detail15normal_iteratorINS8_10device_ptrItEEEEPttNS8_4plusItEEEE10hipError_tPvRmT1_T2_T3_mT4_P12ihipStream_tbEUlT_E1_NS1_11comp_targetILNS1_3genE4ELNS1_11target_archE910ELNS1_3gpuE8ELNS1_3repE0EEENS1_30default_config_static_selectorELNS0_4arch9wavefront6targetE1EEEvSK_
	.globl	_ZN7rocprim17ROCPRIM_400000_NS6detail17trampoline_kernelINS0_14default_configENS1_22reduce_config_selectorItEEZNS1_11reduce_implILb1ES3_N6thrust23THRUST_200600_302600_NS6detail15normal_iteratorINS8_10device_ptrItEEEEPttNS8_4plusItEEEE10hipError_tPvRmT1_T2_T3_mT4_P12ihipStream_tbEUlT_E1_NS1_11comp_targetILNS1_3genE4ELNS1_11target_archE910ELNS1_3gpuE8ELNS1_3repE0EEENS1_30default_config_static_selectorELNS0_4arch9wavefront6targetE1EEEvSK_
	.p2align	8
	.type	_ZN7rocprim17ROCPRIM_400000_NS6detail17trampoline_kernelINS0_14default_configENS1_22reduce_config_selectorItEEZNS1_11reduce_implILb1ES3_N6thrust23THRUST_200600_302600_NS6detail15normal_iteratorINS8_10device_ptrItEEEEPttNS8_4plusItEEEE10hipError_tPvRmT1_T2_T3_mT4_P12ihipStream_tbEUlT_E1_NS1_11comp_targetILNS1_3genE4ELNS1_11target_archE910ELNS1_3gpuE8ELNS1_3repE0EEENS1_30default_config_static_selectorELNS0_4arch9wavefront6targetE1EEEvSK_,@function
_ZN7rocprim17ROCPRIM_400000_NS6detail17trampoline_kernelINS0_14default_configENS1_22reduce_config_selectorItEEZNS1_11reduce_implILb1ES3_N6thrust23THRUST_200600_302600_NS6detail15normal_iteratorINS8_10device_ptrItEEEEPttNS8_4plusItEEEE10hipError_tPvRmT1_T2_T3_mT4_P12ihipStream_tbEUlT_E1_NS1_11comp_targetILNS1_3genE4ELNS1_11target_archE910ELNS1_3gpuE8ELNS1_3repE0EEENS1_30default_config_static_selectorELNS0_4arch9wavefront6targetE1EEEvSK_: ; @_ZN7rocprim17ROCPRIM_400000_NS6detail17trampoline_kernelINS0_14default_configENS1_22reduce_config_selectorItEEZNS1_11reduce_implILb1ES3_N6thrust23THRUST_200600_302600_NS6detail15normal_iteratorINS8_10device_ptrItEEEEPttNS8_4plusItEEEE10hipError_tPvRmT1_T2_T3_mT4_P12ihipStream_tbEUlT_E1_NS1_11comp_targetILNS1_3genE4ELNS1_11target_archE910ELNS1_3gpuE8ELNS1_3repE0EEENS1_30default_config_static_selectorELNS0_4arch9wavefront6targetE1EEEvSK_
; %bb.0:
	.section	.rodata,"a",@progbits
	.p2align	6, 0x0
	.amdhsa_kernel _ZN7rocprim17ROCPRIM_400000_NS6detail17trampoline_kernelINS0_14default_configENS1_22reduce_config_selectorItEEZNS1_11reduce_implILb1ES3_N6thrust23THRUST_200600_302600_NS6detail15normal_iteratorINS8_10device_ptrItEEEEPttNS8_4plusItEEEE10hipError_tPvRmT1_T2_T3_mT4_P12ihipStream_tbEUlT_E1_NS1_11comp_targetILNS1_3genE4ELNS1_11target_archE910ELNS1_3gpuE8ELNS1_3repE0EEENS1_30default_config_static_selectorELNS0_4arch9wavefront6targetE1EEEvSK_
		.amdhsa_group_segment_fixed_size 0
		.amdhsa_private_segment_fixed_size 0
		.amdhsa_kernarg_size 40
		.amdhsa_user_sgpr_count 2
		.amdhsa_user_sgpr_dispatch_ptr 0
		.amdhsa_user_sgpr_queue_ptr 0
		.amdhsa_user_sgpr_kernarg_segment_ptr 1
		.amdhsa_user_sgpr_dispatch_id 0
		.amdhsa_user_sgpr_kernarg_preload_length 0
		.amdhsa_user_sgpr_kernarg_preload_offset 0
		.amdhsa_user_sgpr_private_segment_size 0
		.amdhsa_uses_dynamic_stack 0
		.amdhsa_enable_private_segment 0
		.amdhsa_system_sgpr_workgroup_id_x 1
		.amdhsa_system_sgpr_workgroup_id_y 0
		.amdhsa_system_sgpr_workgroup_id_z 0
		.amdhsa_system_sgpr_workgroup_info 0
		.amdhsa_system_vgpr_workitem_id 0
		.amdhsa_next_free_vgpr 1
		.amdhsa_next_free_sgpr 0
		.amdhsa_accum_offset 4
		.amdhsa_reserve_vcc 0
		.amdhsa_float_round_mode_32 0
		.amdhsa_float_round_mode_16_64 0
		.amdhsa_float_denorm_mode_32 3
		.amdhsa_float_denorm_mode_16_64 3
		.amdhsa_dx10_clamp 1
		.amdhsa_ieee_mode 1
		.amdhsa_fp16_overflow 0
		.amdhsa_tg_split 0
		.amdhsa_exception_fp_ieee_invalid_op 0
		.amdhsa_exception_fp_denorm_src 0
		.amdhsa_exception_fp_ieee_div_zero 0
		.amdhsa_exception_fp_ieee_overflow 0
		.amdhsa_exception_fp_ieee_underflow 0
		.amdhsa_exception_fp_ieee_inexact 0
		.amdhsa_exception_int_div_zero 0
	.end_amdhsa_kernel
	.section	.text._ZN7rocprim17ROCPRIM_400000_NS6detail17trampoline_kernelINS0_14default_configENS1_22reduce_config_selectorItEEZNS1_11reduce_implILb1ES3_N6thrust23THRUST_200600_302600_NS6detail15normal_iteratorINS8_10device_ptrItEEEEPttNS8_4plusItEEEE10hipError_tPvRmT1_T2_T3_mT4_P12ihipStream_tbEUlT_E1_NS1_11comp_targetILNS1_3genE4ELNS1_11target_archE910ELNS1_3gpuE8ELNS1_3repE0EEENS1_30default_config_static_selectorELNS0_4arch9wavefront6targetE1EEEvSK_,"axG",@progbits,_ZN7rocprim17ROCPRIM_400000_NS6detail17trampoline_kernelINS0_14default_configENS1_22reduce_config_selectorItEEZNS1_11reduce_implILb1ES3_N6thrust23THRUST_200600_302600_NS6detail15normal_iteratorINS8_10device_ptrItEEEEPttNS8_4plusItEEEE10hipError_tPvRmT1_T2_T3_mT4_P12ihipStream_tbEUlT_E1_NS1_11comp_targetILNS1_3genE4ELNS1_11target_archE910ELNS1_3gpuE8ELNS1_3repE0EEENS1_30default_config_static_selectorELNS0_4arch9wavefront6targetE1EEEvSK_,comdat
.Lfunc_end179:
	.size	_ZN7rocprim17ROCPRIM_400000_NS6detail17trampoline_kernelINS0_14default_configENS1_22reduce_config_selectorItEEZNS1_11reduce_implILb1ES3_N6thrust23THRUST_200600_302600_NS6detail15normal_iteratorINS8_10device_ptrItEEEEPttNS8_4plusItEEEE10hipError_tPvRmT1_T2_T3_mT4_P12ihipStream_tbEUlT_E1_NS1_11comp_targetILNS1_3genE4ELNS1_11target_archE910ELNS1_3gpuE8ELNS1_3repE0EEENS1_30default_config_static_selectorELNS0_4arch9wavefront6targetE1EEEvSK_, .Lfunc_end179-_ZN7rocprim17ROCPRIM_400000_NS6detail17trampoline_kernelINS0_14default_configENS1_22reduce_config_selectorItEEZNS1_11reduce_implILb1ES3_N6thrust23THRUST_200600_302600_NS6detail15normal_iteratorINS8_10device_ptrItEEEEPttNS8_4plusItEEEE10hipError_tPvRmT1_T2_T3_mT4_P12ihipStream_tbEUlT_E1_NS1_11comp_targetILNS1_3genE4ELNS1_11target_archE910ELNS1_3gpuE8ELNS1_3repE0EEENS1_30default_config_static_selectorELNS0_4arch9wavefront6targetE1EEEvSK_
                                        ; -- End function
	.set _ZN7rocprim17ROCPRIM_400000_NS6detail17trampoline_kernelINS0_14default_configENS1_22reduce_config_selectorItEEZNS1_11reduce_implILb1ES3_N6thrust23THRUST_200600_302600_NS6detail15normal_iteratorINS8_10device_ptrItEEEEPttNS8_4plusItEEEE10hipError_tPvRmT1_T2_T3_mT4_P12ihipStream_tbEUlT_E1_NS1_11comp_targetILNS1_3genE4ELNS1_11target_archE910ELNS1_3gpuE8ELNS1_3repE0EEENS1_30default_config_static_selectorELNS0_4arch9wavefront6targetE1EEEvSK_.num_vgpr, 0
	.set _ZN7rocprim17ROCPRIM_400000_NS6detail17trampoline_kernelINS0_14default_configENS1_22reduce_config_selectorItEEZNS1_11reduce_implILb1ES3_N6thrust23THRUST_200600_302600_NS6detail15normal_iteratorINS8_10device_ptrItEEEEPttNS8_4plusItEEEE10hipError_tPvRmT1_T2_T3_mT4_P12ihipStream_tbEUlT_E1_NS1_11comp_targetILNS1_3genE4ELNS1_11target_archE910ELNS1_3gpuE8ELNS1_3repE0EEENS1_30default_config_static_selectorELNS0_4arch9wavefront6targetE1EEEvSK_.num_agpr, 0
	.set _ZN7rocprim17ROCPRIM_400000_NS6detail17trampoline_kernelINS0_14default_configENS1_22reduce_config_selectorItEEZNS1_11reduce_implILb1ES3_N6thrust23THRUST_200600_302600_NS6detail15normal_iteratorINS8_10device_ptrItEEEEPttNS8_4plusItEEEE10hipError_tPvRmT1_T2_T3_mT4_P12ihipStream_tbEUlT_E1_NS1_11comp_targetILNS1_3genE4ELNS1_11target_archE910ELNS1_3gpuE8ELNS1_3repE0EEENS1_30default_config_static_selectorELNS0_4arch9wavefront6targetE1EEEvSK_.numbered_sgpr, 0
	.set _ZN7rocprim17ROCPRIM_400000_NS6detail17trampoline_kernelINS0_14default_configENS1_22reduce_config_selectorItEEZNS1_11reduce_implILb1ES3_N6thrust23THRUST_200600_302600_NS6detail15normal_iteratorINS8_10device_ptrItEEEEPttNS8_4plusItEEEE10hipError_tPvRmT1_T2_T3_mT4_P12ihipStream_tbEUlT_E1_NS1_11comp_targetILNS1_3genE4ELNS1_11target_archE910ELNS1_3gpuE8ELNS1_3repE0EEENS1_30default_config_static_selectorELNS0_4arch9wavefront6targetE1EEEvSK_.num_named_barrier, 0
	.set _ZN7rocprim17ROCPRIM_400000_NS6detail17trampoline_kernelINS0_14default_configENS1_22reduce_config_selectorItEEZNS1_11reduce_implILb1ES3_N6thrust23THRUST_200600_302600_NS6detail15normal_iteratorINS8_10device_ptrItEEEEPttNS8_4plusItEEEE10hipError_tPvRmT1_T2_T3_mT4_P12ihipStream_tbEUlT_E1_NS1_11comp_targetILNS1_3genE4ELNS1_11target_archE910ELNS1_3gpuE8ELNS1_3repE0EEENS1_30default_config_static_selectorELNS0_4arch9wavefront6targetE1EEEvSK_.private_seg_size, 0
	.set _ZN7rocprim17ROCPRIM_400000_NS6detail17trampoline_kernelINS0_14default_configENS1_22reduce_config_selectorItEEZNS1_11reduce_implILb1ES3_N6thrust23THRUST_200600_302600_NS6detail15normal_iteratorINS8_10device_ptrItEEEEPttNS8_4plusItEEEE10hipError_tPvRmT1_T2_T3_mT4_P12ihipStream_tbEUlT_E1_NS1_11comp_targetILNS1_3genE4ELNS1_11target_archE910ELNS1_3gpuE8ELNS1_3repE0EEENS1_30default_config_static_selectorELNS0_4arch9wavefront6targetE1EEEvSK_.uses_vcc, 0
	.set _ZN7rocprim17ROCPRIM_400000_NS6detail17trampoline_kernelINS0_14default_configENS1_22reduce_config_selectorItEEZNS1_11reduce_implILb1ES3_N6thrust23THRUST_200600_302600_NS6detail15normal_iteratorINS8_10device_ptrItEEEEPttNS8_4plusItEEEE10hipError_tPvRmT1_T2_T3_mT4_P12ihipStream_tbEUlT_E1_NS1_11comp_targetILNS1_3genE4ELNS1_11target_archE910ELNS1_3gpuE8ELNS1_3repE0EEENS1_30default_config_static_selectorELNS0_4arch9wavefront6targetE1EEEvSK_.uses_flat_scratch, 0
	.set _ZN7rocprim17ROCPRIM_400000_NS6detail17trampoline_kernelINS0_14default_configENS1_22reduce_config_selectorItEEZNS1_11reduce_implILb1ES3_N6thrust23THRUST_200600_302600_NS6detail15normal_iteratorINS8_10device_ptrItEEEEPttNS8_4plusItEEEE10hipError_tPvRmT1_T2_T3_mT4_P12ihipStream_tbEUlT_E1_NS1_11comp_targetILNS1_3genE4ELNS1_11target_archE910ELNS1_3gpuE8ELNS1_3repE0EEENS1_30default_config_static_selectorELNS0_4arch9wavefront6targetE1EEEvSK_.has_dyn_sized_stack, 0
	.set _ZN7rocprim17ROCPRIM_400000_NS6detail17trampoline_kernelINS0_14default_configENS1_22reduce_config_selectorItEEZNS1_11reduce_implILb1ES3_N6thrust23THRUST_200600_302600_NS6detail15normal_iteratorINS8_10device_ptrItEEEEPttNS8_4plusItEEEE10hipError_tPvRmT1_T2_T3_mT4_P12ihipStream_tbEUlT_E1_NS1_11comp_targetILNS1_3genE4ELNS1_11target_archE910ELNS1_3gpuE8ELNS1_3repE0EEENS1_30default_config_static_selectorELNS0_4arch9wavefront6targetE1EEEvSK_.has_recursion, 0
	.set _ZN7rocprim17ROCPRIM_400000_NS6detail17trampoline_kernelINS0_14default_configENS1_22reduce_config_selectorItEEZNS1_11reduce_implILb1ES3_N6thrust23THRUST_200600_302600_NS6detail15normal_iteratorINS8_10device_ptrItEEEEPttNS8_4plusItEEEE10hipError_tPvRmT1_T2_T3_mT4_P12ihipStream_tbEUlT_E1_NS1_11comp_targetILNS1_3genE4ELNS1_11target_archE910ELNS1_3gpuE8ELNS1_3repE0EEENS1_30default_config_static_selectorELNS0_4arch9wavefront6targetE1EEEvSK_.has_indirect_call, 0
	.section	.AMDGPU.csdata,"",@progbits
; Kernel info:
; codeLenInByte = 0
; TotalNumSgprs: 6
; NumVgprs: 0
; NumAgprs: 0
; TotalNumVgprs: 0
; ScratchSize: 0
; MemoryBound: 0
; FloatMode: 240
; IeeeMode: 1
; LDSByteSize: 0 bytes/workgroup (compile time only)
; SGPRBlocks: 0
; VGPRBlocks: 0
; NumSGPRsForWavesPerEU: 6
; NumVGPRsForWavesPerEU: 1
; AccumOffset: 4
; Occupancy: 8
; WaveLimiterHint : 0
; COMPUTE_PGM_RSRC2:SCRATCH_EN: 0
; COMPUTE_PGM_RSRC2:USER_SGPR: 2
; COMPUTE_PGM_RSRC2:TRAP_HANDLER: 0
; COMPUTE_PGM_RSRC2:TGID_X_EN: 1
; COMPUTE_PGM_RSRC2:TGID_Y_EN: 0
; COMPUTE_PGM_RSRC2:TGID_Z_EN: 0
; COMPUTE_PGM_RSRC2:TIDIG_COMP_CNT: 0
; COMPUTE_PGM_RSRC3_GFX90A:ACCUM_OFFSET: 0
; COMPUTE_PGM_RSRC3_GFX90A:TG_SPLIT: 0
	.section	.text._ZN7rocprim17ROCPRIM_400000_NS6detail17trampoline_kernelINS0_14default_configENS1_22reduce_config_selectorItEEZNS1_11reduce_implILb1ES3_N6thrust23THRUST_200600_302600_NS6detail15normal_iteratorINS8_10device_ptrItEEEEPttNS8_4plusItEEEE10hipError_tPvRmT1_T2_T3_mT4_P12ihipStream_tbEUlT_E1_NS1_11comp_targetILNS1_3genE3ELNS1_11target_archE908ELNS1_3gpuE7ELNS1_3repE0EEENS1_30default_config_static_selectorELNS0_4arch9wavefront6targetE1EEEvSK_,"axG",@progbits,_ZN7rocprim17ROCPRIM_400000_NS6detail17trampoline_kernelINS0_14default_configENS1_22reduce_config_selectorItEEZNS1_11reduce_implILb1ES3_N6thrust23THRUST_200600_302600_NS6detail15normal_iteratorINS8_10device_ptrItEEEEPttNS8_4plusItEEEE10hipError_tPvRmT1_T2_T3_mT4_P12ihipStream_tbEUlT_E1_NS1_11comp_targetILNS1_3genE3ELNS1_11target_archE908ELNS1_3gpuE7ELNS1_3repE0EEENS1_30default_config_static_selectorELNS0_4arch9wavefront6targetE1EEEvSK_,comdat
	.protected	_ZN7rocprim17ROCPRIM_400000_NS6detail17trampoline_kernelINS0_14default_configENS1_22reduce_config_selectorItEEZNS1_11reduce_implILb1ES3_N6thrust23THRUST_200600_302600_NS6detail15normal_iteratorINS8_10device_ptrItEEEEPttNS8_4plusItEEEE10hipError_tPvRmT1_T2_T3_mT4_P12ihipStream_tbEUlT_E1_NS1_11comp_targetILNS1_3genE3ELNS1_11target_archE908ELNS1_3gpuE7ELNS1_3repE0EEENS1_30default_config_static_selectorELNS0_4arch9wavefront6targetE1EEEvSK_ ; -- Begin function _ZN7rocprim17ROCPRIM_400000_NS6detail17trampoline_kernelINS0_14default_configENS1_22reduce_config_selectorItEEZNS1_11reduce_implILb1ES3_N6thrust23THRUST_200600_302600_NS6detail15normal_iteratorINS8_10device_ptrItEEEEPttNS8_4plusItEEEE10hipError_tPvRmT1_T2_T3_mT4_P12ihipStream_tbEUlT_E1_NS1_11comp_targetILNS1_3genE3ELNS1_11target_archE908ELNS1_3gpuE7ELNS1_3repE0EEENS1_30default_config_static_selectorELNS0_4arch9wavefront6targetE1EEEvSK_
	.globl	_ZN7rocprim17ROCPRIM_400000_NS6detail17trampoline_kernelINS0_14default_configENS1_22reduce_config_selectorItEEZNS1_11reduce_implILb1ES3_N6thrust23THRUST_200600_302600_NS6detail15normal_iteratorINS8_10device_ptrItEEEEPttNS8_4plusItEEEE10hipError_tPvRmT1_T2_T3_mT4_P12ihipStream_tbEUlT_E1_NS1_11comp_targetILNS1_3genE3ELNS1_11target_archE908ELNS1_3gpuE7ELNS1_3repE0EEENS1_30default_config_static_selectorELNS0_4arch9wavefront6targetE1EEEvSK_
	.p2align	8
	.type	_ZN7rocprim17ROCPRIM_400000_NS6detail17trampoline_kernelINS0_14default_configENS1_22reduce_config_selectorItEEZNS1_11reduce_implILb1ES3_N6thrust23THRUST_200600_302600_NS6detail15normal_iteratorINS8_10device_ptrItEEEEPttNS8_4plusItEEEE10hipError_tPvRmT1_T2_T3_mT4_P12ihipStream_tbEUlT_E1_NS1_11comp_targetILNS1_3genE3ELNS1_11target_archE908ELNS1_3gpuE7ELNS1_3repE0EEENS1_30default_config_static_selectorELNS0_4arch9wavefront6targetE1EEEvSK_,@function
_ZN7rocprim17ROCPRIM_400000_NS6detail17trampoline_kernelINS0_14default_configENS1_22reduce_config_selectorItEEZNS1_11reduce_implILb1ES3_N6thrust23THRUST_200600_302600_NS6detail15normal_iteratorINS8_10device_ptrItEEEEPttNS8_4plusItEEEE10hipError_tPvRmT1_T2_T3_mT4_P12ihipStream_tbEUlT_E1_NS1_11comp_targetILNS1_3genE3ELNS1_11target_archE908ELNS1_3gpuE7ELNS1_3repE0EEENS1_30default_config_static_selectorELNS0_4arch9wavefront6targetE1EEEvSK_: ; @_ZN7rocprim17ROCPRIM_400000_NS6detail17trampoline_kernelINS0_14default_configENS1_22reduce_config_selectorItEEZNS1_11reduce_implILb1ES3_N6thrust23THRUST_200600_302600_NS6detail15normal_iteratorINS8_10device_ptrItEEEEPttNS8_4plusItEEEE10hipError_tPvRmT1_T2_T3_mT4_P12ihipStream_tbEUlT_E1_NS1_11comp_targetILNS1_3genE3ELNS1_11target_archE908ELNS1_3gpuE7ELNS1_3repE0EEENS1_30default_config_static_selectorELNS0_4arch9wavefront6targetE1EEEvSK_
; %bb.0:
	.section	.rodata,"a",@progbits
	.p2align	6, 0x0
	.amdhsa_kernel _ZN7rocprim17ROCPRIM_400000_NS6detail17trampoline_kernelINS0_14default_configENS1_22reduce_config_selectorItEEZNS1_11reduce_implILb1ES3_N6thrust23THRUST_200600_302600_NS6detail15normal_iteratorINS8_10device_ptrItEEEEPttNS8_4plusItEEEE10hipError_tPvRmT1_T2_T3_mT4_P12ihipStream_tbEUlT_E1_NS1_11comp_targetILNS1_3genE3ELNS1_11target_archE908ELNS1_3gpuE7ELNS1_3repE0EEENS1_30default_config_static_selectorELNS0_4arch9wavefront6targetE1EEEvSK_
		.amdhsa_group_segment_fixed_size 0
		.amdhsa_private_segment_fixed_size 0
		.amdhsa_kernarg_size 40
		.amdhsa_user_sgpr_count 2
		.amdhsa_user_sgpr_dispatch_ptr 0
		.amdhsa_user_sgpr_queue_ptr 0
		.amdhsa_user_sgpr_kernarg_segment_ptr 1
		.amdhsa_user_sgpr_dispatch_id 0
		.amdhsa_user_sgpr_kernarg_preload_length 0
		.amdhsa_user_sgpr_kernarg_preload_offset 0
		.amdhsa_user_sgpr_private_segment_size 0
		.amdhsa_uses_dynamic_stack 0
		.amdhsa_enable_private_segment 0
		.amdhsa_system_sgpr_workgroup_id_x 1
		.amdhsa_system_sgpr_workgroup_id_y 0
		.amdhsa_system_sgpr_workgroup_id_z 0
		.amdhsa_system_sgpr_workgroup_info 0
		.amdhsa_system_vgpr_workitem_id 0
		.amdhsa_next_free_vgpr 1
		.amdhsa_next_free_sgpr 0
		.amdhsa_accum_offset 4
		.amdhsa_reserve_vcc 0
		.amdhsa_float_round_mode_32 0
		.amdhsa_float_round_mode_16_64 0
		.amdhsa_float_denorm_mode_32 3
		.amdhsa_float_denorm_mode_16_64 3
		.amdhsa_dx10_clamp 1
		.amdhsa_ieee_mode 1
		.amdhsa_fp16_overflow 0
		.amdhsa_tg_split 0
		.amdhsa_exception_fp_ieee_invalid_op 0
		.amdhsa_exception_fp_denorm_src 0
		.amdhsa_exception_fp_ieee_div_zero 0
		.amdhsa_exception_fp_ieee_overflow 0
		.amdhsa_exception_fp_ieee_underflow 0
		.amdhsa_exception_fp_ieee_inexact 0
		.amdhsa_exception_int_div_zero 0
	.end_amdhsa_kernel
	.section	.text._ZN7rocprim17ROCPRIM_400000_NS6detail17trampoline_kernelINS0_14default_configENS1_22reduce_config_selectorItEEZNS1_11reduce_implILb1ES3_N6thrust23THRUST_200600_302600_NS6detail15normal_iteratorINS8_10device_ptrItEEEEPttNS8_4plusItEEEE10hipError_tPvRmT1_T2_T3_mT4_P12ihipStream_tbEUlT_E1_NS1_11comp_targetILNS1_3genE3ELNS1_11target_archE908ELNS1_3gpuE7ELNS1_3repE0EEENS1_30default_config_static_selectorELNS0_4arch9wavefront6targetE1EEEvSK_,"axG",@progbits,_ZN7rocprim17ROCPRIM_400000_NS6detail17trampoline_kernelINS0_14default_configENS1_22reduce_config_selectorItEEZNS1_11reduce_implILb1ES3_N6thrust23THRUST_200600_302600_NS6detail15normal_iteratorINS8_10device_ptrItEEEEPttNS8_4plusItEEEE10hipError_tPvRmT1_T2_T3_mT4_P12ihipStream_tbEUlT_E1_NS1_11comp_targetILNS1_3genE3ELNS1_11target_archE908ELNS1_3gpuE7ELNS1_3repE0EEENS1_30default_config_static_selectorELNS0_4arch9wavefront6targetE1EEEvSK_,comdat
.Lfunc_end180:
	.size	_ZN7rocprim17ROCPRIM_400000_NS6detail17trampoline_kernelINS0_14default_configENS1_22reduce_config_selectorItEEZNS1_11reduce_implILb1ES3_N6thrust23THRUST_200600_302600_NS6detail15normal_iteratorINS8_10device_ptrItEEEEPttNS8_4plusItEEEE10hipError_tPvRmT1_T2_T3_mT4_P12ihipStream_tbEUlT_E1_NS1_11comp_targetILNS1_3genE3ELNS1_11target_archE908ELNS1_3gpuE7ELNS1_3repE0EEENS1_30default_config_static_selectorELNS0_4arch9wavefront6targetE1EEEvSK_, .Lfunc_end180-_ZN7rocprim17ROCPRIM_400000_NS6detail17trampoline_kernelINS0_14default_configENS1_22reduce_config_selectorItEEZNS1_11reduce_implILb1ES3_N6thrust23THRUST_200600_302600_NS6detail15normal_iteratorINS8_10device_ptrItEEEEPttNS8_4plusItEEEE10hipError_tPvRmT1_T2_T3_mT4_P12ihipStream_tbEUlT_E1_NS1_11comp_targetILNS1_3genE3ELNS1_11target_archE908ELNS1_3gpuE7ELNS1_3repE0EEENS1_30default_config_static_selectorELNS0_4arch9wavefront6targetE1EEEvSK_
                                        ; -- End function
	.set _ZN7rocprim17ROCPRIM_400000_NS6detail17trampoline_kernelINS0_14default_configENS1_22reduce_config_selectorItEEZNS1_11reduce_implILb1ES3_N6thrust23THRUST_200600_302600_NS6detail15normal_iteratorINS8_10device_ptrItEEEEPttNS8_4plusItEEEE10hipError_tPvRmT1_T2_T3_mT4_P12ihipStream_tbEUlT_E1_NS1_11comp_targetILNS1_3genE3ELNS1_11target_archE908ELNS1_3gpuE7ELNS1_3repE0EEENS1_30default_config_static_selectorELNS0_4arch9wavefront6targetE1EEEvSK_.num_vgpr, 0
	.set _ZN7rocprim17ROCPRIM_400000_NS6detail17trampoline_kernelINS0_14default_configENS1_22reduce_config_selectorItEEZNS1_11reduce_implILb1ES3_N6thrust23THRUST_200600_302600_NS6detail15normal_iteratorINS8_10device_ptrItEEEEPttNS8_4plusItEEEE10hipError_tPvRmT1_T2_T3_mT4_P12ihipStream_tbEUlT_E1_NS1_11comp_targetILNS1_3genE3ELNS1_11target_archE908ELNS1_3gpuE7ELNS1_3repE0EEENS1_30default_config_static_selectorELNS0_4arch9wavefront6targetE1EEEvSK_.num_agpr, 0
	.set _ZN7rocprim17ROCPRIM_400000_NS6detail17trampoline_kernelINS0_14default_configENS1_22reduce_config_selectorItEEZNS1_11reduce_implILb1ES3_N6thrust23THRUST_200600_302600_NS6detail15normal_iteratorINS8_10device_ptrItEEEEPttNS8_4plusItEEEE10hipError_tPvRmT1_T2_T3_mT4_P12ihipStream_tbEUlT_E1_NS1_11comp_targetILNS1_3genE3ELNS1_11target_archE908ELNS1_3gpuE7ELNS1_3repE0EEENS1_30default_config_static_selectorELNS0_4arch9wavefront6targetE1EEEvSK_.numbered_sgpr, 0
	.set _ZN7rocprim17ROCPRIM_400000_NS6detail17trampoline_kernelINS0_14default_configENS1_22reduce_config_selectorItEEZNS1_11reduce_implILb1ES3_N6thrust23THRUST_200600_302600_NS6detail15normal_iteratorINS8_10device_ptrItEEEEPttNS8_4plusItEEEE10hipError_tPvRmT1_T2_T3_mT4_P12ihipStream_tbEUlT_E1_NS1_11comp_targetILNS1_3genE3ELNS1_11target_archE908ELNS1_3gpuE7ELNS1_3repE0EEENS1_30default_config_static_selectorELNS0_4arch9wavefront6targetE1EEEvSK_.num_named_barrier, 0
	.set _ZN7rocprim17ROCPRIM_400000_NS6detail17trampoline_kernelINS0_14default_configENS1_22reduce_config_selectorItEEZNS1_11reduce_implILb1ES3_N6thrust23THRUST_200600_302600_NS6detail15normal_iteratorINS8_10device_ptrItEEEEPttNS8_4plusItEEEE10hipError_tPvRmT1_T2_T3_mT4_P12ihipStream_tbEUlT_E1_NS1_11comp_targetILNS1_3genE3ELNS1_11target_archE908ELNS1_3gpuE7ELNS1_3repE0EEENS1_30default_config_static_selectorELNS0_4arch9wavefront6targetE1EEEvSK_.private_seg_size, 0
	.set _ZN7rocprim17ROCPRIM_400000_NS6detail17trampoline_kernelINS0_14default_configENS1_22reduce_config_selectorItEEZNS1_11reduce_implILb1ES3_N6thrust23THRUST_200600_302600_NS6detail15normal_iteratorINS8_10device_ptrItEEEEPttNS8_4plusItEEEE10hipError_tPvRmT1_T2_T3_mT4_P12ihipStream_tbEUlT_E1_NS1_11comp_targetILNS1_3genE3ELNS1_11target_archE908ELNS1_3gpuE7ELNS1_3repE0EEENS1_30default_config_static_selectorELNS0_4arch9wavefront6targetE1EEEvSK_.uses_vcc, 0
	.set _ZN7rocprim17ROCPRIM_400000_NS6detail17trampoline_kernelINS0_14default_configENS1_22reduce_config_selectorItEEZNS1_11reduce_implILb1ES3_N6thrust23THRUST_200600_302600_NS6detail15normal_iteratorINS8_10device_ptrItEEEEPttNS8_4plusItEEEE10hipError_tPvRmT1_T2_T3_mT4_P12ihipStream_tbEUlT_E1_NS1_11comp_targetILNS1_3genE3ELNS1_11target_archE908ELNS1_3gpuE7ELNS1_3repE0EEENS1_30default_config_static_selectorELNS0_4arch9wavefront6targetE1EEEvSK_.uses_flat_scratch, 0
	.set _ZN7rocprim17ROCPRIM_400000_NS6detail17trampoline_kernelINS0_14default_configENS1_22reduce_config_selectorItEEZNS1_11reduce_implILb1ES3_N6thrust23THRUST_200600_302600_NS6detail15normal_iteratorINS8_10device_ptrItEEEEPttNS8_4plusItEEEE10hipError_tPvRmT1_T2_T3_mT4_P12ihipStream_tbEUlT_E1_NS1_11comp_targetILNS1_3genE3ELNS1_11target_archE908ELNS1_3gpuE7ELNS1_3repE0EEENS1_30default_config_static_selectorELNS0_4arch9wavefront6targetE1EEEvSK_.has_dyn_sized_stack, 0
	.set _ZN7rocprim17ROCPRIM_400000_NS6detail17trampoline_kernelINS0_14default_configENS1_22reduce_config_selectorItEEZNS1_11reduce_implILb1ES3_N6thrust23THRUST_200600_302600_NS6detail15normal_iteratorINS8_10device_ptrItEEEEPttNS8_4plusItEEEE10hipError_tPvRmT1_T2_T3_mT4_P12ihipStream_tbEUlT_E1_NS1_11comp_targetILNS1_3genE3ELNS1_11target_archE908ELNS1_3gpuE7ELNS1_3repE0EEENS1_30default_config_static_selectorELNS0_4arch9wavefront6targetE1EEEvSK_.has_recursion, 0
	.set _ZN7rocprim17ROCPRIM_400000_NS6detail17trampoline_kernelINS0_14default_configENS1_22reduce_config_selectorItEEZNS1_11reduce_implILb1ES3_N6thrust23THRUST_200600_302600_NS6detail15normal_iteratorINS8_10device_ptrItEEEEPttNS8_4plusItEEEE10hipError_tPvRmT1_T2_T3_mT4_P12ihipStream_tbEUlT_E1_NS1_11comp_targetILNS1_3genE3ELNS1_11target_archE908ELNS1_3gpuE7ELNS1_3repE0EEENS1_30default_config_static_selectorELNS0_4arch9wavefront6targetE1EEEvSK_.has_indirect_call, 0
	.section	.AMDGPU.csdata,"",@progbits
; Kernel info:
; codeLenInByte = 0
; TotalNumSgprs: 6
; NumVgprs: 0
; NumAgprs: 0
; TotalNumVgprs: 0
; ScratchSize: 0
; MemoryBound: 0
; FloatMode: 240
; IeeeMode: 1
; LDSByteSize: 0 bytes/workgroup (compile time only)
; SGPRBlocks: 0
; VGPRBlocks: 0
; NumSGPRsForWavesPerEU: 6
; NumVGPRsForWavesPerEU: 1
; AccumOffset: 4
; Occupancy: 8
; WaveLimiterHint : 0
; COMPUTE_PGM_RSRC2:SCRATCH_EN: 0
; COMPUTE_PGM_RSRC2:USER_SGPR: 2
; COMPUTE_PGM_RSRC2:TRAP_HANDLER: 0
; COMPUTE_PGM_RSRC2:TGID_X_EN: 1
; COMPUTE_PGM_RSRC2:TGID_Y_EN: 0
; COMPUTE_PGM_RSRC2:TGID_Z_EN: 0
; COMPUTE_PGM_RSRC2:TIDIG_COMP_CNT: 0
; COMPUTE_PGM_RSRC3_GFX90A:ACCUM_OFFSET: 0
; COMPUTE_PGM_RSRC3_GFX90A:TG_SPLIT: 0
	.section	.text._ZN7rocprim17ROCPRIM_400000_NS6detail17trampoline_kernelINS0_14default_configENS1_22reduce_config_selectorItEEZNS1_11reduce_implILb1ES3_N6thrust23THRUST_200600_302600_NS6detail15normal_iteratorINS8_10device_ptrItEEEEPttNS8_4plusItEEEE10hipError_tPvRmT1_T2_T3_mT4_P12ihipStream_tbEUlT_E1_NS1_11comp_targetILNS1_3genE2ELNS1_11target_archE906ELNS1_3gpuE6ELNS1_3repE0EEENS1_30default_config_static_selectorELNS0_4arch9wavefront6targetE1EEEvSK_,"axG",@progbits,_ZN7rocprim17ROCPRIM_400000_NS6detail17trampoline_kernelINS0_14default_configENS1_22reduce_config_selectorItEEZNS1_11reduce_implILb1ES3_N6thrust23THRUST_200600_302600_NS6detail15normal_iteratorINS8_10device_ptrItEEEEPttNS8_4plusItEEEE10hipError_tPvRmT1_T2_T3_mT4_P12ihipStream_tbEUlT_E1_NS1_11comp_targetILNS1_3genE2ELNS1_11target_archE906ELNS1_3gpuE6ELNS1_3repE0EEENS1_30default_config_static_selectorELNS0_4arch9wavefront6targetE1EEEvSK_,comdat
	.protected	_ZN7rocprim17ROCPRIM_400000_NS6detail17trampoline_kernelINS0_14default_configENS1_22reduce_config_selectorItEEZNS1_11reduce_implILb1ES3_N6thrust23THRUST_200600_302600_NS6detail15normal_iteratorINS8_10device_ptrItEEEEPttNS8_4plusItEEEE10hipError_tPvRmT1_T2_T3_mT4_P12ihipStream_tbEUlT_E1_NS1_11comp_targetILNS1_3genE2ELNS1_11target_archE906ELNS1_3gpuE6ELNS1_3repE0EEENS1_30default_config_static_selectorELNS0_4arch9wavefront6targetE1EEEvSK_ ; -- Begin function _ZN7rocprim17ROCPRIM_400000_NS6detail17trampoline_kernelINS0_14default_configENS1_22reduce_config_selectorItEEZNS1_11reduce_implILb1ES3_N6thrust23THRUST_200600_302600_NS6detail15normal_iteratorINS8_10device_ptrItEEEEPttNS8_4plusItEEEE10hipError_tPvRmT1_T2_T3_mT4_P12ihipStream_tbEUlT_E1_NS1_11comp_targetILNS1_3genE2ELNS1_11target_archE906ELNS1_3gpuE6ELNS1_3repE0EEENS1_30default_config_static_selectorELNS0_4arch9wavefront6targetE1EEEvSK_
	.globl	_ZN7rocprim17ROCPRIM_400000_NS6detail17trampoline_kernelINS0_14default_configENS1_22reduce_config_selectorItEEZNS1_11reduce_implILb1ES3_N6thrust23THRUST_200600_302600_NS6detail15normal_iteratorINS8_10device_ptrItEEEEPttNS8_4plusItEEEE10hipError_tPvRmT1_T2_T3_mT4_P12ihipStream_tbEUlT_E1_NS1_11comp_targetILNS1_3genE2ELNS1_11target_archE906ELNS1_3gpuE6ELNS1_3repE0EEENS1_30default_config_static_selectorELNS0_4arch9wavefront6targetE1EEEvSK_
	.p2align	8
	.type	_ZN7rocprim17ROCPRIM_400000_NS6detail17trampoline_kernelINS0_14default_configENS1_22reduce_config_selectorItEEZNS1_11reduce_implILb1ES3_N6thrust23THRUST_200600_302600_NS6detail15normal_iteratorINS8_10device_ptrItEEEEPttNS8_4plusItEEEE10hipError_tPvRmT1_T2_T3_mT4_P12ihipStream_tbEUlT_E1_NS1_11comp_targetILNS1_3genE2ELNS1_11target_archE906ELNS1_3gpuE6ELNS1_3repE0EEENS1_30default_config_static_selectorELNS0_4arch9wavefront6targetE1EEEvSK_,@function
_ZN7rocprim17ROCPRIM_400000_NS6detail17trampoline_kernelINS0_14default_configENS1_22reduce_config_selectorItEEZNS1_11reduce_implILb1ES3_N6thrust23THRUST_200600_302600_NS6detail15normal_iteratorINS8_10device_ptrItEEEEPttNS8_4plusItEEEE10hipError_tPvRmT1_T2_T3_mT4_P12ihipStream_tbEUlT_E1_NS1_11comp_targetILNS1_3genE2ELNS1_11target_archE906ELNS1_3gpuE6ELNS1_3repE0EEENS1_30default_config_static_selectorELNS0_4arch9wavefront6targetE1EEEvSK_: ; @_ZN7rocprim17ROCPRIM_400000_NS6detail17trampoline_kernelINS0_14default_configENS1_22reduce_config_selectorItEEZNS1_11reduce_implILb1ES3_N6thrust23THRUST_200600_302600_NS6detail15normal_iteratorINS8_10device_ptrItEEEEPttNS8_4plusItEEEE10hipError_tPvRmT1_T2_T3_mT4_P12ihipStream_tbEUlT_E1_NS1_11comp_targetILNS1_3genE2ELNS1_11target_archE906ELNS1_3gpuE6ELNS1_3repE0EEENS1_30default_config_static_selectorELNS0_4arch9wavefront6targetE1EEEvSK_
; %bb.0:
	.section	.rodata,"a",@progbits
	.p2align	6, 0x0
	.amdhsa_kernel _ZN7rocprim17ROCPRIM_400000_NS6detail17trampoline_kernelINS0_14default_configENS1_22reduce_config_selectorItEEZNS1_11reduce_implILb1ES3_N6thrust23THRUST_200600_302600_NS6detail15normal_iteratorINS8_10device_ptrItEEEEPttNS8_4plusItEEEE10hipError_tPvRmT1_T2_T3_mT4_P12ihipStream_tbEUlT_E1_NS1_11comp_targetILNS1_3genE2ELNS1_11target_archE906ELNS1_3gpuE6ELNS1_3repE0EEENS1_30default_config_static_selectorELNS0_4arch9wavefront6targetE1EEEvSK_
		.amdhsa_group_segment_fixed_size 0
		.amdhsa_private_segment_fixed_size 0
		.amdhsa_kernarg_size 40
		.amdhsa_user_sgpr_count 2
		.amdhsa_user_sgpr_dispatch_ptr 0
		.amdhsa_user_sgpr_queue_ptr 0
		.amdhsa_user_sgpr_kernarg_segment_ptr 1
		.amdhsa_user_sgpr_dispatch_id 0
		.amdhsa_user_sgpr_kernarg_preload_length 0
		.amdhsa_user_sgpr_kernarg_preload_offset 0
		.amdhsa_user_sgpr_private_segment_size 0
		.amdhsa_uses_dynamic_stack 0
		.amdhsa_enable_private_segment 0
		.amdhsa_system_sgpr_workgroup_id_x 1
		.amdhsa_system_sgpr_workgroup_id_y 0
		.amdhsa_system_sgpr_workgroup_id_z 0
		.amdhsa_system_sgpr_workgroup_info 0
		.amdhsa_system_vgpr_workitem_id 0
		.amdhsa_next_free_vgpr 1
		.amdhsa_next_free_sgpr 0
		.amdhsa_accum_offset 4
		.amdhsa_reserve_vcc 0
		.amdhsa_float_round_mode_32 0
		.amdhsa_float_round_mode_16_64 0
		.amdhsa_float_denorm_mode_32 3
		.amdhsa_float_denorm_mode_16_64 3
		.amdhsa_dx10_clamp 1
		.amdhsa_ieee_mode 1
		.amdhsa_fp16_overflow 0
		.amdhsa_tg_split 0
		.amdhsa_exception_fp_ieee_invalid_op 0
		.amdhsa_exception_fp_denorm_src 0
		.amdhsa_exception_fp_ieee_div_zero 0
		.amdhsa_exception_fp_ieee_overflow 0
		.amdhsa_exception_fp_ieee_underflow 0
		.amdhsa_exception_fp_ieee_inexact 0
		.amdhsa_exception_int_div_zero 0
	.end_amdhsa_kernel
	.section	.text._ZN7rocprim17ROCPRIM_400000_NS6detail17trampoline_kernelINS0_14default_configENS1_22reduce_config_selectorItEEZNS1_11reduce_implILb1ES3_N6thrust23THRUST_200600_302600_NS6detail15normal_iteratorINS8_10device_ptrItEEEEPttNS8_4plusItEEEE10hipError_tPvRmT1_T2_T3_mT4_P12ihipStream_tbEUlT_E1_NS1_11comp_targetILNS1_3genE2ELNS1_11target_archE906ELNS1_3gpuE6ELNS1_3repE0EEENS1_30default_config_static_selectorELNS0_4arch9wavefront6targetE1EEEvSK_,"axG",@progbits,_ZN7rocprim17ROCPRIM_400000_NS6detail17trampoline_kernelINS0_14default_configENS1_22reduce_config_selectorItEEZNS1_11reduce_implILb1ES3_N6thrust23THRUST_200600_302600_NS6detail15normal_iteratorINS8_10device_ptrItEEEEPttNS8_4plusItEEEE10hipError_tPvRmT1_T2_T3_mT4_P12ihipStream_tbEUlT_E1_NS1_11comp_targetILNS1_3genE2ELNS1_11target_archE906ELNS1_3gpuE6ELNS1_3repE0EEENS1_30default_config_static_selectorELNS0_4arch9wavefront6targetE1EEEvSK_,comdat
.Lfunc_end181:
	.size	_ZN7rocprim17ROCPRIM_400000_NS6detail17trampoline_kernelINS0_14default_configENS1_22reduce_config_selectorItEEZNS1_11reduce_implILb1ES3_N6thrust23THRUST_200600_302600_NS6detail15normal_iteratorINS8_10device_ptrItEEEEPttNS8_4plusItEEEE10hipError_tPvRmT1_T2_T3_mT4_P12ihipStream_tbEUlT_E1_NS1_11comp_targetILNS1_3genE2ELNS1_11target_archE906ELNS1_3gpuE6ELNS1_3repE0EEENS1_30default_config_static_selectorELNS0_4arch9wavefront6targetE1EEEvSK_, .Lfunc_end181-_ZN7rocprim17ROCPRIM_400000_NS6detail17trampoline_kernelINS0_14default_configENS1_22reduce_config_selectorItEEZNS1_11reduce_implILb1ES3_N6thrust23THRUST_200600_302600_NS6detail15normal_iteratorINS8_10device_ptrItEEEEPttNS8_4plusItEEEE10hipError_tPvRmT1_T2_T3_mT4_P12ihipStream_tbEUlT_E1_NS1_11comp_targetILNS1_3genE2ELNS1_11target_archE906ELNS1_3gpuE6ELNS1_3repE0EEENS1_30default_config_static_selectorELNS0_4arch9wavefront6targetE1EEEvSK_
                                        ; -- End function
	.set _ZN7rocprim17ROCPRIM_400000_NS6detail17trampoline_kernelINS0_14default_configENS1_22reduce_config_selectorItEEZNS1_11reduce_implILb1ES3_N6thrust23THRUST_200600_302600_NS6detail15normal_iteratorINS8_10device_ptrItEEEEPttNS8_4plusItEEEE10hipError_tPvRmT1_T2_T3_mT4_P12ihipStream_tbEUlT_E1_NS1_11comp_targetILNS1_3genE2ELNS1_11target_archE906ELNS1_3gpuE6ELNS1_3repE0EEENS1_30default_config_static_selectorELNS0_4arch9wavefront6targetE1EEEvSK_.num_vgpr, 0
	.set _ZN7rocprim17ROCPRIM_400000_NS6detail17trampoline_kernelINS0_14default_configENS1_22reduce_config_selectorItEEZNS1_11reduce_implILb1ES3_N6thrust23THRUST_200600_302600_NS6detail15normal_iteratorINS8_10device_ptrItEEEEPttNS8_4plusItEEEE10hipError_tPvRmT1_T2_T3_mT4_P12ihipStream_tbEUlT_E1_NS1_11comp_targetILNS1_3genE2ELNS1_11target_archE906ELNS1_3gpuE6ELNS1_3repE0EEENS1_30default_config_static_selectorELNS0_4arch9wavefront6targetE1EEEvSK_.num_agpr, 0
	.set _ZN7rocprim17ROCPRIM_400000_NS6detail17trampoline_kernelINS0_14default_configENS1_22reduce_config_selectorItEEZNS1_11reduce_implILb1ES3_N6thrust23THRUST_200600_302600_NS6detail15normal_iteratorINS8_10device_ptrItEEEEPttNS8_4plusItEEEE10hipError_tPvRmT1_T2_T3_mT4_P12ihipStream_tbEUlT_E1_NS1_11comp_targetILNS1_3genE2ELNS1_11target_archE906ELNS1_3gpuE6ELNS1_3repE0EEENS1_30default_config_static_selectorELNS0_4arch9wavefront6targetE1EEEvSK_.numbered_sgpr, 0
	.set _ZN7rocprim17ROCPRIM_400000_NS6detail17trampoline_kernelINS0_14default_configENS1_22reduce_config_selectorItEEZNS1_11reduce_implILb1ES3_N6thrust23THRUST_200600_302600_NS6detail15normal_iteratorINS8_10device_ptrItEEEEPttNS8_4plusItEEEE10hipError_tPvRmT1_T2_T3_mT4_P12ihipStream_tbEUlT_E1_NS1_11comp_targetILNS1_3genE2ELNS1_11target_archE906ELNS1_3gpuE6ELNS1_3repE0EEENS1_30default_config_static_selectorELNS0_4arch9wavefront6targetE1EEEvSK_.num_named_barrier, 0
	.set _ZN7rocprim17ROCPRIM_400000_NS6detail17trampoline_kernelINS0_14default_configENS1_22reduce_config_selectorItEEZNS1_11reduce_implILb1ES3_N6thrust23THRUST_200600_302600_NS6detail15normal_iteratorINS8_10device_ptrItEEEEPttNS8_4plusItEEEE10hipError_tPvRmT1_T2_T3_mT4_P12ihipStream_tbEUlT_E1_NS1_11comp_targetILNS1_3genE2ELNS1_11target_archE906ELNS1_3gpuE6ELNS1_3repE0EEENS1_30default_config_static_selectorELNS0_4arch9wavefront6targetE1EEEvSK_.private_seg_size, 0
	.set _ZN7rocprim17ROCPRIM_400000_NS6detail17trampoline_kernelINS0_14default_configENS1_22reduce_config_selectorItEEZNS1_11reduce_implILb1ES3_N6thrust23THRUST_200600_302600_NS6detail15normal_iteratorINS8_10device_ptrItEEEEPttNS8_4plusItEEEE10hipError_tPvRmT1_T2_T3_mT4_P12ihipStream_tbEUlT_E1_NS1_11comp_targetILNS1_3genE2ELNS1_11target_archE906ELNS1_3gpuE6ELNS1_3repE0EEENS1_30default_config_static_selectorELNS0_4arch9wavefront6targetE1EEEvSK_.uses_vcc, 0
	.set _ZN7rocprim17ROCPRIM_400000_NS6detail17trampoline_kernelINS0_14default_configENS1_22reduce_config_selectorItEEZNS1_11reduce_implILb1ES3_N6thrust23THRUST_200600_302600_NS6detail15normal_iteratorINS8_10device_ptrItEEEEPttNS8_4plusItEEEE10hipError_tPvRmT1_T2_T3_mT4_P12ihipStream_tbEUlT_E1_NS1_11comp_targetILNS1_3genE2ELNS1_11target_archE906ELNS1_3gpuE6ELNS1_3repE0EEENS1_30default_config_static_selectorELNS0_4arch9wavefront6targetE1EEEvSK_.uses_flat_scratch, 0
	.set _ZN7rocprim17ROCPRIM_400000_NS6detail17trampoline_kernelINS0_14default_configENS1_22reduce_config_selectorItEEZNS1_11reduce_implILb1ES3_N6thrust23THRUST_200600_302600_NS6detail15normal_iteratorINS8_10device_ptrItEEEEPttNS8_4plusItEEEE10hipError_tPvRmT1_T2_T3_mT4_P12ihipStream_tbEUlT_E1_NS1_11comp_targetILNS1_3genE2ELNS1_11target_archE906ELNS1_3gpuE6ELNS1_3repE0EEENS1_30default_config_static_selectorELNS0_4arch9wavefront6targetE1EEEvSK_.has_dyn_sized_stack, 0
	.set _ZN7rocprim17ROCPRIM_400000_NS6detail17trampoline_kernelINS0_14default_configENS1_22reduce_config_selectorItEEZNS1_11reduce_implILb1ES3_N6thrust23THRUST_200600_302600_NS6detail15normal_iteratorINS8_10device_ptrItEEEEPttNS8_4plusItEEEE10hipError_tPvRmT1_T2_T3_mT4_P12ihipStream_tbEUlT_E1_NS1_11comp_targetILNS1_3genE2ELNS1_11target_archE906ELNS1_3gpuE6ELNS1_3repE0EEENS1_30default_config_static_selectorELNS0_4arch9wavefront6targetE1EEEvSK_.has_recursion, 0
	.set _ZN7rocprim17ROCPRIM_400000_NS6detail17trampoline_kernelINS0_14default_configENS1_22reduce_config_selectorItEEZNS1_11reduce_implILb1ES3_N6thrust23THRUST_200600_302600_NS6detail15normal_iteratorINS8_10device_ptrItEEEEPttNS8_4plusItEEEE10hipError_tPvRmT1_T2_T3_mT4_P12ihipStream_tbEUlT_E1_NS1_11comp_targetILNS1_3genE2ELNS1_11target_archE906ELNS1_3gpuE6ELNS1_3repE0EEENS1_30default_config_static_selectorELNS0_4arch9wavefront6targetE1EEEvSK_.has_indirect_call, 0
	.section	.AMDGPU.csdata,"",@progbits
; Kernel info:
; codeLenInByte = 0
; TotalNumSgprs: 6
; NumVgprs: 0
; NumAgprs: 0
; TotalNumVgprs: 0
; ScratchSize: 0
; MemoryBound: 0
; FloatMode: 240
; IeeeMode: 1
; LDSByteSize: 0 bytes/workgroup (compile time only)
; SGPRBlocks: 0
; VGPRBlocks: 0
; NumSGPRsForWavesPerEU: 6
; NumVGPRsForWavesPerEU: 1
; AccumOffset: 4
; Occupancy: 8
; WaveLimiterHint : 0
; COMPUTE_PGM_RSRC2:SCRATCH_EN: 0
; COMPUTE_PGM_RSRC2:USER_SGPR: 2
; COMPUTE_PGM_RSRC2:TRAP_HANDLER: 0
; COMPUTE_PGM_RSRC2:TGID_X_EN: 1
; COMPUTE_PGM_RSRC2:TGID_Y_EN: 0
; COMPUTE_PGM_RSRC2:TGID_Z_EN: 0
; COMPUTE_PGM_RSRC2:TIDIG_COMP_CNT: 0
; COMPUTE_PGM_RSRC3_GFX90A:ACCUM_OFFSET: 0
; COMPUTE_PGM_RSRC3_GFX90A:TG_SPLIT: 0
	.section	.text._ZN7rocprim17ROCPRIM_400000_NS6detail17trampoline_kernelINS0_14default_configENS1_22reduce_config_selectorItEEZNS1_11reduce_implILb1ES3_N6thrust23THRUST_200600_302600_NS6detail15normal_iteratorINS8_10device_ptrItEEEEPttNS8_4plusItEEEE10hipError_tPvRmT1_T2_T3_mT4_P12ihipStream_tbEUlT_E1_NS1_11comp_targetILNS1_3genE10ELNS1_11target_archE1201ELNS1_3gpuE5ELNS1_3repE0EEENS1_30default_config_static_selectorELNS0_4arch9wavefront6targetE1EEEvSK_,"axG",@progbits,_ZN7rocprim17ROCPRIM_400000_NS6detail17trampoline_kernelINS0_14default_configENS1_22reduce_config_selectorItEEZNS1_11reduce_implILb1ES3_N6thrust23THRUST_200600_302600_NS6detail15normal_iteratorINS8_10device_ptrItEEEEPttNS8_4plusItEEEE10hipError_tPvRmT1_T2_T3_mT4_P12ihipStream_tbEUlT_E1_NS1_11comp_targetILNS1_3genE10ELNS1_11target_archE1201ELNS1_3gpuE5ELNS1_3repE0EEENS1_30default_config_static_selectorELNS0_4arch9wavefront6targetE1EEEvSK_,comdat
	.protected	_ZN7rocprim17ROCPRIM_400000_NS6detail17trampoline_kernelINS0_14default_configENS1_22reduce_config_selectorItEEZNS1_11reduce_implILb1ES3_N6thrust23THRUST_200600_302600_NS6detail15normal_iteratorINS8_10device_ptrItEEEEPttNS8_4plusItEEEE10hipError_tPvRmT1_T2_T3_mT4_P12ihipStream_tbEUlT_E1_NS1_11comp_targetILNS1_3genE10ELNS1_11target_archE1201ELNS1_3gpuE5ELNS1_3repE0EEENS1_30default_config_static_selectorELNS0_4arch9wavefront6targetE1EEEvSK_ ; -- Begin function _ZN7rocprim17ROCPRIM_400000_NS6detail17trampoline_kernelINS0_14default_configENS1_22reduce_config_selectorItEEZNS1_11reduce_implILb1ES3_N6thrust23THRUST_200600_302600_NS6detail15normal_iteratorINS8_10device_ptrItEEEEPttNS8_4plusItEEEE10hipError_tPvRmT1_T2_T3_mT4_P12ihipStream_tbEUlT_E1_NS1_11comp_targetILNS1_3genE10ELNS1_11target_archE1201ELNS1_3gpuE5ELNS1_3repE0EEENS1_30default_config_static_selectorELNS0_4arch9wavefront6targetE1EEEvSK_
	.globl	_ZN7rocprim17ROCPRIM_400000_NS6detail17trampoline_kernelINS0_14default_configENS1_22reduce_config_selectorItEEZNS1_11reduce_implILb1ES3_N6thrust23THRUST_200600_302600_NS6detail15normal_iteratorINS8_10device_ptrItEEEEPttNS8_4plusItEEEE10hipError_tPvRmT1_T2_T3_mT4_P12ihipStream_tbEUlT_E1_NS1_11comp_targetILNS1_3genE10ELNS1_11target_archE1201ELNS1_3gpuE5ELNS1_3repE0EEENS1_30default_config_static_selectorELNS0_4arch9wavefront6targetE1EEEvSK_
	.p2align	8
	.type	_ZN7rocprim17ROCPRIM_400000_NS6detail17trampoline_kernelINS0_14default_configENS1_22reduce_config_selectorItEEZNS1_11reduce_implILb1ES3_N6thrust23THRUST_200600_302600_NS6detail15normal_iteratorINS8_10device_ptrItEEEEPttNS8_4plusItEEEE10hipError_tPvRmT1_T2_T3_mT4_P12ihipStream_tbEUlT_E1_NS1_11comp_targetILNS1_3genE10ELNS1_11target_archE1201ELNS1_3gpuE5ELNS1_3repE0EEENS1_30default_config_static_selectorELNS0_4arch9wavefront6targetE1EEEvSK_,@function
_ZN7rocprim17ROCPRIM_400000_NS6detail17trampoline_kernelINS0_14default_configENS1_22reduce_config_selectorItEEZNS1_11reduce_implILb1ES3_N6thrust23THRUST_200600_302600_NS6detail15normal_iteratorINS8_10device_ptrItEEEEPttNS8_4plusItEEEE10hipError_tPvRmT1_T2_T3_mT4_P12ihipStream_tbEUlT_E1_NS1_11comp_targetILNS1_3genE10ELNS1_11target_archE1201ELNS1_3gpuE5ELNS1_3repE0EEENS1_30default_config_static_selectorELNS0_4arch9wavefront6targetE1EEEvSK_: ; @_ZN7rocprim17ROCPRIM_400000_NS6detail17trampoline_kernelINS0_14default_configENS1_22reduce_config_selectorItEEZNS1_11reduce_implILb1ES3_N6thrust23THRUST_200600_302600_NS6detail15normal_iteratorINS8_10device_ptrItEEEEPttNS8_4plusItEEEE10hipError_tPvRmT1_T2_T3_mT4_P12ihipStream_tbEUlT_E1_NS1_11comp_targetILNS1_3genE10ELNS1_11target_archE1201ELNS1_3gpuE5ELNS1_3repE0EEENS1_30default_config_static_selectorELNS0_4arch9wavefront6targetE1EEEvSK_
; %bb.0:
	.section	.rodata,"a",@progbits
	.p2align	6, 0x0
	.amdhsa_kernel _ZN7rocprim17ROCPRIM_400000_NS6detail17trampoline_kernelINS0_14default_configENS1_22reduce_config_selectorItEEZNS1_11reduce_implILb1ES3_N6thrust23THRUST_200600_302600_NS6detail15normal_iteratorINS8_10device_ptrItEEEEPttNS8_4plusItEEEE10hipError_tPvRmT1_T2_T3_mT4_P12ihipStream_tbEUlT_E1_NS1_11comp_targetILNS1_3genE10ELNS1_11target_archE1201ELNS1_3gpuE5ELNS1_3repE0EEENS1_30default_config_static_selectorELNS0_4arch9wavefront6targetE1EEEvSK_
		.amdhsa_group_segment_fixed_size 0
		.amdhsa_private_segment_fixed_size 0
		.amdhsa_kernarg_size 40
		.amdhsa_user_sgpr_count 2
		.amdhsa_user_sgpr_dispatch_ptr 0
		.amdhsa_user_sgpr_queue_ptr 0
		.amdhsa_user_sgpr_kernarg_segment_ptr 1
		.amdhsa_user_sgpr_dispatch_id 0
		.amdhsa_user_sgpr_kernarg_preload_length 0
		.amdhsa_user_sgpr_kernarg_preload_offset 0
		.amdhsa_user_sgpr_private_segment_size 0
		.amdhsa_uses_dynamic_stack 0
		.amdhsa_enable_private_segment 0
		.amdhsa_system_sgpr_workgroup_id_x 1
		.amdhsa_system_sgpr_workgroup_id_y 0
		.amdhsa_system_sgpr_workgroup_id_z 0
		.amdhsa_system_sgpr_workgroup_info 0
		.amdhsa_system_vgpr_workitem_id 0
		.amdhsa_next_free_vgpr 1
		.amdhsa_next_free_sgpr 0
		.amdhsa_accum_offset 4
		.amdhsa_reserve_vcc 0
		.amdhsa_float_round_mode_32 0
		.amdhsa_float_round_mode_16_64 0
		.amdhsa_float_denorm_mode_32 3
		.amdhsa_float_denorm_mode_16_64 3
		.amdhsa_dx10_clamp 1
		.amdhsa_ieee_mode 1
		.amdhsa_fp16_overflow 0
		.amdhsa_tg_split 0
		.amdhsa_exception_fp_ieee_invalid_op 0
		.amdhsa_exception_fp_denorm_src 0
		.amdhsa_exception_fp_ieee_div_zero 0
		.amdhsa_exception_fp_ieee_overflow 0
		.amdhsa_exception_fp_ieee_underflow 0
		.amdhsa_exception_fp_ieee_inexact 0
		.amdhsa_exception_int_div_zero 0
	.end_amdhsa_kernel
	.section	.text._ZN7rocprim17ROCPRIM_400000_NS6detail17trampoline_kernelINS0_14default_configENS1_22reduce_config_selectorItEEZNS1_11reduce_implILb1ES3_N6thrust23THRUST_200600_302600_NS6detail15normal_iteratorINS8_10device_ptrItEEEEPttNS8_4plusItEEEE10hipError_tPvRmT1_T2_T3_mT4_P12ihipStream_tbEUlT_E1_NS1_11comp_targetILNS1_3genE10ELNS1_11target_archE1201ELNS1_3gpuE5ELNS1_3repE0EEENS1_30default_config_static_selectorELNS0_4arch9wavefront6targetE1EEEvSK_,"axG",@progbits,_ZN7rocprim17ROCPRIM_400000_NS6detail17trampoline_kernelINS0_14default_configENS1_22reduce_config_selectorItEEZNS1_11reduce_implILb1ES3_N6thrust23THRUST_200600_302600_NS6detail15normal_iteratorINS8_10device_ptrItEEEEPttNS8_4plusItEEEE10hipError_tPvRmT1_T2_T3_mT4_P12ihipStream_tbEUlT_E1_NS1_11comp_targetILNS1_3genE10ELNS1_11target_archE1201ELNS1_3gpuE5ELNS1_3repE0EEENS1_30default_config_static_selectorELNS0_4arch9wavefront6targetE1EEEvSK_,comdat
.Lfunc_end182:
	.size	_ZN7rocprim17ROCPRIM_400000_NS6detail17trampoline_kernelINS0_14default_configENS1_22reduce_config_selectorItEEZNS1_11reduce_implILb1ES3_N6thrust23THRUST_200600_302600_NS6detail15normal_iteratorINS8_10device_ptrItEEEEPttNS8_4plusItEEEE10hipError_tPvRmT1_T2_T3_mT4_P12ihipStream_tbEUlT_E1_NS1_11comp_targetILNS1_3genE10ELNS1_11target_archE1201ELNS1_3gpuE5ELNS1_3repE0EEENS1_30default_config_static_selectorELNS0_4arch9wavefront6targetE1EEEvSK_, .Lfunc_end182-_ZN7rocprim17ROCPRIM_400000_NS6detail17trampoline_kernelINS0_14default_configENS1_22reduce_config_selectorItEEZNS1_11reduce_implILb1ES3_N6thrust23THRUST_200600_302600_NS6detail15normal_iteratorINS8_10device_ptrItEEEEPttNS8_4plusItEEEE10hipError_tPvRmT1_T2_T3_mT4_P12ihipStream_tbEUlT_E1_NS1_11comp_targetILNS1_3genE10ELNS1_11target_archE1201ELNS1_3gpuE5ELNS1_3repE0EEENS1_30default_config_static_selectorELNS0_4arch9wavefront6targetE1EEEvSK_
                                        ; -- End function
	.set _ZN7rocprim17ROCPRIM_400000_NS6detail17trampoline_kernelINS0_14default_configENS1_22reduce_config_selectorItEEZNS1_11reduce_implILb1ES3_N6thrust23THRUST_200600_302600_NS6detail15normal_iteratorINS8_10device_ptrItEEEEPttNS8_4plusItEEEE10hipError_tPvRmT1_T2_T3_mT4_P12ihipStream_tbEUlT_E1_NS1_11comp_targetILNS1_3genE10ELNS1_11target_archE1201ELNS1_3gpuE5ELNS1_3repE0EEENS1_30default_config_static_selectorELNS0_4arch9wavefront6targetE1EEEvSK_.num_vgpr, 0
	.set _ZN7rocprim17ROCPRIM_400000_NS6detail17trampoline_kernelINS0_14default_configENS1_22reduce_config_selectorItEEZNS1_11reduce_implILb1ES3_N6thrust23THRUST_200600_302600_NS6detail15normal_iteratorINS8_10device_ptrItEEEEPttNS8_4plusItEEEE10hipError_tPvRmT1_T2_T3_mT4_P12ihipStream_tbEUlT_E1_NS1_11comp_targetILNS1_3genE10ELNS1_11target_archE1201ELNS1_3gpuE5ELNS1_3repE0EEENS1_30default_config_static_selectorELNS0_4arch9wavefront6targetE1EEEvSK_.num_agpr, 0
	.set _ZN7rocprim17ROCPRIM_400000_NS6detail17trampoline_kernelINS0_14default_configENS1_22reduce_config_selectorItEEZNS1_11reduce_implILb1ES3_N6thrust23THRUST_200600_302600_NS6detail15normal_iteratorINS8_10device_ptrItEEEEPttNS8_4plusItEEEE10hipError_tPvRmT1_T2_T3_mT4_P12ihipStream_tbEUlT_E1_NS1_11comp_targetILNS1_3genE10ELNS1_11target_archE1201ELNS1_3gpuE5ELNS1_3repE0EEENS1_30default_config_static_selectorELNS0_4arch9wavefront6targetE1EEEvSK_.numbered_sgpr, 0
	.set _ZN7rocprim17ROCPRIM_400000_NS6detail17trampoline_kernelINS0_14default_configENS1_22reduce_config_selectorItEEZNS1_11reduce_implILb1ES3_N6thrust23THRUST_200600_302600_NS6detail15normal_iteratorINS8_10device_ptrItEEEEPttNS8_4plusItEEEE10hipError_tPvRmT1_T2_T3_mT4_P12ihipStream_tbEUlT_E1_NS1_11comp_targetILNS1_3genE10ELNS1_11target_archE1201ELNS1_3gpuE5ELNS1_3repE0EEENS1_30default_config_static_selectorELNS0_4arch9wavefront6targetE1EEEvSK_.num_named_barrier, 0
	.set _ZN7rocprim17ROCPRIM_400000_NS6detail17trampoline_kernelINS0_14default_configENS1_22reduce_config_selectorItEEZNS1_11reduce_implILb1ES3_N6thrust23THRUST_200600_302600_NS6detail15normal_iteratorINS8_10device_ptrItEEEEPttNS8_4plusItEEEE10hipError_tPvRmT1_T2_T3_mT4_P12ihipStream_tbEUlT_E1_NS1_11comp_targetILNS1_3genE10ELNS1_11target_archE1201ELNS1_3gpuE5ELNS1_3repE0EEENS1_30default_config_static_selectorELNS0_4arch9wavefront6targetE1EEEvSK_.private_seg_size, 0
	.set _ZN7rocprim17ROCPRIM_400000_NS6detail17trampoline_kernelINS0_14default_configENS1_22reduce_config_selectorItEEZNS1_11reduce_implILb1ES3_N6thrust23THRUST_200600_302600_NS6detail15normal_iteratorINS8_10device_ptrItEEEEPttNS8_4plusItEEEE10hipError_tPvRmT1_T2_T3_mT4_P12ihipStream_tbEUlT_E1_NS1_11comp_targetILNS1_3genE10ELNS1_11target_archE1201ELNS1_3gpuE5ELNS1_3repE0EEENS1_30default_config_static_selectorELNS0_4arch9wavefront6targetE1EEEvSK_.uses_vcc, 0
	.set _ZN7rocprim17ROCPRIM_400000_NS6detail17trampoline_kernelINS0_14default_configENS1_22reduce_config_selectorItEEZNS1_11reduce_implILb1ES3_N6thrust23THRUST_200600_302600_NS6detail15normal_iteratorINS8_10device_ptrItEEEEPttNS8_4plusItEEEE10hipError_tPvRmT1_T2_T3_mT4_P12ihipStream_tbEUlT_E1_NS1_11comp_targetILNS1_3genE10ELNS1_11target_archE1201ELNS1_3gpuE5ELNS1_3repE0EEENS1_30default_config_static_selectorELNS0_4arch9wavefront6targetE1EEEvSK_.uses_flat_scratch, 0
	.set _ZN7rocprim17ROCPRIM_400000_NS6detail17trampoline_kernelINS0_14default_configENS1_22reduce_config_selectorItEEZNS1_11reduce_implILb1ES3_N6thrust23THRUST_200600_302600_NS6detail15normal_iteratorINS8_10device_ptrItEEEEPttNS8_4plusItEEEE10hipError_tPvRmT1_T2_T3_mT4_P12ihipStream_tbEUlT_E1_NS1_11comp_targetILNS1_3genE10ELNS1_11target_archE1201ELNS1_3gpuE5ELNS1_3repE0EEENS1_30default_config_static_selectorELNS0_4arch9wavefront6targetE1EEEvSK_.has_dyn_sized_stack, 0
	.set _ZN7rocprim17ROCPRIM_400000_NS6detail17trampoline_kernelINS0_14default_configENS1_22reduce_config_selectorItEEZNS1_11reduce_implILb1ES3_N6thrust23THRUST_200600_302600_NS6detail15normal_iteratorINS8_10device_ptrItEEEEPttNS8_4plusItEEEE10hipError_tPvRmT1_T2_T3_mT4_P12ihipStream_tbEUlT_E1_NS1_11comp_targetILNS1_3genE10ELNS1_11target_archE1201ELNS1_3gpuE5ELNS1_3repE0EEENS1_30default_config_static_selectorELNS0_4arch9wavefront6targetE1EEEvSK_.has_recursion, 0
	.set _ZN7rocprim17ROCPRIM_400000_NS6detail17trampoline_kernelINS0_14default_configENS1_22reduce_config_selectorItEEZNS1_11reduce_implILb1ES3_N6thrust23THRUST_200600_302600_NS6detail15normal_iteratorINS8_10device_ptrItEEEEPttNS8_4plusItEEEE10hipError_tPvRmT1_T2_T3_mT4_P12ihipStream_tbEUlT_E1_NS1_11comp_targetILNS1_3genE10ELNS1_11target_archE1201ELNS1_3gpuE5ELNS1_3repE0EEENS1_30default_config_static_selectorELNS0_4arch9wavefront6targetE1EEEvSK_.has_indirect_call, 0
	.section	.AMDGPU.csdata,"",@progbits
; Kernel info:
; codeLenInByte = 0
; TotalNumSgprs: 6
; NumVgprs: 0
; NumAgprs: 0
; TotalNumVgprs: 0
; ScratchSize: 0
; MemoryBound: 0
; FloatMode: 240
; IeeeMode: 1
; LDSByteSize: 0 bytes/workgroup (compile time only)
; SGPRBlocks: 0
; VGPRBlocks: 0
; NumSGPRsForWavesPerEU: 6
; NumVGPRsForWavesPerEU: 1
; AccumOffset: 4
; Occupancy: 8
; WaveLimiterHint : 0
; COMPUTE_PGM_RSRC2:SCRATCH_EN: 0
; COMPUTE_PGM_RSRC2:USER_SGPR: 2
; COMPUTE_PGM_RSRC2:TRAP_HANDLER: 0
; COMPUTE_PGM_RSRC2:TGID_X_EN: 1
; COMPUTE_PGM_RSRC2:TGID_Y_EN: 0
; COMPUTE_PGM_RSRC2:TGID_Z_EN: 0
; COMPUTE_PGM_RSRC2:TIDIG_COMP_CNT: 0
; COMPUTE_PGM_RSRC3_GFX90A:ACCUM_OFFSET: 0
; COMPUTE_PGM_RSRC3_GFX90A:TG_SPLIT: 0
	.section	.text._ZN7rocprim17ROCPRIM_400000_NS6detail17trampoline_kernelINS0_14default_configENS1_22reduce_config_selectorItEEZNS1_11reduce_implILb1ES3_N6thrust23THRUST_200600_302600_NS6detail15normal_iteratorINS8_10device_ptrItEEEEPttNS8_4plusItEEEE10hipError_tPvRmT1_T2_T3_mT4_P12ihipStream_tbEUlT_E1_NS1_11comp_targetILNS1_3genE10ELNS1_11target_archE1200ELNS1_3gpuE4ELNS1_3repE0EEENS1_30default_config_static_selectorELNS0_4arch9wavefront6targetE1EEEvSK_,"axG",@progbits,_ZN7rocprim17ROCPRIM_400000_NS6detail17trampoline_kernelINS0_14default_configENS1_22reduce_config_selectorItEEZNS1_11reduce_implILb1ES3_N6thrust23THRUST_200600_302600_NS6detail15normal_iteratorINS8_10device_ptrItEEEEPttNS8_4plusItEEEE10hipError_tPvRmT1_T2_T3_mT4_P12ihipStream_tbEUlT_E1_NS1_11comp_targetILNS1_3genE10ELNS1_11target_archE1200ELNS1_3gpuE4ELNS1_3repE0EEENS1_30default_config_static_selectorELNS0_4arch9wavefront6targetE1EEEvSK_,comdat
	.protected	_ZN7rocprim17ROCPRIM_400000_NS6detail17trampoline_kernelINS0_14default_configENS1_22reduce_config_selectorItEEZNS1_11reduce_implILb1ES3_N6thrust23THRUST_200600_302600_NS6detail15normal_iteratorINS8_10device_ptrItEEEEPttNS8_4plusItEEEE10hipError_tPvRmT1_T2_T3_mT4_P12ihipStream_tbEUlT_E1_NS1_11comp_targetILNS1_3genE10ELNS1_11target_archE1200ELNS1_3gpuE4ELNS1_3repE0EEENS1_30default_config_static_selectorELNS0_4arch9wavefront6targetE1EEEvSK_ ; -- Begin function _ZN7rocprim17ROCPRIM_400000_NS6detail17trampoline_kernelINS0_14default_configENS1_22reduce_config_selectorItEEZNS1_11reduce_implILb1ES3_N6thrust23THRUST_200600_302600_NS6detail15normal_iteratorINS8_10device_ptrItEEEEPttNS8_4plusItEEEE10hipError_tPvRmT1_T2_T3_mT4_P12ihipStream_tbEUlT_E1_NS1_11comp_targetILNS1_3genE10ELNS1_11target_archE1200ELNS1_3gpuE4ELNS1_3repE0EEENS1_30default_config_static_selectorELNS0_4arch9wavefront6targetE1EEEvSK_
	.globl	_ZN7rocprim17ROCPRIM_400000_NS6detail17trampoline_kernelINS0_14default_configENS1_22reduce_config_selectorItEEZNS1_11reduce_implILb1ES3_N6thrust23THRUST_200600_302600_NS6detail15normal_iteratorINS8_10device_ptrItEEEEPttNS8_4plusItEEEE10hipError_tPvRmT1_T2_T3_mT4_P12ihipStream_tbEUlT_E1_NS1_11comp_targetILNS1_3genE10ELNS1_11target_archE1200ELNS1_3gpuE4ELNS1_3repE0EEENS1_30default_config_static_selectorELNS0_4arch9wavefront6targetE1EEEvSK_
	.p2align	8
	.type	_ZN7rocprim17ROCPRIM_400000_NS6detail17trampoline_kernelINS0_14default_configENS1_22reduce_config_selectorItEEZNS1_11reduce_implILb1ES3_N6thrust23THRUST_200600_302600_NS6detail15normal_iteratorINS8_10device_ptrItEEEEPttNS8_4plusItEEEE10hipError_tPvRmT1_T2_T3_mT4_P12ihipStream_tbEUlT_E1_NS1_11comp_targetILNS1_3genE10ELNS1_11target_archE1200ELNS1_3gpuE4ELNS1_3repE0EEENS1_30default_config_static_selectorELNS0_4arch9wavefront6targetE1EEEvSK_,@function
_ZN7rocprim17ROCPRIM_400000_NS6detail17trampoline_kernelINS0_14default_configENS1_22reduce_config_selectorItEEZNS1_11reduce_implILb1ES3_N6thrust23THRUST_200600_302600_NS6detail15normal_iteratorINS8_10device_ptrItEEEEPttNS8_4plusItEEEE10hipError_tPvRmT1_T2_T3_mT4_P12ihipStream_tbEUlT_E1_NS1_11comp_targetILNS1_3genE10ELNS1_11target_archE1200ELNS1_3gpuE4ELNS1_3repE0EEENS1_30default_config_static_selectorELNS0_4arch9wavefront6targetE1EEEvSK_: ; @_ZN7rocprim17ROCPRIM_400000_NS6detail17trampoline_kernelINS0_14default_configENS1_22reduce_config_selectorItEEZNS1_11reduce_implILb1ES3_N6thrust23THRUST_200600_302600_NS6detail15normal_iteratorINS8_10device_ptrItEEEEPttNS8_4plusItEEEE10hipError_tPvRmT1_T2_T3_mT4_P12ihipStream_tbEUlT_E1_NS1_11comp_targetILNS1_3genE10ELNS1_11target_archE1200ELNS1_3gpuE4ELNS1_3repE0EEENS1_30default_config_static_selectorELNS0_4arch9wavefront6targetE1EEEvSK_
; %bb.0:
	.section	.rodata,"a",@progbits
	.p2align	6, 0x0
	.amdhsa_kernel _ZN7rocprim17ROCPRIM_400000_NS6detail17trampoline_kernelINS0_14default_configENS1_22reduce_config_selectorItEEZNS1_11reduce_implILb1ES3_N6thrust23THRUST_200600_302600_NS6detail15normal_iteratorINS8_10device_ptrItEEEEPttNS8_4plusItEEEE10hipError_tPvRmT1_T2_T3_mT4_P12ihipStream_tbEUlT_E1_NS1_11comp_targetILNS1_3genE10ELNS1_11target_archE1200ELNS1_3gpuE4ELNS1_3repE0EEENS1_30default_config_static_selectorELNS0_4arch9wavefront6targetE1EEEvSK_
		.amdhsa_group_segment_fixed_size 0
		.amdhsa_private_segment_fixed_size 0
		.amdhsa_kernarg_size 40
		.amdhsa_user_sgpr_count 2
		.amdhsa_user_sgpr_dispatch_ptr 0
		.amdhsa_user_sgpr_queue_ptr 0
		.amdhsa_user_sgpr_kernarg_segment_ptr 1
		.amdhsa_user_sgpr_dispatch_id 0
		.amdhsa_user_sgpr_kernarg_preload_length 0
		.amdhsa_user_sgpr_kernarg_preload_offset 0
		.amdhsa_user_sgpr_private_segment_size 0
		.amdhsa_uses_dynamic_stack 0
		.amdhsa_enable_private_segment 0
		.amdhsa_system_sgpr_workgroup_id_x 1
		.amdhsa_system_sgpr_workgroup_id_y 0
		.amdhsa_system_sgpr_workgroup_id_z 0
		.amdhsa_system_sgpr_workgroup_info 0
		.amdhsa_system_vgpr_workitem_id 0
		.amdhsa_next_free_vgpr 1
		.amdhsa_next_free_sgpr 0
		.amdhsa_accum_offset 4
		.amdhsa_reserve_vcc 0
		.amdhsa_float_round_mode_32 0
		.amdhsa_float_round_mode_16_64 0
		.amdhsa_float_denorm_mode_32 3
		.amdhsa_float_denorm_mode_16_64 3
		.amdhsa_dx10_clamp 1
		.amdhsa_ieee_mode 1
		.amdhsa_fp16_overflow 0
		.amdhsa_tg_split 0
		.amdhsa_exception_fp_ieee_invalid_op 0
		.amdhsa_exception_fp_denorm_src 0
		.amdhsa_exception_fp_ieee_div_zero 0
		.amdhsa_exception_fp_ieee_overflow 0
		.amdhsa_exception_fp_ieee_underflow 0
		.amdhsa_exception_fp_ieee_inexact 0
		.amdhsa_exception_int_div_zero 0
	.end_amdhsa_kernel
	.section	.text._ZN7rocprim17ROCPRIM_400000_NS6detail17trampoline_kernelINS0_14default_configENS1_22reduce_config_selectorItEEZNS1_11reduce_implILb1ES3_N6thrust23THRUST_200600_302600_NS6detail15normal_iteratorINS8_10device_ptrItEEEEPttNS8_4plusItEEEE10hipError_tPvRmT1_T2_T3_mT4_P12ihipStream_tbEUlT_E1_NS1_11comp_targetILNS1_3genE10ELNS1_11target_archE1200ELNS1_3gpuE4ELNS1_3repE0EEENS1_30default_config_static_selectorELNS0_4arch9wavefront6targetE1EEEvSK_,"axG",@progbits,_ZN7rocprim17ROCPRIM_400000_NS6detail17trampoline_kernelINS0_14default_configENS1_22reduce_config_selectorItEEZNS1_11reduce_implILb1ES3_N6thrust23THRUST_200600_302600_NS6detail15normal_iteratorINS8_10device_ptrItEEEEPttNS8_4plusItEEEE10hipError_tPvRmT1_T2_T3_mT4_P12ihipStream_tbEUlT_E1_NS1_11comp_targetILNS1_3genE10ELNS1_11target_archE1200ELNS1_3gpuE4ELNS1_3repE0EEENS1_30default_config_static_selectorELNS0_4arch9wavefront6targetE1EEEvSK_,comdat
.Lfunc_end183:
	.size	_ZN7rocprim17ROCPRIM_400000_NS6detail17trampoline_kernelINS0_14default_configENS1_22reduce_config_selectorItEEZNS1_11reduce_implILb1ES3_N6thrust23THRUST_200600_302600_NS6detail15normal_iteratorINS8_10device_ptrItEEEEPttNS8_4plusItEEEE10hipError_tPvRmT1_T2_T3_mT4_P12ihipStream_tbEUlT_E1_NS1_11comp_targetILNS1_3genE10ELNS1_11target_archE1200ELNS1_3gpuE4ELNS1_3repE0EEENS1_30default_config_static_selectorELNS0_4arch9wavefront6targetE1EEEvSK_, .Lfunc_end183-_ZN7rocprim17ROCPRIM_400000_NS6detail17trampoline_kernelINS0_14default_configENS1_22reduce_config_selectorItEEZNS1_11reduce_implILb1ES3_N6thrust23THRUST_200600_302600_NS6detail15normal_iteratorINS8_10device_ptrItEEEEPttNS8_4plusItEEEE10hipError_tPvRmT1_T2_T3_mT4_P12ihipStream_tbEUlT_E1_NS1_11comp_targetILNS1_3genE10ELNS1_11target_archE1200ELNS1_3gpuE4ELNS1_3repE0EEENS1_30default_config_static_selectorELNS0_4arch9wavefront6targetE1EEEvSK_
                                        ; -- End function
	.set _ZN7rocprim17ROCPRIM_400000_NS6detail17trampoline_kernelINS0_14default_configENS1_22reduce_config_selectorItEEZNS1_11reduce_implILb1ES3_N6thrust23THRUST_200600_302600_NS6detail15normal_iteratorINS8_10device_ptrItEEEEPttNS8_4plusItEEEE10hipError_tPvRmT1_T2_T3_mT4_P12ihipStream_tbEUlT_E1_NS1_11comp_targetILNS1_3genE10ELNS1_11target_archE1200ELNS1_3gpuE4ELNS1_3repE0EEENS1_30default_config_static_selectorELNS0_4arch9wavefront6targetE1EEEvSK_.num_vgpr, 0
	.set _ZN7rocprim17ROCPRIM_400000_NS6detail17trampoline_kernelINS0_14default_configENS1_22reduce_config_selectorItEEZNS1_11reduce_implILb1ES3_N6thrust23THRUST_200600_302600_NS6detail15normal_iteratorINS8_10device_ptrItEEEEPttNS8_4plusItEEEE10hipError_tPvRmT1_T2_T3_mT4_P12ihipStream_tbEUlT_E1_NS1_11comp_targetILNS1_3genE10ELNS1_11target_archE1200ELNS1_3gpuE4ELNS1_3repE0EEENS1_30default_config_static_selectorELNS0_4arch9wavefront6targetE1EEEvSK_.num_agpr, 0
	.set _ZN7rocprim17ROCPRIM_400000_NS6detail17trampoline_kernelINS0_14default_configENS1_22reduce_config_selectorItEEZNS1_11reduce_implILb1ES3_N6thrust23THRUST_200600_302600_NS6detail15normal_iteratorINS8_10device_ptrItEEEEPttNS8_4plusItEEEE10hipError_tPvRmT1_T2_T3_mT4_P12ihipStream_tbEUlT_E1_NS1_11comp_targetILNS1_3genE10ELNS1_11target_archE1200ELNS1_3gpuE4ELNS1_3repE0EEENS1_30default_config_static_selectorELNS0_4arch9wavefront6targetE1EEEvSK_.numbered_sgpr, 0
	.set _ZN7rocprim17ROCPRIM_400000_NS6detail17trampoline_kernelINS0_14default_configENS1_22reduce_config_selectorItEEZNS1_11reduce_implILb1ES3_N6thrust23THRUST_200600_302600_NS6detail15normal_iteratorINS8_10device_ptrItEEEEPttNS8_4plusItEEEE10hipError_tPvRmT1_T2_T3_mT4_P12ihipStream_tbEUlT_E1_NS1_11comp_targetILNS1_3genE10ELNS1_11target_archE1200ELNS1_3gpuE4ELNS1_3repE0EEENS1_30default_config_static_selectorELNS0_4arch9wavefront6targetE1EEEvSK_.num_named_barrier, 0
	.set _ZN7rocprim17ROCPRIM_400000_NS6detail17trampoline_kernelINS0_14default_configENS1_22reduce_config_selectorItEEZNS1_11reduce_implILb1ES3_N6thrust23THRUST_200600_302600_NS6detail15normal_iteratorINS8_10device_ptrItEEEEPttNS8_4plusItEEEE10hipError_tPvRmT1_T2_T3_mT4_P12ihipStream_tbEUlT_E1_NS1_11comp_targetILNS1_3genE10ELNS1_11target_archE1200ELNS1_3gpuE4ELNS1_3repE0EEENS1_30default_config_static_selectorELNS0_4arch9wavefront6targetE1EEEvSK_.private_seg_size, 0
	.set _ZN7rocprim17ROCPRIM_400000_NS6detail17trampoline_kernelINS0_14default_configENS1_22reduce_config_selectorItEEZNS1_11reduce_implILb1ES3_N6thrust23THRUST_200600_302600_NS6detail15normal_iteratorINS8_10device_ptrItEEEEPttNS8_4plusItEEEE10hipError_tPvRmT1_T2_T3_mT4_P12ihipStream_tbEUlT_E1_NS1_11comp_targetILNS1_3genE10ELNS1_11target_archE1200ELNS1_3gpuE4ELNS1_3repE0EEENS1_30default_config_static_selectorELNS0_4arch9wavefront6targetE1EEEvSK_.uses_vcc, 0
	.set _ZN7rocprim17ROCPRIM_400000_NS6detail17trampoline_kernelINS0_14default_configENS1_22reduce_config_selectorItEEZNS1_11reduce_implILb1ES3_N6thrust23THRUST_200600_302600_NS6detail15normal_iteratorINS8_10device_ptrItEEEEPttNS8_4plusItEEEE10hipError_tPvRmT1_T2_T3_mT4_P12ihipStream_tbEUlT_E1_NS1_11comp_targetILNS1_3genE10ELNS1_11target_archE1200ELNS1_3gpuE4ELNS1_3repE0EEENS1_30default_config_static_selectorELNS0_4arch9wavefront6targetE1EEEvSK_.uses_flat_scratch, 0
	.set _ZN7rocprim17ROCPRIM_400000_NS6detail17trampoline_kernelINS0_14default_configENS1_22reduce_config_selectorItEEZNS1_11reduce_implILb1ES3_N6thrust23THRUST_200600_302600_NS6detail15normal_iteratorINS8_10device_ptrItEEEEPttNS8_4plusItEEEE10hipError_tPvRmT1_T2_T3_mT4_P12ihipStream_tbEUlT_E1_NS1_11comp_targetILNS1_3genE10ELNS1_11target_archE1200ELNS1_3gpuE4ELNS1_3repE0EEENS1_30default_config_static_selectorELNS0_4arch9wavefront6targetE1EEEvSK_.has_dyn_sized_stack, 0
	.set _ZN7rocprim17ROCPRIM_400000_NS6detail17trampoline_kernelINS0_14default_configENS1_22reduce_config_selectorItEEZNS1_11reduce_implILb1ES3_N6thrust23THRUST_200600_302600_NS6detail15normal_iteratorINS8_10device_ptrItEEEEPttNS8_4plusItEEEE10hipError_tPvRmT1_T2_T3_mT4_P12ihipStream_tbEUlT_E1_NS1_11comp_targetILNS1_3genE10ELNS1_11target_archE1200ELNS1_3gpuE4ELNS1_3repE0EEENS1_30default_config_static_selectorELNS0_4arch9wavefront6targetE1EEEvSK_.has_recursion, 0
	.set _ZN7rocprim17ROCPRIM_400000_NS6detail17trampoline_kernelINS0_14default_configENS1_22reduce_config_selectorItEEZNS1_11reduce_implILb1ES3_N6thrust23THRUST_200600_302600_NS6detail15normal_iteratorINS8_10device_ptrItEEEEPttNS8_4plusItEEEE10hipError_tPvRmT1_T2_T3_mT4_P12ihipStream_tbEUlT_E1_NS1_11comp_targetILNS1_3genE10ELNS1_11target_archE1200ELNS1_3gpuE4ELNS1_3repE0EEENS1_30default_config_static_selectorELNS0_4arch9wavefront6targetE1EEEvSK_.has_indirect_call, 0
	.section	.AMDGPU.csdata,"",@progbits
; Kernel info:
; codeLenInByte = 0
; TotalNumSgprs: 6
; NumVgprs: 0
; NumAgprs: 0
; TotalNumVgprs: 0
; ScratchSize: 0
; MemoryBound: 0
; FloatMode: 240
; IeeeMode: 1
; LDSByteSize: 0 bytes/workgroup (compile time only)
; SGPRBlocks: 0
; VGPRBlocks: 0
; NumSGPRsForWavesPerEU: 6
; NumVGPRsForWavesPerEU: 1
; AccumOffset: 4
; Occupancy: 8
; WaveLimiterHint : 0
; COMPUTE_PGM_RSRC2:SCRATCH_EN: 0
; COMPUTE_PGM_RSRC2:USER_SGPR: 2
; COMPUTE_PGM_RSRC2:TRAP_HANDLER: 0
; COMPUTE_PGM_RSRC2:TGID_X_EN: 1
; COMPUTE_PGM_RSRC2:TGID_Y_EN: 0
; COMPUTE_PGM_RSRC2:TGID_Z_EN: 0
; COMPUTE_PGM_RSRC2:TIDIG_COMP_CNT: 0
; COMPUTE_PGM_RSRC3_GFX90A:ACCUM_OFFSET: 0
; COMPUTE_PGM_RSRC3_GFX90A:TG_SPLIT: 0
	.section	.text._ZN7rocprim17ROCPRIM_400000_NS6detail17trampoline_kernelINS0_14default_configENS1_22reduce_config_selectorItEEZNS1_11reduce_implILb1ES3_N6thrust23THRUST_200600_302600_NS6detail15normal_iteratorINS8_10device_ptrItEEEEPttNS8_4plusItEEEE10hipError_tPvRmT1_T2_T3_mT4_P12ihipStream_tbEUlT_E1_NS1_11comp_targetILNS1_3genE9ELNS1_11target_archE1100ELNS1_3gpuE3ELNS1_3repE0EEENS1_30default_config_static_selectorELNS0_4arch9wavefront6targetE1EEEvSK_,"axG",@progbits,_ZN7rocprim17ROCPRIM_400000_NS6detail17trampoline_kernelINS0_14default_configENS1_22reduce_config_selectorItEEZNS1_11reduce_implILb1ES3_N6thrust23THRUST_200600_302600_NS6detail15normal_iteratorINS8_10device_ptrItEEEEPttNS8_4plusItEEEE10hipError_tPvRmT1_T2_T3_mT4_P12ihipStream_tbEUlT_E1_NS1_11comp_targetILNS1_3genE9ELNS1_11target_archE1100ELNS1_3gpuE3ELNS1_3repE0EEENS1_30default_config_static_selectorELNS0_4arch9wavefront6targetE1EEEvSK_,comdat
	.protected	_ZN7rocprim17ROCPRIM_400000_NS6detail17trampoline_kernelINS0_14default_configENS1_22reduce_config_selectorItEEZNS1_11reduce_implILb1ES3_N6thrust23THRUST_200600_302600_NS6detail15normal_iteratorINS8_10device_ptrItEEEEPttNS8_4plusItEEEE10hipError_tPvRmT1_T2_T3_mT4_P12ihipStream_tbEUlT_E1_NS1_11comp_targetILNS1_3genE9ELNS1_11target_archE1100ELNS1_3gpuE3ELNS1_3repE0EEENS1_30default_config_static_selectorELNS0_4arch9wavefront6targetE1EEEvSK_ ; -- Begin function _ZN7rocprim17ROCPRIM_400000_NS6detail17trampoline_kernelINS0_14default_configENS1_22reduce_config_selectorItEEZNS1_11reduce_implILb1ES3_N6thrust23THRUST_200600_302600_NS6detail15normal_iteratorINS8_10device_ptrItEEEEPttNS8_4plusItEEEE10hipError_tPvRmT1_T2_T3_mT4_P12ihipStream_tbEUlT_E1_NS1_11comp_targetILNS1_3genE9ELNS1_11target_archE1100ELNS1_3gpuE3ELNS1_3repE0EEENS1_30default_config_static_selectorELNS0_4arch9wavefront6targetE1EEEvSK_
	.globl	_ZN7rocprim17ROCPRIM_400000_NS6detail17trampoline_kernelINS0_14default_configENS1_22reduce_config_selectorItEEZNS1_11reduce_implILb1ES3_N6thrust23THRUST_200600_302600_NS6detail15normal_iteratorINS8_10device_ptrItEEEEPttNS8_4plusItEEEE10hipError_tPvRmT1_T2_T3_mT4_P12ihipStream_tbEUlT_E1_NS1_11comp_targetILNS1_3genE9ELNS1_11target_archE1100ELNS1_3gpuE3ELNS1_3repE0EEENS1_30default_config_static_selectorELNS0_4arch9wavefront6targetE1EEEvSK_
	.p2align	8
	.type	_ZN7rocprim17ROCPRIM_400000_NS6detail17trampoline_kernelINS0_14default_configENS1_22reduce_config_selectorItEEZNS1_11reduce_implILb1ES3_N6thrust23THRUST_200600_302600_NS6detail15normal_iteratorINS8_10device_ptrItEEEEPttNS8_4plusItEEEE10hipError_tPvRmT1_T2_T3_mT4_P12ihipStream_tbEUlT_E1_NS1_11comp_targetILNS1_3genE9ELNS1_11target_archE1100ELNS1_3gpuE3ELNS1_3repE0EEENS1_30default_config_static_selectorELNS0_4arch9wavefront6targetE1EEEvSK_,@function
_ZN7rocprim17ROCPRIM_400000_NS6detail17trampoline_kernelINS0_14default_configENS1_22reduce_config_selectorItEEZNS1_11reduce_implILb1ES3_N6thrust23THRUST_200600_302600_NS6detail15normal_iteratorINS8_10device_ptrItEEEEPttNS8_4plusItEEEE10hipError_tPvRmT1_T2_T3_mT4_P12ihipStream_tbEUlT_E1_NS1_11comp_targetILNS1_3genE9ELNS1_11target_archE1100ELNS1_3gpuE3ELNS1_3repE0EEENS1_30default_config_static_selectorELNS0_4arch9wavefront6targetE1EEEvSK_: ; @_ZN7rocprim17ROCPRIM_400000_NS6detail17trampoline_kernelINS0_14default_configENS1_22reduce_config_selectorItEEZNS1_11reduce_implILb1ES3_N6thrust23THRUST_200600_302600_NS6detail15normal_iteratorINS8_10device_ptrItEEEEPttNS8_4plusItEEEE10hipError_tPvRmT1_T2_T3_mT4_P12ihipStream_tbEUlT_E1_NS1_11comp_targetILNS1_3genE9ELNS1_11target_archE1100ELNS1_3gpuE3ELNS1_3repE0EEENS1_30default_config_static_selectorELNS0_4arch9wavefront6targetE1EEEvSK_
; %bb.0:
	.section	.rodata,"a",@progbits
	.p2align	6, 0x0
	.amdhsa_kernel _ZN7rocprim17ROCPRIM_400000_NS6detail17trampoline_kernelINS0_14default_configENS1_22reduce_config_selectorItEEZNS1_11reduce_implILb1ES3_N6thrust23THRUST_200600_302600_NS6detail15normal_iteratorINS8_10device_ptrItEEEEPttNS8_4plusItEEEE10hipError_tPvRmT1_T2_T3_mT4_P12ihipStream_tbEUlT_E1_NS1_11comp_targetILNS1_3genE9ELNS1_11target_archE1100ELNS1_3gpuE3ELNS1_3repE0EEENS1_30default_config_static_selectorELNS0_4arch9wavefront6targetE1EEEvSK_
		.amdhsa_group_segment_fixed_size 0
		.amdhsa_private_segment_fixed_size 0
		.amdhsa_kernarg_size 40
		.amdhsa_user_sgpr_count 2
		.amdhsa_user_sgpr_dispatch_ptr 0
		.amdhsa_user_sgpr_queue_ptr 0
		.amdhsa_user_sgpr_kernarg_segment_ptr 1
		.amdhsa_user_sgpr_dispatch_id 0
		.amdhsa_user_sgpr_kernarg_preload_length 0
		.amdhsa_user_sgpr_kernarg_preload_offset 0
		.amdhsa_user_sgpr_private_segment_size 0
		.amdhsa_uses_dynamic_stack 0
		.amdhsa_enable_private_segment 0
		.amdhsa_system_sgpr_workgroup_id_x 1
		.amdhsa_system_sgpr_workgroup_id_y 0
		.amdhsa_system_sgpr_workgroup_id_z 0
		.amdhsa_system_sgpr_workgroup_info 0
		.amdhsa_system_vgpr_workitem_id 0
		.amdhsa_next_free_vgpr 1
		.amdhsa_next_free_sgpr 0
		.amdhsa_accum_offset 4
		.amdhsa_reserve_vcc 0
		.amdhsa_float_round_mode_32 0
		.amdhsa_float_round_mode_16_64 0
		.amdhsa_float_denorm_mode_32 3
		.amdhsa_float_denorm_mode_16_64 3
		.amdhsa_dx10_clamp 1
		.amdhsa_ieee_mode 1
		.amdhsa_fp16_overflow 0
		.amdhsa_tg_split 0
		.amdhsa_exception_fp_ieee_invalid_op 0
		.amdhsa_exception_fp_denorm_src 0
		.amdhsa_exception_fp_ieee_div_zero 0
		.amdhsa_exception_fp_ieee_overflow 0
		.amdhsa_exception_fp_ieee_underflow 0
		.amdhsa_exception_fp_ieee_inexact 0
		.amdhsa_exception_int_div_zero 0
	.end_amdhsa_kernel
	.section	.text._ZN7rocprim17ROCPRIM_400000_NS6detail17trampoline_kernelINS0_14default_configENS1_22reduce_config_selectorItEEZNS1_11reduce_implILb1ES3_N6thrust23THRUST_200600_302600_NS6detail15normal_iteratorINS8_10device_ptrItEEEEPttNS8_4plusItEEEE10hipError_tPvRmT1_T2_T3_mT4_P12ihipStream_tbEUlT_E1_NS1_11comp_targetILNS1_3genE9ELNS1_11target_archE1100ELNS1_3gpuE3ELNS1_3repE0EEENS1_30default_config_static_selectorELNS0_4arch9wavefront6targetE1EEEvSK_,"axG",@progbits,_ZN7rocprim17ROCPRIM_400000_NS6detail17trampoline_kernelINS0_14default_configENS1_22reduce_config_selectorItEEZNS1_11reduce_implILb1ES3_N6thrust23THRUST_200600_302600_NS6detail15normal_iteratorINS8_10device_ptrItEEEEPttNS8_4plusItEEEE10hipError_tPvRmT1_T2_T3_mT4_P12ihipStream_tbEUlT_E1_NS1_11comp_targetILNS1_3genE9ELNS1_11target_archE1100ELNS1_3gpuE3ELNS1_3repE0EEENS1_30default_config_static_selectorELNS0_4arch9wavefront6targetE1EEEvSK_,comdat
.Lfunc_end184:
	.size	_ZN7rocprim17ROCPRIM_400000_NS6detail17trampoline_kernelINS0_14default_configENS1_22reduce_config_selectorItEEZNS1_11reduce_implILb1ES3_N6thrust23THRUST_200600_302600_NS6detail15normal_iteratorINS8_10device_ptrItEEEEPttNS8_4plusItEEEE10hipError_tPvRmT1_T2_T3_mT4_P12ihipStream_tbEUlT_E1_NS1_11comp_targetILNS1_3genE9ELNS1_11target_archE1100ELNS1_3gpuE3ELNS1_3repE0EEENS1_30default_config_static_selectorELNS0_4arch9wavefront6targetE1EEEvSK_, .Lfunc_end184-_ZN7rocprim17ROCPRIM_400000_NS6detail17trampoline_kernelINS0_14default_configENS1_22reduce_config_selectorItEEZNS1_11reduce_implILb1ES3_N6thrust23THRUST_200600_302600_NS6detail15normal_iteratorINS8_10device_ptrItEEEEPttNS8_4plusItEEEE10hipError_tPvRmT1_T2_T3_mT4_P12ihipStream_tbEUlT_E1_NS1_11comp_targetILNS1_3genE9ELNS1_11target_archE1100ELNS1_3gpuE3ELNS1_3repE0EEENS1_30default_config_static_selectorELNS0_4arch9wavefront6targetE1EEEvSK_
                                        ; -- End function
	.set _ZN7rocprim17ROCPRIM_400000_NS6detail17trampoline_kernelINS0_14default_configENS1_22reduce_config_selectorItEEZNS1_11reduce_implILb1ES3_N6thrust23THRUST_200600_302600_NS6detail15normal_iteratorINS8_10device_ptrItEEEEPttNS8_4plusItEEEE10hipError_tPvRmT1_T2_T3_mT4_P12ihipStream_tbEUlT_E1_NS1_11comp_targetILNS1_3genE9ELNS1_11target_archE1100ELNS1_3gpuE3ELNS1_3repE0EEENS1_30default_config_static_selectorELNS0_4arch9wavefront6targetE1EEEvSK_.num_vgpr, 0
	.set _ZN7rocprim17ROCPRIM_400000_NS6detail17trampoline_kernelINS0_14default_configENS1_22reduce_config_selectorItEEZNS1_11reduce_implILb1ES3_N6thrust23THRUST_200600_302600_NS6detail15normal_iteratorINS8_10device_ptrItEEEEPttNS8_4plusItEEEE10hipError_tPvRmT1_T2_T3_mT4_P12ihipStream_tbEUlT_E1_NS1_11comp_targetILNS1_3genE9ELNS1_11target_archE1100ELNS1_3gpuE3ELNS1_3repE0EEENS1_30default_config_static_selectorELNS0_4arch9wavefront6targetE1EEEvSK_.num_agpr, 0
	.set _ZN7rocprim17ROCPRIM_400000_NS6detail17trampoline_kernelINS0_14default_configENS1_22reduce_config_selectorItEEZNS1_11reduce_implILb1ES3_N6thrust23THRUST_200600_302600_NS6detail15normal_iteratorINS8_10device_ptrItEEEEPttNS8_4plusItEEEE10hipError_tPvRmT1_T2_T3_mT4_P12ihipStream_tbEUlT_E1_NS1_11comp_targetILNS1_3genE9ELNS1_11target_archE1100ELNS1_3gpuE3ELNS1_3repE0EEENS1_30default_config_static_selectorELNS0_4arch9wavefront6targetE1EEEvSK_.numbered_sgpr, 0
	.set _ZN7rocprim17ROCPRIM_400000_NS6detail17trampoline_kernelINS0_14default_configENS1_22reduce_config_selectorItEEZNS1_11reduce_implILb1ES3_N6thrust23THRUST_200600_302600_NS6detail15normal_iteratorINS8_10device_ptrItEEEEPttNS8_4plusItEEEE10hipError_tPvRmT1_T2_T3_mT4_P12ihipStream_tbEUlT_E1_NS1_11comp_targetILNS1_3genE9ELNS1_11target_archE1100ELNS1_3gpuE3ELNS1_3repE0EEENS1_30default_config_static_selectorELNS0_4arch9wavefront6targetE1EEEvSK_.num_named_barrier, 0
	.set _ZN7rocprim17ROCPRIM_400000_NS6detail17trampoline_kernelINS0_14default_configENS1_22reduce_config_selectorItEEZNS1_11reduce_implILb1ES3_N6thrust23THRUST_200600_302600_NS6detail15normal_iteratorINS8_10device_ptrItEEEEPttNS8_4plusItEEEE10hipError_tPvRmT1_T2_T3_mT4_P12ihipStream_tbEUlT_E1_NS1_11comp_targetILNS1_3genE9ELNS1_11target_archE1100ELNS1_3gpuE3ELNS1_3repE0EEENS1_30default_config_static_selectorELNS0_4arch9wavefront6targetE1EEEvSK_.private_seg_size, 0
	.set _ZN7rocprim17ROCPRIM_400000_NS6detail17trampoline_kernelINS0_14default_configENS1_22reduce_config_selectorItEEZNS1_11reduce_implILb1ES3_N6thrust23THRUST_200600_302600_NS6detail15normal_iteratorINS8_10device_ptrItEEEEPttNS8_4plusItEEEE10hipError_tPvRmT1_T2_T3_mT4_P12ihipStream_tbEUlT_E1_NS1_11comp_targetILNS1_3genE9ELNS1_11target_archE1100ELNS1_3gpuE3ELNS1_3repE0EEENS1_30default_config_static_selectorELNS0_4arch9wavefront6targetE1EEEvSK_.uses_vcc, 0
	.set _ZN7rocprim17ROCPRIM_400000_NS6detail17trampoline_kernelINS0_14default_configENS1_22reduce_config_selectorItEEZNS1_11reduce_implILb1ES3_N6thrust23THRUST_200600_302600_NS6detail15normal_iteratorINS8_10device_ptrItEEEEPttNS8_4plusItEEEE10hipError_tPvRmT1_T2_T3_mT4_P12ihipStream_tbEUlT_E1_NS1_11comp_targetILNS1_3genE9ELNS1_11target_archE1100ELNS1_3gpuE3ELNS1_3repE0EEENS1_30default_config_static_selectorELNS0_4arch9wavefront6targetE1EEEvSK_.uses_flat_scratch, 0
	.set _ZN7rocprim17ROCPRIM_400000_NS6detail17trampoline_kernelINS0_14default_configENS1_22reduce_config_selectorItEEZNS1_11reduce_implILb1ES3_N6thrust23THRUST_200600_302600_NS6detail15normal_iteratorINS8_10device_ptrItEEEEPttNS8_4plusItEEEE10hipError_tPvRmT1_T2_T3_mT4_P12ihipStream_tbEUlT_E1_NS1_11comp_targetILNS1_3genE9ELNS1_11target_archE1100ELNS1_3gpuE3ELNS1_3repE0EEENS1_30default_config_static_selectorELNS0_4arch9wavefront6targetE1EEEvSK_.has_dyn_sized_stack, 0
	.set _ZN7rocprim17ROCPRIM_400000_NS6detail17trampoline_kernelINS0_14default_configENS1_22reduce_config_selectorItEEZNS1_11reduce_implILb1ES3_N6thrust23THRUST_200600_302600_NS6detail15normal_iteratorINS8_10device_ptrItEEEEPttNS8_4plusItEEEE10hipError_tPvRmT1_T2_T3_mT4_P12ihipStream_tbEUlT_E1_NS1_11comp_targetILNS1_3genE9ELNS1_11target_archE1100ELNS1_3gpuE3ELNS1_3repE0EEENS1_30default_config_static_selectorELNS0_4arch9wavefront6targetE1EEEvSK_.has_recursion, 0
	.set _ZN7rocprim17ROCPRIM_400000_NS6detail17trampoline_kernelINS0_14default_configENS1_22reduce_config_selectorItEEZNS1_11reduce_implILb1ES3_N6thrust23THRUST_200600_302600_NS6detail15normal_iteratorINS8_10device_ptrItEEEEPttNS8_4plusItEEEE10hipError_tPvRmT1_T2_T3_mT4_P12ihipStream_tbEUlT_E1_NS1_11comp_targetILNS1_3genE9ELNS1_11target_archE1100ELNS1_3gpuE3ELNS1_3repE0EEENS1_30default_config_static_selectorELNS0_4arch9wavefront6targetE1EEEvSK_.has_indirect_call, 0
	.section	.AMDGPU.csdata,"",@progbits
; Kernel info:
; codeLenInByte = 0
; TotalNumSgprs: 6
; NumVgprs: 0
; NumAgprs: 0
; TotalNumVgprs: 0
; ScratchSize: 0
; MemoryBound: 0
; FloatMode: 240
; IeeeMode: 1
; LDSByteSize: 0 bytes/workgroup (compile time only)
; SGPRBlocks: 0
; VGPRBlocks: 0
; NumSGPRsForWavesPerEU: 6
; NumVGPRsForWavesPerEU: 1
; AccumOffset: 4
; Occupancy: 8
; WaveLimiterHint : 0
; COMPUTE_PGM_RSRC2:SCRATCH_EN: 0
; COMPUTE_PGM_RSRC2:USER_SGPR: 2
; COMPUTE_PGM_RSRC2:TRAP_HANDLER: 0
; COMPUTE_PGM_RSRC2:TGID_X_EN: 1
; COMPUTE_PGM_RSRC2:TGID_Y_EN: 0
; COMPUTE_PGM_RSRC2:TGID_Z_EN: 0
; COMPUTE_PGM_RSRC2:TIDIG_COMP_CNT: 0
; COMPUTE_PGM_RSRC3_GFX90A:ACCUM_OFFSET: 0
; COMPUTE_PGM_RSRC3_GFX90A:TG_SPLIT: 0
	.section	.text._ZN7rocprim17ROCPRIM_400000_NS6detail17trampoline_kernelINS0_14default_configENS1_22reduce_config_selectorItEEZNS1_11reduce_implILb1ES3_N6thrust23THRUST_200600_302600_NS6detail15normal_iteratorINS8_10device_ptrItEEEEPttNS8_4plusItEEEE10hipError_tPvRmT1_T2_T3_mT4_P12ihipStream_tbEUlT_E1_NS1_11comp_targetILNS1_3genE8ELNS1_11target_archE1030ELNS1_3gpuE2ELNS1_3repE0EEENS1_30default_config_static_selectorELNS0_4arch9wavefront6targetE1EEEvSK_,"axG",@progbits,_ZN7rocprim17ROCPRIM_400000_NS6detail17trampoline_kernelINS0_14default_configENS1_22reduce_config_selectorItEEZNS1_11reduce_implILb1ES3_N6thrust23THRUST_200600_302600_NS6detail15normal_iteratorINS8_10device_ptrItEEEEPttNS8_4plusItEEEE10hipError_tPvRmT1_T2_T3_mT4_P12ihipStream_tbEUlT_E1_NS1_11comp_targetILNS1_3genE8ELNS1_11target_archE1030ELNS1_3gpuE2ELNS1_3repE0EEENS1_30default_config_static_selectorELNS0_4arch9wavefront6targetE1EEEvSK_,comdat
	.protected	_ZN7rocprim17ROCPRIM_400000_NS6detail17trampoline_kernelINS0_14default_configENS1_22reduce_config_selectorItEEZNS1_11reduce_implILb1ES3_N6thrust23THRUST_200600_302600_NS6detail15normal_iteratorINS8_10device_ptrItEEEEPttNS8_4plusItEEEE10hipError_tPvRmT1_T2_T3_mT4_P12ihipStream_tbEUlT_E1_NS1_11comp_targetILNS1_3genE8ELNS1_11target_archE1030ELNS1_3gpuE2ELNS1_3repE0EEENS1_30default_config_static_selectorELNS0_4arch9wavefront6targetE1EEEvSK_ ; -- Begin function _ZN7rocprim17ROCPRIM_400000_NS6detail17trampoline_kernelINS0_14default_configENS1_22reduce_config_selectorItEEZNS1_11reduce_implILb1ES3_N6thrust23THRUST_200600_302600_NS6detail15normal_iteratorINS8_10device_ptrItEEEEPttNS8_4plusItEEEE10hipError_tPvRmT1_T2_T3_mT4_P12ihipStream_tbEUlT_E1_NS1_11comp_targetILNS1_3genE8ELNS1_11target_archE1030ELNS1_3gpuE2ELNS1_3repE0EEENS1_30default_config_static_selectorELNS0_4arch9wavefront6targetE1EEEvSK_
	.globl	_ZN7rocprim17ROCPRIM_400000_NS6detail17trampoline_kernelINS0_14default_configENS1_22reduce_config_selectorItEEZNS1_11reduce_implILb1ES3_N6thrust23THRUST_200600_302600_NS6detail15normal_iteratorINS8_10device_ptrItEEEEPttNS8_4plusItEEEE10hipError_tPvRmT1_T2_T3_mT4_P12ihipStream_tbEUlT_E1_NS1_11comp_targetILNS1_3genE8ELNS1_11target_archE1030ELNS1_3gpuE2ELNS1_3repE0EEENS1_30default_config_static_selectorELNS0_4arch9wavefront6targetE1EEEvSK_
	.p2align	8
	.type	_ZN7rocprim17ROCPRIM_400000_NS6detail17trampoline_kernelINS0_14default_configENS1_22reduce_config_selectorItEEZNS1_11reduce_implILb1ES3_N6thrust23THRUST_200600_302600_NS6detail15normal_iteratorINS8_10device_ptrItEEEEPttNS8_4plusItEEEE10hipError_tPvRmT1_T2_T3_mT4_P12ihipStream_tbEUlT_E1_NS1_11comp_targetILNS1_3genE8ELNS1_11target_archE1030ELNS1_3gpuE2ELNS1_3repE0EEENS1_30default_config_static_selectorELNS0_4arch9wavefront6targetE1EEEvSK_,@function
_ZN7rocprim17ROCPRIM_400000_NS6detail17trampoline_kernelINS0_14default_configENS1_22reduce_config_selectorItEEZNS1_11reduce_implILb1ES3_N6thrust23THRUST_200600_302600_NS6detail15normal_iteratorINS8_10device_ptrItEEEEPttNS8_4plusItEEEE10hipError_tPvRmT1_T2_T3_mT4_P12ihipStream_tbEUlT_E1_NS1_11comp_targetILNS1_3genE8ELNS1_11target_archE1030ELNS1_3gpuE2ELNS1_3repE0EEENS1_30default_config_static_selectorELNS0_4arch9wavefront6targetE1EEEvSK_: ; @_ZN7rocprim17ROCPRIM_400000_NS6detail17trampoline_kernelINS0_14default_configENS1_22reduce_config_selectorItEEZNS1_11reduce_implILb1ES3_N6thrust23THRUST_200600_302600_NS6detail15normal_iteratorINS8_10device_ptrItEEEEPttNS8_4plusItEEEE10hipError_tPvRmT1_T2_T3_mT4_P12ihipStream_tbEUlT_E1_NS1_11comp_targetILNS1_3genE8ELNS1_11target_archE1030ELNS1_3gpuE2ELNS1_3repE0EEENS1_30default_config_static_selectorELNS0_4arch9wavefront6targetE1EEEvSK_
; %bb.0:
	.section	.rodata,"a",@progbits
	.p2align	6, 0x0
	.amdhsa_kernel _ZN7rocprim17ROCPRIM_400000_NS6detail17trampoline_kernelINS0_14default_configENS1_22reduce_config_selectorItEEZNS1_11reduce_implILb1ES3_N6thrust23THRUST_200600_302600_NS6detail15normal_iteratorINS8_10device_ptrItEEEEPttNS8_4plusItEEEE10hipError_tPvRmT1_T2_T3_mT4_P12ihipStream_tbEUlT_E1_NS1_11comp_targetILNS1_3genE8ELNS1_11target_archE1030ELNS1_3gpuE2ELNS1_3repE0EEENS1_30default_config_static_selectorELNS0_4arch9wavefront6targetE1EEEvSK_
		.amdhsa_group_segment_fixed_size 0
		.amdhsa_private_segment_fixed_size 0
		.amdhsa_kernarg_size 40
		.amdhsa_user_sgpr_count 2
		.amdhsa_user_sgpr_dispatch_ptr 0
		.amdhsa_user_sgpr_queue_ptr 0
		.amdhsa_user_sgpr_kernarg_segment_ptr 1
		.amdhsa_user_sgpr_dispatch_id 0
		.amdhsa_user_sgpr_kernarg_preload_length 0
		.amdhsa_user_sgpr_kernarg_preload_offset 0
		.amdhsa_user_sgpr_private_segment_size 0
		.amdhsa_uses_dynamic_stack 0
		.amdhsa_enable_private_segment 0
		.amdhsa_system_sgpr_workgroup_id_x 1
		.amdhsa_system_sgpr_workgroup_id_y 0
		.amdhsa_system_sgpr_workgroup_id_z 0
		.amdhsa_system_sgpr_workgroup_info 0
		.amdhsa_system_vgpr_workitem_id 0
		.amdhsa_next_free_vgpr 1
		.amdhsa_next_free_sgpr 0
		.amdhsa_accum_offset 4
		.amdhsa_reserve_vcc 0
		.amdhsa_float_round_mode_32 0
		.amdhsa_float_round_mode_16_64 0
		.amdhsa_float_denorm_mode_32 3
		.amdhsa_float_denorm_mode_16_64 3
		.amdhsa_dx10_clamp 1
		.amdhsa_ieee_mode 1
		.amdhsa_fp16_overflow 0
		.amdhsa_tg_split 0
		.amdhsa_exception_fp_ieee_invalid_op 0
		.amdhsa_exception_fp_denorm_src 0
		.amdhsa_exception_fp_ieee_div_zero 0
		.amdhsa_exception_fp_ieee_overflow 0
		.amdhsa_exception_fp_ieee_underflow 0
		.amdhsa_exception_fp_ieee_inexact 0
		.amdhsa_exception_int_div_zero 0
	.end_amdhsa_kernel
	.section	.text._ZN7rocprim17ROCPRIM_400000_NS6detail17trampoline_kernelINS0_14default_configENS1_22reduce_config_selectorItEEZNS1_11reduce_implILb1ES3_N6thrust23THRUST_200600_302600_NS6detail15normal_iteratorINS8_10device_ptrItEEEEPttNS8_4plusItEEEE10hipError_tPvRmT1_T2_T3_mT4_P12ihipStream_tbEUlT_E1_NS1_11comp_targetILNS1_3genE8ELNS1_11target_archE1030ELNS1_3gpuE2ELNS1_3repE0EEENS1_30default_config_static_selectorELNS0_4arch9wavefront6targetE1EEEvSK_,"axG",@progbits,_ZN7rocprim17ROCPRIM_400000_NS6detail17trampoline_kernelINS0_14default_configENS1_22reduce_config_selectorItEEZNS1_11reduce_implILb1ES3_N6thrust23THRUST_200600_302600_NS6detail15normal_iteratorINS8_10device_ptrItEEEEPttNS8_4plusItEEEE10hipError_tPvRmT1_T2_T3_mT4_P12ihipStream_tbEUlT_E1_NS1_11comp_targetILNS1_3genE8ELNS1_11target_archE1030ELNS1_3gpuE2ELNS1_3repE0EEENS1_30default_config_static_selectorELNS0_4arch9wavefront6targetE1EEEvSK_,comdat
.Lfunc_end185:
	.size	_ZN7rocprim17ROCPRIM_400000_NS6detail17trampoline_kernelINS0_14default_configENS1_22reduce_config_selectorItEEZNS1_11reduce_implILb1ES3_N6thrust23THRUST_200600_302600_NS6detail15normal_iteratorINS8_10device_ptrItEEEEPttNS8_4plusItEEEE10hipError_tPvRmT1_T2_T3_mT4_P12ihipStream_tbEUlT_E1_NS1_11comp_targetILNS1_3genE8ELNS1_11target_archE1030ELNS1_3gpuE2ELNS1_3repE0EEENS1_30default_config_static_selectorELNS0_4arch9wavefront6targetE1EEEvSK_, .Lfunc_end185-_ZN7rocprim17ROCPRIM_400000_NS6detail17trampoline_kernelINS0_14default_configENS1_22reduce_config_selectorItEEZNS1_11reduce_implILb1ES3_N6thrust23THRUST_200600_302600_NS6detail15normal_iteratorINS8_10device_ptrItEEEEPttNS8_4plusItEEEE10hipError_tPvRmT1_T2_T3_mT4_P12ihipStream_tbEUlT_E1_NS1_11comp_targetILNS1_3genE8ELNS1_11target_archE1030ELNS1_3gpuE2ELNS1_3repE0EEENS1_30default_config_static_selectorELNS0_4arch9wavefront6targetE1EEEvSK_
                                        ; -- End function
	.set _ZN7rocprim17ROCPRIM_400000_NS6detail17trampoline_kernelINS0_14default_configENS1_22reduce_config_selectorItEEZNS1_11reduce_implILb1ES3_N6thrust23THRUST_200600_302600_NS6detail15normal_iteratorINS8_10device_ptrItEEEEPttNS8_4plusItEEEE10hipError_tPvRmT1_T2_T3_mT4_P12ihipStream_tbEUlT_E1_NS1_11comp_targetILNS1_3genE8ELNS1_11target_archE1030ELNS1_3gpuE2ELNS1_3repE0EEENS1_30default_config_static_selectorELNS0_4arch9wavefront6targetE1EEEvSK_.num_vgpr, 0
	.set _ZN7rocprim17ROCPRIM_400000_NS6detail17trampoline_kernelINS0_14default_configENS1_22reduce_config_selectorItEEZNS1_11reduce_implILb1ES3_N6thrust23THRUST_200600_302600_NS6detail15normal_iteratorINS8_10device_ptrItEEEEPttNS8_4plusItEEEE10hipError_tPvRmT1_T2_T3_mT4_P12ihipStream_tbEUlT_E1_NS1_11comp_targetILNS1_3genE8ELNS1_11target_archE1030ELNS1_3gpuE2ELNS1_3repE0EEENS1_30default_config_static_selectorELNS0_4arch9wavefront6targetE1EEEvSK_.num_agpr, 0
	.set _ZN7rocprim17ROCPRIM_400000_NS6detail17trampoline_kernelINS0_14default_configENS1_22reduce_config_selectorItEEZNS1_11reduce_implILb1ES3_N6thrust23THRUST_200600_302600_NS6detail15normal_iteratorINS8_10device_ptrItEEEEPttNS8_4plusItEEEE10hipError_tPvRmT1_T2_T3_mT4_P12ihipStream_tbEUlT_E1_NS1_11comp_targetILNS1_3genE8ELNS1_11target_archE1030ELNS1_3gpuE2ELNS1_3repE0EEENS1_30default_config_static_selectorELNS0_4arch9wavefront6targetE1EEEvSK_.numbered_sgpr, 0
	.set _ZN7rocprim17ROCPRIM_400000_NS6detail17trampoline_kernelINS0_14default_configENS1_22reduce_config_selectorItEEZNS1_11reduce_implILb1ES3_N6thrust23THRUST_200600_302600_NS6detail15normal_iteratorINS8_10device_ptrItEEEEPttNS8_4plusItEEEE10hipError_tPvRmT1_T2_T3_mT4_P12ihipStream_tbEUlT_E1_NS1_11comp_targetILNS1_3genE8ELNS1_11target_archE1030ELNS1_3gpuE2ELNS1_3repE0EEENS1_30default_config_static_selectorELNS0_4arch9wavefront6targetE1EEEvSK_.num_named_barrier, 0
	.set _ZN7rocprim17ROCPRIM_400000_NS6detail17trampoline_kernelINS0_14default_configENS1_22reduce_config_selectorItEEZNS1_11reduce_implILb1ES3_N6thrust23THRUST_200600_302600_NS6detail15normal_iteratorINS8_10device_ptrItEEEEPttNS8_4plusItEEEE10hipError_tPvRmT1_T2_T3_mT4_P12ihipStream_tbEUlT_E1_NS1_11comp_targetILNS1_3genE8ELNS1_11target_archE1030ELNS1_3gpuE2ELNS1_3repE0EEENS1_30default_config_static_selectorELNS0_4arch9wavefront6targetE1EEEvSK_.private_seg_size, 0
	.set _ZN7rocprim17ROCPRIM_400000_NS6detail17trampoline_kernelINS0_14default_configENS1_22reduce_config_selectorItEEZNS1_11reduce_implILb1ES3_N6thrust23THRUST_200600_302600_NS6detail15normal_iteratorINS8_10device_ptrItEEEEPttNS8_4plusItEEEE10hipError_tPvRmT1_T2_T3_mT4_P12ihipStream_tbEUlT_E1_NS1_11comp_targetILNS1_3genE8ELNS1_11target_archE1030ELNS1_3gpuE2ELNS1_3repE0EEENS1_30default_config_static_selectorELNS0_4arch9wavefront6targetE1EEEvSK_.uses_vcc, 0
	.set _ZN7rocprim17ROCPRIM_400000_NS6detail17trampoline_kernelINS0_14default_configENS1_22reduce_config_selectorItEEZNS1_11reduce_implILb1ES3_N6thrust23THRUST_200600_302600_NS6detail15normal_iteratorINS8_10device_ptrItEEEEPttNS8_4plusItEEEE10hipError_tPvRmT1_T2_T3_mT4_P12ihipStream_tbEUlT_E1_NS1_11comp_targetILNS1_3genE8ELNS1_11target_archE1030ELNS1_3gpuE2ELNS1_3repE0EEENS1_30default_config_static_selectorELNS0_4arch9wavefront6targetE1EEEvSK_.uses_flat_scratch, 0
	.set _ZN7rocprim17ROCPRIM_400000_NS6detail17trampoline_kernelINS0_14default_configENS1_22reduce_config_selectorItEEZNS1_11reduce_implILb1ES3_N6thrust23THRUST_200600_302600_NS6detail15normal_iteratorINS8_10device_ptrItEEEEPttNS8_4plusItEEEE10hipError_tPvRmT1_T2_T3_mT4_P12ihipStream_tbEUlT_E1_NS1_11comp_targetILNS1_3genE8ELNS1_11target_archE1030ELNS1_3gpuE2ELNS1_3repE0EEENS1_30default_config_static_selectorELNS0_4arch9wavefront6targetE1EEEvSK_.has_dyn_sized_stack, 0
	.set _ZN7rocprim17ROCPRIM_400000_NS6detail17trampoline_kernelINS0_14default_configENS1_22reduce_config_selectorItEEZNS1_11reduce_implILb1ES3_N6thrust23THRUST_200600_302600_NS6detail15normal_iteratorINS8_10device_ptrItEEEEPttNS8_4plusItEEEE10hipError_tPvRmT1_T2_T3_mT4_P12ihipStream_tbEUlT_E1_NS1_11comp_targetILNS1_3genE8ELNS1_11target_archE1030ELNS1_3gpuE2ELNS1_3repE0EEENS1_30default_config_static_selectorELNS0_4arch9wavefront6targetE1EEEvSK_.has_recursion, 0
	.set _ZN7rocprim17ROCPRIM_400000_NS6detail17trampoline_kernelINS0_14default_configENS1_22reduce_config_selectorItEEZNS1_11reduce_implILb1ES3_N6thrust23THRUST_200600_302600_NS6detail15normal_iteratorINS8_10device_ptrItEEEEPttNS8_4plusItEEEE10hipError_tPvRmT1_T2_T3_mT4_P12ihipStream_tbEUlT_E1_NS1_11comp_targetILNS1_3genE8ELNS1_11target_archE1030ELNS1_3gpuE2ELNS1_3repE0EEENS1_30default_config_static_selectorELNS0_4arch9wavefront6targetE1EEEvSK_.has_indirect_call, 0
	.section	.AMDGPU.csdata,"",@progbits
; Kernel info:
; codeLenInByte = 0
; TotalNumSgprs: 6
; NumVgprs: 0
; NumAgprs: 0
; TotalNumVgprs: 0
; ScratchSize: 0
; MemoryBound: 0
; FloatMode: 240
; IeeeMode: 1
; LDSByteSize: 0 bytes/workgroup (compile time only)
; SGPRBlocks: 0
; VGPRBlocks: 0
; NumSGPRsForWavesPerEU: 6
; NumVGPRsForWavesPerEU: 1
; AccumOffset: 4
; Occupancy: 8
; WaveLimiterHint : 0
; COMPUTE_PGM_RSRC2:SCRATCH_EN: 0
; COMPUTE_PGM_RSRC2:USER_SGPR: 2
; COMPUTE_PGM_RSRC2:TRAP_HANDLER: 0
; COMPUTE_PGM_RSRC2:TGID_X_EN: 1
; COMPUTE_PGM_RSRC2:TGID_Y_EN: 0
; COMPUTE_PGM_RSRC2:TGID_Z_EN: 0
; COMPUTE_PGM_RSRC2:TIDIG_COMP_CNT: 0
; COMPUTE_PGM_RSRC3_GFX90A:ACCUM_OFFSET: 0
; COMPUTE_PGM_RSRC3_GFX90A:TG_SPLIT: 0
	.section	.text._ZN6thrust23THRUST_200600_302600_NS11hip_rocprim14__parallel_for6kernelILj256ENS1_20__uninitialized_fill7functorINS0_10device_ptrIxEExEEmLj1EEEvT0_T1_SA_,"axG",@progbits,_ZN6thrust23THRUST_200600_302600_NS11hip_rocprim14__parallel_for6kernelILj256ENS1_20__uninitialized_fill7functorINS0_10device_ptrIxEExEEmLj1EEEvT0_T1_SA_,comdat
	.protected	_ZN6thrust23THRUST_200600_302600_NS11hip_rocprim14__parallel_for6kernelILj256ENS1_20__uninitialized_fill7functorINS0_10device_ptrIxEExEEmLj1EEEvT0_T1_SA_ ; -- Begin function _ZN6thrust23THRUST_200600_302600_NS11hip_rocprim14__parallel_for6kernelILj256ENS1_20__uninitialized_fill7functorINS0_10device_ptrIxEExEEmLj1EEEvT0_T1_SA_
	.globl	_ZN6thrust23THRUST_200600_302600_NS11hip_rocprim14__parallel_for6kernelILj256ENS1_20__uninitialized_fill7functorINS0_10device_ptrIxEExEEmLj1EEEvT0_T1_SA_
	.p2align	8
	.type	_ZN6thrust23THRUST_200600_302600_NS11hip_rocprim14__parallel_for6kernelILj256ENS1_20__uninitialized_fill7functorINS0_10device_ptrIxEExEEmLj1EEEvT0_T1_SA_,@function
_ZN6thrust23THRUST_200600_302600_NS11hip_rocprim14__parallel_for6kernelILj256ENS1_20__uninitialized_fill7functorINS0_10device_ptrIxEExEEmLj1EEEvT0_T1_SA_: ; @_ZN6thrust23THRUST_200600_302600_NS11hip_rocprim14__parallel_for6kernelILj256ENS1_20__uninitialized_fill7functorINS0_10device_ptrIxEExEEmLj1EEEvT0_T1_SA_
; %bb.0:
	s_load_dwordx8 s[4:11], s[0:1], 0x0
	s_lshl_b32 s0, s2, 8
	v_mov_b64_e32 v[2:3], 0xff
	s_mov_b64 s[2:3], -1
	s_waitcnt lgkmcnt(0)
	s_add_u32 s0, s10, s0
	s_addc_u32 s1, s11, 0
	s_sub_u32 s8, s8, s0
	s_subb_u32 s9, s9, s1
	v_cmp_gt_u64_e32 vcc, s[8:9], v[2:3]
	s_cbranch_vccz .LBB186_3
; %bb.1:
	s_andn2_b64 vcc, exec, s[2:3]
	s_cbranch_vccz .LBB186_6
.LBB186_2:
	s_endpgm
.LBB186_3:
	v_cmp_gt_u32_e32 vcc, s8, v0
	s_and_saveexec_b64 s[2:3], vcc
	s_cbranch_execz .LBB186_5
; %bb.4:
	s_lshl_b64 s[8:9], s[0:1], 3
	s_add_u32 s8, s4, s8
	s_addc_u32 s9, s5, s9
	v_lshlrev_b32_e32 v2, 3, v0
	v_mov_b32_e32 v3, 0
	v_lshl_add_u64 v[2:3], s[8:9], 0, v[2:3]
	v_mov_b64_e32 v[4:5], s[6:7]
	flat_store_dwordx2 v[2:3], v[4:5]
.LBB186_5:
	s_or_b64 exec, exec, s[2:3]
	s_cbranch_execnz .LBB186_2
.LBB186_6:
	s_lshl_b64 s[0:1], s[0:1], 3
	s_add_u32 s0, s4, s0
	s_addc_u32 s1, s5, s1
	v_lshlrev_b32_e32 v0, 3, v0
	v_mov_b32_e32 v1, 0
	v_lshl_add_u64 v[0:1], s[0:1], 0, v[0:1]
	v_mov_b64_e32 v[2:3], s[6:7]
	flat_store_dwordx2 v[0:1], v[2:3]
	s_endpgm
	.section	.rodata,"a",@progbits
	.p2align	6, 0x0
	.amdhsa_kernel _ZN6thrust23THRUST_200600_302600_NS11hip_rocprim14__parallel_for6kernelILj256ENS1_20__uninitialized_fill7functorINS0_10device_ptrIxEExEEmLj1EEEvT0_T1_SA_
		.amdhsa_group_segment_fixed_size 0
		.amdhsa_private_segment_fixed_size 0
		.amdhsa_kernarg_size 32
		.amdhsa_user_sgpr_count 2
		.amdhsa_user_sgpr_dispatch_ptr 0
		.amdhsa_user_sgpr_queue_ptr 0
		.amdhsa_user_sgpr_kernarg_segment_ptr 1
		.amdhsa_user_sgpr_dispatch_id 0
		.amdhsa_user_sgpr_kernarg_preload_length 0
		.amdhsa_user_sgpr_kernarg_preload_offset 0
		.amdhsa_user_sgpr_private_segment_size 0
		.amdhsa_uses_dynamic_stack 0
		.amdhsa_enable_private_segment 0
		.amdhsa_system_sgpr_workgroup_id_x 1
		.amdhsa_system_sgpr_workgroup_id_y 0
		.amdhsa_system_sgpr_workgroup_id_z 0
		.amdhsa_system_sgpr_workgroup_info 0
		.amdhsa_system_vgpr_workitem_id 0
		.amdhsa_next_free_vgpr 6
		.amdhsa_next_free_sgpr 12
		.amdhsa_accum_offset 8
		.amdhsa_reserve_vcc 1
		.amdhsa_float_round_mode_32 0
		.amdhsa_float_round_mode_16_64 0
		.amdhsa_float_denorm_mode_32 3
		.amdhsa_float_denorm_mode_16_64 3
		.amdhsa_dx10_clamp 1
		.amdhsa_ieee_mode 1
		.amdhsa_fp16_overflow 0
		.amdhsa_tg_split 0
		.amdhsa_exception_fp_ieee_invalid_op 0
		.amdhsa_exception_fp_denorm_src 0
		.amdhsa_exception_fp_ieee_div_zero 0
		.amdhsa_exception_fp_ieee_overflow 0
		.amdhsa_exception_fp_ieee_underflow 0
		.amdhsa_exception_fp_ieee_inexact 0
		.amdhsa_exception_int_div_zero 0
	.end_amdhsa_kernel
	.section	.text._ZN6thrust23THRUST_200600_302600_NS11hip_rocprim14__parallel_for6kernelILj256ENS1_20__uninitialized_fill7functorINS0_10device_ptrIxEExEEmLj1EEEvT0_T1_SA_,"axG",@progbits,_ZN6thrust23THRUST_200600_302600_NS11hip_rocprim14__parallel_for6kernelILj256ENS1_20__uninitialized_fill7functorINS0_10device_ptrIxEExEEmLj1EEEvT0_T1_SA_,comdat
.Lfunc_end186:
	.size	_ZN6thrust23THRUST_200600_302600_NS11hip_rocprim14__parallel_for6kernelILj256ENS1_20__uninitialized_fill7functorINS0_10device_ptrIxEExEEmLj1EEEvT0_T1_SA_, .Lfunc_end186-_ZN6thrust23THRUST_200600_302600_NS11hip_rocprim14__parallel_for6kernelILj256ENS1_20__uninitialized_fill7functorINS0_10device_ptrIxEExEEmLj1EEEvT0_T1_SA_
                                        ; -- End function
	.set _ZN6thrust23THRUST_200600_302600_NS11hip_rocprim14__parallel_for6kernelILj256ENS1_20__uninitialized_fill7functorINS0_10device_ptrIxEExEEmLj1EEEvT0_T1_SA_.num_vgpr, 6
	.set _ZN6thrust23THRUST_200600_302600_NS11hip_rocprim14__parallel_for6kernelILj256ENS1_20__uninitialized_fill7functorINS0_10device_ptrIxEExEEmLj1EEEvT0_T1_SA_.num_agpr, 0
	.set _ZN6thrust23THRUST_200600_302600_NS11hip_rocprim14__parallel_for6kernelILj256ENS1_20__uninitialized_fill7functorINS0_10device_ptrIxEExEEmLj1EEEvT0_T1_SA_.numbered_sgpr, 12
	.set _ZN6thrust23THRUST_200600_302600_NS11hip_rocprim14__parallel_for6kernelILj256ENS1_20__uninitialized_fill7functorINS0_10device_ptrIxEExEEmLj1EEEvT0_T1_SA_.num_named_barrier, 0
	.set _ZN6thrust23THRUST_200600_302600_NS11hip_rocprim14__parallel_for6kernelILj256ENS1_20__uninitialized_fill7functorINS0_10device_ptrIxEExEEmLj1EEEvT0_T1_SA_.private_seg_size, 0
	.set _ZN6thrust23THRUST_200600_302600_NS11hip_rocprim14__parallel_for6kernelILj256ENS1_20__uninitialized_fill7functorINS0_10device_ptrIxEExEEmLj1EEEvT0_T1_SA_.uses_vcc, 1
	.set _ZN6thrust23THRUST_200600_302600_NS11hip_rocprim14__parallel_for6kernelILj256ENS1_20__uninitialized_fill7functorINS0_10device_ptrIxEExEEmLj1EEEvT0_T1_SA_.uses_flat_scratch, 0
	.set _ZN6thrust23THRUST_200600_302600_NS11hip_rocprim14__parallel_for6kernelILj256ENS1_20__uninitialized_fill7functorINS0_10device_ptrIxEExEEmLj1EEEvT0_T1_SA_.has_dyn_sized_stack, 0
	.set _ZN6thrust23THRUST_200600_302600_NS11hip_rocprim14__parallel_for6kernelILj256ENS1_20__uninitialized_fill7functorINS0_10device_ptrIxEExEEmLj1EEEvT0_T1_SA_.has_recursion, 0
	.set _ZN6thrust23THRUST_200600_302600_NS11hip_rocprim14__parallel_for6kernelILj256ENS1_20__uninitialized_fill7functorINS0_10device_ptrIxEExEEmLj1EEEvT0_T1_SA_.has_indirect_call, 0
	.section	.AMDGPU.csdata,"",@progbits
; Kernel info:
; codeLenInByte = 168
; TotalNumSgprs: 18
; NumVgprs: 6
; NumAgprs: 0
; TotalNumVgprs: 6
; ScratchSize: 0
; MemoryBound: 0
; FloatMode: 240
; IeeeMode: 1
; LDSByteSize: 0 bytes/workgroup (compile time only)
; SGPRBlocks: 2
; VGPRBlocks: 0
; NumSGPRsForWavesPerEU: 18
; NumVGPRsForWavesPerEU: 6
; AccumOffset: 8
; Occupancy: 8
; WaveLimiterHint : 0
; COMPUTE_PGM_RSRC2:SCRATCH_EN: 0
; COMPUTE_PGM_RSRC2:USER_SGPR: 2
; COMPUTE_PGM_RSRC2:TRAP_HANDLER: 0
; COMPUTE_PGM_RSRC2:TGID_X_EN: 1
; COMPUTE_PGM_RSRC2:TGID_Y_EN: 0
; COMPUTE_PGM_RSRC2:TGID_Z_EN: 0
; COMPUTE_PGM_RSRC2:TIDIG_COMP_CNT: 0
; COMPUTE_PGM_RSRC3_GFX90A:ACCUM_OFFSET: 1
; COMPUTE_PGM_RSRC3_GFX90A:TG_SPLIT: 0
	.section	.text._ZN7rocprim17ROCPRIM_400000_NS6detail17trampoline_kernelINS0_14default_configENS1_22reduce_config_selectorIxEEZNS1_11reduce_implILb1ES3_PxS7_xN6thrust23THRUST_200600_302600_NS4plusIxEEEE10hipError_tPvRmT1_T2_T3_mT4_P12ihipStream_tbEUlT_E0_NS1_11comp_targetILNS1_3genE0ELNS1_11target_archE4294967295ELNS1_3gpuE0ELNS1_3repE0EEENS1_30default_config_static_selectorELNS0_4arch9wavefront6targetE1EEEvSF_,"axG",@progbits,_ZN7rocprim17ROCPRIM_400000_NS6detail17trampoline_kernelINS0_14default_configENS1_22reduce_config_selectorIxEEZNS1_11reduce_implILb1ES3_PxS7_xN6thrust23THRUST_200600_302600_NS4plusIxEEEE10hipError_tPvRmT1_T2_T3_mT4_P12ihipStream_tbEUlT_E0_NS1_11comp_targetILNS1_3genE0ELNS1_11target_archE4294967295ELNS1_3gpuE0ELNS1_3repE0EEENS1_30default_config_static_selectorELNS0_4arch9wavefront6targetE1EEEvSF_,comdat
	.protected	_ZN7rocprim17ROCPRIM_400000_NS6detail17trampoline_kernelINS0_14default_configENS1_22reduce_config_selectorIxEEZNS1_11reduce_implILb1ES3_PxS7_xN6thrust23THRUST_200600_302600_NS4plusIxEEEE10hipError_tPvRmT1_T2_T3_mT4_P12ihipStream_tbEUlT_E0_NS1_11comp_targetILNS1_3genE0ELNS1_11target_archE4294967295ELNS1_3gpuE0ELNS1_3repE0EEENS1_30default_config_static_selectorELNS0_4arch9wavefront6targetE1EEEvSF_ ; -- Begin function _ZN7rocprim17ROCPRIM_400000_NS6detail17trampoline_kernelINS0_14default_configENS1_22reduce_config_selectorIxEEZNS1_11reduce_implILb1ES3_PxS7_xN6thrust23THRUST_200600_302600_NS4plusIxEEEE10hipError_tPvRmT1_T2_T3_mT4_P12ihipStream_tbEUlT_E0_NS1_11comp_targetILNS1_3genE0ELNS1_11target_archE4294967295ELNS1_3gpuE0ELNS1_3repE0EEENS1_30default_config_static_selectorELNS0_4arch9wavefront6targetE1EEEvSF_
	.globl	_ZN7rocprim17ROCPRIM_400000_NS6detail17trampoline_kernelINS0_14default_configENS1_22reduce_config_selectorIxEEZNS1_11reduce_implILb1ES3_PxS7_xN6thrust23THRUST_200600_302600_NS4plusIxEEEE10hipError_tPvRmT1_T2_T3_mT4_P12ihipStream_tbEUlT_E0_NS1_11comp_targetILNS1_3genE0ELNS1_11target_archE4294967295ELNS1_3gpuE0ELNS1_3repE0EEENS1_30default_config_static_selectorELNS0_4arch9wavefront6targetE1EEEvSF_
	.p2align	8
	.type	_ZN7rocprim17ROCPRIM_400000_NS6detail17trampoline_kernelINS0_14default_configENS1_22reduce_config_selectorIxEEZNS1_11reduce_implILb1ES3_PxS7_xN6thrust23THRUST_200600_302600_NS4plusIxEEEE10hipError_tPvRmT1_T2_T3_mT4_P12ihipStream_tbEUlT_E0_NS1_11comp_targetILNS1_3genE0ELNS1_11target_archE4294967295ELNS1_3gpuE0ELNS1_3repE0EEENS1_30default_config_static_selectorELNS0_4arch9wavefront6targetE1EEEvSF_,@function
_ZN7rocprim17ROCPRIM_400000_NS6detail17trampoline_kernelINS0_14default_configENS1_22reduce_config_selectorIxEEZNS1_11reduce_implILb1ES3_PxS7_xN6thrust23THRUST_200600_302600_NS4plusIxEEEE10hipError_tPvRmT1_T2_T3_mT4_P12ihipStream_tbEUlT_E0_NS1_11comp_targetILNS1_3genE0ELNS1_11target_archE4294967295ELNS1_3gpuE0ELNS1_3repE0EEENS1_30default_config_static_selectorELNS0_4arch9wavefront6targetE1EEEvSF_: ; @_ZN7rocprim17ROCPRIM_400000_NS6detail17trampoline_kernelINS0_14default_configENS1_22reduce_config_selectorIxEEZNS1_11reduce_implILb1ES3_PxS7_xN6thrust23THRUST_200600_302600_NS4plusIxEEEE10hipError_tPvRmT1_T2_T3_mT4_P12ihipStream_tbEUlT_E0_NS1_11comp_targetILNS1_3genE0ELNS1_11target_archE4294967295ELNS1_3gpuE0ELNS1_3repE0EEENS1_30default_config_static_selectorELNS0_4arch9wavefront6targetE1EEEvSF_
; %bb.0:
	s_load_dwordx8 s[36:43], s[0:1], 0x0
	s_load_dwordx4 s[44:47], s[0:1], 0x20
	s_load_dwordx2 s[30:31], s[0:1], 0x30
	v_lshlrev_b32_e32 v34, 3, v0
	v_mbcnt_lo_u32_b32 v1, -1, 0
	s_waitcnt lgkmcnt(0)
	s_lshl_b64 s[0:1], s[38:39], 3
	s_add_u32 s8, s36, s0
	s_addc_u32 s9, s37, s1
	s_lshl_b32 s0, s2, 12
	s_mov_b32 s1, 0
	s_lshr_b64 s[4:5], s[40:41], 12
	s_lshl_b64 s[6:7], s[0:1], 3
	s_add_u32 s34, s8, s6
	s_mov_b32 s3, s1
	s_addc_u32 s35, s9, s7
	s_cmp_lg_u64 s[4:5], s[2:3]
	s_cbranch_scc0 .LBB187_6
; %bb.1:
	v_mov_b32_e32 v35, 0
	v_lshl_add_u64 v[2:3], s[34:35], 0, v[34:35]
	global_load_dwordx2 v[6:7], v34, s[34:35]
	global_load_dwordx2 v[8:9], v34, s[34:35] offset:2048
	v_add_co_u32_e32 v4, vcc, 0x1000, v2
	v_mov_b32_e32 v41, v35
	s_nop 0
	v_addc_co_u32_e32 v5, vcc, 0, v3, vcc
	v_add_co_u32_e32 v10, vcc, 0x2000, v2
	v_mov_b32_e32 v45, v35
	s_nop 0
	v_addc_co_u32_e32 v11, vcc, 0, v3, vcc
	global_load_dwordx2 v[12:13], v[4:5], off
	global_load_dwordx2 v[14:15], v[4:5], off offset:2048
	global_load_dwordx2 v[16:17], v[10:11], off
	global_load_dwordx2 v[18:19], v[10:11], off offset:2048
	v_add_co_u32_e32 v4, vcc, 0x3000, v2
	v_mov_b32_e32 v42, v35
	s_nop 0
	v_addc_co_u32_e32 v5, vcc, 0, v3, vcc
	v_add_co_u32_e32 v10, vcc, 0x4000, v2
	v_mov_b32_e32 v49, v35
	s_nop 0
	v_addc_co_u32_e32 v11, vcc, 0, v3, vcc
	global_load_dwordx2 v[20:21], v[4:5], off
	global_load_dwordx2 v[22:23], v[4:5], off offset:2048
	global_load_dwordx2 v[24:25], v[10:11], off
	global_load_dwordx2 v[26:27], v[10:11], off offset:2048
	;; [unrolled: 12-line block ×3, first 2 shown]
	v_add_co_u32_e32 v2, vcc, 0x7000, v2
	v_mov_b32_e32 v50, v35
	s_nop 0
	v_addc_co_u32_e32 v3, vcc, 0, v3, vcc
	global_load_dwordx2 v[10:11], v[2:3], off
	global_load_dwordx2 v[38:39], v[2:3], off offset:2048
	v_mov_b32_e32 v2, v35
	v_mov_b32_e32 v57, v35
	;; [unrolled: 1-line block ×3, first 2 shown]
	v_mbcnt_hi_u32_b32 v4, -1, v1
	v_mov_b32_e32 v59, v35
	v_lshlrev_b32_e32 v5, 2, v4
	v_or_b32_e32 v35, 0xfc, v5
	v_cmp_eq_u32_e32 vcc, 0, v4
	s_waitcnt vmcnt(14)
	v_lshl_add_u64 v[6:7], v[8:9], 0, v[6:7]
	s_waitcnt vmcnt(13)
	v_lshl_add_u64 v[6:7], v[6:7], 0, v[12:13]
	;; [unrolled: 2-line block ×15, first 2 shown]
	s_nop 1
	v_mov_b32_dpp v40, v6 quad_perm:[1,0,3,2] row_mask:0xf bank_mask:0xf bound_ctrl:1
	v_mov_b32_dpp v3, v7 quad_perm:[1,0,3,2] row_mask:0xf bank_mask:0xf bound_ctrl:1
	v_lshl_add_u64 v[6:7], v[6:7], 0, v[40:41]
	v_lshl_add_u64 v[2:3], v[2:3], 0, v[6:7]
	s_nop 0
	v_mov_b32_dpp v44, v6 quad_perm:[2,3,0,1] row_mask:0xf bank_mask:0xf bound_ctrl:1
	v_mov_b32_dpp v43, v3 quad_perm:[2,3,0,1] row_mask:0xf bank_mask:0xf bound_ctrl:1
	v_lshl_add_u64 v[2:3], v[2:3], 0, v[44:45]
	v_lshl_add_u64 v[6:7], v[2:3], 0, v[42:43]
	s_nop 0
	v_mov_b32_dpp v48, v2 row_ror:4 row_mask:0xf bank_mask:0xf bound_ctrl:1
	v_mov_b32_dpp v47, v7 row_ror:4 row_mask:0xf bank_mask:0xf bound_ctrl:1
	v_lshl_add_u64 v[2:3], v[6:7], 0, v[48:49]
	v_lshl_add_u64 v[6:7], v[2:3], 0, v[46:47]
	s_nop 0
	v_mov_b32_dpp v52, v2 row_ror:8 row_mask:0xf bank_mask:0xf bound_ctrl:1
	v_mov_b32_dpp v51, v7 row_ror:8 row_mask:0xf bank_mask:0xf bound_ctrl:1
	v_lshl_add_u64 v[2:3], v[6:7], 0, v[52:53]
	v_lshl_add_u64 v[6:7], v[2:3], 0, v[50:51]
	s_nop 0
	v_mov_b32_dpp v56, v2 row_bcast:15 row_mask:0xf bank_mask:0xf bound_ctrl:1
	v_mov_b32_dpp v55, v7 row_bcast:15 row_mask:0xf bank_mask:0xf bound_ctrl:1
	v_lshl_add_u64 v[2:3], v[6:7], 0, v[56:57]
	v_lshl_add_u64 v[6:7], v[2:3], 0, v[54:55]
	s_nop 0
	v_mov_b32_dpp v58, v2 row_bcast:31 row_mask:0xf bank_mask:0xf bound_ctrl:1
	v_lshl_add_u64 v[2:3], v[6:7], 0, v[58:59]
	ds_bpermute_b32 v2, v35, v2
	s_nop 0
	v_add_u32_dpp v3, v7, v3 row_bcast:31 row_mask:0xf bank_mask:0xf bound_ctrl:1
	ds_bpermute_b32 v3, v35, v3
	s_and_saveexec_b64 s[4:5], vcc
	s_cbranch_execz .LBB187_3
; %bb.2:
	v_lshrrev_b32_e32 v6, 3, v0
	v_and_b32_e32 v6, 24, v6
	s_waitcnt lgkmcnt(0)
	ds_write_b64 v6, v[2:3]
.LBB187_3:
	s_or_b64 exec, exec, s[4:5]
	v_cmp_gt_u32_e32 vcc, 64, v0
	s_waitcnt lgkmcnt(0)
	s_barrier
	s_and_saveexec_b64 s[4:5], vcc
	s_cbranch_execz .LBB187_5
; %bb.4:
	v_and_b32_e32 v6, 3, v4
	v_lshlrev_b32_e32 v2, 3, v6
	ds_read_b64 v[2:3], v2
	v_cmp_ne_u32_e32 vcc, 3, v6
	v_or_b32_e32 v8, 8, v5
	s_nop 0
	v_addc_co_u32_e32 v4, vcc, 0, v4, vcc
	v_lshlrev_b32_e32 v6, 2, v4
	s_waitcnt lgkmcnt(0)
	ds_bpermute_b32 v4, v6, v2
	ds_bpermute_b32 v7, v6, v3
	v_mov_b32_e32 v6, 0
	v_mov_b32_e32 v5, v6
	s_waitcnt lgkmcnt(1)
	v_lshl_add_u64 v[2:3], v[2:3], 0, v[4:5]
	s_waitcnt lgkmcnt(0)
	v_lshl_add_u64 v[4:5], v[6:7], 0, v[2:3]
	ds_bpermute_b32 v2, v8, v2
	ds_bpermute_b32 v7, v8, v5
	v_mov_b32_e32 v3, v6
	s_waitcnt lgkmcnt(1)
	v_lshl_add_u64 v[2:3], v[4:5], 0, v[2:3]
	s_waitcnt lgkmcnt(0)
	v_lshl_add_u64 v[2:3], v[2:3], 0, v[6:7]
.LBB187_5:
	s_or_b64 exec, exec, s[4:5]
	s_branch .LBB187_48
.LBB187_6:
                                        ; implicit-def: $vgpr2_vgpr3
	s_cbranch_execz .LBB187_48
; %bb.7:
	s_sub_i32 s33, s40, s0
	v_mov_b32_e32 v2, 0
	v_cmp_gt_u32_e32 vcc, s33, v0
	v_mov_b32_e32 v3, v2
	v_mov_b32_e32 v4, v2
	;; [unrolled: 1-line block ×31, first 2 shown]
	s_and_saveexec_b64 s[0:1], vcc
	s_cbranch_execz .LBB187_9
; %bb.8:
	global_load_dwordx2 v[36:37], v34, s[34:35]
	v_mov_b32_e32 v38, v2
	v_mov_b32_e32 v39, v2
	v_mov_b32_e32 v40, v2
	v_mov_b32_e32 v41, v2
	v_mov_b32_e32 v42, v2
	v_mov_b32_e32 v43, v2
	v_mov_b32_e32 v44, v2
	v_mov_b32_e32 v45, v2
	v_mov_b32_e32 v46, v2
	v_mov_b32_e32 v47, v2
	v_mov_b32_e32 v48, v2
	v_mov_b32_e32 v49, v2
	v_mov_b32_e32 v50, v2
	v_mov_b32_e32 v51, v2
	v_mov_b32_e32 v52, v2
	v_mov_b32_e32 v53, v2
	v_mov_b32_e32 v54, v2
	v_mov_b32_e32 v55, v2
	v_mov_b32_e32 v56, v2
	v_mov_b32_e32 v57, v2
	v_mov_b32_e32 v58, v2
	v_mov_b32_e32 v59, v2
	v_mov_b32_e32 v60, v2
	v_mov_b32_e32 v61, v2
	v_mov_b32_e32 v62, v2
	v_mov_b32_e32 v63, v2
	v_mov_b32_e32 v64, v2
	v_mov_b32_e32 v65, v2
	v_mov_b32_e32 v66, v2
	v_mov_b32_e32 v67, v2
	s_waitcnt vmcnt(0)
	v_mov_b64_e32 v[2:3], v[36:37]
	v_mov_b64_e32 v[4:5], v[38:39]
	;; [unrolled: 1-line block ×16, first 2 shown]
.LBB187_9:
	s_or_b64 exec, exec, s[0:1]
	v_or_b32_e32 v35, 0x100, v0
	v_cmp_gt_u32_e32 vcc, s33, v35
	s_and_saveexec_b64 s[0:1], vcc
	s_cbranch_execz .LBB187_11
; %bb.10:
	global_load_dwordx2 v[4:5], v34, s[34:35] offset:2048
.LBB187_11:
	s_or_b64 exec, exec, s[0:1]
	v_or_b32_e32 v34, 0x200, v0
	v_cmp_gt_u32_e64 s[0:1], s33, v34
	s_and_saveexec_b64 s[4:5], s[0:1]
	s_cbranch_execz .LBB187_13
; %bb.12:
	v_lshlrev_b32_e32 v6, 3, v34
	global_load_dwordx2 v[6:7], v6, s[34:35]
.LBB187_13:
	s_or_b64 exec, exec, s[4:5]
	v_or_b32_e32 v34, 0x300, v0
	v_cmp_gt_u32_e64 s[4:5], s33, v34
	s_and_saveexec_b64 s[6:7], s[4:5]
	s_cbranch_execz .LBB187_15
; %bb.14:
	v_lshlrev_b32_e32 v8, 3, v34
	global_load_dwordx2 v[8:9], v8, s[34:35]
.LBB187_15:
	;; [unrolled: 9-line block ×14, first 2 shown]
	s_or_b64 exec, exec, s[36:37]
	s_waitcnt vmcnt(0)
	v_cndmask_b32_e32 v5, 0, v5, vcc
	v_cndmask_b32_e32 v4, 0, v4, vcc
	v_lshl_add_u64 v[2:3], v[4:5], 0, v[2:3]
	v_cndmask_b32_e64 v5, 0, v7, s[0:1]
	v_cndmask_b32_e64 v4, 0, v6, s[0:1]
	v_lshl_add_u64 v[2:3], v[2:3], 0, v[4:5]
	v_cndmask_b32_e64 v5, 0, v9, s[4:5]
	v_cndmask_b32_e64 v4, 0, v8, s[4:5]
	;; [unrolled: 3-line block ×13, first 2 shown]
	v_mbcnt_hi_u32_b32 v1, -1, v1
	v_lshl_add_u64 v[2:3], v[2:3], 0, v[4:5]
	v_cndmask_b32_e64 v5, 0, v33, s[28:29]
	v_cndmask_b32_e64 v4, 0, v32, s[28:29]
	v_and_b32_e32 v9, 63, v1
	v_lshl_add_u64 v[2:3], v[2:3], 0, v[4:5]
	s_min_u32 s6, s33, 0x100
	v_and_b32_e32 v4, 0xc0, v0
	v_cmp_ne_u32_e32 vcc, 63, v9
	v_sub_u32_e64 v8, s6, v4 clamp
	v_mov_b32_e32 v6, 0
	v_addc_co_u32_e32 v4, vcc, 0, v1, vcc
	v_lshlrev_b32_e32 v5, 2, v4
	ds_bpermute_b32 v4, v5, v2
	ds_bpermute_b32 v7, v5, v3
	v_add_u32_e32 v10, 1, v9
	v_mov_b32_e32 v5, v6
	v_cmp_lt_u32_e64 s[0:1], v10, v8
	s_waitcnt lgkmcnt(1)
	v_lshl_add_u64 v[4:5], v[2:3], 0, v[4:5]
	v_cmp_gt_u32_e32 vcc, 62, v9
	s_waitcnt lgkmcnt(0)
	v_lshl_add_u64 v[6:7], v[4:5], 0, v[6:7]
	v_cndmask_b32_e64 v12, v2, v4, s[0:1]
	v_cndmask_b32_e64 v4, 0, 2, vcc
	v_cndmask_b32_e64 v5, v3, v7, s[0:1]
	v_add_lshl_u32 v4, v4, v1, 2
	ds_bpermute_b32 v10, v4, v12
	ds_bpermute_b32 v11, v4, v5
	v_cndmask_b32_e64 v4, v2, v6, s[0:1]
	v_add_u32_e32 v13, 2, v9
	v_cmp_lt_u32_e32 vcc, v13, v8
	v_cmp_gt_u32_e64 s[4:5], 60, v9
	s_waitcnt lgkmcnt(0)
	v_lshl_add_u64 v[6:7], v[10:11], 0, v[4:5]
	v_cndmask_b32_e32 v5, v5, v7, vcc
	v_cndmask_b32_e64 v7, 0, 4, s[4:5]
	v_cndmask_b32_e32 v12, v12, v6, vcc
	v_add_lshl_u32 v7, v7, v1, 2
	ds_bpermute_b32 v10, v7, v12
	ds_bpermute_b32 v11, v7, v5
	v_cndmask_b32_e32 v4, v4, v6, vcc
	v_add_u32_e32 v13, 4, v9
	v_cmp_lt_u32_e32 vcc, v13, v8
	v_cmp_gt_u32_e64 s[4:5], 56, v9
	s_waitcnt lgkmcnt(0)
	v_lshl_add_u64 v[6:7], v[10:11], 0, v[4:5]
	v_cndmask_b32_e32 v5, v5, v7, vcc
	v_cndmask_b32_e64 v7, 0, 8, s[4:5]
	v_cndmask_b32_e32 v12, v12, v6, vcc
	v_add_lshl_u32 v7, v7, v1, 2
	ds_bpermute_b32 v10, v7, v12
	ds_bpermute_b32 v11, v7, v5
	v_cndmask_b32_e32 v4, v4, v6, vcc
	;; [unrolled: 12-line block ×3, first 2 shown]
	v_add_u32_e32 v13, 16, v9
	v_cmp_lt_u32_e32 vcc, v13, v8
	s_waitcnt lgkmcnt(0)
	v_lshl_add_u64 v[6:7], v[10:11], 0, v[4:5]
	v_lshlrev_b32_e32 v10, 2, v1
	v_cndmask_b32_e32 v13, v5, v7, vcc
	v_cndmask_b32_e32 v11, v12, v6, vcc
	v_or_b32_e32 v12, 0x80, v10
	ds_bpermute_b32 v11, v12, v11
	ds_bpermute_b32 v12, v12, v13
	s_and_saveexec_b64 s[4:5], s[0:1]
	s_cbranch_execz .LBB187_41
; %bb.40:
	v_add_u32_e32 v9, 32, v9
	v_cndmask_b32_e32 v3, v5, v7, vcc
	v_cndmask_b32_e32 v2, v4, v6, vcc
	v_cmp_lt_u32_e32 vcc, v9, v8
	s_waitcnt lgkmcnt(0)
	s_nop 0
	v_cndmask_b32_e32 v5, 0, v12, vcc
	v_cndmask_b32_e32 v4, 0, v11, vcc
	v_lshl_add_u64 v[2:3], v[2:3], 0, v[4:5]
.LBB187_41:
	s_or_b64 exec, exec, s[4:5]
	v_cmp_eq_u32_e32 vcc, 0, v1
	s_and_saveexec_b64 s[0:1], vcc
; %bb.42:
	v_lshrrev_b32_e32 v4, 3, v0
	v_and_b32_e32 v4, 24, v4
	ds_write_b64 v4, v[2:3] offset:32
; %bb.43:
	s_or_b64 exec, exec, s[0:1]
	v_cmp_gt_u32_e32 vcc, 4, v0
	s_waitcnt lgkmcnt(0)
	s_barrier
	s_and_saveexec_b64 s[0:1], vcc
	s_cbranch_execz .LBB187_47
; %bb.44:
	v_lshlrev_b32_e32 v2, 3, v1
	ds_read_b64 v[2:3], v2 offset:32
	v_and_b32_e32 v6, 3, v1
	v_cmp_ne_u32_e32 vcc, 3, v6
	v_mov_b32_e32 v8, 0
	s_add_i32 s6, s6, 63
	v_addc_co_u32_e32 v1, vcc, 0, v1, vcc
	v_lshlrev_b32_e32 v1, 2, v1
	s_waitcnt lgkmcnt(0)
	ds_bpermute_b32 v4, v1, v2
	ds_bpermute_b32 v9, v1, v3
	v_mov_b32_e32 v5, v8
	s_lshr_b32 s6, s6, 6
	v_add_u32_e32 v1, 1, v6
	s_waitcnt lgkmcnt(1)
	v_lshl_add_u64 v[12:13], v[2:3], 0, v[4:5]
	s_waitcnt lgkmcnt(0)
	v_lshl_add_u64 v[4:5], v[8:9], 0, v[12:13]
	v_cmp_gt_u32_e32 vcc, s6, v1
	v_or_b32_e32 v8, 8, v10
	s_nop 0
	v_cndmask_b32_e32 v7, v3, v5, vcc
	v_cndmask_b32_e32 v1, v2, v12, vcc
	ds_bpermute_b32 v1, v8, v1
	ds_bpermute_b32 v7, v8, v7
	s_and_saveexec_b64 s[4:5], vcc
	s_cbranch_execz .LBB187_46
; %bb.45:
	v_add_u32_e32 v2, 2, v6
	v_cmp_gt_u32_e32 vcc, s6, v2
	s_waitcnt lgkmcnt(0)
	s_nop 0
	v_cndmask_b32_e32 v3, 0, v7, vcc
	v_cndmask_b32_e32 v2, 0, v1, vcc
	v_lshl_add_u64 v[2:3], v[2:3], 0, v[4:5]
.LBB187_46:
	s_or_b64 exec, exec, s[4:5]
.LBB187_47:
	s_or_b64 exec, exec, s[0:1]
.LBB187_48:
	v_cmp_eq_u32_e32 vcc, 0, v0
	s_and_saveexec_b64 s[0:1], vcc
	s_cbranch_execnz .LBB187_50
; %bb.49:
	s_endpgm
.LBB187_50:
	s_mul_i32 s0, s46, s45
	s_mul_hi_u32 s1, s46, s44
	s_add_i32 s0, s1, s0
	s_mul_i32 s1, s47, s44
	s_add_i32 s1, s0, s1
	s_mul_i32 s0, s46, s44
	s_lshl_b64 s[0:1], s[0:1], 3
	s_add_u32 s4, s42, s0
	s_addc_u32 s5, s43, s1
	s_cmp_eq_u64 s[40:41], 0
	v_mov_b32_e32 v0, s31
	s_cselect_b64 vcc, -1, 0
	s_lshl_b64 s[0:1], s[2:3], 3
	s_waitcnt lgkmcnt(1)
	v_cndmask_b32_e32 v1, v3, v0, vcc
	v_mov_b32_e32 v0, s30
	s_add_u32 s0, s4, s0
	v_cndmask_b32_e32 v0, v2, v0, vcc
	s_addc_u32 s1, s5, s1
	v_mov_b32_e32 v2, 0
	global_store_dwordx2 v2, v[0:1], s[0:1]
	s_endpgm
	.section	.rodata,"a",@progbits
	.p2align	6, 0x0
	.amdhsa_kernel _ZN7rocprim17ROCPRIM_400000_NS6detail17trampoline_kernelINS0_14default_configENS1_22reduce_config_selectorIxEEZNS1_11reduce_implILb1ES3_PxS7_xN6thrust23THRUST_200600_302600_NS4plusIxEEEE10hipError_tPvRmT1_T2_T3_mT4_P12ihipStream_tbEUlT_E0_NS1_11comp_targetILNS1_3genE0ELNS1_11target_archE4294967295ELNS1_3gpuE0ELNS1_3repE0EEENS1_30default_config_static_selectorELNS0_4arch9wavefront6targetE1EEEvSF_
		.amdhsa_group_segment_fixed_size 64
		.amdhsa_private_segment_fixed_size 0
		.amdhsa_kernarg_size 64
		.amdhsa_user_sgpr_count 2
		.amdhsa_user_sgpr_dispatch_ptr 0
		.amdhsa_user_sgpr_queue_ptr 0
		.amdhsa_user_sgpr_kernarg_segment_ptr 1
		.amdhsa_user_sgpr_dispatch_id 0
		.amdhsa_user_sgpr_kernarg_preload_length 0
		.amdhsa_user_sgpr_kernarg_preload_offset 0
		.amdhsa_user_sgpr_private_segment_size 0
		.amdhsa_uses_dynamic_stack 0
		.amdhsa_enable_private_segment 0
		.amdhsa_system_sgpr_workgroup_id_x 1
		.amdhsa_system_sgpr_workgroup_id_y 0
		.amdhsa_system_sgpr_workgroup_id_z 0
		.amdhsa_system_sgpr_workgroup_info 0
		.amdhsa_system_vgpr_workitem_id 0
		.amdhsa_next_free_vgpr 68
		.amdhsa_next_free_sgpr 48
		.amdhsa_accum_offset 68
		.amdhsa_reserve_vcc 1
		.amdhsa_float_round_mode_32 0
		.amdhsa_float_round_mode_16_64 0
		.amdhsa_float_denorm_mode_32 3
		.amdhsa_float_denorm_mode_16_64 3
		.amdhsa_dx10_clamp 1
		.amdhsa_ieee_mode 1
		.amdhsa_fp16_overflow 0
		.amdhsa_tg_split 0
		.amdhsa_exception_fp_ieee_invalid_op 0
		.amdhsa_exception_fp_denorm_src 0
		.amdhsa_exception_fp_ieee_div_zero 0
		.amdhsa_exception_fp_ieee_overflow 0
		.amdhsa_exception_fp_ieee_underflow 0
		.amdhsa_exception_fp_ieee_inexact 0
		.amdhsa_exception_int_div_zero 0
	.end_amdhsa_kernel
	.section	.text._ZN7rocprim17ROCPRIM_400000_NS6detail17trampoline_kernelINS0_14default_configENS1_22reduce_config_selectorIxEEZNS1_11reduce_implILb1ES3_PxS7_xN6thrust23THRUST_200600_302600_NS4plusIxEEEE10hipError_tPvRmT1_T2_T3_mT4_P12ihipStream_tbEUlT_E0_NS1_11comp_targetILNS1_3genE0ELNS1_11target_archE4294967295ELNS1_3gpuE0ELNS1_3repE0EEENS1_30default_config_static_selectorELNS0_4arch9wavefront6targetE1EEEvSF_,"axG",@progbits,_ZN7rocprim17ROCPRIM_400000_NS6detail17trampoline_kernelINS0_14default_configENS1_22reduce_config_selectorIxEEZNS1_11reduce_implILb1ES3_PxS7_xN6thrust23THRUST_200600_302600_NS4plusIxEEEE10hipError_tPvRmT1_T2_T3_mT4_P12ihipStream_tbEUlT_E0_NS1_11comp_targetILNS1_3genE0ELNS1_11target_archE4294967295ELNS1_3gpuE0ELNS1_3repE0EEENS1_30default_config_static_selectorELNS0_4arch9wavefront6targetE1EEEvSF_,comdat
.Lfunc_end187:
	.size	_ZN7rocprim17ROCPRIM_400000_NS6detail17trampoline_kernelINS0_14default_configENS1_22reduce_config_selectorIxEEZNS1_11reduce_implILb1ES3_PxS7_xN6thrust23THRUST_200600_302600_NS4plusIxEEEE10hipError_tPvRmT1_T2_T3_mT4_P12ihipStream_tbEUlT_E0_NS1_11comp_targetILNS1_3genE0ELNS1_11target_archE4294967295ELNS1_3gpuE0ELNS1_3repE0EEENS1_30default_config_static_selectorELNS0_4arch9wavefront6targetE1EEEvSF_, .Lfunc_end187-_ZN7rocprim17ROCPRIM_400000_NS6detail17trampoline_kernelINS0_14default_configENS1_22reduce_config_selectorIxEEZNS1_11reduce_implILb1ES3_PxS7_xN6thrust23THRUST_200600_302600_NS4plusIxEEEE10hipError_tPvRmT1_T2_T3_mT4_P12ihipStream_tbEUlT_E0_NS1_11comp_targetILNS1_3genE0ELNS1_11target_archE4294967295ELNS1_3gpuE0ELNS1_3repE0EEENS1_30default_config_static_selectorELNS0_4arch9wavefront6targetE1EEEvSF_
                                        ; -- End function
	.set _ZN7rocprim17ROCPRIM_400000_NS6detail17trampoline_kernelINS0_14default_configENS1_22reduce_config_selectorIxEEZNS1_11reduce_implILb1ES3_PxS7_xN6thrust23THRUST_200600_302600_NS4plusIxEEEE10hipError_tPvRmT1_T2_T3_mT4_P12ihipStream_tbEUlT_E0_NS1_11comp_targetILNS1_3genE0ELNS1_11target_archE4294967295ELNS1_3gpuE0ELNS1_3repE0EEENS1_30default_config_static_selectorELNS0_4arch9wavefront6targetE1EEEvSF_.num_vgpr, 68
	.set _ZN7rocprim17ROCPRIM_400000_NS6detail17trampoline_kernelINS0_14default_configENS1_22reduce_config_selectorIxEEZNS1_11reduce_implILb1ES3_PxS7_xN6thrust23THRUST_200600_302600_NS4plusIxEEEE10hipError_tPvRmT1_T2_T3_mT4_P12ihipStream_tbEUlT_E0_NS1_11comp_targetILNS1_3genE0ELNS1_11target_archE4294967295ELNS1_3gpuE0ELNS1_3repE0EEENS1_30default_config_static_selectorELNS0_4arch9wavefront6targetE1EEEvSF_.num_agpr, 0
	.set _ZN7rocprim17ROCPRIM_400000_NS6detail17trampoline_kernelINS0_14default_configENS1_22reduce_config_selectorIxEEZNS1_11reduce_implILb1ES3_PxS7_xN6thrust23THRUST_200600_302600_NS4plusIxEEEE10hipError_tPvRmT1_T2_T3_mT4_P12ihipStream_tbEUlT_E0_NS1_11comp_targetILNS1_3genE0ELNS1_11target_archE4294967295ELNS1_3gpuE0ELNS1_3repE0EEENS1_30default_config_static_selectorELNS0_4arch9wavefront6targetE1EEEvSF_.numbered_sgpr, 48
	.set _ZN7rocprim17ROCPRIM_400000_NS6detail17trampoline_kernelINS0_14default_configENS1_22reduce_config_selectorIxEEZNS1_11reduce_implILb1ES3_PxS7_xN6thrust23THRUST_200600_302600_NS4plusIxEEEE10hipError_tPvRmT1_T2_T3_mT4_P12ihipStream_tbEUlT_E0_NS1_11comp_targetILNS1_3genE0ELNS1_11target_archE4294967295ELNS1_3gpuE0ELNS1_3repE0EEENS1_30default_config_static_selectorELNS0_4arch9wavefront6targetE1EEEvSF_.num_named_barrier, 0
	.set _ZN7rocprim17ROCPRIM_400000_NS6detail17trampoline_kernelINS0_14default_configENS1_22reduce_config_selectorIxEEZNS1_11reduce_implILb1ES3_PxS7_xN6thrust23THRUST_200600_302600_NS4plusIxEEEE10hipError_tPvRmT1_T2_T3_mT4_P12ihipStream_tbEUlT_E0_NS1_11comp_targetILNS1_3genE0ELNS1_11target_archE4294967295ELNS1_3gpuE0ELNS1_3repE0EEENS1_30default_config_static_selectorELNS0_4arch9wavefront6targetE1EEEvSF_.private_seg_size, 0
	.set _ZN7rocprim17ROCPRIM_400000_NS6detail17trampoline_kernelINS0_14default_configENS1_22reduce_config_selectorIxEEZNS1_11reduce_implILb1ES3_PxS7_xN6thrust23THRUST_200600_302600_NS4plusIxEEEE10hipError_tPvRmT1_T2_T3_mT4_P12ihipStream_tbEUlT_E0_NS1_11comp_targetILNS1_3genE0ELNS1_11target_archE4294967295ELNS1_3gpuE0ELNS1_3repE0EEENS1_30default_config_static_selectorELNS0_4arch9wavefront6targetE1EEEvSF_.uses_vcc, 1
	.set _ZN7rocprim17ROCPRIM_400000_NS6detail17trampoline_kernelINS0_14default_configENS1_22reduce_config_selectorIxEEZNS1_11reduce_implILb1ES3_PxS7_xN6thrust23THRUST_200600_302600_NS4plusIxEEEE10hipError_tPvRmT1_T2_T3_mT4_P12ihipStream_tbEUlT_E0_NS1_11comp_targetILNS1_3genE0ELNS1_11target_archE4294967295ELNS1_3gpuE0ELNS1_3repE0EEENS1_30default_config_static_selectorELNS0_4arch9wavefront6targetE1EEEvSF_.uses_flat_scratch, 0
	.set _ZN7rocprim17ROCPRIM_400000_NS6detail17trampoline_kernelINS0_14default_configENS1_22reduce_config_selectorIxEEZNS1_11reduce_implILb1ES3_PxS7_xN6thrust23THRUST_200600_302600_NS4plusIxEEEE10hipError_tPvRmT1_T2_T3_mT4_P12ihipStream_tbEUlT_E0_NS1_11comp_targetILNS1_3genE0ELNS1_11target_archE4294967295ELNS1_3gpuE0ELNS1_3repE0EEENS1_30default_config_static_selectorELNS0_4arch9wavefront6targetE1EEEvSF_.has_dyn_sized_stack, 0
	.set _ZN7rocprim17ROCPRIM_400000_NS6detail17trampoline_kernelINS0_14default_configENS1_22reduce_config_selectorIxEEZNS1_11reduce_implILb1ES3_PxS7_xN6thrust23THRUST_200600_302600_NS4plusIxEEEE10hipError_tPvRmT1_T2_T3_mT4_P12ihipStream_tbEUlT_E0_NS1_11comp_targetILNS1_3genE0ELNS1_11target_archE4294967295ELNS1_3gpuE0ELNS1_3repE0EEENS1_30default_config_static_selectorELNS0_4arch9wavefront6targetE1EEEvSF_.has_recursion, 0
	.set _ZN7rocprim17ROCPRIM_400000_NS6detail17trampoline_kernelINS0_14default_configENS1_22reduce_config_selectorIxEEZNS1_11reduce_implILb1ES3_PxS7_xN6thrust23THRUST_200600_302600_NS4plusIxEEEE10hipError_tPvRmT1_T2_T3_mT4_P12ihipStream_tbEUlT_E0_NS1_11comp_targetILNS1_3genE0ELNS1_11target_archE4294967295ELNS1_3gpuE0ELNS1_3repE0EEENS1_30default_config_static_selectorELNS0_4arch9wavefront6targetE1EEEvSF_.has_indirect_call, 0
	.section	.AMDGPU.csdata,"",@progbits
; Kernel info:
; codeLenInByte = 3128
; TotalNumSgprs: 54
; NumVgprs: 68
; NumAgprs: 0
; TotalNumVgprs: 68
; ScratchSize: 0
; MemoryBound: 0
; FloatMode: 240
; IeeeMode: 1
; LDSByteSize: 64 bytes/workgroup (compile time only)
; SGPRBlocks: 6
; VGPRBlocks: 8
; NumSGPRsForWavesPerEU: 54
; NumVGPRsForWavesPerEU: 68
; AccumOffset: 68
; Occupancy: 7
; WaveLimiterHint : 1
; COMPUTE_PGM_RSRC2:SCRATCH_EN: 0
; COMPUTE_PGM_RSRC2:USER_SGPR: 2
; COMPUTE_PGM_RSRC2:TRAP_HANDLER: 0
; COMPUTE_PGM_RSRC2:TGID_X_EN: 1
; COMPUTE_PGM_RSRC2:TGID_Y_EN: 0
; COMPUTE_PGM_RSRC2:TGID_Z_EN: 0
; COMPUTE_PGM_RSRC2:TIDIG_COMP_CNT: 0
; COMPUTE_PGM_RSRC3_GFX90A:ACCUM_OFFSET: 16
; COMPUTE_PGM_RSRC3_GFX90A:TG_SPLIT: 0
	.section	.text._ZN7rocprim17ROCPRIM_400000_NS6detail17trampoline_kernelINS0_14default_configENS1_22reduce_config_selectorIxEEZNS1_11reduce_implILb1ES3_PxS7_xN6thrust23THRUST_200600_302600_NS4plusIxEEEE10hipError_tPvRmT1_T2_T3_mT4_P12ihipStream_tbEUlT_E0_NS1_11comp_targetILNS1_3genE5ELNS1_11target_archE942ELNS1_3gpuE9ELNS1_3repE0EEENS1_30default_config_static_selectorELNS0_4arch9wavefront6targetE1EEEvSF_,"axG",@progbits,_ZN7rocprim17ROCPRIM_400000_NS6detail17trampoline_kernelINS0_14default_configENS1_22reduce_config_selectorIxEEZNS1_11reduce_implILb1ES3_PxS7_xN6thrust23THRUST_200600_302600_NS4plusIxEEEE10hipError_tPvRmT1_T2_T3_mT4_P12ihipStream_tbEUlT_E0_NS1_11comp_targetILNS1_3genE5ELNS1_11target_archE942ELNS1_3gpuE9ELNS1_3repE0EEENS1_30default_config_static_selectorELNS0_4arch9wavefront6targetE1EEEvSF_,comdat
	.protected	_ZN7rocprim17ROCPRIM_400000_NS6detail17trampoline_kernelINS0_14default_configENS1_22reduce_config_selectorIxEEZNS1_11reduce_implILb1ES3_PxS7_xN6thrust23THRUST_200600_302600_NS4plusIxEEEE10hipError_tPvRmT1_T2_T3_mT4_P12ihipStream_tbEUlT_E0_NS1_11comp_targetILNS1_3genE5ELNS1_11target_archE942ELNS1_3gpuE9ELNS1_3repE0EEENS1_30default_config_static_selectorELNS0_4arch9wavefront6targetE1EEEvSF_ ; -- Begin function _ZN7rocprim17ROCPRIM_400000_NS6detail17trampoline_kernelINS0_14default_configENS1_22reduce_config_selectorIxEEZNS1_11reduce_implILb1ES3_PxS7_xN6thrust23THRUST_200600_302600_NS4plusIxEEEE10hipError_tPvRmT1_T2_T3_mT4_P12ihipStream_tbEUlT_E0_NS1_11comp_targetILNS1_3genE5ELNS1_11target_archE942ELNS1_3gpuE9ELNS1_3repE0EEENS1_30default_config_static_selectorELNS0_4arch9wavefront6targetE1EEEvSF_
	.globl	_ZN7rocprim17ROCPRIM_400000_NS6detail17trampoline_kernelINS0_14default_configENS1_22reduce_config_selectorIxEEZNS1_11reduce_implILb1ES3_PxS7_xN6thrust23THRUST_200600_302600_NS4plusIxEEEE10hipError_tPvRmT1_T2_T3_mT4_P12ihipStream_tbEUlT_E0_NS1_11comp_targetILNS1_3genE5ELNS1_11target_archE942ELNS1_3gpuE9ELNS1_3repE0EEENS1_30default_config_static_selectorELNS0_4arch9wavefront6targetE1EEEvSF_
	.p2align	8
	.type	_ZN7rocprim17ROCPRIM_400000_NS6detail17trampoline_kernelINS0_14default_configENS1_22reduce_config_selectorIxEEZNS1_11reduce_implILb1ES3_PxS7_xN6thrust23THRUST_200600_302600_NS4plusIxEEEE10hipError_tPvRmT1_T2_T3_mT4_P12ihipStream_tbEUlT_E0_NS1_11comp_targetILNS1_3genE5ELNS1_11target_archE942ELNS1_3gpuE9ELNS1_3repE0EEENS1_30default_config_static_selectorELNS0_4arch9wavefront6targetE1EEEvSF_,@function
_ZN7rocprim17ROCPRIM_400000_NS6detail17trampoline_kernelINS0_14default_configENS1_22reduce_config_selectorIxEEZNS1_11reduce_implILb1ES3_PxS7_xN6thrust23THRUST_200600_302600_NS4plusIxEEEE10hipError_tPvRmT1_T2_T3_mT4_P12ihipStream_tbEUlT_E0_NS1_11comp_targetILNS1_3genE5ELNS1_11target_archE942ELNS1_3gpuE9ELNS1_3repE0EEENS1_30default_config_static_selectorELNS0_4arch9wavefront6targetE1EEEvSF_: ; @_ZN7rocprim17ROCPRIM_400000_NS6detail17trampoline_kernelINS0_14default_configENS1_22reduce_config_selectorIxEEZNS1_11reduce_implILb1ES3_PxS7_xN6thrust23THRUST_200600_302600_NS4plusIxEEEE10hipError_tPvRmT1_T2_T3_mT4_P12ihipStream_tbEUlT_E0_NS1_11comp_targetILNS1_3genE5ELNS1_11target_archE942ELNS1_3gpuE9ELNS1_3repE0EEENS1_30default_config_static_selectorELNS0_4arch9wavefront6targetE1EEEvSF_
; %bb.0:
	.section	.rodata,"a",@progbits
	.p2align	6, 0x0
	.amdhsa_kernel _ZN7rocprim17ROCPRIM_400000_NS6detail17trampoline_kernelINS0_14default_configENS1_22reduce_config_selectorIxEEZNS1_11reduce_implILb1ES3_PxS7_xN6thrust23THRUST_200600_302600_NS4plusIxEEEE10hipError_tPvRmT1_T2_T3_mT4_P12ihipStream_tbEUlT_E0_NS1_11comp_targetILNS1_3genE5ELNS1_11target_archE942ELNS1_3gpuE9ELNS1_3repE0EEENS1_30default_config_static_selectorELNS0_4arch9wavefront6targetE1EEEvSF_
		.amdhsa_group_segment_fixed_size 0
		.amdhsa_private_segment_fixed_size 0
		.amdhsa_kernarg_size 64
		.amdhsa_user_sgpr_count 2
		.amdhsa_user_sgpr_dispatch_ptr 0
		.amdhsa_user_sgpr_queue_ptr 0
		.amdhsa_user_sgpr_kernarg_segment_ptr 1
		.amdhsa_user_sgpr_dispatch_id 0
		.amdhsa_user_sgpr_kernarg_preload_length 0
		.amdhsa_user_sgpr_kernarg_preload_offset 0
		.amdhsa_user_sgpr_private_segment_size 0
		.amdhsa_uses_dynamic_stack 0
		.amdhsa_enable_private_segment 0
		.amdhsa_system_sgpr_workgroup_id_x 1
		.amdhsa_system_sgpr_workgroup_id_y 0
		.amdhsa_system_sgpr_workgroup_id_z 0
		.amdhsa_system_sgpr_workgroup_info 0
		.amdhsa_system_vgpr_workitem_id 0
		.amdhsa_next_free_vgpr 1
		.amdhsa_next_free_sgpr 0
		.amdhsa_accum_offset 4
		.amdhsa_reserve_vcc 0
		.amdhsa_float_round_mode_32 0
		.amdhsa_float_round_mode_16_64 0
		.amdhsa_float_denorm_mode_32 3
		.amdhsa_float_denorm_mode_16_64 3
		.amdhsa_dx10_clamp 1
		.amdhsa_ieee_mode 1
		.amdhsa_fp16_overflow 0
		.amdhsa_tg_split 0
		.amdhsa_exception_fp_ieee_invalid_op 0
		.amdhsa_exception_fp_denorm_src 0
		.amdhsa_exception_fp_ieee_div_zero 0
		.amdhsa_exception_fp_ieee_overflow 0
		.amdhsa_exception_fp_ieee_underflow 0
		.amdhsa_exception_fp_ieee_inexact 0
		.amdhsa_exception_int_div_zero 0
	.end_amdhsa_kernel
	.section	.text._ZN7rocprim17ROCPRIM_400000_NS6detail17trampoline_kernelINS0_14default_configENS1_22reduce_config_selectorIxEEZNS1_11reduce_implILb1ES3_PxS7_xN6thrust23THRUST_200600_302600_NS4plusIxEEEE10hipError_tPvRmT1_T2_T3_mT4_P12ihipStream_tbEUlT_E0_NS1_11comp_targetILNS1_3genE5ELNS1_11target_archE942ELNS1_3gpuE9ELNS1_3repE0EEENS1_30default_config_static_selectorELNS0_4arch9wavefront6targetE1EEEvSF_,"axG",@progbits,_ZN7rocprim17ROCPRIM_400000_NS6detail17trampoline_kernelINS0_14default_configENS1_22reduce_config_selectorIxEEZNS1_11reduce_implILb1ES3_PxS7_xN6thrust23THRUST_200600_302600_NS4plusIxEEEE10hipError_tPvRmT1_T2_T3_mT4_P12ihipStream_tbEUlT_E0_NS1_11comp_targetILNS1_3genE5ELNS1_11target_archE942ELNS1_3gpuE9ELNS1_3repE0EEENS1_30default_config_static_selectorELNS0_4arch9wavefront6targetE1EEEvSF_,comdat
.Lfunc_end188:
	.size	_ZN7rocprim17ROCPRIM_400000_NS6detail17trampoline_kernelINS0_14default_configENS1_22reduce_config_selectorIxEEZNS1_11reduce_implILb1ES3_PxS7_xN6thrust23THRUST_200600_302600_NS4plusIxEEEE10hipError_tPvRmT1_T2_T3_mT4_P12ihipStream_tbEUlT_E0_NS1_11comp_targetILNS1_3genE5ELNS1_11target_archE942ELNS1_3gpuE9ELNS1_3repE0EEENS1_30default_config_static_selectorELNS0_4arch9wavefront6targetE1EEEvSF_, .Lfunc_end188-_ZN7rocprim17ROCPRIM_400000_NS6detail17trampoline_kernelINS0_14default_configENS1_22reduce_config_selectorIxEEZNS1_11reduce_implILb1ES3_PxS7_xN6thrust23THRUST_200600_302600_NS4plusIxEEEE10hipError_tPvRmT1_T2_T3_mT4_P12ihipStream_tbEUlT_E0_NS1_11comp_targetILNS1_3genE5ELNS1_11target_archE942ELNS1_3gpuE9ELNS1_3repE0EEENS1_30default_config_static_selectorELNS0_4arch9wavefront6targetE1EEEvSF_
                                        ; -- End function
	.set _ZN7rocprim17ROCPRIM_400000_NS6detail17trampoline_kernelINS0_14default_configENS1_22reduce_config_selectorIxEEZNS1_11reduce_implILb1ES3_PxS7_xN6thrust23THRUST_200600_302600_NS4plusIxEEEE10hipError_tPvRmT1_T2_T3_mT4_P12ihipStream_tbEUlT_E0_NS1_11comp_targetILNS1_3genE5ELNS1_11target_archE942ELNS1_3gpuE9ELNS1_3repE0EEENS1_30default_config_static_selectorELNS0_4arch9wavefront6targetE1EEEvSF_.num_vgpr, 0
	.set _ZN7rocprim17ROCPRIM_400000_NS6detail17trampoline_kernelINS0_14default_configENS1_22reduce_config_selectorIxEEZNS1_11reduce_implILb1ES3_PxS7_xN6thrust23THRUST_200600_302600_NS4plusIxEEEE10hipError_tPvRmT1_T2_T3_mT4_P12ihipStream_tbEUlT_E0_NS1_11comp_targetILNS1_3genE5ELNS1_11target_archE942ELNS1_3gpuE9ELNS1_3repE0EEENS1_30default_config_static_selectorELNS0_4arch9wavefront6targetE1EEEvSF_.num_agpr, 0
	.set _ZN7rocprim17ROCPRIM_400000_NS6detail17trampoline_kernelINS0_14default_configENS1_22reduce_config_selectorIxEEZNS1_11reduce_implILb1ES3_PxS7_xN6thrust23THRUST_200600_302600_NS4plusIxEEEE10hipError_tPvRmT1_T2_T3_mT4_P12ihipStream_tbEUlT_E0_NS1_11comp_targetILNS1_3genE5ELNS1_11target_archE942ELNS1_3gpuE9ELNS1_3repE0EEENS1_30default_config_static_selectorELNS0_4arch9wavefront6targetE1EEEvSF_.numbered_sgpr, 0
	.set _ZN7rocprim17ROCPRIM_400000_NS6detail17trampoline_kernelINS0_14default_configENS1_22reduce_config_selectorIxEEZNS1_11reduce_implILb1ES3_PxS7_xN6thrust23THRUST_200600_302600_NS4plusIxEEEE10hipError_tPvRmT1_T2_T3_mT4_P12ihipStream_tbEUlT_E0_NS1_11comp_targetILNS1_3genE5ELNS1_11target_archE942ELNS1_3gpuE9ELNS1_3repE0EEENS1_30default_config_static_selectorELNS0_4arch9wavefront6targetE1EEEvSF_.num_named_barrier, 0
	.set _ZN7rocprim17ROCPRIM_400000_NS6detail17trampoline_kernelINS0_14default_configENS1_22reduce_config_selectorIxEEZNS1_11reduce_implILb1ES3_PxS7_xN6thrust23THRUST_200600_302600_NS4plusIxEEEE10hipError_tPvRmT1_T2_T3_mT4_P12ihipStream_tbEUlT_E0_NS1_11comp_targetILNS1_3genE5ELNS1_11target_archE942ELNS1_3gpuE9ELNS1_3repE0EEENS1_30default_config_static_selectorELNS0_4arch9wavefront6targetE1EEEvSF_.private_seg_size, 0
	.set _ZN7rocprim17ROCPRIM_400000_NS6detail17trampoline_kernelINS0_14default_configENS1_22reduce_config_selectorIxEEZNS1_11reduce_implILb1ES3_PxS7_xN6thrust23THRUST_200600_302600_NS4plusIxEEEE10hipError_tPvRmT1_T2_T3_mT4_P12ihipStream_tbEUlT_E0_NS1_11comp_targetILNS1_3genE5ELNS1_11target_archE942ELNS1_3gpuE9ELNS1_3repE0EEENS1_30default_config_static_selectorELNS0_4arch9wavefront6targetE1EEEvSF_.uses_vcc, 0
	.set _ZN7rocprim17ROCPRIM_400000_NS6detail17trampoline_kernelINS0_14default_configENS1_22reduce_config_selectorIxEEZNS1_11reduce_implILb1ES3_PxS7_xN6thrust23THRUST_200600_302600_NS4plusIxEEEE10hipError_tPvRmT1_T2_T3_mT4_P12ihipStream_tbEUlT_E0_NS1_11comp_targetILNS1_3genE5ELNS1_11target_archE942ELNS1_3gpuE9ELNS1_3repE0EEENS1_30default_config_static_selectorELNS0_4arch9wavefront6targetE1EEEvSF_.uses_flat_scratch, 0
	.set _ZN7rocprim17ROCPRIM_400000_NS6detail17trampoline_kernelINS0_14default_configENS1_22reduce_config_selectorIxEEZNS1_11reduce_implILb1ES3_PxS7_xN6thrust23THRUST_200600_302600_NS4plusIxEEEE10hipError_tPvRmT1_T2_T3_mT4_P12ihipStream_tbEUlT_E0_NS1_11comp_targetILNS1_3genE5ELNS1_11target_archE942ELNS1_3gpuE9ELNS1_3repE0EEENS1_30default_config_static_selectorELNS0_4arch9wavefront6targetE1EEEvSF_.has_dyn_sized_stack, 0
	.set _ZN7rocprim17ROCPRIM_400000_NS6detail17trampoline_kernelINS0_14default_configENS1_22reduce_config_selectorIxEEZNS1_11reduce_implILb1ES3_PxS7_xN6thrust23THRUST_200600_302600_NS4plusIxEEEE10hipError_tPvRmT1_T2_T3_mT4_P12ihipStream_tbEUlT_E0_NS1_11comp_targetILNS1_3genE5ELNS1_11target_archE942ELNS1_3gpuE9ELNS1_3repE0EEENS1_30default_config_static_selectorELNS0_4arch9wavefront6targetE1EEEvSF_.has_recursion, 0
	.set _ZN7rocprim17ROCPRIM_400000_NS6detail17trampoline_kernelINS0_14default_configENS1_22reduce_config_selectorIxEEZNS1_11reduce_implILb1ES3_PxS7_xN6thrust23THRUST_200600_302600_NS4plusIxEEEE10hipError_tPvRmT1_T2_T3_mT4_P12ihipStream_tbEUlT_E0_NS1_11comp_targetILNS1_3genE5ELNS1_11target_archE942ELNS1_3gpuE9ELNS1_3repE0EEENS1_30default_config_static_selectorELNS0_4arch9wavefront6targetE1EEEvSF_.has_indirect_call, 0
	.section	.AMDGPU.csdata,"",@progbits
; Kernel info:
; codeLenInByte = 0
; TotalNumSgprs: 6
; NumVgprs: 0
; NumAgprs: 0
; TotalNumVgprs: 0
; ScratchSize: 0
; MemoryBound: 0
; FloatMode: 240
; IeeeMode: 1
; LDSByteSize: 0 bytes/workgroup (compile time only)
; SGPRBlocks: 0
; VGPRBlocks: 0
; NumSGPRsForWavesPerEU: 6
; NumVGPRsForWavesPerEU: 1
; AccumOffset: 4
; Occupancy: 8
; WaveLimiterHint : 0
; COMPUTE_PGM_RSRC2:SCRATCH_EN: 0
; COMPUTE_PGM_RSRC2:USER_SGPR: 2
; COMPUTE_PGM_RSRC2:TRAP_HANDLER: 0
; COMPUTE_PGM_RSRC2:TGID_X_EN: 1
; COMPUTE_PGM_RSRC2:TGID_Y_EN: 0
; COMPUTE_PGM_RSRC2:TGID_Z_EN: 0
; COMPUTE_PGM_RSRC2:TIDIG_COMP_CNT: 0
; COMPUTE_PGM_RSRC3_GFX90A:ACCUM_OFFSET: 0
; COMPUTE_PGM_RSRC3_GFX90A:TG_SPLIT: 0
	.section	.text._ZN7rocprim17ROCPRIM_400000_NS6detail17trampoline_kernelINS0_14default_configENS1_22reduce_config_selectorIxEEZNS1_11reduce_implILb1ES3_PxS7_xN6thrust23THRUST_200600_302600_NS4plusIxEEEE10hipError_tPvRmT1_T2_T3_mT4_P12ihipStream_tbEUlT_E0_NS1_11comp_targetILNS1_3genE4ELNS1_11target_archE910ELNS1_3gpuE8ELNS1_3repE0EEENS1_30default_config_static_selectorELNS0_4arch9wavefront6targetE1EEEvSF_,"axG",@progbits,_ZN7rocprim17ROCPRIM_400000_NS6detail17trampoline_kernelINS0_14default_configENS1_22reduce_config_selectorIxEEZNS1_11reduce_implILb1ES3_PxS7_xN6thrust23THRUST_200600_302600_NS4plusIxEEEE10hipError_tPvRmT1_T2_T3_mT4_P12ihipStream_tbEUlT_E0_NS1_11comp_targetILNS1_3genE4ELNS1_11target_archE910ELNS1_3gpuE8ELNS1_3repE0EEENS1_30default_config_static_selectorELNS0_4arch9wavefront6targetE1EEEvSF_,comdat
	.protected	_ZN7rocprim17ROCPRIM_400000_NS6detail17trampoline_kernelINS0_14default_configENS1_22reduce_config_selectorIxEEZNS1_11reduce_implILb1ES3_PxS7_xN6thrust23THRUST_200600_302600_NS4plusIxEEEE10hipError_tPvRmT1_T2_T3_mT4_P12ihipStream_tbEUlT_E0_NS1_11comp_targetILNS1_3genE4ELNS1_11target_archE910ELNS1_3gpuE8ELNS1_3repE0EEENS1_30default_config_static_selectorELNS0_4arch9wavefront6targetE1EEEvSF_ ; -- Begin function _ZN7rocprim17ROCPRIM_400000_NS6detail17trampoline_kernelINS0_14default_configENS1_22reduce_config_selectorIxEEZNS1_11reduce_implILb1ES3_PxS7_xN6thrust23THRUST_200600_302600_NS4plusIxEEEE10hipError_tPvRmT1_T2_T3_mT4_P12ihipStream_tbEUlT_E0_NS1_11comp_targetILNS1_3genE4ELNS1_11target_archE910ELNS1_3gpuE8ELNS1_3repE0EEENS1_30default_config_static_selectorELNS0_4arch9wavefront6targetE1EEEvSF_
	.globl	_ZN7rocprim17ROCPRIM_400000_NS6detail17trampoline_kernelINS0_14default_configENS1_22reduce_config_selectorIxEEZNS1_11reduce_implILb1ES3_PxS7_xN6thrust23THRUST_200600_302600_NS4plusIxEEEE10hipError_tPvRmT1_T2_T3_mT4_P12ihipStream_tbEUlT_E0_NS1_11comp_targetILNS1_3genE4ELNS1_11target_archE910ELNS1_3gpuE8ELNS1_3repE0EEENS1_30default_config_static_selectorELNS0_4arch9wavefront6targetE1EEEvSF_
	.p2align	8
	.type	_ZN7rocprim17ROCPRIM_400000_NS6detail17trampoline_kernelINS0_14default_configENS1_22reduce_config_selectorIxEEZNS1_11reduce_implILb1ES3_PxS7_xN6thrust23THRUST_200600_302600_NS4plusIxEEEE10hipError_tPvRmT1_T2_T3_mT4_P12ihipStream_tbEUlT_E0_NS1_11comp_targetILNS1_3genE4ELNS1_11target_archE910ELNS1_3gpuE8ELNS1_3repE0EEENS1_30default_config_static_selectorELNS0_4arch9wavefront6targetE1EEEvSF_,@function
_ZN7rocprim17ROCPRIM_400000_NS6detail17trampoline_kernelINS0_14default_configENS1_22reduce_config_selectorIxEEZNS1_11reduce_implILb1ES3_PxS7_xN6thrust23THRUST_200600_302600_NS4plusIxEEEE10hipError_tPvRmT1_T2_T3_mT4_P12ihipStream_tbEUlT_E0_NS1_11comp_targetILNS1_3genE4ELNS1_11target_archE910ELNS1_3gpuE8ELNS1_3repE0EEENS1_30default_config_static_selectorELNS0_4arch9wavefront6targetE1EEEvSF_: ; @_ZN7rocprim17ROCPRIM_400000_NS6detail17trampoline_kernelINS0_14default_configENS1_22reduce_config_selectorIxEEZNS1_11reduce_implILb1ES3_PxS7_xN6thrust23THRUST_200600_302600_NS4plusIxEEEE10hipError_tPvRmT1_T2_T3_mT4_P12ihipStream_tbEUlT_E0_NS1_11comp_targetILNS1_3genE4ELNS1_11target_archE910ELNS1_3gpuE8ELNS1_3repE0EEENS1_30default_config_static_selectorELNS0_4arch9wavefront6targetE1EEEvSF_
; %bb.0:
	.section	.rodata,"a",@progbits
	.p2align	6, 0x0
	.amdhsa_kernel _ZN7rocprim17ROCPRIM_400000_NS6detail17trampoline_kernelINS0_14default_configENS1_22reduce_config_selectorIxEEZNS1_11reduce_implILb1ES3_PxS7_xN6thrust23THRUST_200600_302600_NS4plusIxEEEE10hipError_tPvRmT1_T2_T3_mT4_P12ihipStream_tbEUlT_E0_NS1_11comp_targetILNS1_3genE4ELNS1_11target_archE910ELNS1_3gpuE8ELNS1_3repE0EEENS1_30default_config_static_selectorELNS0_4arch9wavefront6targetE1EEEvSF_
		.amdhsa_group_segment_fixed_size 0
		.amdhsa_private_segment_fixed_size 0
		.amdhsa_kernarg_size 64
		.amdhsa_user_sgpr_count 2
		.amdhsa_user_sgpr_dispatch_ptr 0
		.amdhsa_user_sgpr_queue_ptr 0
		.amdhsa_user_sgpr_kernarg_segment_ptr 1
		.amdhsa_user_sgpr_dispatch_id 0
		.amdhsa_user_sgpr_kernarg_preload_length 0
		.amdhsa_user_sgpr_kernarg_preload_offset 0
		.amdhsa_user_sgpr_private_segment_size 0
		.amdhsa_uses_dynamic_stack 0
		.amdhsa_enable_private_segment 0
		.amdhsa_system_sgpr_workgroup_id_x 1
		.amdhsa_system_sgpr_workgroup_id_y 0
		.amdhsa_system_sgpr_workgroup_id_z 0
		.amdhsa_system_sgpr_workgroup_info 0
		.amdhsa_system_vgpr_workitem_id 0
		.amdhsa_next_free_vgpr 1
		.amdhsa_next_free_sgpr 0
		.amdhsa_accum_offset 4
		.amdhsa_reserve_vcc 0
		.amdhsa_float_round_mode_32 0
		.amdhsa_float_round_mode_16_64 0
		.amdhsa_float_denorm_mode_32 3
		.amdhsa_float_denorm_mode_16_64 3
		.amdhsa_dx10_clamp 1
		.amdhsa_ieee_mode 1
		.amdhsa_fp16_overflow 0
		.amdhsa_tg_split 0
		.amdhsa_exception_fp_ieee_invalid_op 0
		.amdhsa_exception_fp_denorm_src 0
		.amdhsa_exception_fp_ieee_div_zero 0
		.amdhsa_exception_fp_ieee_overflow 0
		.amdhsa_exception_fp_ieee_underflow 0
		.amdhsa_exception_fp_ieee_inexact 0
		.amdhsa_exception_int_div_zero 0
	.end_amdhsa_kernel
	.section	.text._ZN7rocprim17ROCPRIM_400000_NS6detail17trampoline_kernelINS0_14default_configENS1_22reduce_config_selectorIxEEZNS1_11reduce_implILb1ES3_PxS7_xN6thrust23THRUST_200600_302600_NS4plusIxEEEE10hipError_tPvRmT1_T2_T3_mT4_P12ihipStream_tbEUlT_E0_NS1_11comp_targetILNS1_3genE4ELNS1_11target_archE910ELNS1_3gpuE8ELNS1_3repE0EEENS1_30default_config_static_selectorELNS0_4arch9wavefront6targetE1EEEvSF_,"axG",@progbits,_ZN7rocprim17ROCPRIM_400000_NS6detail17trampoline_kernelINS0_14default_configENS1_22reduce_config_selectorIxEEZNS1_11reduce_implILb1ES3_PxS7_xN6thrust23THRUST_200600_302600_NS4plusIxEEEE10hipError_tPvRmT1_T2_T3_mT4_P12ihipStream_tbEUlT_E0_NS1_11comp_targetILNS1_3genE4ELNS1_11target_archE910ELNS1_3gpuE8ELNS1_3repE0EEENS1_30default_config_static_selectorELNS0_4arch9wavefront6targetE1EEEvSF_,comdat
.Lfunc_end189:
	.size	_ZN7rocprim17ROCPRIM_400000_NS6detail17trampoline_kernelINS0_14default_configENS1_22reduce_config_selectorIxEEZNS1_11reduce_implILb1ES3_PxS7_xN6thrust23THRUST_200600_302600_NS4plusIxEEEE10hipError_tPvRmT1_T2_T3_mT4_P12ihipStream_tbEUlT_E0_NS1_11comp_targetILNS1_3genE4ELNS1_11target_archE910ELNS1_3gpuE8ELNS1_3repE0EEENS1_30default_config_static_selectorELNS0_4arch9wavefront6targetE1EEEvSF_, .Lfunc_end189-_ZN7rocprim17ROCPRIM_400000_NS6detail17trampoline_kernelINS0_14default_configENS1_22reduce_config_selectorIxEEZNS1_11reduce_implILb1ES3_PxS7_xN6thrust23THRUST_200600_302600_NS4plusIxEEEE10hipError_tPvRmT1_T2_T3_mT4_P12ihipStream_tbEUlT_E0_NS1_11comp_targetILNS1_3genE4ELNS1_11target_archE910ELNS1_3gpuE8ELNS1_3repE0EEENS1_30default_config_static_selectorELNS0_4arch9wavefront6targetE1EEEvSF_
                                        ; -- End function
	.set _ZN7rocprim17ROCPRIM_400000_NS6detail17trampoline_kernelINS0_14default_configENS1_22reduce_config_selectorIxEEZNS1_11reduce_implILb1ES3_PxS7_xN6thrust23THRUST_200600_302600_NS4plusIxEEEE10hipError_tPvRmT1_T2_T3_mT4_P12ihipStream_tbEUlT_E0_NS1_11comp_targetILNS1_3genE4ELNS1_11target_archE910ELNS1_3gpuE8ELNS1_3repE0EEENS1_30default_config_static_selectorELNS0_4arch9wavefront6targetE1EEEvSF_.num_vgpr, 0
	.set _ZN7rocprim17ROCPRIM_400000_NS6detail17trampoline_kernelINS0_14default_configENS1_22reduce_config_selectorIxEEZNS1_11reduce_implILb1ES3_PxS7_xN6thrust23THRUST_200600_302600_NS4plusIxEEEE10hipError_tPvRmT1_T2_T3_mT4_P12ihipStream_tbEUlT_E0_NS1_11comp_targetILNS1_3genE4ELNS1_11target_archE910ELNS1_3gpuE8ELNS1_3repE0EEENS1_30default_config_static_selectorELNS0_4arch9wavefront6targetE1EEEvSF_.num_agpr, 0
	.set _ZN7rocprim17ROCPRIM_400000_NS6detail17trampoline_kernelINS0_14default_configENS1_22reduce_config_selectorIxEEZNS1_11reduce_implILb1ES3_PxS7_xN6thrust23THRUST_200600_302600_NS4plusIxEEEE10hipError_tPvRmT1_T2_T3_mT4_P12ihipStream_tbEUlT_E0_NS1_11comp_targetILNS1_3genE4ELNS1_11target_archE910ELNS1_3gpuE8ELNS1_3repE0EEENS1_30default_config_static_selectorELNS0_4arch9wavefront6targetE1EEEvSF_.numbered_sgpr, 0
	.set _ZN7rocprim17ROCPRIM_400000_NS6detail17trampoline_kernelINS0_14default_configENS1_22reduce_config_selectorIxEEZNS1_11reduce_implILb1ES3_PxS7_xN6thrust23THRUST_200600_302600_NS4plusIxEEEE10hipError_tPvRmT1_T2_T3_mT4_P12ihipStream_tbEUlT_E0_NS1_11comp_targetILNS1_3genE4ELNS1_11target_archE910ELNS1_3gpuE8ELNS1_3repE0EEENS1_30default_config_static_selectorELNS0_4arch9wavefront6targetE1EEEvSF_.num_named_barrier, 0
	.set _ZN7rocprim17ROCPRIM_400000_NS6detail17trampoline_kernelINS0_14default_configENS1_22reduce_config_selectorIxEEZNS1_11reduce_implILb1ES3_PxS7_xN6thrust23THRUST_200600_302600_NS4plusIxEEEE10hipError_tPvRmT1_T2_T3_mT4_P12ihipStream_tbEUlT_E0_NS1_11comp_targetILNS1_3genE4ELNS1_11target_archE910ELNS1_3gpuE8ELNS1_3repE0EEENS1_30default_config_static_selectorELNS0_4arch9wavefront6targetE1EEEvSF_.private_seg_size, 0
	.set _ZN7rocprim17ROCPRIM_400000_NS6detail17trampoline_kernelINS0_14default_configENS1_22reduce_config_selectorIxEEZNS1_11reduce_implILb1ES3_PxS7_xN6thrust23THRUST_200600_302600_NS4plusIxEEEE10hipError_tPvRmT1_T2_T3_mT4_P12ihipStream_tbEUlT_E0_NS1_11comp_targetILNS1_3genE4ELNS1_11target_archE910ELNS1_3gpuE8ELNS1_3repE0EEENS1_30default_config_static_selectorELNS0_4arch9wavefront6targetE1EEEvSF_.uses_vcc, 0
	.set _ZN7rocprim17ROCPRIM_400000_NS6detail17trampoline_kernelINS0_14default_configENS1_22reduce_config_selectorIxEEZNS1_11reduce_implILb1ES3_PxS7_xN6thrust23THRUST_200600_302600_NS4plusIxEEEE10hipError_tPvRmT1_T2_T3_mT4_P12ihipStream_tbEUlT_E0_NS1_11comp_targetILNS1_3genE4ELNS1_11target_archE910ELNS1_3gpuE8ELNS1_3repE0EEENS1_30default_config_static_selectorELNS0_4arch9wavefront6targetE1EEEvSF_.uses_flat_scratch, 0
	.set _ZN7rocprim17ROCPRIM_400000_NS6detail17trampoline_kernelINS0_14default_configENS1_22reduce_config_selectorIxEEZNS1_11reduce_implILb1ES3_PxS7_xN6thrust23THRUST_200600_302600_NS4plusIxEEEE10hipError_tPvRmT1_T2_T3_mT4_P12ihipStream_tbEUlT_E0_NS1_11comp_targetILNS1_3genE4ELNS1_11target_archE910ELNS1_3gpuE8ELNS1_3repE0EEENS1_30default_config_static_selectorELNS0_4arch9wavefront6targetE1EEEvSF_.has_dyn_sized_stack, 0
	.set _ZN7rocprim17ROCPRIM_400000_NS6detail17trampoline_kernelINS0_14default_configENS1_22reduce_config_selectorIxEEZNS1_11reduce_implILb1ES3_PxS7_xN6thrust23THRUST_200600_302600_NS4plusIxEEEE10hipError_tPvRmT1_T2_T3_mT4_P12ihipStream_tbEUlT_E0_NS1_11comp_targetILNS1_3genE4ELNS1_11target_archE910ELNS1_3gpuE8ELNS1_3repE0EEENS1_30default_config_static_selectorELNS0_4arch9wavefront6targetE1EEEvSF_.has_recursion, 0
	.set _ZN7rocprim17ROCPRIM_400000_NS6detail17trampoline_kernelINS0_14default_configENS1_22reduce_config_selectorIxEEZNS1_11reduce_implILb1ES3_PxS7_xN6thrust23THRUST_200600_302600_NS4plusIxEEEE10hipError_tPvRmT1_T2_T3_mT4_P12ihipStream_tbEUlT_E0_NS1_11comp_targetILNS1_3genE4ELNS1_11target_archE910ELNS1_3gpuE8ELNS1_3repE0EEENS1_30default_config_static_selectorELNS0_4arch9wavefront6targetE1EEEvSF_.has_indirect_call, 0
	.section	.AMDGPU.csdata,"",@progbits
; Kernel info:
; codeLenInByte = 0
; TotalNumSgprs: 6
; NumVgprs: 0
; NumAgprs: 0
; TotalNumVgprs: 0
; ScratchSize: 0
; MemoryBound: 0
; FloatMode: 240
; IeeeMode: 1
; LDSByteSize: 0 bytes/workgroup (compile time only)
; SGPRBlocks: 0
; VGPRBlocks: 0
; NumSGPRsForWavesPerEU: 6
; NumVGPRsForWavesPerEU: 1
; AccumOffset: 4
; Occupancy: 8
; WaveLimiterHint : 0
; COMPUTE_PGM_RSRC2:SCRATCH_EN: 0
; COMPUTE_PGM_RSRC2:USER_SGPR: 2
; COMPUTE_PGM_RSRC2:TRAP_HANDLER: 0
; COMPUTE_PGM_RSRC2:TGID_X_EN: 1
; COMPUTE_PGM_RSRC2:TGID_Y_EN: 0
; COMPUTE_PGM_RSRC2:TGID_Z_EN: 0
; COMPUTE_PGM_RSRC2:TIDIG_COMP_CNT: 0
; COMPUTE_PGM_RSRC3_GFX90A:ACCUM_OFFSET: 0
; COMPUTE_PGM_RSRC3_GFX90A:TG_SPLIT: 0
	.section	.text._ZN7rocprim17ROCPRIM_400000_NS6detail17trampoline_kernelINS0_14default_configENS1_22reduce_config_selectorIxEEZNS1_11reduce_implILb1ES3_PxS7_xN6thrust23THRUST_200600_302600_NS4plusIxEEEE10hipError_tPvRmT1_T2_T3_mT4_P12ihipStream_tbEUlT_E0_NS1_11comp_targetILNS1_3genE3ELNS1_11target_archE908ELNS1_3gpuE7ELNS1_3repE0EEENS1_30default_config_static_selectorELNS0_4arch9wavefront6targetE1EEEvSF_,"axG",@progbits,_ZN7rocprim17ROCPRIM_400000_NS6detail17trampoline_kernelINS0_14default_configENS1_22reduce_config_selectorIxEEZNS1_11reduce_implILb1ES3_PxS7_xN6thrust23THRUST_200600_302600_NS4plusIxEEEE10hipError_tPvRmT1_T2_T3_mT4_P12ihipStream_tbEUlT_E0_NS1_11comp_targetILNS1_3genE3ELNS1_11target_archE908ELNS1_3gpuE7ELNS1_3repE0EEENS1_30default_config_static_selectorELNS0_4arch9wavefront6targetE1EEEvSF_,comdat
	.protected	_ZN7rocprim17ROCPRIM_400000_NS6detail17trampoline_kernelINS0_14default_configENS1_22reduce_config_selectorIxEEZNS1_11reduce_implILb1ES3_PxS7_xN6thrust23THRUST_200600_302600_NS4plusIxEEEE10hipError_tPvRmT1_T2_T3_mT4_P12ihipStream_tbEUlT_E0_NS1_11comp_targetILNS1_3genE3ELNS1_11target_archE908ELNS1_3gpuE7ELNS1_3repE0EEENS1_30default_config_static_selectorELNS0_4arch9wavefront6targetE1EEEvSF_ ; -- Begin function _ZN7rocprim17ROCPRIM_400000_NS6detail17trampoline_kernelINS0_14default_configENS1_22reduce_config_selectorIxEEZNS1_11reduce_implILb1ES3_PxS7_xN6thrust23THRUST_200600_302600_NS4plusIxEEEE10hipError_tPvRmT1_T2_T3_mT4_P12ihipStream_tbEUlT_E0_NS1_11comp_targetILNS1_3genE3ELNS1_11target_archE908ELNS1_3gpuE7ELNS1_3repE0EEENS1_30default_config_static_selectorELNS0_4arch9wavefront6targetE1EEEvSF_
	.globl	_ZN7rocprim17ROCPRIM_400000_NS6detail17trampoline_kernelINS0_14default_configENS1_22reduce_config_selectorIxEEZNS1_11reduce_implILb1ES3_PxS7_xN6thrust23THRUST_200600_302600_NS4plusIxEEEE10hipError_tPvRmT1_T2_T3_mT4_P12ihipStream_tbEUlT_E0_NS1_11comp_targetILNS1_3genE3ELNS1_11target_archE908ELNS1_3gpuE7ELNS1_3repE0EEENS1_30default_config_static_selectorELNS0_4arch9wavefront6targetE1EEEvSF_
	.p2align	8
	.type	_ZN7rocprim17ROCPRIM_400000_NS6detail17trampoline_kernelINS0_14default_configENS1_22reduce_config_selectorIxEEZNS1_11reduce_implILb1ES3_PxS7_xN6thrust23THRUST_200600_302600_NS4plusIxEEEE10hipError_tPvRmT1_T2_T3_mT4_P12ihipStream_tbEUlT_E0_NS1_11comp_targetILNS1_3genE3ELNS1_11target_archE908ELNS1_3gpuE7ELNS1_3repE0EEENS1_30default_config_static_selectorELNS0_4arch9wavefront6targetE1EEEvSF_,@function
_ZN7rocprim17ROCPRIM_400000_NS6detail17trampoline_kernelINS0_14default_configENS1_22reduce_config_selectorIxEEZNS1_11reduce_implILb1ES3_PxS7_xN6thrust23THRUST_200600_302600_NS4plusIxEEEE10hipError_tPvRmT1_T2_T3_mT4_P12ihipStream_tbEUlT_E0_NS1_11comp_targetILNS1_3genE3ELNS1_11target_archE908ELNS1_3gpuE7ELNS1_3repE0EEENS1_30default_config_static_selectorELNS0_4arch9wavefront6targetE1EEEvSF_: ; @_ZN7rocprim17ROCPRIM_400000_NS6detail17trampoline_kernelINS0_14default_configENS1_22reduce_config_selectorIxEEZNS1_11reduce_implILb1ES3_PxS7_xN6thrust23THRUST_200600_302600_NS4plusIxEEEE10hipError_tPvRmT1_T2_T3_mT4_P12ihipStream_tbEUlT_E0_NS1_11comp_targetILNS1_3genE3ELNS1_11target_archE908ELNS1_3gpuE7ELNS1_3repE0EEENS1_30default_config_static_selectorELNS0_4arch9wavefront6targetE1EEEvSF_
; %bb.0:
	.section	.rodata,"a",@progbits
	.p2align	6, 0x0
	.amdhsa_kernel _ZN7rocprim17ROCPRIM_400000_NS6detail17trampoline_kernelINS0_14default_configENS1_22reduce_config_selectorIxEEZNS1_11reduce_implILb1ES3_PxS7_xN6thrust23THRUST_200600_302600_NS4plusIxEEEE10hipError_tPvRmT1_T2_T3_mT4_P12ihipStream_tbEUlT_E0_NS1_11comp_targetILNS1_3genE3ELNS1_11target_archE908ELNS1_3gpuE7ELNS1_3repE0EEENS1_30default_config_static_selectorELNS0_4arch9wavefront6targetE1EEEvSF_
		.amdhsa_group_segment_fixed_size 0
		.amdhsa_private_segment_fixed_size 0
		.amdhsa_kernarg_size 64
		.amdhsa_user_sgpr_count 2
		.amdhsa_user_sgpr_dispatch_ptr 0
		.amdhsa_user_sgpr_queue_ptr 0
		.amdhsa_user_sgpr_kernarg_segment_ptr 1
		.amdhsa_user_sgpr_dispatch_id 0
		.amdhsa_user_sgpr_kernarg_preload_length 0
		.amdhsa_user_sgpr_kernarg_preload_offset 0
		.amdhsa_user_sgpr_private_segment_size 0
		.amdhsa_uses_dynamic_stack 0
		.amdhsa_enable_private_segment 0
		.amdhsa_system_sgpr_workgroup_id_x 1
		.amdhsa_system_sgpr_workgroup_id_y 0
		.amdhsa_system_sgpr_workgroup_id_z 0
		.amdhsa_system_sgpr_workgroup_info 0
		.amdhsa_system_vgpr_workitem_id 0
		.amdhsa_next_free_vgpr 1
		.amdhsa_next_free_sgpr 0
		.amdhsa_accum_offset 4
		.amdhsa_reserve_vcc 0
		.amdhsa_float_round_mode_32 0
		.amdhsa_float_round_mode_16_64 0
		.amdhsa_float_denorm_mode_32 3
		.amdhsa_float_denorm_mode_16_64 3
		.amdhsa_dx10_clamp 1
		.amdhsa_ieee_mode 1
		.amdhsa_fp16_overflow 0
		.amdhsa_tg_split 0
		.amdhsa_exception_fp_ieee_invalid_op 0
		.amdhsa_exception_fp_denorm_src 0
		.amdhsa_exception_fp_ieee_div_zero 0
		.amdhsa_exception_fp_ieee_overflow 0
		.amdhsa_exception_fp_ieee_underflow 0
		.amdhsa_exception_fp_ieee_inexact 0
		.amdhsa_exception_int_div_zero 0
	.end_amdhsa_kernel
	.section	.text._ZN7rocprim17ROCPRIM_400000_NS6detail17trampoline_kernelINS0_14default_configENS1_22reduce_config_selectorIxEEZNS1_11reduce_implILb1ES3_PxS7_xN6thrust23THRUST_200600_302600_NS4plusIxEEEE10hipError_tPvRmT1_T2_T3_mT4_P12ihipStream_tbEUlT_E0_NS1_11comp_targetILNS1_3genE3ELNS1_11target_archE908ELNS1_3gpuE7ELNS1_3repE0EEENS1_30default_config_static_selectorELNS0_4arch9wavefront6targetE1EEEvSF_,"axG",@progbits,_ZN7rocprim17ROCPRIM_400000_NS6detail17trampoline_kernelINS0_14default_configENS1_22reduce_config_selectorIxEEZNS1_11reduce_implILb1ES3_PxS7_xN6thrust23THRUST_200600_302600_NS4plusIxEEEE10hipError_tPvRmT1_T2_T3_mT4_P12ihipStream_tbEUlT_E0_NS1_11comp_targetILNS1_3genE3ELNS1_11target_archE908ELNS1_3gpuE7ELNS1_3repE0EEENS1_30default_config_static_selectorELNS0_4arch9wavefront6targetE1EEEvSF_,comdat
.Lfunc_end190:
	.size	_ZN7rocprim17ROCPRIM_400000_NS6detail17trampoline_kernelINS0_14default_configENS1_22reduce_config_selectorIxEEZNS1_11reduce_implILb1ES3_PxS7_xN6thrust23THRUST_200600_302600_NS4plusIxEEEE10hipError_tPvRmT1_T2_T3_mT4_P12ihipStream_tbEUlT_E0_NS1_11comp_targetILNS1_3genE3ELNS1_11target_archE908ELNS1_3gpuE7ELNS1_3repE0EEENS1_30default_config_static_selectorELNS0_4arch9wavefront6targetE1EEEvSF_, .Lfunc_end190-_ZN7rocprim17ROCPRIM_400000_NS6detail17trampoline_kernelINS0_14default_configENS1_22reduce_config_selectorIxEEZNS1_11reduce_implILb1ES3_PxS7_xN6thrust23THRUST_200600_302600_NS4plusIxEEEE10hipError_tPvRmT1_T2_T3_mT4_P12ihipStream_tbEUlT_E0_NS1_11comp_targetILNS1_3genE3ELNS1_11target_archE908ELNS1_3gpuE7ELNS1_3repE0EEENS1_30default_config_static_selectorELNS0_4arch9wavefront6targetE1EEEvSF_
                                        ; -- End function
	.set _ZN7rocprim17ROCPRIM_400000_NS6detail17trampoline_kernelINS0_14default_configENS1_22reduce_config_selectorIxEEZNS1_11reduce_implILb1ES3_PxS7_xN6thrust23THRUST_200600_302600_NS4plusIxEEEE10hipError_tPvRmT1_T2_T3_mT4_P12ihipStream_tbEUlT_E0_NS1_11comp_targetILNS1_3genE3ELNS1_11target_archE908ELNS1_3gpuE7ELNS1_3repE0EEENS1_30default_config_static_selectorELNS0_4arch9wavefront6targetE1EEEvSF_.num_vgpr, 0
	.set _ZN7rocprim17ROCPRIM_400000_NS6detail17trampoline_kernelINS0_14default_configENS1_22reduce_config_selectorIxEEZNS1_11reduce_implILb1ES3_PxS7_xN6thrust23THRUST_200600_302600_NS4plusIxEEEE10hipError_tPvRmT1_T2_T3_mT4_P12ihipStream_tbEUlT_E0_NS1_11comp_targetILNS1_3genE3ELNS1_11target_archE908ELNS1_3gpuE7ELNS1_3repE0EEENS1_30default_config_static_selectorELNS0_4arch9wavefront6targetE1EEEvSF_.num_agpr, 0
	.set _ZN7rocprim17ROCPRIM_400000_NS6detail17trampoline_kernelINS0_14default_configENS1_22reduce_config_selectorIxEEZNS1_11reduce_implILb1ES3_PxS7_xN6thrust23THRUST_200600_302600_NS4plusIxEEEE10hipError_tPvRmT1_T2_T3_mT4_P12ihipStream_tbEUlT_E0_NS1_11comp_targetILNS1_3genE3ELNS1_11target_archE908ELNS1_3gpuE7ELNS1_3repE0EEENS1_30default_config_static_selectorELNS0_4arch9wavefront6targetE1EEEvSF_.numbered_sgpr, 0
	.set _ZN7rocprim17ROCPRIM_400000_NS6detail17trampoline_kernelINS0_14default_configENS1_22reduce_config_selectorIxEEZNS1_11reduce_implILb1ES3_PxS7_xN6thrust23THRUST_200600_302600_NS4plusIxEEEE10hipError_tPvRmT1_T2_T3_mT4_P12ihipStream_tbEUlT_E0_NS1_11comp_targetILNS1_3genE3ELNS1_11target_archE908ELNS1_3gpuE7ELNS1_3repE0EEENS1_30default_config_static_selectorELNS0_4arch9wavefront6targetE1EEEvSF_.num_named_barrier, 0
	.set _ZN7rocprim17ROCPRIM_400000_NS6detail17trampoline_kernelINS0_14default_configENS1_22reduce_config_selectorIxEEZNS1_11reduce_implILb1ES3_PxS7_xN6thrust23THRUST_200600_302600_NS4plusIxEEEE10hipError_tPvRmT1_T2_T3_mT4_P12ihipStream_tbEUlT_E0_NS1_11comp_targetILNS1_3genE3ELNS1_11target_archE908ELNS1_3gpuE7ELNS1_3repE0EEENS1_30default_config_static_selectorELNS0_4arch9wavefront6targetE1EEEvSF_.private_seg_size, 0
	.set _ZN7rocprim17ROCPRIM_400000_NS6detail17trampoline_kernelINS0_14default_configENS1_22reduce_config_selectorIxEEZNS1_11reduce_implILb1ES3_PxS7_xN6thrust23THRUST_200600_302600_NS4plusIxEEEE10hipError_tPvRmT1_T2_T3_mT4_P12ihipStream_tbEUlT_E0_NS1_11comp_targetILNS1_3genE3ELNS1_11target_archE908ELNS1_3gpuE7ELNS1_3repE0EEENS1_30default_config_static_selectorELNS0_4arch9wavefront6targetE1EEEvSF_.uses_vcc, 0
	.set _ZN7rocprim17ROCPRIM_400000_NS6detail17trampoline_kernelINS0_14default_configENS1_22reduce_config_selectorIxEEZNS1_11reduce_implILb1ES3_PxS7_xN6thrust23THRUST_200600_302600_NS4plusIxEEEE10hipError_tPvRmT1_T2_T3_mT4_P12ihipStream_tbEUlT_E0_NS1_11comp_targetILNS1_3genE3ELNS1_11target_archE908ELNS1_3gpuE7ELNS1_3repE0EEENS1_30default_config_static_selectorELNS0_4arch9wavefront6targetE1EEEvSF_.uses_flat_scratch, 0
	.set _ZN7rocprim17ROCPRIM_400000_NS6detail17trampoline_kernelINS0_14default_configENS1_22reduce_config_selectorIxEEZNS1_11reduce_implILb1ES3_PxS7_xN6thrust23THRUST_200600_302600_NS4plusIxEEEE10hipError_tPvRmT1_T2_T3_mT4_P12ihipStream_tbEUlT_E0_NS1_11comp_targetILNS1_3genE3ELNS1_11target_archE908ELNS1_3gpuE7ELNS1_3repE0EEENS1_30default_config_static_selectorELNS0_4arch9wavefront6targetE1EEEvSF_.has_dyn_sized_stack, 0
	.set _ZN7rocprim17ROCPRIM_400000_NS6detail17trampoline_kernelINS0_14default_configENS1_22reduce_config_selectorIxEEZNS1_11reduce_implILb1ES3_PxS7_xN6thrust23THRUST_200600_302600_NS4plusIxEEEE10hipError_tPvRmT1_T2_T3_mT4_P12ihipStream_tbEUlT_E0_NS1_11comp_targetILNS1_3genE3ELNS1_11target_archE908ELNS1_3gpuE7ELNS1_3repE0EEENS1_30default_config_static_selectorELNS0_4arch9wavefront6targetE1EEEvSF_.has_recursion, 0
	.set _ZN7rocprim17ROCPRIM_400000_NS6detail17trampoline_kernelINS0_14default_configENS1_22reduce_config_selectorIxEEZNS1_11reduce_implILb1ES3_PxS7_xN6thrust23THRUST_200600_302600_NS4plusIxEEEE10hipError_tPvRmT1_T2_T3_mT4_P12ihipStream_tbEUlT_E0_NS1_11comp_targetILNS1_3genE3ELNS1_11target_archE908ELNS1_3gpuE7ELNS1_3repE0EEENS1_30default_config_static_selectorELNS0_4arch9wavefront6targetE1EEEvSF_.has_indirect_call, 0
	.section	.AMDGPU.csdata,"",@progbits
; Kernel info:
; codeLenInByte = 0
; TotalNumSgprs: 6
; NumVgprs: 0
; NumAgprs: 0
; TotalNumVgprs: 0
; ScratchSize: 0
; MemoryBound: 0
; FloatMode: 240
; IeeeMode: 1
; LDSByteSize: 0 bytes/workgroup (compile time only)
; SGPRBlocks: 0
; VGPRBlocks: 0
; NumSGPRsForWavesPerEU: 6
; NumVGPRsForWavesPerEU: 1
; AccumOffset: 4
; Occupancy: 8
; WaveLimiterHint : 0
; COMPUTE_PGM_RSRC2:SCRATCH_EN: 0
; COMPUTE_PGM_RSRC2:USER_SGPR: 2
; COMPUTE_PGM_RSRC2:TRAP_HANDLER: 0
; COMPUTE_PGM_RSRC2:TGID_X_EN: 1
; COMPUTE_PGM_RSRC2:TGID_Y_EN: 0
; COMPUTE_PGM_RSRC2:TGID_Z_EN: 0
; COMPUTE_PGM_RSRC2:TIDIG_COMP_CNT: 0
; COMPUTE_PGM_RSRC3_GFX90A:ACCUM_OFFSET: 0
; COMPUTE_PGM_RSRC3_GFX90A:TG_SPLIT: 0
	.section	.text._ZN7rocprim17ROCPRIM_400000_NS6detail17trampoline_kernelINS0_14default_configENS1_22reduce_config_selectorIxEEZNS1_11reduce_implILb1ES3_PxS7_xN6thrust23THRUST_200600_302600_NS4plusIxEEEE10hipError_tPvRmT1_T2_T3_mT4_P12ihipStream_tbEUlT_E0_NS1_11comp_targetILNS1_3genE2ELNS1_11target_archE906ELNS1_3gpuE6ELNS1_3repE0EEENS1_30default_config_static_selectorELNS0_4arch9wavefront6targetE1EEEvSF_,"axG",@progbits,_ZN7rocprim17ROCPRIM_400000_NS6detail17trampoline_kernelINS0_14default_configENS1_22reduce_config_selectorIxEEZNS1_11reduce_implILb1ES3_PxS7_xN6thrust23THRUST_200600_302600_NS4plusIxEEEE10hipError_tPvRmT1_T2_T3_mT4_P12ihipStream_tbEUlT_E0_NS1_11comp_targetILNS1_3genE2ELNS1_11target_archE906ELNS1_3gpuE6ELNS1_3repE0EEENS1_30default_config_static_selectorELNS0_4arch9wavefront6targetE1EEEvSF_,comdat
	.protected	_ZN7rocprim17ROCPRIM_400000_NS6detail17trampoline_kernelINS0_14default_configENS1_22reduce_config_selectorIxEEZNS1_11reduce_implILb1ES3_PxS7_xN6thrust23THRUST_200600_302600_NS4plusIxEEEE10hipError_tPvRmT1_T2_T3_mT4_P12ihipStream_tbEUlT_E0_NS1_11comp_targetILNS1_3genE2ELNS1_11target_archE906ELNS1_3gpuE6ELNS1_3repE0EEENS1_30default_config_static_selectorELNS0_4arch9wavefront6targetE1EEEvSF_ ; -- Begin function _ZN7rocprim17ROCPRIM_400000_NS6detail17trampoline_kernelINS0_14default_configENS1_22reduce_config_selectorIxEEZNS1_11reduce_implILb1ES3_PxS7_xN6thrust23THRUST_200600_302600_NS4plusIxEEEE10hipError_tPvRmT1_T2_T3_mT4_P12ihipStream_tbEUlT_E0_NS1_11comp_targetILNS1_3genE2ELNS1_11target_archE906ELNS1_3gpuE6ELNS1_3repE0EEENS1_30default_config_static_selectorELNS0_4arch9wavefront6targetE1EEEvSF_
	.globl	_ZN7rocprim17ROCPRIM_400000_NS6detail17trampoline_kernelINS0_14default_configENS1_22reduce_config_selectorIxEEZNS1_11reduce_implILb1ES3_PxS7_xN6thrust23THRUST_200600_302600_NS4plusIxEEEE10hipError_tPvRmT1_T2_T3_mT4_P12ihipStream_tbEUlT_E0_NS1_11comp_targetILNS1_3genE2ELNS1_11target_archE906ELNS1_3gpuE6ELNS1_3repE0EEENS1_30default_config_static_selectorELNS0_4arch9wavefront6targetE1EEEvSF_
	.p2align	8
	.type	_ZN7rocprim17ROCPRIM_400000_NS6detail17trampoline_kernelINS0_14default_configENS1_22reduce_config_selectorIxEEZNS1_11reduce_implILb1ES3_PxS7_xN6thrust23THRUST_200600_302600_NS4plusIxEEEE10hipError_tPvRmT1_T2_T3_mT4_P12ihipStream_tbEUlT_E0_NS1_11comp_targetILNS1_3genE2ELNS1_11target_archE906ELNS1_3gpuE6ELNS1_3repE0EEENS1_30default_config_static_selectorELNS0_4arch9wavefront6targetE1EEEvSF_,@function
_ZN7rocprim17ROCPRIM_400000_NS6detail17trampoline_kernelINS0_14default_configENS1_22reduce_config_selectorIxEEZNS1_11reduce_implILb1ES3_PxS7_xN6thrust23THRUST_200600_302600_NS4plusIxEEEE10hipError_tPvRmT1_T2_T3_mT4_P12ihipStream_tbEUlT_E0_NS1_11comp_targetILNS1_3genE2ELNS1_11target_archE906ELNS1_3gpuE6ELNS1_3repE0EEENS1_30default_config_static_selectorELNS0_4arch9wavefront6targetE1EEEvSF_: ; @_ZN7rocprim17ROCPRIM_400000_NS6detail17trampoline_kernelINS0_14default_configENS1_22reduce_config_selectorIxEEZNS1_11reduce_implILb1ES3_PxS7_xN6thrust23THRUST_200600_302600_NS4plusIxEEEE10hipError_tPvRmT1_T2_T3_mT4_P12ihipStream_tbEUlT_E0_NS1_11comp_targetILNS1_3genE2ELNS1_11target_archE906ELNS1_3gpuE6ELNS1_3repE0EEENS1_30default_config_static_selectorELNS0_4arch9wavefront6targetE1EEEvSF_
; %bb.0:
	.section	.rodata,"a",@progbits
	.p2align	6, 0x0
	.amdhsa_kernel _ZN7rocprim17ROCPRIM_400000_NS6detail17trampoline_kernelINS0_14default_configENS1_22reduce_config_selectorIxEEZNS1_11reduce_implILb1ES3_PxS7_xN6thrust23THRUST_200600_302600_NS4plusIxEEEE10hipError_tPvRmT1_T2_T3_mT4_P12ihipStream_tbEUlT_E0_NS1_11comp_targetILNS1_3genE2ELNS1_11target_archE906ELNS1_3gpuE6ELNS1_3repE0EEENS1_30default_config_static_selectorELNS0_4arch9wavefront6targetE1EEEvSF_
		.amdhsa_group_segment_fixed_size 0
		.amdhsa_private_segment_fixed_size 0
		.amdhsa_kernarg_size 64
		.amdhsa_user_sgpr_count 2
		.amdhsa_user_sgpr_dispatch_ptr 0
		.amdhsa_user_sgpr_queue_ptr 0
		.amdhsa_user_sgpr_kernarg_segment_ptr 1
		.amdhsa_user_sgpr_dispatch_id 0
		.amdhsa_user_sgpr_kernarg_preload_length 0
		.amdhsa_user_sgpr_kernarg_preload_offset 0
		.amdhsa_user_sgpr_private_segment_size 0
		.amdhsa_uses_dynamic_stack 0
		.amdhsa_enable_private_segment 0
		.amdhsa_system_sgpr_workgroup_id_x 1
		.amdhsa_system_sgpr_workgroup_id_y 0
		.amdhsa_system_sgpr_workgroup_id_z 0
		.amdhsa_system_sgpr_workgroup_info 0
		.amdhsa_system_vgpr_workitem_id 0
		.amdhsa_next_free_vgpr 1
		.amdhsa_next_free_sgpr 0
		.amdhsa_accum_offset 4
		.amdhsa_reserve_vcc 0
		.amdhsa_float_round_mode_32 0
		.amdhsa_float_round_mode_16_64 0
		.amdhsa_float_denorm_mode_32 3
		.amdhsa_float_denorm_mode_16_64 3
		.amdhsa_dx10_clamp 1
		.amdhsa_ieee_mode 1
		.amdhsa_fp16_overflow 0
		.amdhsa_tg_split 0
		.amdhsa_exception_fp_ieee_invalid_op 0
		.amdhsa_exception_fp_denorm_src 0
		.amdhsa_exception_fp_ieee_div_zero 0
		.amdhsa_exception_fp_ieee_overflow 0
		.amdhsa_exception_fp_ieee_underflow 0
		.amdhsa_exception_fp_ieee_inexact 0
		.amdhsa_exception_int_div_zero 0
	.end_amdhsa_kernel
	.section	.text._ZN7rocprim17ROCPRIM_400000_NS6detail17trampoline_kernelINS0_14default_configENS1_22reduce_config_selectorIxEEZNS1_11reduce_implILb1ES3_PxS7_xN6thrust23THRUST_200600_302600_NS4plusIxEEEE10hipError_tPvRmT1_T2_T3_mT4_P12ihipStream_tbEUlT_E0_NS1_11comp_targetILNS1_3genE2ELNS1_11target_archE906ELNS1_3gpuE6ELNS1_3repE0EEENS1_30default_config_static_selectorELNS0_4arch9wavefront6targetE1EEEvSF_,"axG",@progbits,_ZN7rocprim17ROCPRIM_400000_NS6detail17trampoline_kernelINS0_14default_configENS1_22reduce_config_selectorIxEEZNS1_11reduce_implILb1ES3_PxS7_xN6thrust23THRUST_200600_302600_NS4plusIxEEEE10hipError_tPvRmT1_T2_T3_mT4_P12ihipStream_tbEUlT_E0_NS1_11comp_targetILNS1_3genE2ELNS1_11target_archE906ELNS1_3gpuE6ELNS1_3repE0EEENS1_30default_config_static_selectorELNS0_4arch9wavefront6targetE1EEEvSF_,comdat
.Lfunc_end191:
	.size	_ZN7rocprim17ROCPRIM_400000_NS6detail17trampoline_kernelINS0_14default_configENS1_22reduce_config_selectorIxEEZNS1_11reduce_implILb1ES3_PxS7_xN6thrust23THRUST_200600_302600_NS4plusIxEEEE10hipError_tPvRmT1_T2_T3_mT4_P12ihipStream_tbEUlT_E0_NS1_11comp_targetILNS1_3genE2ELNS1_11target_archE906ELNS1_3gpuE6ELNS1_3repE0EEENS1_30default_config_static_selectorELNS0_4arch9wavefront6targetE1EEEvSF_, .Lfunc_end191-_ZN7rocprim17ROCPRIM_400000_NS6detail17trampoline_kernelINS0_14default_configENS1_22reduce_config_selectorIxEEZNS1_11reduce_implILb1ES3_PxS7_xN6thrust23THRUST_200600_302600_NS4plusIxEEEE10hipError_tPvRmT1_T2_T3_mT4_P12ihipStream_tbEUlT_E0_NS1_11comp_targetILNS1_3genE2ELNS1_11target_archE906ELNS1_3gpuE6ELNS1_3repE0EEENS1_30default_config_static_selectorELNS0_4arch9wavefront6targetE1EEEvSF_
                                        ; -- End function
	.set _ZN7rocprim17ROCPRIM_400000_NS6detail17trampoline_kernelINS0_14default_configENS1_22reduce_config_selectorIxEEZNS1_11reduce_implILb1ES3_PxS7_xN6thrust23THRUST_200600_302600_NS4plusIxEEEE10hipError_tPvRmT1_T2_T3_mT4_P12ihipStream_tbEUlT_E0_NS1_11comp_targetILNS1_3genE2ELNS1_11target_archE906ELNS1_3gpuE6ELNS1_3repE0EEENS1_30default_config_static_selectorELNS0_4arch9wavefront6targetE1EEEvSF_.num_vgpr, 0
	.set _ZN7rocprim17ROCPRIM_400000_NS6detail17trampoline_kernelINS0_14default_configENS1_22reduce_config_selectorIxEEZNS1_11reduce_implILb1ES3_PxS7_xN6thrust23THRUST_200600_302600_NS4plusIxEEEE10hipError_tPvRmT1_T2_T3_mT4_P12ihipStream_tbEUlT_E0_NS1_11comp_targetILNS1_3genE2ELNS1_11target_archE906ELNS1_3gpuE6ELNS1_3repE0EEENS1_30default_config_static_selectorELNS0_4arch9wavefront6targetE1EEEvSF_.num_agpr, 0
	.set _ZN7rocprim17ROCPRIM_400000_NS6detail17trampoline_kernelINS0_14default_configENS1_22reduce_config_selectorIxEEZNS1_11reduce_implILb1ES3_PxS7_xN6thrust23THRUST_200600_302600_NS4plusIxEEEE10hipError_tPvRmT1_T2_T3_mT4_P12ihipStream_tbEUlT_E0_NS1_11comp_targetILNS1_3genE2ELNS1_11target_archE906ELNS1_3gpuE6ELNS1_3repE0EEENS1_30default_config_static_selectorELNS0_4arch9wavefront6targetE1EEEvSF_.numbered_sgpr, 0
	.set _ZN7rocprim17ROCPRIM_400000_NS6detail17trampoline_kernelINS0_14default_configENS1_22reduce_config_selectorIxEEZNS1_11reduce_implILb1ES3_PxS7_xN6thrust23THRUST_200600_302600_NS4plusIxEEEE10hipError_tPvRmT1_T2_T3_mT4_P12ihipStream_tbEUlT_E0_NS1_11comp_targetILNS1_3genE2ELNS1_11target_archE906ELNS1_3gpuE6ELNS1_3repE0EEENS1_30default_config_static_selectorELNS0_4arch9wavefront6targetE1EEEvSF_.num_named_barrier, 0
	.set _ZN7rocprim17ROCPRIM_400000_NS6detail17trampoline_kernelINS0_14default_configENS1_22reduce_config_selectorIxEEZNS1_11reduce_implILb1ES3_PxS7_xN6thrust23THRUST_200600_302600_NS4plusIxEEEE10hipError_tPvRmT1_T2_T3_mT4_P12ihipStream_tbEUlT_E0_NS1_11comp_targetILNS1_3genE2ELNS1_11target_archE906ELNS1_3gpuE6ELNS1_3repE0EEENS1_30default_config_static_selectorELNS0_4arch9wavefront6targetE1EEEvSF_.private_seg_size, 0
	.set _ZN7rocprim17ROCPRIM_400000_NS6detail17trampoline_kernelINS0_14default_configENS1_22reduce_config_selectorIxEEZNS1_11reduce_implILb1ES3_PxS7_xN6thrust23THRUST_200600_302600_NS4plusIxEEEE10hipError_tPvRmT1_T2_T3_mT4_P12ihipStream_tbEUlT_E0_NS1_11comp_targetILNS1_3genE2ELNS1_11target_archE906ELNS1_3gpuE6ELNS1_3repE0EEENS1_30default_config_static_selectorELNS0_4arch9wavefront6targetE1EEEvSF_.uses_vcc, 0
	.set _ZN7rocprim17ROCPRIM_400000_NS6detail17trampoline_kernelINS0_14default_configENS1_22reduce_config_selectorIxEEZNS1_11reduce_implILb1ES3_PxS7_xN6thrust23THRUST_200600_302600_NS4plusIxEEEE10hipError_tPvRmT1_T2_T3_mT4_P12ihipStream_tbEUlT_E0_NS1_11comp_targetILNS1_3genE2ELNS1_11target_archE906ELNS1_3gpuE6ELNS1_3repE0EEENS1_30default_config_static_selectorELNS0_4arch9wavefront6targetE1EEEvSF_.uses_flat_scratch, 0
	.set _ZN7rocprim17ROCPRIM_400000_NS6detail17trampoline_kernelINS0_14default_configENS1_22reduce_config_selectorIxEEZNS1_11reduce_implILb1ES3_PxS7_xN6thrust23THRUST_200600_302600_NS4plusIxEEEE10hipError_tPvRmT1_T2_T3_mT4_P12ihipStream_tbEUlT_E0_NS1_11comp_targetILNS1_3genE2ELNS1_11target_archE906ELNS1_3gpuE6ELNS1_3repE0EEENS1_30default_config_static_selectorELNS0_4arch9wavefront6targetE1EEEvSF_.has_dyn_sized_stack, 0
	.set _ZN7rocprim17ROCPRIM_400000_NS6detail17trampoline_kernelINS0_14default_configENS1_22reduce_config_selectorIxEEZNS1_11reduce_implILb1ES3_PxS7_xN6thrust23THRUST_200600_302600_NS4plusIxEEEE10hipError_tPvRmT1_T2_T3_mT4_P12ihipStream_tbEUlT_E0_NS1_11comp_targetILNS1_3genE2ELNS1_11target_archE906ELNS1_3gpuE6ELNS1_3repE0EEENS1_30default_config_static_selectorELNS0_4arch9wavefront6targetE1EEEvSF_.has_recursion, 0
	.set _ZN7rocprim17ROCPRIM_400000_NS6detail17trampoline_kernelINS0_14default_configENS1_22reduce_config_selectorIxEEZNS1_11reduce_implILb1ES3_PxS7_xN6thrust23THRUST_200600_302600_NS4plusIxEEEE10hipError_tPvRmT1_T2_T3_mT4_P12ihipStream_tbEUlT_E0_NS1_11comp_targetILNS1_3genE2ELNS1_11target_archE906ELNS1_3gpuE6ELNS1_3repE0EEENS1_30default_config_static_selectorELNS0_4arch9wavefront6targetE1EEEvSF_.has_indirect_call, 0
	.section	.AMDGPU.csdata,"",@progbits
; Kernel info:
; codeLenInByte = 0
; TotalNumSgprs: 6
; NumVgprs: 0
; NumAgprs: 0
; TotalNumVgprs: 0
; ScratchSize: 0
; MemoryBound: 0
; FloatMode: 240
; IeeeMode: 1
; LDSByteSize: 0 bytes/workgroup (compile time only)
; SGPRBlocks: 0
; VGPRBlocks: 0
; NumSGPRsForWavesPerEU: 6
; NumVGPRsForWavesPerEU: 1
; AccumOffset: 4
; Occupancy: 8
; WaveLimiterHint : 0
; COMPUTE_PGM_RSRC2:SCRATCH_EN: 0
; COMPUTE_PGM_RSRC2:USER_SGPR: 2
; COMPUTE_PGM_RSRC2:TRAP_HANDLER: 0
; COMPUTE_PGM_RSRC2:TGID_X_EN: 1
; COMPUTE_PGM_RSRC2:TGID_Y_EN: 0
; COMPUTE_PGM_RSRC2:TGID_Z_EN: 0
; COMPUTE_PGM_RSRC2:TIDIG_COMP_CNT: 0
; COMPUTE_PGM_RSRC3_GFX90A:ACCUM_OFFSET: 0
; COMPUTE_PGM_RSRC3_GFX90A:TG_SPLIT: 0
	.section	.text._ZN7rocprim17ROCPRIM_400000_NS6detail17trampoline_kernelINS0_14default_configENS1_22reduce_config_selectorIxEEZNS1_11reduce_implILb1ES3_PxS7_xN6thrust23THRUST_200600_302600_NS4plusIxEEEE10hipError_tPvRmT1_T2_T3_mT4_P12ihipStream_tbEUlT_E0_NS1_11comp_targetILNS1_3genE10ELNS1_11target_archE1201ELNS1_3gpuE5ELNS1_3repE0EEENS1_30default_config_static_selectorELNS0_4arch9wavefront6targetE1EEEvSF_,"axG",@progbits,_ZN7rocprim17ROCPRIM_400000_NS6detail17trampoline_kernelINS0_14default_configENS1_22reduce_config_selectorIxEEZNS1_11reduce_implILb1ES3_PxS7_xN6thrust23THRUST_200600_302600_NS4plusIxEEEE10hipError_tPvRmT1_T2_T3_mT4_P12ihipStream_tbEUlT_E0_NS1_11comp_targetILNS1_3genE10ELNS1_11target_archE1201ELNS1_3gpuE5ELNS1_3repE0EEENS1_30default_config_static_selectorELNS0_4arch9wavefront6targetE1EEEvSF_,comdat
	.protected	_ZN7rocprim17ROCPRIM_400000_NS6detail17trampoline_kernelINS0_14default_configENS1_22reduce_config_selectorIxEEZNS1_11reduce_implILb1ES3_PxS7_xN6thrust23THRUST_200600_302600_NS4plusIxEEEE10hipError_tPvRmT1_T2_T3_mT4_P12ihipStream_tbEUlT_E0_NS1_11comp_targetILNS1_3genE10ELNS1_11target_archE1201ELNS1_3gpuE5ELNS1_3repE0EEENS1_30default_config_static_selectorELNS0_4arch9wavefront6targetE1EEEvSF_ ; -- Begin function _ZN7rocprim17ROCPRIM_400000_NS6detail17trampoline_kernelINS0_14default_configENS1_22reduce_config_selectorIxEEZNS1_11reduce_implILb1ES3_PxS7_xN6thrust23THRUST_200600_302600_NS4plusIxEEEE10hipError_tPvRmT1_T2_T3_mT4_P12ihipStream_tbEUlT_E0_NS1_11comp_targetILNS1_3genE10ELNS1_11target_archE1201ELNS1_3gpuE5ELNS1_3repE0EEENS1_30default_config_static_selectorELNS0_4arch9wavefront6targetE1EEEvSF_
	.globl	_ZN7rocprim17ROCPRIM_400000_NS6detail17trampoline_kernelINS0_14default_configENS1_22reduce_config_selectorIxEEZNS1_11reduce_implILb1ES3_PxS7_xN6thrust23THRUST_200600_302600_NS4plusIxEEEE10hipError_tPvRmT1_T2_T3_mT4_P12ihipStream_tbEUlT_E0_NS1_11comp_targetILNS1_3genE10ELNS1_11target_archE1201ELNS1_3gpuE5ELNS1_3repE0EEENS1_30default_config_static_selectorELNS0_4arch9wavefront6targetE1EEEvSF_
	.p2align	8
	.type	_ZN7rocprim17ROCPRIM_400000_NS6detail17trampoline_kernelINS0_14default_configENS1_22reduce_config_selectorIxEEZNS1_11reduce_implILb1ES3_PxS7_xN6thrust23THRUST_200600_302600_NS4plusIxEEEE10hipError_tPvRmT1_T2_T3_mT4_P12ihipStream_tbEUlT_E0_NS1_11comp_targetILNS1_3genE10ELNS1_11target_archE1201ELNS1_3gpuE5ELNS1_3repE0EEENS1_30default_config_static_selectorELNS0_4arch9wavefront6targetE1EEEvSF_,@function
_ZN7rocprim17ROCPRIM_400000_NS6detail17trampoline_kernelINS0_14default_configENS1_22reduce_config_selectorIxEEZNS1_11reduce_implILb1ES3_PxS7_xN6thrust23THRUST_200600_302600_NS4plusIxEEEE10hipError_tPvRmT1_T2_T3_mT4_P12ihipStream_tbEUlT_E0_NS1_11comp_targetILNS1_3genE10ELNS1_11target_archE1201ELNS1_3gpuE5ELNS1_3repE0EEENS1_30default_config_static_selectorELNS0_4arch9wavefront6targetE1EEEvSF_: ; @_ZN7rocprim17ROCPRIM_400000_NS6detail17trampoline_kernelINS0_14default_configENS1_22reduce_config_selectorIxEEZNS1_11reduce_implILb1ES3_PxS7_xN6thrust23THRUST_200600_302600_NS4plusIxEEEE10hipError_tPvRmT1_T2_T3_mT4_P12ihipStream_tbEUlT_E0_NS1_11comp_targetILNS1_3genE10ELNS1_11target_archE1201ELNS1_3gpuE5ELNS1_3repE0EEENS1_30default_config_static_selectorELNS0_4arch9wavefront6targetE1EEEvSF_
; %bb.0:
	.section	.rodata,"a",@progbits
	.p2align	6, 0x0
	.amdhsa_kernel _ZN7rocprim17ROCPRIM_400000_NS6detail17trampoline_kernelINS0_14default_configENS1_22reduce_config_selectorIxEEZNS1_11reduce_implILb1ES3_PxS7_xN6thrust23THRUST_200600_302600_NS4plusIxEEEE10hipError_tPvRmT1_T2_T3_mT4_P12ihipStream_tbEUlT_E0_NS1_11comp_targetILNS1_3genE10ELNS1_11target_archE1201ELNS1_3gpuE5ELNS1_3repE0EEENS1_30default_config_static_selectorELNS0_4arch9wavefront6targetE1EEEvSF_
		.amdhsa_group_segment_fixed_size 0
		.amdhsa_private_segment_fixed_size 0
		.amdhsa_kernarg_size 64
		.amdhsa_user_sgpr_count 2
		.amdhsa_user_sgpr_dispatch_ptr 0
		.amdhsa_user_sgpr_queue_ptr 0
		.amdhsa_user_sgpr_kernarg_segment_ptr 1
		.amdhsa_user_sgpr_dispatch_id 0
		.amdhsa_user_sgpr_kernarg_preload_length 0
		.amdhsa_user_sgpr_kernarg_preload_offset 0
		.amdhsa_user_sgpr_private_segment_size 0
		.amdhsa_uses_dynamic_stack 0
		.amdhsa_enable_private_segment 0
		.amdhsa_system_sgpr_workgroup_id_x 1
		.amdhsa_system_sgpr_workgroup_id_y 0
		.amdhsa_system_sgpr_workgroup_id_z 0
		.amdhsa_system_sgpr_workgroup_info 0
		.amdhsa_system_vgpr_workitem_id 0
		.amdhsa_next_free_vgpr 1
		.amdhsa_next_free_sgpr 0
		.amdhsa_accum_offset 4
		.amdhsa_reserve_vcc 0
		.amdhsa_float_round_mode_32 0
		.amdhsa_float_round_mode_16_64 0
		.amdhsa_float_denorm_mode_32 3
		.amdhsa_float_denorm_mode_16_64 3
		.amdhsa_dx10_clamp 1
		.amdhsa_ieee_mode 1
		.amdhsa_fp16_overflow 0
		.amdhsa_tg_split 0
		.amdhsa_exception_fp_ieee_invalid_op 0
		.amdhsa_exception_fp_denorm_src 0
		.amdhsa_exception_fp_ieee_div_zero 0
		.amdhsa_exception_fp_ieee_overflow 0
		.amdhsa_exception_fp_ieee_underflow 0
		.amdhsa_exception_fp_ieee_inexact 0
		.amdhsa_exception_int_div_zero 0
	.end_amdhsa_kernel
	.section	.text._ZN7rocprim17ROCPRIM_400000_NS6detail17trampoline_kernelINS0_14default_configENS1_22reduce_config_selectorIxEEZNS1_11reduce_implILb1ES3_PxS7_xN6thrust23THRUST_200600_302600_NS4plusIxEEEE10hipError_tPvRmT1_T2_T3_mT4_P12ihipStream_tbEUlT_E0_NS1_11comp_targetILNS1_3genE10ELNS1_11target_archE1201ELNS1_3gpuE5ELNS1_3repE0EEENS1_30default_config_static_selectorELNS0_4arch9wavefront6targetE1EEEvSF_,"axG",@progbits,_ZN7rocprim17ROCPRIM_400000_NS6detail17trampoline_kernelINS0_14default_configENS1_22reduce_config_selectorIxEEZNS1_11reduce_implILb1ES3_PxS7_xN6thrust23THRUST_200600_302600_NS4plusIxEEEE10hipError_tPvRmT1_T2_T3_mT4_P12ihipStream_tbEUlT_E0_NS1_11comp_targetILNS1_3genE10ELNS1_11target_archE1201ELNS1_3gpuE5ELNS1_3repE0EEENS1_30default_config_static_selectorELNS0_4arch9wavefront6targetE1EEEvSF_,comdat
.Lfunc_end192:
	.size	_ZN7rocprim17ROCPRIM_400000_NS6detail17trampoline_kernelINS0_14default_configENS1_22reduce_config_selectorIxEEZNS1_11reduce_implILb1ES3_PxS7_xN6thrust23THRUST_200600_302600_NS4plusIxEEEE10hipError_tPvRmT1_T2_T3_mT4_P12ihipStream_tbEUlT_E0_NS1_11comp_targetILNS1_3genE10ELNS1_11target_archE1201ELNS1_3gpuE5ELNS1_3repE0EEENS1_30default_config_static_selectorELNS0_4arch9wavefront6targetE1EEEvSF_, .Lfunc_end192-_ZN7rocprim17ROCPRIM_400000_NS6detail17trampoline_kernelINS0_14default_configENS1_22reduce_config_selectorIxEEZNS1_11reduce_implILb1ES3_PxS7_xN6thrust23THRUST_200600_302600_NS4plusIxEEEE10hipError_tPvRmT1_T2_T3_mT4_P12ihipStream_tbEUlT_E0_NS1_11comp_targetILNS1_3genE10ELNS1_11target_archE1201ELNS1_3gpuE5ELNS1_3repE0EEENS1_30default_config_static_selectorELNS0_4arch9wavefront6targetE1EEEvSF_
                                        ; -- End function
	.set _ZN7rocprim17ROCPRIM_400000_NS6detail17trampoline_kernelINS0_14default_configENS1_22reduce_config_selectorIxEEZNS1_11reduce_implILb1ES3_PxS7_xN6thrust23THRUST_200600_302600_NS4plusIxEEEE10hipError_tPvRmT1_T2_T3_mT4_P12ihipStream_tbEUlT_E0_NS1_11comp_targetILNS1_3genE10ELNS1_11target_archE1201ELNS1_3gpuE5ELNS1_3repE0EEENS1_30default_config_static_selectorELNS0_4arch9wavefront6targetE1EEEvSF_.num_vgpr, 0
	.set _ZN7rocprim17ROCPRIM_400000_NS6detail17trampoline_kernelINS0_14default_configENS1_22reduce_config_selectorIxEEZNS1_11reduce_implILb1ES3_PxS7_xN6thrust23THRUST_200600_302600_NS4plusIxEEEE10hipError_tPvRmT1_T2_T3_mT4_P12ihipStream_tbEUlT_E0_NS1_11comp_targetILNS1_3genE10ELNS1_11target_archE1201ELNS1_3gpuE5ELNS1_3repE0EEENS1_30default_config_static_selectorELNS0_4arch9wavefront6targetE1EEEvSF_.num_agpr, 0
	.set _ZN7rocprim17ROCPRIM_400000_NS6detail17trampoline_kernelINS0_14default_configENS1_22reduce_config_selectorIxEEZNS1_11reduce_implILb1ES3_PxS7_xN6thrust23THRUST_200600_302600_NS4plusIxEEEE10hipError_tPvRmT1_T2_T3_mT4_P12ihipStream_tbEUlT_E0_NS1_11comp_targetILNS1_3genE10ELNS1_11target_archE1201ELNS1_3gpuE5ELNS1_3repE0EEENS1_30default_config_static_selectorELNS0_4arch9wavefront6targetE1EEEvSF_.numbered_sgpr, 0
	.set _ZN7rocprim17ROCPRIM_400000_NS6detail17trampoline_kernelINS0_14default_configENS1_22reduce_config_selectorIxEEZNS1_11reduce_implILb1ES3_PxS7_xN6thrust23THRUST_200600_302600_NS4plusIxEEEE10hipError_tPvRmT1_T2_T3_mT4_P12ihipStream_tbEUlT_E0_NS1_11comp_targetILNS1_3genE10ELNS1_11target_archE1201ELNS1_3gpuE5ELNS1_3repE0EEENS1_30default_config_static_selectorELNS0_4arch9wavefront6targetE1EEEvSF_.num_named_barrier, 0
	.set _ZN7rocprim17ROCPRIM_400000_NS6detail17trampoline_kernelINS0_14default_configENS1_22reduce_config_selectorIxEEZNS1_11reduce_implILb1ES3_PxS7_xN6thrust23THRUST_200600_302600_NS4plusIxEEEE10hipError_tPvRmT1_T2_T3_mT4_P12ihipStream_tbEUlT_E0_NS1_11comp_targetILNS1_3genE10ELNS1_11target_archE1201ELNS1_3gpuE5ELNS1_3repE0EEENS1_30default_config_static_selectorELNS0_4arch9wavefront6targetE1EEEvSF_.private_seg_size, 0
	.set _ZN7rocprim17ROCPRIM_400000_NS6detail17trampoline_kernelINS0_14default_configENS1_22reduce_config_selectorIxEEZNS1_11reduce_implILb1ES3_PxS7_xN6thrust23THRUST_200600_302600_NS4plusIxEEEE10hipError_tPvRmT1_T2_T3_mT4_P12ihipStream_tbEUlT_E0_NS1_11comp_targetILNS1_3genE10ELNS1_11target_archE1201ELNS1_3gpuE5ELNS1_3repE0EEENS1_30default_config_static_selectorELNS0_4arch9wavefront6targetE1EEEvSF_.uses_vcc, 0
	.set _ZN7rocprim17ROCPRIM_400000_NS6detail17trampoline_kernelINS0_14default_configENS1_22reduce_config_selectorIxEEZNS1_11reduce_implILb1ES3_PxS7_xN6thrust23THRUST_200600_302600_NS4plusIxEEEE10hipError_tPvRmT1_T2_T3_mT4_P12ihipStream_tbEUlT_E0_NS1_11comp_targetILNS1_3genE10ELNS1_11target_archE1201ELNS1_3gpuE5ELNS1_3repE0EEENS1_30default_config_static_selectorELNS0_4arch9wavefront6targetE1EEEvSF_.uses_flat_scratch, 0
	.set _ZN7rocprim17ROCPRIM_400000_NS6detail17trampoline_kernelINS0_14default_configENS1_22reduce_config_selectorIxEEZNS1_11reduce_implILb1ES3_PxS7_xN6thrust23THRUST_200600_302600_NS4plusIxEEEE10hipError_tPvRmT1_T2_T3_mT4_P12ihipStream_tbEUlT_E0_NS1_11comp_targetILNS1_3genE10ELNS1_11target_archE1201ELNS1_3gpuE5ELNS1_3repE0EEENS1_30default_config_static_selectorELNS0_4arch9wavefront6targetE1EEEvSF_.has_dyn_sized_stack, 0
	.set _ZN7rocprim17ROCPRIM_400000_NS6detail17trampoline_kernelINS0_14default_configENS1_22reduce_config_selectorIxEEZNS1_11reduce_implILb1ES3_PxS7_xN6thrust23THRUST_200600_302600_NS4plusIxEEEE10hipError_tPvRmT1_T2_T3_mT4_P12ihipStream_tbEUlT_E0_NS1_11comp_targetILNS1_3genE10ELNS1_11target_archE1201ELNS1_3gpuE5ELNS1_3repE0EEENS1_30default_config_static_selectorELNS0_4arch9wavefront6targetE1EEEvSF_.has_recursion, 0
	.set _ZN7rocprim17ROCPRIM_400000_NS6detail17trampoline_kernelINS0_14default_configENS1_22reduce_config_selectorIxEEZNS1_11reduce_implILb1ES3_PxS7_xN6thrust23THRUST_200600_302600_NS4plusIxEEEE10hipError_tPvRmT1_T2_T3_mT4_P12ihipStream_tbEUlT_E0_NS1_11comp_targetILNS1_3genE10ELNS1_11target_archE1201ELNS1_3gpuE5ELNS1_3repE0EEENS1_30default_config_static_selectorELNS0_4arch9wavefront6targetE1EEEvSF_.has_indirect_call, 0
	.section	.AMDGPU.csdata,"",@progbits
; Kernel info:
; codeLenInByte = 0
; TotalNumSgprs: 6
; NumVgprs: 0
; NumAgprs: 0
; TotalNumVgprs: 0
; ScratchSize: 0
; MemoryBound: 0
; FloatMode: 240
; IeeeMode: 1
; LDSByteSize: 0 bytes/workgroup (compile time only)
; SGPRBlocks: 0
; VGPRBlocks: 0
; NumSGPRsForWavesPerEU: 6
; NumVGPRsForWavesPerEU: 1
; AccumOffset: 4
; Occupancy: 8
; WaveLimiterHint : 0
; COMPUTE_PGM_RSRC2:SCRATCH_EN: 0
; COMPUTE_PGM_RSRC2:USER_SGPR: 2
; COMPUTE_PGM_RSRC2:TRAP_HANDLER: 0
; COMPUTE_PGM_RSRC2:TGID_X_EN: 1
; COMPUTE_PGM_RSRC2:TGID_Y_EN: 0
; COMPUTE_PGM_RSRC2:TGID_Z_EN: 0
; COMPUTE_PGM_RSRC2:TIDIG_COMP_CNT: 0
; COMPUTE_PGM_RSRC3_GFX90A:ACCUM_OFFSET: 0
; COMPUTE_PGM_RSRC3_GFX90A:TG_SPLIT: 0
	.section	.text._ZN7rocprim17ROCPRIM_400000_NS6detail17trampoline_kernelINS0_14default_configENS1_22reduce_config_selectorIxEEZNS1_11reduce_implILb1ES3_PxS7_xN6thrust23THRUST_200600_302600_NS4plusIxEEEE10hipError_tPvRmT1_T2_T3_mT4_P12ihipStream_tbEUlT_E0_NS1_11comp_targetILNS1_3genE10ELNS1_11target_archE1200ELNS1_3gpuE4ELNS1_3repE0EEENS1_30default_config_static_selectorELNS0_4arch9wavefront6targetE1EEEvSF_,"axG",@progbits,_ZN7rocprim17ROCPRIM_400000_NS6detail17trampoline_kernelINS0_14default_configENS1_22reduce_config_selectorIxEEZNS1_11reduce_implILb1ES3_PxS7_xN6thrust23THRUST_200600_302600_NS4plusIxEEEE10hipError_tPvRmT1_T2_T3_mT4_P12ihipStream_tbEUlT_E0_NS1_11comp_targetILNS1_3genE10ELNS1_11target_archE1200ELNS1_3gpuE4ELNS1_3repE0EEENS1_30default_config_static_selectorELNS0_4arch9wavefront6targetE1EEEvSF_,comdat
	.protected	_ZN7rocprim17ROCPRIM_400000_NS6detail17trampoline_kernelINS0_14default_configENS1_22reduce_config_selectorIxEEZNS1_11reduce_implILb1ES3_PxS7_xN6thrust23THRUST_200600_302600_NS4plusIxEEEE10hipError_tPvRmT1_T2_T3_mT4_P12ihipStream_tbEUlT_E0_NS1_11comp_targetILNS1_3genE10ELNS1_11target_archE1200ELNS1_3gpuE4ELNS1_3repE0EEENS1_30default_config_static_selectorELNS0_4arch9wavefront6targetE1EEEvSF_ ; -- Begin function _ZN7rocprim17ROCPRIM_400000_NS6detail17trampoline_kernelINS0_14default_configENS1_22reduce_config_selectorIxEEZNS1_11reduce_implILb1ES3_PxS7_xN6thrust23THRUST_200600_302600_NS4plusIxEEEE10hipError_tPvRmT1_T2_T3_mT4_P12ihipStream_tbEUlT_E0_NS1_11comp_targetILNS1_3genE10ELNS1_11target_archE1200ELNS1_3gpuE4ELNS1_3repE0EEENS1_30default_config_static_selectorELNS0_4arch9wavefront6targetE1EEEvSF_
	.globl	_ZN7rocprim17ROCPRIM_400000_NS6detail17trampoline_kernelINS0_14default_configENS1_22reduce_config_selectorIxEEZNS1_11reduce_implILb1ES3_PxS7_xN6thrust23THRUST_200600_302600_NS4plusIxEEEE10hipError_tPvRmT1_T2_T3_mT4_P12ihipStream_tbEUlT_E0_NS1_11comp_targetILNS1_3genE10ELNS1_11target_archE1200ELNS1_3gpuE4ELNS1_3repE0EEENS1_30default_config_static_selectorELNS0_4arch9wavefront6targetE1EEEvSF_
	.p2align	8
	.type	_ZN7rocprim17ROCPRIM_400000_NS6detail17trampoline_kernelINS0_14default_configENS1_22reduce_config_selectorIxEEZNS1_11reduce_implILb1ES3_PxS7_xN6thrust23THRUST_200600_302600_NS4plusIxEEEE10hipError_tPvRmT1_T2_T3_mT4_P12ihipStream_tbEUlT_E0_NS1_11comp_targetILNS1_3genE10ELNS1_11target_archE1200ELNS1_3gpuE4ELNS1_3repE0EEENS1_30default_config_static_selectorELNS0_4arch9wavefront6targetE1EEEvSF_,@function
_ZN7rocprim17ROCPRIM_400000_NS6detail17trampoline_kernelINS0_14default_configENS1_22reduce_config_selectorIxEEZNS1_11reduce_implILb1ES3_PxS7_xN6thrust23THRUST_200600_302600_NS4plusIxEEEE10hipError_tPvRmT1_T2_T3_mT4_P12ihipStream_tbEUlT_E0_NS1_11comp_targetILNS1_3genE10ELNS1_11target_archE1200ELNS1_3gpuE4ELNS1_3repE0EEENS1_30default_config_static_selectorELNS0_4arch9wavefront6targetE1EEEvSF_: ; @_ZN7rocprim17ROCPRIM_400000_NS6detail17trampoline_kernelINS0_14default_configENS1_22reduce_config_selectorIxEEZNS1_11reduce_implILb1ES3_PxS7_xN6thrust23THRUST_200600_302600_NS4plusIxEEEE10hipError_tPvRmT1_T2_T3_mT4_P12ihipStream_tbEUlT_E0_NS1_11comp_targetILNS1_3genE10ELNS1_11target_archE1200ELNS1_3gpuE4ELNS1_3repE0EEENS1_30default_config_static_selectorELNS0_4arch9wavefront6targetE1EEEvSF_
; %bb.0:
	.section	.rodata,"a",@progbits
	.p2align	6, 0x0
	.amdhsa_kernel _ZN7rocprim17ROCPRIM_400000_NS6detail17trampoline_kernelINS0_14default_configENS1_22reduce_config_selectorIxEEZNS1_11reduce_implILb1ES3_PxS7_xN6thrust23THRUST_200600_302600_NS4plusIxEEEE10hipError_tPvRmT1_T2_T3_mT4_P12ihipStream_tbEUlT_E0_NS1_11comp_targetILNS1_3genE10ELNS1_11target_archE1200ELNS1_3gpuE4ELNS1_3repE0EEENS1_30default_config_static_selectorELNS0_4arch9wavefront6targetE1EEEvSF_
		.amdhsa_group_segment_fixed_size 0
		.amdhsa_private_segment_fixed_size 0
		.amdhsa_kernarg_size 64
		.amdhsa_user_sgpr_count 2
		.amdhsa_user_sgpr_dispatch_ptr 0
		.amdhsa_user_sgpr_queue_ptr 0
		.amdhsa_user_sgpr_kernarg_segment_ptr 1
		.amdhsa_user_sgpr_dispatch_id 0
		.amdhsa_user_sgpr_kernarg_preload_length 0
		.amdhsa_user_sgpr_kernarg_preload_offset 0
		.amdhsa_user_sgpr_private_segment_size 0
		.amdhsa_uses_dynamic_stack 0
		.amdhsa_enable_private_segment 0
		.amdhsa_system_sgpr_workgroup_id_x 1
		.amdhsa_system_sgpr_workgroup_id_y 0
		.amdhsa_system_sgpr_workgroup_id_z 0
		.amdhsa_system_sgpr_workgroup_info 0
		.amdhsa_system_vgpr_workitem_id 0
		.amdhsa_next_free_vgpr 1
		.amdhsa_next_free_sgpr 0
		.amdhsa_accum_offset 4
		.amdhsa_reserve_vcc 0
		.amdhsa_float_round_mode_32 0
		.amdhsa_float_round_mode_16_64 0
		.amdhsa_float_denorm_mode_32 3
		.amdhsa_float_denorm_mode_16_64 3
		.amdhsa_dx10_clamp 1
		.amdhsa_ieee_mode 1
		.amdhsa_fp16_overflow 0
		.amdhsa_tg_split 0
		.amdhsa_exception_fp_ieee_invalid_op 0
		.amdhsa_exception_fp_denorm_src 0
		.amdhsa_exception_fp_ieee_div_zero 0
		.amdhsa_exception_fp_ieee_overflow 0
		.amdhsa_exception_fp_ieee_underflow 0
		.amdhsa_exception_fp_ieee_inexact 0
		.amdhsa_exception_int_div_zero 0
	.end_amdhsa_kernel
	.section	.text._ZN7rocprim17ROCPRIM_400000_NS6detail17trampoline_kernelINS0_14default_configENS1_22reduce_config_selectorIxEEZNS1_11reduce_implILb1ES3_PxS7_xN6thrust23THRUST_200600_302600_NS4plusIxEEEE10hipError_tPvRmT1_T2_T3_mT4_P12ihipStream_tbEUlT_E0_NS1_11comp_targetILNS1_3genE10ELNS1_11target_archE1200ELNS1_3gpuE4ELNS1_3repE0EEENS1_30default_config_static_selectorELNS0_4arch9wavefront6targetE1EEEvSF_,"axG",@progbits,_ZN7rocprim17ROCPRIM_400000_NS6detail17trampoline_kernelINS0_14default_configENS1_22reduce_config_selectorIxEEZNS1_11reduce_implILb1ES3_PxS7_xN6thrust23THRUST_200600_302600_NS4plusIxEEEE10hipError_tPvRmT1_T2_T3_mT4_P12ihipStream_tbEUlT_E0_NS1_11comp_targetILNS1_3genE10ELNS1_11target_archE1200ELNS1_3gpuE4ELNS1_3repE0EEENS1_30default_config_static_selectorELNS0_4arch9wavefront6targetE1EEEvSF_,comdat
.Lfunc_end193:
	.size	_ZN7rocprim17ROCPRIM_400000_NS6detail17trampoline_kernelINS0_14default_configENS1_22reduce_config_selectorIxEEZNS1_11reduce_implILb1ES3_PxS7_xN6thrust23THRUST_200600_302600_NS4plusIxEEEE10hipError_tPvRmT1_T2_T3_mT4_P12ihipStream_tbEUlT_E0_NS1_11comp_targetILNS1_3genE10ELNS1_11target_archE1200ELNS1_3gpuE4ELNS1_3repE0EEENS1_30default_config_static_selectorELNS0_4arch9wavefront6targetE1EEEvSF_, .Lfunc_end193-_ZN7rocprim17ROCPRIM_400000_NS6detail17trampoline_kernelINS0_14default_configENS1_22reduce_config_selectorIxEEZNS1_11reduce_implILb1ES3_PxS7_xN6thrust23THRUST_200600_302600_NS4plusIxEEEE10hipError_tPvRmT1_T2_T3_mT4_P12ihipStream_tbEUlT_E0_NS1_11comp_targetILNS1_3genE10ELNS1_11target_archE1200ELNS1_3gpuE4ELNS1_3repE0EEENS1_30default_config_static_selectorELNS0_4arch9wavefront6targetE1EEEvSF_
                                        ; -- End function
	.set _ZN7rocprim17ROCPRIM_400000_NS6detail17trampoline_kernelINS0_14default_configENS1_22reduce_config_selectorIxEEZNS1_11reduce_implILb1ES3_PxS7_xN6thrust23THRUST_200600_302600_NS4plusIxEEEE10hipError_tPvRmT1_T2_T3_mT4_P12ihipStream_tbEUlT_E0_NS1_11comp_targetILNS1_3genE10ELNS1_11target_archE1200ELNS1_3gpuE4ELNS1_3repE0EEENS1_30default_config_static_selectorELNS0_4arch9wavefront6targetE1EEEvSF_.num_vgpr, 0
	.set _ZN7rocprim17ROCPRIM_400000_NS6detail17trampoline_kernelINS0_14default_configENS1_22reduce_config_selectorIxEEZNS1_11reduce_implILb1ES3_PxS7_xN6thrust23THRUST_200600_302600_NS4plusIxEEEE10hipError_tPvRmT1_T2_T3_mT4_P12ihipStream_tbEUlT_E0_NS1_11comp_targetILNS1_3genE10ELNS1_11target_archE1200ELNS1_3gpuE4ELNS1_3repE0EEENS1_30default_config_static_selectorELNS0_4arch9wavefront6targetE1EEEvSF_.num_agpr, 0
	.set _ZN7rocprim17ROCPRIM_400000_NS6detail17trampoline_kernelINS0_14default_configENS1_22reduce_config_selectorIxEEZNS1_11reduce_implILb1ES3_PxS7_xN6thrust23THRUST_200600_302600_NS4plusIxEEEE10hipError_tPvRmT1_T2_T3_mT4_P12ihipStream_tbEUlT_E0_NS1_11comp_targetILNS1_3genE10ELNS1_11target_archE1200ELNS1_3gpuE4ELNS1_3repE0EEENS1_30default_config_static_selectorELNS0_4arch9wavefront6targetE1EEEvSF_.numbered_sgpr, 0
	.set _ZN7rocprim17ROCPRIM_400000_NS6detail17trampoline_kernelINS0_14default_configENS1_22reduce_config_selectorIxEEZNS1_11reduce_implILb1ES3_PxS7_xN6thrust23THRUST_200600_302600_NS4plusIxEEEE10hipError_tPvRmT1_T2_T3_mT4_P12ihipStream_tbEUlT_E0_NS1_11comp_targetILNS1_3genE10ELNS1_11target_archE1200ELNS1_3gpuE4ELNS1_3repE0EEENS1_30default_config_static_selectorELNS0_4arch9wavefront6targetE1EEEvSF_.num_named_barrier, 0
	.set _ZN7rocprim17ROCPRIM_400000_NS6detail17trampoline_kernelINS0_14default_configENS1_22reduce_config_selectorIxEEZNS1_11reduce_implILb1ES3_PxS7_xN6thrust23THRUST_200600_302600_NS4plusIxEEEE10hipError_tPvRmT1_T2_T3_mT4_P12ihipStream_tbEUlT_E0_NS1_11comp_targetILNS1_3genE10ELNS1_11target_archE1200ELNS1_3gpuE4ELNS1_3repE0EEENS1_30default_config_static_selectorELNS0_4arch9wavefront6targetE1EEEvSF_.private_seg_size, 0
	.set _ZN7rocprim17ROCPRIM_400000_NS6detail17trampoline_kernelINS0_14default_configENS1_22reduce_config_selectorIxEEZNS1_11reduce_implILb1ES3_PxS7_xN6thrust23THRUST_200600_302600_NS4plusIxEEEE10hipError_tPvRmT1_T2_T3_mT4_P12ihipStream_tbEUlT_E0_NS1_11comp_targetILNS1_3genE10ELNS1_11target_archE1200ELNS1_3gpuE4ELNS1_3repE0EEENS1_30default_config_static_selectorELNS0_4arch9wavefront6targetE1EEEvSF_.uses_vcc, 0
	.set _ZN7rocprim17ROCPRIM_400000_NS6detail17trampoline_kernelINS0_14default_configENS1_22reduce_config_selectorIxEEZNS1_11reduce_implILb1ES3_PxS7_xN6thrust23THRUST_200600_302600_NS4plusIxEEEE10hipError_tPvRmT1_T2_T3_mT4_P12ihipStream_tbEUlT_E0_NS1_11comp_targetILNS1_3genE10ELNS1_11target_archE1200ELNS1_3gpuE4ELNS1_3repE0EEENS1_30default_config_static_selectorELNS0_4arch9wavefront6targetE1EEEvSF_.uses_flat_scratch, 0
	.set _ZN7rocprim17ROCPRIM_400000_NS6detail17trampoline_kernelINS0_14default_configENS1_22reduce_config_selectorIxEEZNS1_11reduce_implILb1ES3_PxS7_xN6thrust23THRUST_200600_302600_NS4plusIxEEEE10hipError_tPvRmT1_T2_T3_mT4_P12ihipStream_tbEUlT_E0_NS1_11comp_targetILNS1_3genE10ELNS1_11target_archE1200ELNS1_3gpuE4ELNS1_3repE0EEENS1_30default_config_static_selectorELNS0_4arch9wavefront6targetE1EEEvSF_.has_dyn_sized_stack, 0
	.set _ZN7rocprim17ROCPRIM_400000_NS6detail17trampoline_kernelINS0_14default_configENS1_22reduce_config_selectorIxEEZNS1_11reduce_implILb1ES3_PxS7_xN6thrust23THRUST_200600_302600_NS4plusIxEEEE10hipError_tPvRmT1_T2_T3_mT4_P12ihipStream_tbEUlT_E0_NS1_11comp_targetILNS1_3genE10ELNS1_11target_archE1200ELNS1_3gpuE4ELNS1_3repE0EEENS1_30default_config_static_selectorELNS0_4arch9wavefront6targetE1EEEvSF_.has_recursion, 0
	.set _ZN7rocprim17ROCPRIM_400000_NS6detail17trampoline_kernelINS0_14default_configENS1_22reduce_config_selectorIxEEZNS1_11reduce_implILb1ES3_PxS7_xN6thrust23THRUST_200600_302600_NS4plusIxEEEE10hipError_tPvRmT1_T2_T3_mT4_P12ihipStream_tbEUlT_E0_NS1_11comp_targetILNS1_3genE10ELNS1_11target_archE1200ELNS1_3gpuE4ELNS1_3repE0EEENS1_30default_config_static_selectorELNS0_4arch9wavefront6targetE1EEEvSF_.has_indirect_call, 0
	.section	.AMDGPU.csdata,"",@progbits
; Kernel info:
; codeLenInByte = 0
; TotalNumSgprs: 6
; NumVgprs: 0
; NumAgprs: 0
; TotalNumVgprs: 0
; ScratchSize: 0
; MemoryBound: 0
; FloatMode: 240
; IeeeMode: 1
; LDSByteSize: 0 bytes/workgroup (compile time only)
; SGPRBlocks: 0
; VGPRBlocks: 0
; NumSGPRsForWavesPerEU: 6
; NumVGPRsForWavesPerEU: 1
; AccumOffset: 4
; Occupancy: 8
; WaveLimiterHint : 0
; COMPUTE_PGM_RSRC2:SCRATCH_EN: 0
; COMPUTE_PGM_RSRC2:USER_SGPR: 2
; COMPUTE_PGM_RSRC2:TRAP_HANDLER: 0
; COMPUTE_PGM_RSRC2:TGID_X_EN: 1
; COMPUTE_PGM_RSRC2:TGID_Y_EN: 0
; COMPUTE_PGM_RSRC2:TGID_Z_EN: 0
; COMPUTE_PGM_RSRC2:TIDIG_COMP_CNT: 0
; COMPUTE_PGM_RSRC3_GFX90A:ACCUM_OFFSET: 0
; COMPUTE_PGM_RSRC3_GFX90A:TG_SPLIT: 0
	.section	.text._ZN7rocprim17ROCPRIM_400000_NS6detail17trampoline_kernelINS0_14default_configENS1_22reduce_config_selectorIxEEZNS1_11reduce_implILb1ES3_PxS7_xN6thrust23THRUST_200600_302600_NS4plusIxEEEE10hipError_tPvRmT1_T2_T3_mT4_P12ihipStream_tbEUlT_E0_NS1_11comp_targetILNS1_3genE9ELNS1_11target_archE1100ELNS1_3gpuE3ELNS1_3repE0EEENS1_30default_config_static_selectorELNS0_4arch9wavefront6targetE1EEEvSF_,"axG",@progbits,_ZN7rocprim17ROCPRIM_400000_NS6detail17trampoline_kernelINS0_14default_configENS1_22reduce_config_selectorIxEEZNS1_11reduce_implILb1ES3_PxS7_xN6thrust23THRUST_200600_302600_NS4plusIxEEEE10hipError_tPvRmT1_T2_T3_mT4_P12ihipStream_tbEUlT_E0_NS1_11comp_targetILNS1_3genE9ELNS1_11target_archE1100ELNS1_3gpuE3ELNS1_3repE0EEENS1_30default_config_static_selectorELNS0_4arch9wavefront6targetE1EEEvSF_,comdat
	.protected	_ZN7rocprim17ROCPRIM_400000_NS6detail17trampoline_kernelINS0_14default_configENS1_22reduce_config_selectorIxEEZNS1_11reduce_implILb1ES3_PxS7_xN6thrust23THRUST_200600_302600_NS4plusIxEEEE10hipError_tPvRmT1_T2_T3_mT4_P12ihipStream_tbEUlT_E0_NS1_11comp_targetILNS1_3genE9ELNS1_11target_archE1100ELNS1_3gpuE3ELNS1_3repE0EEENS1_30default_config_static_selectorELNS0_4arch9wavefront6targetE1EEEvSF_ ; -- Begin function _ZN7rocprim17ROCPRIM_400000_NS6detail17trampoline_kernelINS0_14default_configENS1_22reduce_config_selectorIxEEZNS1_11reduce_implILb1ES3_PxS7_xN6thrust23THRUST_200600_302600_NS4plusIxEEEE10hipError_tPvRmT1_T2_T3_mT4_P12ihipStream_tbEUlT_E0_NS1_11comp_targetILNS1_3genE9ELNS1_11target_archE1100ELNS1_3gpuE3ELNS1_3repE0EEENS1_30default_config_static_selectorELNS0_4arch9wavefront6targetE1EEEvSF_
	.globl	_ZN7rocprim17ROCPRIM_400000_NS6detail17trampoline_kernelINS0_14default_configENS1_22reduce_config_selectorIxEEZNS1_11reduce_implILb1ES3_PxS7_xN6thrust23THRUST_200600_302600_NS4plusIxEEEE10hipError_tPvRmT1_T2_T3_mT4_P12ihipStream_tbEUlT_E0_NS1_11comp_targetILNS1_3genE9ELNS1_11target_archE1100ELNS1_3gpuE3ELNS1_3repE0EEENS1_30default_config_static_selectorELNS0_4arch9wavefront6targetE1EEEvSF_
	.p2align	8
	.type	_ZN7rocprim17ROCPRIM_400000_NS6detail17trampoline_kernelINS0_14default_configENS1_22reduce_config_selectorIxEEZNS1_11reduce_implILb1ES3_PxS7_xN6thrust23THRUST_200600_302600_NS4plusIxEEEE10hipError_tPvRmT1_T2_T3_mT4_P12ihipStream_tbEUlT_E0_NS1_11comp_targetILNS1_3genE9ELNS1_11target_archE1100ELNS1_3gpuE3ELNS1_3repE0EEENS1_30default_config_static_selectorELNS0_4arch9wavefront6targetE1EEEvSF_,@function
_ZN7rocprim17ROCPRIM_400000_NS6detail17trampoline_kernelINS0_14default_configENS1_22reduce_config_selectorIxEEZNS1_11reduce_implILb1ES3_PxS7_xN6thrust23THRUST_200600_302600_NS4plusIxEEEE10hipError_tPvRmT1_T2_T3_mT4_P12ihipStream_tbEUlT_E0_NS1_11comp_targetILNS1_3genE9ELNS1_11target_archE1100ELNS1_3gpuE3ELNS1_3repE0EEENS1_30default_config_static_selectorELNS0_4arch9wavefront6targetE1EEEvSF_: ; @_ZN7rocprim17ROCPRIM_400000_NS6detail17trampoline_kernelINS0_14default_configENS1_22reduce_config_selectorIxEEZNS1_11reduce_implILb1ES3_PxS7_xN6thrust23THRUST_200600_302600_NS4plusIxEEEE10hipError_tPvRmT1_T2_T3_mT4_P12ihipStream_tbEUlT_E0_NS1_11comp_targetILNS1_3genE9ELNS1_11target_archE1100ELNS1_3gpuE3ELNS1_3repE0EEENS1_30default_config_static_selectorELNS0_4arch9wavefront6targetE1EEEvSF_
; %bb.0:
	.section	.rodata,"a",@progbits
	.p2align	6, 0x0
	.amdhsa_kernel _ZN7rocprim17ROCPRIM_400000_NS6detail17trampoline_kernelINS0_14default_configENS1_22reduce_config_selectorIxEEZNS1_11reduce_implILb1ES3_PxS7_xN6thrust23THRUST_200600_302600_NS4plusIxEEEE10hipError_tPvRmT1_T2_T3_mT4_P12ihipStream_tbEUlT_E0_NS1_11comp_targetILNS1_3genE9ELNS1_11target_archE1100ELNS1_3gpuE3ELNS1_3repE0EEENS1_30default_config_static_selectorELNS0_4arch9wavefront6targetE1EEEvSF_
		.amdhsa_group_segment_fixed_size 0
		.amdhsa_private_segment_fixed_size 0
		.amdhsa_kernarg_size 64
		.amdhsa_user_sgpr_count 2
		.amdhsa_user_sgpr_dispatch_ptr 0
		.amdhsa_user_sgpr_queue_ptr 0
		.amdhsa_user_sgpr_kernarg_segment_ptr 1
		.amdhsa_user_sgpr_dispatch_id 0
		.amdhsa_user_sgpr_kernarg_preload_length 0
		.amdhsa_user_sgpr_kernarg_preload_offset 0
		.amdhsa_user_sgpr_private_segment_size 0
		.amdhsa_uses_dynamic_stack 0
		.amdhsa_enable_private_segment 0
		.amdhsa_system_sgpr_workgroup_id_x 1
		.amdhsa_system_sgpr_workgroup_id_y 0
		.amdhsa_system_sgpr_workgroup_id_z 0
		.amdhsa_system_sgpr_workgroup_info 0
		.amdhsa_system_vgpr_workitem_id 0
		.amdhsa_next_free_vgpr 1
		.amdhsa_next_free_sgpr 0
		.amdhsa_accum_offset 4
		.amdhsa_reserve_vcc 0
		.amdhsa_float_round_mode_32 0
		.amdhsa_float_round_mode_16_64 0
		.amdhsa_float_denorm_mode_32 3
		.amdhsa_float_denorm_mode_16_64 3
		.amdhsa_dx10_clamp 1
		.amdhsa_ieee_mode 1
		.amdhsa_fp16_overflow 0
		.amdhsa_tg_split 0
		.amdhsa_exception_fp_ieee_invalid_op 0
		.amdhsa_exception_fp_denorm_src 0
		.amdhsa_exception_fp_ieee_div_zero 0
		.amdhsa_exception_fp_ieee_overflow 0
		.amdhsa_exception_fp_ieee_underflow 0
		.amdhsa_exception_fp_ieee_inexact 0
		.amdhsa_exception_int_div_zero 0
	.end_amdhsa_kernel
	.section	.text._ZN7rocprim17ROCPRIM_400000_NS6detail17trampoline_kernelINS0_14default_configENS1_22reduce_config_selectorIxEEZNS1_11reduce_implILb1ES3_PxS7_xN6thrust23THRUST_200600_302600_NS4plusIxEEEE10hipError_tPvRmT1_T2_T3_mT4_P12ihipStream_tbEUlT_E0_NS1_11comp_targetILNS1_3genE9ELNS1_11target_archE1100ELNS1_3gpuE3ELNS1_3repE0EEENS1_30default_config_static_selectorELNS0_4arch9wavefront6targetE1EEEvSF_,"axG",@progbits,_ZN7rocprim17ROCPRIM_400000_NS6detail17trampoline_kernelINS0_14default_configENS1_22reduce_config_selectorIxEEZNS1_11reduce_implILb1ES3_PxS7_xN6thrust23THRUST_200600_302600_NS4plusIxEEEE10hipError_tPvRmT1_T2_T3_mT4_P12ihipStream_tbEUlT_E0_NS1_11comp_targetILNS1_3genE9ELNS1_11target_archE1100ELNS1_3gpuE3ELNS1_3repE0EEENS1_30default_config_static_selectorELNS0_4arch9wavefront6targetE1EEEvSF_,comdat
.Lfunc_end194:
	.size	_ZN7rocprim17ROCPRIM_400000_NS6detail17trampoline_kernelINS0_14default_configENS1_22reduce_config_selectorIxEEZNS1_11reduce_implILb1ES3_PxS7_xN6thrust23THRUST_200600_302600_NS4plusIxEEEE10hipError_tPvRmT1_T2_T3_mT4_P12ihipStream_tbEUlT_E0_NS1_11comp_targetILNS1_3genE9ELNS1_11target_archE1100ELNS1_3gpuE3ELNS1_3repE0EEENS1_30default_config_static_selectorELNS0_4arch9wavefront6targetE1EEEvSF_, .Lfunc_end194-_ZN7rocprim17ROCPRIM_400000_NS6detail17trampoline_kernelINS0_14default_configENS1_22reduce_config_selectorIxEEZNS1_11reduce_implILb1ES3_PxS7_xN6thrust23THRUST_200600_302600_NS4plusIxEEEE10hipError_tPvRmT1_T2_T3_mT4_P12ihipStream_tbEUlT_E0_NS1_11comp_targetILNS1_3genE9ELNS1_11target_archE1100ELNS1_3gpuE3ELNS1_3repE0EEENS1_30default_config_static_selectorELNS0_4arch9wavefront6targetE1EEEvSF_
                                        ; -- End function
	.set _ZN7rocprim17ROCPRIM_400000_NS6detail17trampoline_kernelINS0_14default_configENS1_22reduce_config_selectorIxEEZNS1_11reduce_implILb1ES3_PxS7_xN6thrust23THRUST_200600_302600_NS4plusIxEEEE10hipError_tPvRmT1_T2_T3_mT4_P12ihipStream_tbEUlT_E0_NS1_11comp_targetILNS1_3genE9ELNS1_11target_archE1100ELNS1_3gpuE3ELNS1_3repE0EEENS1_30default_config_static_selectorELNS0_4arch9wavefront6targetE1EEEvSF_.num_vgpr, 0
	.set _ZN7rocprim17ROCPRIM_400000_NS6detail17trampoline_kernelINS0_14default_configENS1_22reduce_config_selectorIxEEZNS1_11reduce_implILb1ES3_PxS7_xN6thrust23THRUST_200600_302600_NS4plusIxEEEE10hipError_tPvRmT1_T2_T3_mT4_P12ihipStream_tbEUlT_E0_NS1_11comp_targetILNS1_3genE9ELNS1_11target_archE1100ELNS1_3gpuE3ELNS1_3repE0EEENS1_30default_config_static_selectorELNS0_4arch9wavefront6targetE1EEEvSF_.num_agpr, 0
	.set _ZN7rocprim17ROCPRIM_400000_NS6detail17trampoline_kernelINS0_14default_configENS1_22reduce_config_selectorIxEEZNS1_11reduce_implILb1ES3_PxS7_xN6thrust23THRUST_200600_302600_NS4plusIxEEEE10hipError_tPvRmT1_T2_T3_mT4_P12ihipStream_tbEUlT_E0_NS1_11comp_targetILNS1_3genE9ELNS1_11target_archE1100ELNS1_3gpuE3ELNS1_3repE0EEENS1_30default_config_static_selectorELNS0_4arch9wavefront6targetE1EEEvSF_.numbered_sgpr, 0
	.set _ZN7rocprim17ROCPRIM_400000_NS6detail17trampoline_kernelINS0_14default_configENS1_22reduce_config_selectorIxEEZNS1_11reduce_implILb1ES3_PxS7_xN6thrust23THRUST_200600_302600_NS4plusIxEEEE10hipError_tPvRmT1_T2_T3_mT4_P12ihipStream_tbEUlT_E0_NS1_11comp_targetILNS1_3genE9ELNS1_11target_archE1100ELNS1_3gpuE3ELNS1_3repE0EEENS1_30default_config_static_selectorELNS0_4arch9wavefront6targetE1EEEvSF_.num_named_barrier, 0
	.set _ZN7rocprim17ROCPRIM_400000_NS6detail17trampoline_kernelINS0_14default_configENS1_22reduce_config_selectorIxEEZNS1_11reduce_implILb1ES3_PxS7_xN6thrust23THRUST_200600_302600_NS4plusIxEEEE10hipError_tPvRmT1_T2_T3_mT4_P12ihipStream_tbEUlT_E0_NS1_11comp_targetILNS1_3genE9ELNS1_11target_archE1100ELNS1_3gpuE3ELNS1_3repE0EEENS1_30default_config_static_selectorELNS0_4arch9wavefront6targetE1EEEvSF_.private_seg_size, 0
	.set _ZN7rocprim17ROCPRIM_400000_NS6detail17trampoline_kernelINS0_14default_configENS1_22reduce_config_selectorIxEEZNS1_11reduce_implILb1ES3_PxS7_xN6thrust23THRUST_200600_302600_NS4plusIxEEEE10hipError_tPvRmT1_T2_T3_mT4_P12ihipStream_tbEUlT_E0_NS1_11comp_targetILNS1_3genE9ELNS1_11target_archE1100ELNS1_3gpuE3ELNS1_3repE0EEENS1_30default_config_static_selectorELNS0_4arch9wavefront6targetE1EEEvSF_.uses_vcc, 0
	.set _ZN7rocprim17ROCPRIM_400000_NS6detail17trampoline_kernelINS0_14default_configENS1_22reduce_config_selectorIxEEZNS1_11reduce_implILb1ES3_PxS7_xN6thrust23THRUST_200600_302600_NS4plusIxEEEE10hipError_tPvRmT1_T2_T3_mT4_P12ihipStream_tbEUlT_E0_NS1_11comp_targetILNS1_3genE9ELNS1_11target_archE1100ELNS1_3gpuE3ELNS1_3repE0EEENS1_30default_config_static_selectorELNS0_4arch9wavefront6targetE1EEEvSF_.uses_flat_scratch, 0
	.set _ZN7rocprim17ROCPRIM_400000_NS6detail17trampoline_kernelINS0_14default_configENS1_22reduce_config_selectorIxEEZNS1_11reduce_implILb1ES3_PxS7_xN6thrust23THRUST_200600_302600_NS4plusIxEEEE10hipError_tPvRmT1_T2_T3_mT4_P12ihipStream_tbEUlT_E0_NS1_11comp_targetILNS1_3genE9ELNS1_11target_archE1100ELNS1_3gpuE3ELNS1_3repE0EEENS1_30default_config_static_selectorELNS0_4arch9wavefront6targetE1EEEvSF_.has_dyn_sized_stack, 0
	.set _ZN7rocprim17ROCPRIM_400000_NS6detail17trampoline_kernelINS0_14default_configENS1_22reduce_config_selectorIxEEZNS1_11reduce_implILb1ES3_PxS7_xN6thrust23THRUST_200600_302600_NS4plusIxEEEE10hipError_tPvRmT1_T2_T3_mT4_P12ihipStream_tbEUlT_E0_NS1_11comp_targetILNS1_3genE9ELNS1_11target_archE1100ELNS1_3gpuE3ELNS1_3repE0EEENS1_30default_config_static_selectorELNS0_4arch9wavefront6targetE1EEEvSF_.has_recursion, 0
	.set _ZN7rocprim17ROCPRIM_400000_NS6detail17trampoline_kernelINS0_14default_configENS1_22reduce_config_selectorIxEEZNS1_11reduce_implILb1ES3_PxS7_xN6thrust23THRUST_200600_302600_NS4plusIxEEEE10hipError_tPvRmT1_T2_T3_mT4_P12ihipStream_tbEUlT_E0_NS1_11comp_targetILNS1_3genE9ELNS1_11target_archE1100ELNS1_3gpuE3ELNS1_3repE0EEENS1_30default_config_static_selectorELNS0_4arch9wavefront6targetE1EEEvSF_.has_indirect_call, 0
	.section	.AMDGPU.csdata,"",@progbits
; Kernel info:
; codeLenInByte = 0
; TotalNumSgprs: 6
; NumVgprs: 0
; NumAgprs: 0
; TotalNumVgprs: 0
; ScratchSize: 0
; MemoryBound: 0
; FloatMode: 240
; IeeeMode: 1
; LDSByteSize: 0 bytes/workgroup (compile time only)
; SGPRBlocks: 0
; VGPRBlocks: 0
; NumSGPRsForWavesPerEU: 6
; NumVGPRsForWavesPerEU: 1
; AccumOffset: 4
; Occupancy: 8
; WaveLimiterHint : 0
; COMPUTE_PGM_RSRC2:SCRATCH_EN: 0
; COMPUTE_PGM_RSRC2:USER_SGPR: 2
; COMPUTE_PGM_RSRC2:TRAP_HANDLER: 0
; COMPUTE_PGM_RSRC2:TGID_X_EN: 1
; COMPUTE_PGM_RSRC2:TGID_Y_EN: 0
; COMPUTE_PGM_RSRC2:TGID_Z_EN: 0
; COMPUTE_PGM_RSRC2:TIDIG_COMP_CNT: 0
; COMPUTE_PGM_RSRC3_GFX90A:ACCUM_OFFSET: 0
; COMPUTE_PGM_RSRC3_GFX90A:TG_SPLIT: 0
	.section	.text._ZN7rocprim17ROCPRIM_400000_NS6detail17trampoline_kernelINS0_14default_configENS1_22reduce_config_selectorIxEEZNS1_11reduce_implILb1ES3_PxS7_xN6thrust23THRUST_200600_302600_NS4plusIxEEEE10hipError_tPvRmT1_T2_T3_mT4_P12ihipStream_tbEUlT_E0_NS1_11comp_targetILNS1_3genE8ELNS1_11target_archE1030ELNS1_3gpuE2ELNS1_3repE0EEENS1_30default_config_static_selectorELNS0_4arch9wavefront6targetE1EEEvSF_,"axG",@progbits,_ZN7rocprim17ROCPRIM_400000_NS6detail17trampoline_kernelINS0_14default_configENS1_22reduce_config_selectorIxEEZNS1_11reduce_implILb1ES3_PxS7_xN6thrust23THRUST_200600_302600_NS4plusIxEEEE10hipError_tPvRmT1_T2_T3_mT4_P12ihipStream_tbEUlT_E0_NS1_11comp_targetILNS1_3genE8ELNS1_11target_archE1030ELNS1_3gpuE2ELNS1_3repE0EEENS1_30default_config_static_selectorELNS0_4arch9wavefront6targetE1EEEvSF_,comdat
	.protected	_ZN7rocprim17ROCPRIM_400000_NS6detail17trampoline_kernelINS0_14default_configENS1_22reduce_config_selectorIxEEZNS1_11reduce_implILb1ES3_PxS7_xN6thrust23THRUST_200600_302600_NS4plusIxEEEE10hipError_tPvRmT1_T2_T3_mT4_P12ihipStream_tbEUlT_E0_NS1_11comp_targetILNS1_3genE8ELNS1_11target_archE1030ELNS1_3gpuE2ELNS1_3repE0EEENS1_30default_config_static_selectorELNS0_4arch9wavefront6targetE1EEEvSF_ ; -- Begin function _ZN7rocprim17ROCPRIM_400000_NS6detail17trampoline_kernelINS0_14default_configENS1_22reduce_config_selectorIxEEZNS1_11reduce_implILb1ES3_PxS7_xN6thrust23THRUST_200600_302600_NS4plusIxEEEE10hipError_tPvRmT1_T2_T3_mT4_P12ihipStream_tbEUlT_E0_NS1_11comp_targetILNS1_3genE8ELNS1_11target_archE1030ELNS1_3gpuE2ELNS1_3repE0EEENS1_30default_config_static_selectorELNS0_4arch9wavefront6targetE1EEEvSF_
	.globl	_ZN7rocprim17ROCPRIM_400000_NS6detail17trampoline_kernelINS0_14default_configENS1_22reduce_config_selectorIxEEZNS1_11reduce_implILb1ES3_PxS7_xN6thrust23THRUST_200600_302600_NS4plusIxEEEE10hipError_tPvRmT1_T2_T3_mT4_P12ihipStream_tbEUlT_E0_NS1_11comp_targetILNS1_3genE8ELNS1_11target_archE1030ELNS1_3gpuE2ELNS1_3repE0EEENS1_30default_config_static_selectorELNS0_4arch9wavefront6targetE1EEEvSF_
	.p2align	8
	.type	_ZN7rocprim17ROCPRIM_400000_NS6detail17trampoline_kernelINS0_14default_configENS1_22reduce_config_selectorIxEEZNS1_11reduce_implILb1ES3_PxS7_xN6thrust23THRUST_200600_302600_NS4plusIxEEEE10hipError_tPvRmT1_T2_T3_mT4_P12ihipStream_tbEUlT_E0_NS1_11comp_targetILNS1_3genE8ELNS1_11target_archE1030ELNS1_3gpuE2ELNS1_3repE0EEENS1_30default_config_static_selectorELNS0_4arch9wavefront6targetE1EEEvSF_,@function
_ZN7rocprim17ROCPRIM_400000_NS6detail17trampoline_kernelINS0_14default_configENS1_22reduce_config_selectorIxEEZNS1_11reduce_implILb1ES3_PxS7_xN6thrust23THRUST_200600_302600_NS4plusIxEEEE10hipError_tPvRmT1_T2_T3_mT4_P12ihipStream_tbEUlT_E0_NS1_11comp_targetILNS1_3genE8ELNS1_11target_archE1030ELNS1_3gpuE2ELNS1_3repE0EEENS1_30default_config_static_selectorELNS0_4arch9wavefront6targetE1EEEvSF_: ; @_ZN7rocprim17ROCPRIM_400000_NS6detail17trampoline_kernelINS0_14default_configENS1_22reduce_config_selectorIxEEZNS1_11reduce_implILb1ES3_PxS7_xN6thrust23THRUST_200600_302600_NS4plusIxEEEE10hipError_tPvRmT1_T2_T3_mT4_P12ihipStream_tbEUlT_E0_NS1_11comp_targetILNS1_3genE8ELNS1_11target_archE1030ELNS1_3gpuE2ELNS1_3repE0EEENS1_30default_config_static_selectorELNS0_4arch9wavefront6targetE1EEEvSF_
; %bb.0:
	.section	.rodata,"a",@progbits
	.p2align	6, 0x0
	.amdhsa_kernel _ZN7rocprim17ROCPRIM_400000_NS6detail17trampoline_kernelINS0_14default_configENS1_22reduce_config_selectorIxEEZNS1_11reduce_implILb1ES3_PxS7_xN6thrust23THRUST_200600_302600_NS4plusIxEEEE10hipError_tPvRmT1_T2_T3_mT4_P12ihipStream_tbEUlT_E0_NS1_11comp_targetILNS1_3genE8ELNS1_11target_archE1030ELNS1_3gpuE2ELNS1_3repE0EEENS1_30default_config_static_selectorELNS0_4arch9wavefront6targetE1EEEvSF_
		.amdhsa_group_segment_fixed_size 0
		.amdhsa_private_segment_fixed_size 0
		.amdhsa_kernarg_size 64
		.amdhsa_user_sgpr_count 2
		.amdhsa_user_sgpr_dispatch_ptr 0
		.amdhsa_user_sgpr_queue_ptr 0
		.amdhsa_user_sgpr_kernarg_segment_ptr 1
		.amdhsa_user_sgpr_dispatch_id 0
		.amdhsa_user_sgpr_kernarg_preload_length 0
		.amdhsa_user_sgpr_kernarg_preload_offset 0
		.amdhsa_user_sgpr_private_segment_size 0
		.amdhsa_uses_dynamic_stack 0
		.amdhsa_enable_private_segment 0
		.amdhsa_system_sgpr_workgroup_id_x 1
		.amdhsa_system_sgpr_workgroup_id_y 0
		.amdhsa_system_sgpr_workgroup_id_z 0
		.amdhsa_system_sgpr_workgroup_info 0
		.amdhsa_system_vgpr_workitem_id 0
		.amdhsa_next_free_vgpr 1
		.amdhsa_next_free_sgpr 0
		.amdhsa_accum_offset 4
		.amdhsa_reserve_vcc 0
		.amdhsa_float_round_mode_32 0
		.amdhsa_float_round_mode_16_64 0
		.amdhsa_float_denorm_mode_32 3
		.amdhsa_float_denorm_mode_16_64 3
		.amdhsa_dx10_clamp 1
		.amdhsa_ieee_mode 1
		.amdhsa_fp16_overflow 0
		.amdhsa_tg_split 0
		.amdhsa_exception_fp_ieee_invalid_op 0
		.amdhsa_exception_fp_denorm_src 0
		.amdhsa_exception_fp_ieee_div_zero 0
		.amdhsa_exception_fp_ieee_overflow 0
		.amdhsa_exception_fp_ieee_underflow 0
		.amdhsa_exception_fp_ieee_inexact 0
		.amdhsa_exception_int_div_zero 0
	.end_amdhsa_kernel
	.section	.text._ZN7rocprim17ROCPRIM_400000_NS6detail17trampoline_kernelINS0_14default_configENS1_22reduce_config_selectorIxEEZNS1_11reduce_implILb1ES3_PxS7_xN6thrust23THRUST_200600_302600_NS4plusIxEEEE10hipError_tPvRmT1_T2_T3_mT4_P12ihipStream_tbEUlT_E0_NS1_11comp_targetILNS1_3genE8ELNS1_11target_archE1030ELNS1_3gpuE2ELNS1_3repE0EEENS1_30default_config_static_selectorELNS0_4arch9wavefront6targetE1EEEvSF_,"axG",@progbits,_ZN7rocprim17ROCPRIM_400000_NS6detail17trampoline_kernelINS0_14default_configENS1_22reduce_config_selectorIxEEZNS1_11reduce_implILb1ES3_PxS7_xN6thrust23THRUST_200600_302600_NS4plusIxEEEE10hipError_tPvRmT1_T2_T3_mT4_P12ihipStream_tbEUlT_E0_NS1_11comp_targetILNS1_3genE8ELNS1_11target_archE1030ELNS1_3gpuE2ELNS1_3repE0EEENS1_30default_config_static_selectorELNS0_4arch9wavefront6targetE1EEEvSF_,comdat
.Lfunc_end195:
	.size	_ZN7rocprim17ROCPRIM_400000_NS6detail17trampoline_kernelINS0_14default_configENS1_22reduce_config_selectorIxEEZNS1_11reduce_implILb1ES3_PxS7_xN6thrust23THRUST_200600_302600_NS4plusIxEEEE10hipError_tPvRmT1_T2_T3_mT4_P12ihipStream_tbEUlT_E0_NS1_11comp_targetILNS1_3genE8ELNS1_11target_archE1030ELNS1_3gpuE2ELNS1_3repE0EEENS1_30default_config_static_selectorELNS0_4arch9wavefront6targetE1EEEvSF_, .Lfunc_end195-_ZN7rocprim17ROCPRIM_400000_NS6detail17trampoline_kernelINS0_14default_configENS1_22reduce_config_selectorIxEEZNS1_11reduce_implILb1ES3_PxS7_xN6thrust23THRUST_200600_302600_NS4plusIxEEEE10hipError_tPvRmT1_T2_T3_mT4_P12ihipStream_tbEUlT_E0_NS1_11comp_targetILNS1_3genE8ELNS1_11target_archE1030ELNS1_3gpuE2ELNS1_3repE0EEENS1_30default_config_static_selectorELNS0_4arch9wavefront6targetE1EEEvSF_
                                        ; -- End function
	.set _ZN7rocprim17ROCPRIM_400000_NS6detail17trampoline_kernelINS0_14default_configENS1_22reduce_config_selectorIxEEZNS1_11reduce_implILb1ES3_PxS7_xN6thrust23THRUST_200600_302600_NS4plusIxEEEE10hipError_tPvRmT1_T2_T3_mT4_P12ihipStream_tbEUlT_E0_NS1_11comp_targetILNS1_3genE8ELNS1_11target_archE1030ELNS1_3gpuE2ELNS1_3repE0EEENS1_30default_config_static_selectorELNS0_4arch9wavefront6targetE1EEEvSF_.num_vgpr, 0
	.set _ZN7rocprim17ROCPRIM_400000_NS6detail17trampoline_kernelINS0_14default_configENS1_22reduce_config_selectorIxEEZNS1_11reduce_implILb1ES3_PxS7_xN6thrust23THRUST_200600_302600_NS4plusIxEEEE10hipError_tPvRmT1_T2_T3_mT4_P12ihipStream_tbEUlT_E0_NS1_11comp_targetILNS1_3genE8ELNS1_11target_archE1030ELNS1_3gpuE2ELNS1_3repE0EEENS1_30default_config_static_selectorELNS0_4arch9wavefront6targetE1EEEvSF_.num_agpr, 0
	.set _ZN7rocprim17ROCPRIM_400000_NS6detail17trampoline_kernelINS0_14default_configENS1_22reduce_config_selectorIxEEZNS1_11reduce_implILb1ES3_PxS7_xN6thrust23THRUST_200600_302600_NS4plusIxEEEE10hipError_tPvRmT1_T2_T3_mT4_P12ihipStream_tbEUlT_E0_NS1_11comp_targetILNS1_3genE8ELNS1_11target_archE1030ELNS1_3gpuE2ELNS1_3repE0EEENS1_30default_config_static_selectorELNS0_4arch9wavefront6targetE1EEEvSF_.numbered_sgpr, 0
	.set _ZN7rocprim17ROCPRIM_400000_NS6detail17trampoline_kernelINS0_14default_configENS1_22reduce_config_selectorIxEEZNS1_11reduce_implILb1ES3_PxS7_xN6thrust23THRUST_200600_302600_NS4plusIxEEEE10hipError_tPvRmT1_T2_T3_mT4_P12ihipStream_tbEUlT_E0_NS1_11comp_targetILNS1_3genE8ELNS1_11target_archE1030ELNS1_3gpuE2ELNS1_3repE0EEENS1_30default_config_static_selectorELNS0_4arch9wavefront6targetE1EEEvSF_.num_named_barrier, 0
	.set _ZN7rocprim17ROCPRIM_400000_NS6detail17trampoline_kernelINS0_14default_configENS1_22reduce_config_selectorIxEEZNS1_11reduce_implILb1ES3_PxS7_xN6thrust23THRUST_200600_302600_NS4plusIxEEEE10hipError_tPvRmT1_T2_T3_mT4_P12ihipStream_tbEUlT_E0_NS1_11comp_targetILNS1_3genE8ELNS1_11target_archE1030ELNS1_3gpuE2ELNS1_3repE0EEENS1_30default_config_static_selectorELNS0_4arch9wavefront6targetE1EEEvSF_.private_seg_size, 0
	.set _ZN7rocprim17ROCPRIM_400000_NS6detail17trampoline_kernelINS0_14default_configENS1_22reduce_config_selectorIxEEZNS1_11reduce_implILb1ES3_PxS7_xN6thrust23THRUST_200600_302600_NS4plusIxEEEE10hipError_tPvRmT1_T2_T3_mT4_P12ihipStream_tbEUlT_E0_NS1_11comp_targetILNS1_3genE8ELNS1_11target_archE1030ELNS1_3gpuE2ELNS1_3repE0EEENS1_30default_config_static_selectorELNS0_4arch9wavefront6targetE1EEEvSF_.uses_vcc, 0
	.set _ZN7rocprim17ROCPRIM_400000_NS6detail17trampoline_kernelINS0_14default_configENS1_22reduce_config_selectorIxEEZNS1_11reduce_implILb1ES3_PxS7_xN6thrust23THRUST_200600_302600_NS4plusIxEEEE10hipError_tPvRmT1_T2_T3_mT4_P12ihipStream_tbEUlT_E0_NS1_11comp_targetILNS1_3genE8ELNS1_11target_archE1030ELNS1_3gpuE2ELNS1_3repE0EEENS1_30default_config_static_selectorELNS0_4arch9wavefront6targetE1EEEvSF_.uses_flat_scratch, 0
	.set _ZN7rocprim17ROCPRIM_400000_NS6detail17trampoline_kernelINS0_14default_configENS1_22reduce_config_selectorIxEEZNS1_11reduce_implILb1ES3_PxS7_xN6thrust23THRUST_200600_302600_NS4plusIxEEEE10hipError_tPvRmT1_T2_T3_mT4_P12ihipStream_tbEUlT_E0_NS1_11comp_targetILNS1_3genE8ELNS1_11target_archE1030ELNS1_3gpuE2ELNS1_3repE0EEENS1_30default_config_static_selectorELNS0_4arch9wavefront6targetE1EEEvSF_.has_dyn_sized_stack, 0
	.set _ZN7rocprim17ROCPRIM_400000_NS6detail17trampoline_kernelINS0_14default_configENS1_22reduce_config_selectorIxEEZNS1_11reduce_implILb1ES3_PxS7_xN6thrust23THRUST_200600_302600_NS4plusIxEEEE10hipError_tPvRmT1_T2_T3_mT4_P12ihipStream_tbEUlT_E0_NS1_11comp_targetILNS1_3genE8ELNS1_11target_archE1030ELNS1_3gpuE2ELNS1_3repE0EEENS1_30default_config_static_selectorELNS0_4arch9wavefront6targetE1EEEvSF_.has_recursion, 0
	.set _ZN7rocprim17ROCPRIM_400000_NS6detail17trampoline_kernelINS0_14default_configENS1_22reduce_config_selectorIxEEZNS1_11reduce_implILb1ES3_PxS7_xN6thrust23THRUST_200600_302600_NS4plusIxEEEE10hipError_tPvRmT1_T2_T3_mT4_P12ihipStream_tbEUlT_E0_NS1_11comp_targetILNS1_3genE8ELNS1_11target_archE1030ELNS1_3gpuE2ELNS1_3repE0EEENS1_30default_config_static_selectorELNS0_4arch9wavefront6targetE1EEEvSF_.has_indirect_call, 0
	.section	.AMDGPU.csdata,"",@progbits
; Kernel info:
; codeLenInByte = 0
; TotalNumSgprs: 6
; NumVgprs: 0
; NumAgprs: 0
; TotalNumVgprs: 0
; ScratchSize: 0
; MemoryBound: 0
; FloatMode: 240
; IeeeMode: 1
; LDSByteSize: 0 bytes/workgroup (compile time only)
; SGPRBlocks: 0
; VGPRBlocks: 0
; NumSGPRsForWavesPerEU: 6
; NumVGPRsForWavesPerEU: 1
; AccumOffset: 4
; Occupancy: 8
; WaveLimiterHint : 0
; COMPUTE_PGM_RSRC2:SCRATCH_EN: 0
; COMPUTE_PGM_RSRC2:USER_SGPR: 2
; COMPUTE_PGM_RSRC2:TRAP_HANDLER: 0
; COMPUTE_PGM_RSRC2:TGID_X_EN: 1
; COMPUTE_PGM_RSRC2:TGID_Y_EN: 0
; COMPUTE_PGM_RSRC2:TGID_Z_EN: 0
; COMPUTE_PGM_RSRC2:TIDIG_COMP_CNT: 0
; COMPUTE_PGM_RSRC3_GFX90A:ACCUM_OFFSET: 0
; COMPUTE_PGM_RSRC3_GFX90A:TG_SPLIT: 0
	.section	.text._ZN7rocprim17ROCPRIM_400000_NS6detail17trampoline_kernelINS0_14default_configENS1_22reduce_config_selectorIxEEZNS1_11reduce_implILb1ES3_PxS7_xN6thrust23THRUST_200600_302600_NS4plusIxEEEE10hipError_tPvRmT1_T2_T3_mT4_P12ihipStream_tbEUlT_E1_NS1_11comp_targetILNS1_3genE0ELNS1_11target_archE4294967295ELNS1_3gpuE0ELNS1_3repE0EEENS1_30default_config_static_selectorELNS0_4arch9wavefront6targetE1EEEvSF_,"axG",@progbits,_ZN7rocprim17ROCPRIM_400000_NS6detail17trampoline_kernelINS0_14default_configENS1_22reduce_config_selectorIxEEZNS1_11reduce_implILb1ES3_PxS7_xN6thrust23THRUST_200600_302600_NS4plusIxEEEE10hipError_tPvRmT1_T2_T3_mT4_P12ihipStream_tbEUlT_E1_NS1_11comp_targetILNS1_3genE0ELNS1_11target_archE4294967295ELNS1_3gpuE0ELNS1_3repE0EEENS1_30default_config_static_selectorELNS0_4arch9wavefront6targetE1EEEvSF_,comdat
	.protected	_ZN7rocprim17ROCPRIM_400000_NS6detail17trampoline_kernelINS0_14default_configENS1_22reduce_config_selectorIxEEZNS1_11reduce_implILb1ES3_PxS7_xN6thrust23THRUST_200600_302600_NS4plusIxEEEE10hipError_tPvRmT1_T2_T3_mT4_P12ihipStream_tbEUlT_E1_NS1_11comp_targetILNS1_3genE0ELNS1_11target_archE4294967295ELNS1_3gpuE0ELNS1_3repE0EEENS1_30default_config_static_selectorELNS0_4arch9wavefront6targetE1EEEvSF_ ; -- Begin function _ZN7rocprim17ROCPRIM_400000_NS6detail17trampoline_kernelINS0_14default_configENS1_22reduce_config_selectorIxEEZNS1_11reduce_implILb1ES3_PxS7_xN6thrust23THRUST_200600_302600_NS4plusIxEEEE10hipError_tPvRmT1_T2_T3_mT4_P12ihipStream_tbEUlT_E1_NS1_11comp_targetILNS1_3genE0ELNS1_11target_archE4294967295ELNS1_3gpuE0ELNS1_3repE0EEENS1_30default_config_static_selectorELNS0_4arch9wavefront6targetE1EEEvSF_
	.globl	_ZN7rocprim17ROCPRIM_400000_NS6detail17trampoline_kernelINS0_14default_configENS1_22reduce_config_selectorIxEEZNS1_11reduce_implILb1ES3_PxS7_xN6thrust23THRUST_200600_302600_NS4plusIxEEEE10hipError_tPvRmT1_T2_T3_mT4_P12ihipStream_tbEUlT_E1_NS1_11comp_targetILNS1_3genE0ELNS1_11target_archE4294967295ELNS1_3gpuE0ELNS1_3repE0EEENS1_30default_config_static_selectorELNS0_4arch9wavefront6targetE1EEEvSF_
	.p2align	8
	.type	_ZN7rocprim17ROCPRIM_400000_NS6detail17trampoline_kernelINS0_14default_configENS1_22reduce_config_selectorIxEEZNS1_11reduce_implILb1ES3_PxS7_xN6thrust23THRUST_200600_302600_NS4plusIxEEEE10hipError_tPvRmT1_T2_T3_mT4_P12ihipStream_tbEUlT_E1_NS1_11comp_targetILNS1_3genE0ELNS1_11target_archE4294967295ELNS1_3gpuE0ELNS1_3repE0EEENS1_30default_config_static_selectorELNS0_4arch9wavefront6targetE1EEEvSF_,@function
_ZN7rocprim17ROCPRIM_400000_NS6detail17trampoline_kernelINS0_14default_configENS1_22reduce_config_selectorIxEEZNS1_11reduce_implILb1ES3_PxS7_xN6thrust23THRUST_200600_302600_NS4plusIxEEEE10hipError_tPvRmT1_T2_T3_mT4_P12ihipStream_tbEUlT_E1_NS1_11comp_targetILNS1_3genE0ELNS1_11target_archE4294967295ELNS1_3gpuE0ELNS1_3repE0EEENS1_30default_config_static_selectorELNS0_4arch9wavefront6targetE1EEEvSF_: ; @_ZN7rocprim17ROCPRIM_400000_NS6detail17trampoline_kernelINS0_14default_configENS1_22reduce_config_selectorIxEEZNS1_11reduce_implILb1ES3_PxS7_xN6thrust23THRUST_200600_302600_NS4plusIxEEEE10hipError_tPvRmT1_T2_T3_mT4_P12ihipStream_tbEUlT_E1_NS1_11comp_targetILNS1_3genE0ELNS1_11target_archE4294967295ELNS1_3gpuE0ELNS1_3repE0EEENS1_30default_config_static_selectorELNS0_4arch9wavefront6targetE1EEEvSF_
; %bb.0:
	s_load_dword s33, s[0:1], 0x4
	s_load_dwordx8 s[36:43], s[0:1], 0x8
	s_waitcnt lgkmcnt(0)
	s_cmp_lt_i32 s33, 4
	s_cbranch_scc1 .LBB196_10
; %bb.1:
	s_cmp_gt_i32 s33, 7
	s_cbranch_scc0 .LBB196_11
; %bb.2:
	s_cmp_gt_i32 s33, 15
	s_cbranch_scc0 .LBB196_12
; %bb.3:
	s_mov_b64 s[30:31], 0
	s_cmp_eq_u32 s33, 16
	s_mov_b64 s[0:1], 0
                                        ; implicit-def: $vgpr2_vgpr3
                                        ; implicit-def: $vgpr4_vgpr5
	s_cbranch_scc0 .LBB196_13
; %bb.4:
	s_mov_b32 s3, 0
	s_lshl_b32 s0, s2, 12
	s_mov_b32 s1, s3
	s_lshr_b64 s[4:5], s[38:39], 12
	s_lshl_b64 s[6:7], s[0:1], 3
	s_add_u32 s34, s36, s6
	s_addc_u32 s35, s37, s7
	s_cmp_lg_u64 s[4:5], s[2:3]
	s_cbranch_scc0 .LBB196_21
; %bb.5:
	v_lshlrev_b32_e32 v2, 3, v0
	v_mov_b32_e32 v3, 0
	v_lshl_add_u64 v[4:5], s[34:35], 0, v[2:3]
	global_load_dwordx2 v[6:7], v2, s[34:35]
	global_load_dwordx2 v[8:9], v2, s[34:35] offset:2048
	v_add_co_u32_e32 v10, vcc, 0x1000, v4
	v_mov_b32_e32 v38, v3
	s_nop 0
	v_addc_co_u32_e32 v11, vcc, 0, v5, vcc
	v_add_co_u32_e32 v12, vcc, 0x2000, v4
	v_mov_b32_e32 v40, v3
	s_nop 0
	v_addc_co_u32_e32 v13, vcc, 0, v5, vcc
	global_load_dwordx2 v[14:15], v[10:11], off
	global_load_dwordx2 v[16:17], v[10:11], off offset:2048
	global_load_dwordx2 v[18:19], v[12:13], off
	global_load_dwordx2 v[20:21], v[12:13], off offset:2048
	v_add_co_u32_e32 v10, vcc, 0x3000, v4
	v_mov_b32_e32 v42, v3
	s_nop 0
	v_addc_co_u32_e32 v11, vcc, 0, v5, vcc
	v_add_co_u32_e32 v12, vcc, 0x4000, v4
	v_mov_b32_e32 v44, v3
	s_nop 0
	v_addc_co_u32_e32 v13, vcc, 0, v5, vcc
	global_load_dwordx2 v[22:23], v[10:11], off
	global_load_dwordx2 v[24:25], v[10:11], off offset:2048
	global_load_dwordx2 v[26:27], v[12:13], off
	global_load_dwordx2 v[28:29], v[12:13], off offset:2048
	v_add_co_u32_e32 v10, vcc, 0x5000, v4
	v_mbcnt_lo_u32_b32 v1, -1, 0
	s_nop 0
	v_addc_co_u32_e32 v11, vcc, 0, v5, vcc
	v_add_co_u32_e32 v12, vcc, 0x6000, v4
	v_mov_b32_e32 v46, v3
	s_nop 0
	v_addc_co_u32_e32 v13, vcc, 0, v5, vcc
	global_load_dwordx2 v[30:31], v[10:11], off
	global_load_dwordx2 v[32:33], v[10:11], off offset:2048
	global_load_dwordx2 v[34:35], v[12:13], off
	global_load_dwordx2 v[36:37], v[12:13], off offset:2048
	v_add_co_u32_e32 v4, vcc, 0x7000, v4
	v_mbcnt_hi_u32_b32 v1, -1, v1
	s_nop 0
	v_addc_co_u32_e32 v5, vcc, 0, v5, vcc
	global_load_dwordx2 v[10:11], v[4:5], off
	global_load_dwordx2 v[12:13], v[4:5], off offset:2048
	v_lshlrev_b32_e32 v4, 2, v1
	v_or_b32_e32 v5, 0xfc, v4
	v_cmp_eq_u32_e32 vcc, 0, v1
	s_waitcnt vmcnt(14)
	v_lshl_add_u64 v[6:7], v[8:9], 0, v[6:7]
	s_waitcnt vmcnt(13)
	v_lshl_add_u64 v[6:7], v[6:7], 0, v[14:15]
	;; [unrolled: 2-line block ×15, first 2 shown]
	s_nop 1
	v_mov_b32_dpp v2, v6 quad_perm:[1,0,3,2] row_mask:0xf bank_mask:0xf bound_ctrl:1
	v_mov_b32_dpp v39, v7 quad_perm:[1,0,3,2] row_mask:0xf bank_mask:0xf bound_ctrl:1
	v_lshl_add_u64 v[6:7], v[6:7], 0, v[2:3]
	v_lshl_add_u64 v[8:9], v[38:39], 0, v[6:7]
	s_nop 0
	v_mov_b32_dpp v2, v6 quad_perm:[2,3,0,1] row_mask:0xf bank_mask:0xf bound_ctrl:1
	v_mov_b32_dpp v41, v9 quad_perm:[2,3,0,1] row_mask:0xf bank_mask:0xf bound_ctrl:1
	v_lshl_add_u64 v[6:7], v[8:9], 0, v[2:3]
	v_lshl_add_u64 v[8:9], v[6:7], 0, v[40:41]
	s_nop 0
	v_mov_b32_dpp v2, v6 row_ror:4 row_mask:0xf bank_mask:0xf bound_ctrl:1
	v_mov_b32_dpp v43, v9 row_ror:4 row_mask:0xf bank_mask:0xf bound_ctrl:1
	v_lshl_add_u64 v[6:7], v[8:9], 0, v[2:3]
	v_lshl_add_u64 v[8:9], v[6:7], 0, v[42:43]
	s_nop 0
	v_mov_b32_dpp v2, v6 row_ror:8 row_mask:0xf bank_mask:0xf bound_ctrl:1
	v_mov_b32_dpp v45, v9 row_ror:8 row_mask:0xf bank_mask:0xf bound_ctrl:1
	v_lshl_add_u64 v[6:7], v[8:9], 0, v[2:3]
	v_lshl_add_u64 v[8:9], v[6:7], 0, v[44:45]
	s_nop 0
	v_mov_b32_dpp v2, v6 row_bcast:15 row_mask:0xf bank_mask:0xf bound_ctrl:1
	v_mov_b32_dpp v47, v9 row_bcast:15 row_mask:0xf bank_mask:0xf bound_ctrl:1
	v_lshl_add_u64 v[6:7], v[8:9], 0, v[2:3]
	v_lshl_add_u64 v[8:9], v[6:7], 0, v[46:47]
	s_nop 0
	v_mov_b32_dpp v2, v6 row_bcast:31 row_mask:0xf bank_mask:0xf bound_ctrl:1
	v_lshl_add_u64 v[2:3], v[8:9], 0, v[2:3]
	ds_bpermute_b32 v2, v5, v2
	s_nop 0
	v_add_u32_dpp v3, v9, v3 row_bcast:31 row_mask:0xf bank_mask:0xf bound_ctrl:1
	ds_bpermute_b32 v3, v5, v3
	s_and_saveexec_b64 s[4:5], vcc
	s_cbranch_execz .LBB196_7
; %bb.6:
	v_lshrrev_b32_e32 v5, 3, v0
	v_and_b32_e32 v5, 24, v5
	s_waitcnt lgkmcnt(0)
	ds_write_b64 v5, v[2:3]
.LBB196_7:
	s_or_b64 exec, exec, s[4:5]
	v_cmp_gt_u32_e32 vcc, 64, v0
	s_waitcnt lgkmcnt(0)
	s_barrier
	s_and_saveexec_b64 s[4:5], vcc
	s_cbranch_execz .LBB196_9
; %bb.8:
	v_and_b32_e32 v5, 3, v1
	v_lshlrev_b32_e32 v2, 3, v5
	ds_read_b64 v[2:3], v2
	v_cmp_ne_u32_e32 vcc, 3, v5
	v_mov_b32_e32 v8, 0
	v_mov_b32_e32 v7, v8
	v_addc_co_u32_e32 v1, vcc, 0, v1, vcc
	v_lshlrev_b32_e32 v1, 2, v1
	s_waitcnt lgkmcnt(0)
	ds_bpermute_b32 v6, v1, v2
	ds_bpermute_b32 v9, v1, v3
	v_or_b32_e32 v1, 8, v4
	s_waitcnt lgkmcnt(1)
	v_lshl_add_u64 v[2:3], v[2:3], 0, v[6:7]
	s_waitcnt lgkmcnt(0)
	v_lshl_add_u64 v[4:5], v[8:9], 0, v[2:3]
	ds_bpermute_b32 v2, v1, v2
	ds_bpermute_b32 v9, v1, v5
	v_mov_b32_e32 v3, v8
	s_waitcnt lgkmcnt(1)
	v_lshl_add_u64 v[2:3], v[4:5], 0, v[2:3]
	s_waitcnt lgkmcnt(0)
	v_lshl_add_u64 v[2:3], v[2:3], 0, v[8:9]
.LBB196_9:
	s_or_b64 exec, exec, s[4:5]
	s_mov_b64 s[4:5], 0
	s_branch .LBB196_22
.LBB196_10:
	s_mov_b64 s[0:1], 0
                                        ; implicit-def: $vgpr2_vgpr3
                                        ; implicit-def: $vgpr4_vgpr5
	s_cbranch_execnz .LBB196_121
	s_branch .LBB196_166
.LBB196_11:
	s_mov_b64 s[0:1], 0
                                        ; implicit-def: $vgpr2_vgpr3
                                        ; implicit-def: $vgpr4_vgpr5
	s_cbranch_execnz .LBB196_94
	s_branch .LBB196_120
.LBB196_12:
	s_mov_b64 s[30:31], -1
	s_mov_b64 s[0:1], 0
                                        ; implicit-def: $vgpr2_vgpr3
                                        ; implicit-def: $vgpr4_vgpr5
.LBB196_13:
	s_and_b64 vcc, exec, s[30:31]
	s_cbranch_vccz .LBB196_93
.LBB196_14:
	s_cmp_eq_u32 s33, 8
                                        ; implicit-def: $vgpr2_vgpr3
                                        ; implicit-def: $vgpr4_vgpr5
	s_cbranch_scc0 .LBB196_93
; %bb.15:
	s_mov_b32 s3, 0
	s_lshl_b32 s0, s2, 11
	s_mov_b32 s1, s3
	s_lshr_b64 s[4:5], s[38:39], 11
	s_lshl_b64 s[6:7], s[0:1], 3
	s_add_u32 s14, s36, s6
	s_addc_u32 s15, s37, s7
	s_cmp_lg_u64 s[4:5], s[2:3]
	s_cbranch_scc0 .LBB196_65
; %bb.16:
	v_lshlrev_b32_e32 v2, 3, v0
	v_mov_b32_e32 v3, 0
	v_lshl_add_u64 v[4:5], s[14:15], 0, v[2:3]
	s_waitcnt lgkmcnt(0)
	global_load_dwordx2 v[6:7], v2, s[14:15]
	global_load_dwordx2 v[8:9], v2, s[14:15] offset:2048
	v_add_co_u32_e32 v10, vcc, 0x1000, v4
	v_mov_b32_e32 v22, v3
	s_nop 0
	v_addc_co_u32_e32 v11, vcc, 0, v5, vcc
	v_add_co_u32_e32 v12, vcc, 0x2000, v4
	v_mov_b32_e32 v24, v3
	s_nop 0
	v_addc_co_u32_e32 v13, vcc, 0, v5, vcc
	global_load_dwordx2 v[14:15], v[10:11], off
	global_load_dwordx2 v[16:17], v[10:11], off offset:2048
	global_load_dwordx2 v[18:19], v[12:13], off
	global_load_dwordx2 v[20:21], v[12:13], off offset:2048
	v_add_co_u32_e32 v4, vcc, 0x3000, v4
	v_mov_b32_e32 v26, v3
	s_nop 0
	v_addc_co_u32_e32 v5, vcc, 0, v5, vcc
	global_load_dwordx2 v[10:11], v[4:5], off
	global_load_dwordx2 v[12:13], v[4:5], off offset:2048
	v_mov_b32_e32 v28, v3
	v_mbcnt_lo_u32_b32 v1, -1, 0
	v_mov_b32_e32 v30, v3
	v_mbcnt_hi_u32_b32 v1, -1, v1
	v_lshlrev_b32_e32 v4, 2, v1
	v_or_b32_e32 v5, 0xfc, v4
	v_cmp_eq_u32_e32 vcc, 0, v1
	s_waitcnt vmcnt(6)
	v_lshl_add_u64 v[6:7], v[8:9], 0, v[6:7]
	s_waitcnt vmcnt(5)
	v_lshl_add_u64 v[6:7], v[6:7], 0, v[14:15]
	;; [unrolled: 2-line block ×7, first 2 shown]
	s_nop 1
	v_mov_b32_dpp v2, v6 quad_perm:[1,0,3,2] row_mask:0xf bank_mask:0xf bound_ctrl:1
	v_mov_b32_dpp v23, v7 quad_perm:[1,0,3,2] row_mask:0xf bank_mask:0xf bound_ctrl:1
	v_lshl_add_u64 v[6:7], v[6:7], 0, v[2:3]
	v_lshl_add_u64 v[8:9], v[22:23], 0, v[6:7]
	s_nop 0
	v_mov_b32_dpp v2, v6 quad_perm:[2,3,0,1] row_mask:0xf bank_mask:0xf bound_ctrl:1
	v_mov_b32_dpp v25, v9 quad_perm:[2,3,0,1] row_mask:0xf bank_mask:0xf bound_ctrl:1
	v_lshl_add_u64 v[6:7], v[8:9], 0, v[2:3]
	v_lshl_add_u64 v[8:9], v[6:7], 0, v[24:25]
	s_nop 0
	v_mov_b32_dpp v2, v6 row_ror:4 row_mask:0xf bank_mask:0xf bound_ctrl:1
	v_mov_b32_dpp v27, v9 row_ror:4 row_mask:0xf bank_mask:0xf bound_ctrl:1
	v_lshl_add_u64 v[6:7], v[8:9], 0, v[2:3]
	v_lshl_add_u64 v[8:9], v[6:7], 0, v[26:27]
	s_nop 0
	v_mov_b32_dpp v2, v6 row_ror:8 row_mask:0xf bank_mask:0xf bound_ctrl:1
	v_mov_b32_dpp v29, v9 row_ror:8 row_mask:0xf bank_mask:0xf bound_ctrl:1
	v_lshl_add_u64 v[6:7], v[8:9], 0, v[2:3]
	v_lshl_add_u64 v[8:9], v[6:7], 0, v[28:29]
	s_nop 0
	v_mov_b32_dpp v2, v6 row_bcast:15 row_mask:0xf bank_mask:0xf bound_ctrl:1
	v_mov_b32_dpp v31, v9 row_bcast:15 row_mask:0xf bank_mask:0xf bound_ctrl:1
	v_lshl_add_u64 v[6:7], v[8:9], 0, v[2:3]
	v_lshl_add_u64 v[8:9], v[6:7], 0, v[30:31]
	s_nop 0
	v_mov_b32_dpp v2, v6 row_bcast:31 row_mask:0xf bank_mask:0xf bound_ctrl:1
	v_lshl_add_u64 v[2:3], v[8:9], 0, v[2:3]
	ds_bpermute_b32 v2, v5, v2
	s_nop 0
	v_add_u32_dpp v3, v9, v3 row_bcast:31 row_mask:0xf bank_mask:0xf bound_ctrl:1
	ds_bpermute_b32 v3, v5, v3
	s_and_saveexec_b64 s[4:5], vcc
	s_cbranch_execz .LBB196_18
; %bb.17:
	v_lshrrev_b32_e32 v5, 3, v0
	v_and_b32_e32 v5, 24, v5
	s_waitcnt lgkmcnt(0)
	ds_write_b64 v5, v[2:3] offset:128
.LBB196_18:
	s_or_b64 exec, exec, s[4:5]
	v_cmp_gt_u32_e32 vcc, 64, v0
	s_waitcnt lgkmcnt(0)
	s_barrier
	s_and_saveexec_b64 s[4:5], vcc
	s_cbranch_execz .LBB196_20
; %bb.19:
	v_and_b32_e32 v5, 3, v1
	v_lshlrev_b32_e32 v2, 3, v5
	ds_read_b64 v[2:3], v2 offset:128
	v_cmp_ne_u32_e32 vcc, 3, v5
	v_mov_b32_e32 v8, 0
	v_mov_b32_e32 v7, v8
	v_addc_co_u32_e32 v1, vcc, 0, v1, vcc
	v_lshlrev_b32_e32 v1, 2, v1
	s_waitcnt lgkmcnt(0)
	ds_bpermute_b32 v6, v1, v2
	ds_bpermute_b32 v9, v1, v3
	v_or_b32_e32 v1, 8, v4
	s_waitcnt lgkmcnt(1)
	v_lshl_add_u64 v[2:3], v[2:3], 0, v[6:7]
	s_waitcnt lgkmcnt(0)
	v_lshl_add_u64 v[4:5], v[8:9], 0, v[2:3]
	ds_bpermute_b32 v2, v1, v2
	ds_bpermute_b32 v9, v1, v5
	v_mov_b32_e32 v3, v8
	s_waitcnt lgkmcnt(1)
	v_lshl_add_u64 v[2:3], v[4:5], 0, v[2:3]
	s_waitcnt lgkmcnt(0)
	v_lshl_add_u64 v[2:3], v[2:3], 0, v[8:9]
.LBB196_20:
	s_or_b64 exec, exec, s[4:5]
	s_mov_b64 s[4:5], 0
	s_branch .LBB196_66
.LBB196_21:
	s_mov_b64 s[4:5], -1
                                        ; implicit-def: $vgpr2_vgpr3
.LBB196_22:
	s_and_b64 vcc, exec, s[4:5]
	s_cbranch_vccz .LBB196_64
; %bb.23:
	s_sub_i32 s46, s38, s0
	v_mov_b32_e32 v2, 0
	v_cmp_gt_u32_e32 vcc, s46, v0
	v_mov_b32_e32 v3, v2
	v_mov_b32_e32 v4, v2
	;; [unrolled: 1-line block ×31, first 2 shown]
	s_and_saveexec_b64 s[0:1], vcc
	s_cbranch_execz .LBB196_25
; %bb.24:
	v_lshlrev_b32_e32 v1, 3, v0
	global_load_dwordx2 v[4:5], v1, s[34:35]
	v_mov_b32_e32 v6, v2
	v_mov_b32_e32 v7, v2
	;; [unrolled: 1-line block ×30, first 2 shown]
	s_waitcnt vmcnt(0)
	v_mov_b64_e32 v[2:3], v[4:5]
	v_mov_b64_e32 v[4:5], v[6:7]
	;; [unrolled: 1-line block ×16, first 2 shown]
.LBB196_25:
	s_or_b64 exec, exec, s[0:1]
	v_or_b32_e32 v1, 0x100, v0
	v_cmp_gt_u32_e32 vcc, s46, v1
	s_and_saveexec_b64 s[0:1], vcc
	s_cbranch_execz .LBB196_27
; %bb.26:
	v_lshlrev_b32_e32 v1, 3, v0
	global_load_dwordx2 v[4:5], v1, s[34:35] offset:2048
.LBB196_27:
	s_or_b64 exec, exec, s[0:1]
	v_or_b32_e32 v1, 0x200, v0
	v_cmp_gt_u32_e64 s[0:1], s46, v1
	s_and_saveexec_b64 s[4:5], s[0:1]
	s_cbranch_execz .LBB196_29
; %bb.28:
	v_lshlrev_b32_e32 v1, 3, v1
	global_load_dwordx2 v[6:7], v1, s[34:35]
.LBB196_29:
	s_or_b64 exec, exec, s[4:5]
	v_or_b32_e32 v1, 0x300, v0
	v_cmp_gt_u32_e64 s[4:5], s46, v1
	s_and_saveexec_b64 s[6:7], s[4:5]
	s_cbranch_execz .LBB196_31
; %bb.30:
	v_lshlrev_b32_e32 v1, 3, v1
	global_load_dwordx2 v[8:9], v1, s[34:35]
.LBB196_31:
	;; [unrolled: 9-line block ×14, first 2 shown]
	s_or_b64 exec, exec, s[44:45]
	s_waitcnt vmcnt(0)
	v_cndmask_b32_e32 v5, 0, v5, vcc
	v_cndmask_b32_e32 v4, 0, v4, vcc
	v_lshl_add_u64 v[2:3], v[4:5], 0, v[2:3]
	v_cndmask_b32_e64 v5, 0, v7, s[0:1]
	v_cndmask_b32_e64 v4, 0, v6, s[0:1]
	v_lshl_add_u64 v[2:3], v[2:3], 0, v[4:5]
	v_cndmask_b32_e64 v5, 0, v9, s[4:5]
	v_cndmask_b32_e64 v4, 0, v8, s[4:5]
	;; [unrolled: 3-line block ×12, first 2 shown]
	v_mbcnt_lo_u32_b32 v1, -1, 0
	v_lshl_add_u64 v[2:3], v[2:3], 0, v[4:5]
	v_cndmask_b32_e64 v5, 0, v31, s[26:27]
	v_cndmask_b32_e64 v4, 0, v30, s[26:27]
	v_mbcnt_hi_u32_b32 v1, -1, v1
	v_lshl_add_u64 v[2:3], v[2:3], 0, v[4:5]
	v_cndmask_b32_e64 v5, 0, v33, s[28:29]
	v_cndmask_b32_e64 v4, 0, v32, s[28:29]
	v_and_b32_e32 v9, 63, v1
	v_lshl_add_u64 v[2:3], v[2:3], 0, v[4:5]
	s_min_u32 s6, s46, 0x100
	v_and_b32_e32 v4, 0xc0, v0
	v_cmp_ne_u32_e32 vcc, 63, v9
	v_sub_u32_e64 v8, s6, v4 clamp
	v_mov_b32_e32 v6, 0
	v_addc_co_u32_e32 v4, vcc, 0, v1, vcc
	v_lshlrev_b32_e32 v5, 2, v4
	ds_bpermute_b32 v4, v5, v2
	ds_bpermute_b32 v7, v5, v3
	v_add_u32_e32 v10, 1, v9
	v_mov_b32_e32 v5, v6
	v_cmp_lt_u32_e64 s[0:1], v10, v8
	s_waitcnt lgkmcnt(1)
	v_lshl_add_u64 v[4:5], v[2:3], 0, v[4:5]
	v_cmp_gt_u32_e32 vcc, 62, v9
	s_waitcnt lgkmcnt(0)
	v_lshl_add_u64 v[6:7], v[4:5], 0, v[6:7]
	v_cndmask_b32_e64 v12, v2, v4, s[0:1]
	v_cndmask_b32_e64 v4, 0, 2, vcc
	v_cndmask_b32_e64 v5, v3, v7, s[0:1]
	v_add_lshl_u32 v4, v4, v1, 2
	ds_bpermute_b32 v10, v4, v12
	ds_bpermute_b32 v11, v4, v5
	v_cndmask_b32_e64 v4, v2, v6, s[0:1]
	v_add_u32_e32 v13, 2, v9
	v_cmp_lt_u32_e32 vcc, v13, v8
	v_cmp_gt_u32_e64 s[4:5], 60, v9
	s_waitcnt lgkmcnt(0)
	v_lshl_add_u64 v[6:7], v[10:11], 0, v[4:5]
	v_cndmask_b32_e32 v5, v5, v7, vcc
	v_cndmask_b32_e64 v7, 0, 4, s[4:5]
	v_cndmask_b32_e32 v12, v12, v6, vcc
	v_add_lshl_u32 v7, v7, v1, 2
	ds_bpermute_b32 v10, v7, v12
	ds_bpermute_b32 v11, v7, v5
	v_cndmask_b32_e32 v4, v4, v6, vcc
	v_add_u32_e32 v13, 4, v9
	v_cmp_lt_u32_e32 vcc, v13, v8
	v_cmp_gt_u32_e64 s[4:5], 56, v9
	s_waitcnt lgkmcnt(0)
	v_lshl_add_u64 v[6:7], v[10:11], 0, v[4:5]
	v_cndmask_b32_e32 v5, v5, v7, vcc
	v_cndmask_b32_e64 v7, 0, 8, s[4:5]
	v_cndmask_b32_e32 v12, v12, v6, vcc
	v_add_lshl_u32 v7, v7, v1, 2
	ds_bpermute_b32 v10, v7, v12
	ds_bpermute_b32 v11, v7, v5
	v_cndmask_b32_e32 v4, v4, v6, vcc
	;; [unrolled: 12-line block ×3, first 2 shown]
	v_add_u32_e32 v13, 16, v9
	v_cmp_lt_u32_e32 vcc, v13, v8
	s_waitcnt lgkmcnt(0)
	v_lshl_add_u64 v[6:7], v[10:11], 0, v[4:5]
	v_lshlrev_b32_e32 v10, 2, v1
	v_cndmask_b32_e32 v13, v5, v7, vcc
	v_cndmask_b32_e32 v11, v12, v6, vcc
	v_or_b32_e32 v12, 0x80, v10
	ds_bpermute_b32 v11, v12, v11
	ds_bpermute_b32 v12, v12, v13
	s_and_saveexec_b64 s[4:5], s[0:1]
	s_cbranch_execz .LBB196_57
; %bb.56:
	v_add_u32_e32 v9, 32, v9
	v_cndmask_b32_e32 v3, v5, v7, vcc
	v_cndmask_b32_e32 v2, v4, v6, vcc
	v_cmp_lt_u32_e32 vcc, v9, v8
	s_waitcnt lgkmcnt(0)
	s_nop 0
	v_cndmask_b32_e32 v5, 0, v12, vcc
	v_cndmask_b32_e32 v4, 0, v11, vcc
	v_lshl_add_u64 v[2:3], v[2:3], 0, v[4:5]
.LBB196_57:
	s_or_b64 exec, exec, s[4:5]
	v_cmp_eq_u32_e32 vcc, 0, v1
	s_and_saveexec_b64 s[0:1], vcc
; %bb.58:
	v_lshrrev_b32_e32 v4, 3, v0
	v_and_b32_e32 v4, 24, v4
	ds_write_b64 v4, v[2:3] offset:160
; %bb.59:
	s_or_b64 exec, exec, s[0:1]
	v_cmp_gt_u32_e32 vcc, 4, v0
	s_waitcnt lgkmcnt(0)
	s_barrier
	s_and_saveexec_b64 s[0:1], vcc
	s_cbranch_execz .LBB196_63
; %bb.60:
	v_lshlrev_b32_e32 v2, 3, v1
	ds_read_b64 v[2:3], v2 offset:160
	v_and_b32_e32 v6, 3, v1
	v_cmp_ne_u32_e32 vcc, 3, v6
	v_mov_b32_e32 v8, 0
	s_add_i32 s6, s6, 63
	v_addc_co_u32_e32 v1, vcc, 0, v1, vcc
	v_lshlrev_b32_e32 v1, 2, v1
	s_waitcnt lgkmcnt(0)
	ds_bpermute_b32 v4, v1, v2
	ds_bpermute_b32 v9, v1, v3
	v_mov_b32_e32 v5, v8
	s_lshr_b32 s6, s6, 6
	v_add_u32_e32 v1, 1, v6
	s_waitcnt lgkmcnt(1)
	v_lshl_add_u64 v[12:13], v[2:3], 0, v[4:5]
	s_waitcnt lgkmcnt(0)
	v_lshl_add_u64 v[4:5], v[8:9], 0, v[12:13]
	v_cmp_gt_u32_e32 vcc, s6, v1
	v_or_b32_e32 v8, 8, v10
	s_nop 0
	v_cndmask_b32_e32 v7, v3, v5, vcc
	v_cndmask_b32_e32 v1, v2, v12, vcc
	ds_bpermute_b32 v1, v8, v1
	ds_bpermute_b32 v7, v8, v7
	s_and_saveexec_b64 s[4:5], vcc
	s_cbranch_execz .LBB196_62
; %bb.61:
	v_add_u32_e32 v2, 2, v6
	v_cmp_gt_u32_e32 vcc, s6, v2
	s_waitcnt lgkmcnt(0)
	s_nop 0
	v_cndmask_b32_e32 v3, 0, v7, vcc
	v_cndmask_b32_e32 v2, 0, v1, vcc
	v_lshl_add_u64 v[2:3], v[2:3], 0, v[4:5]
.LBB196_62:
	s_or_b64 exec, exec, s[4:5]
.LBB196_63:
	s_or_b64 exec, exec, s[0:1]
.LBB196_64:
	v_cmp_eq_u32_e64 s[0:1], 0, v0
	v_mov_b64_e32 v[4:5], s[2:3]
	s_and_b64 vcc, exec, s[30:31]
	s_cbranch_vccnz .LBB196_14
	s_branch .LBB196_93
.LBB196_65:
	s_mov_b64 s[4:5], -1
                                        ; implicit-def: $vgpr2_vgpr3
.LBB196_66:
	s_and_b64 vcc, exec, s[4:5]
	s_cbranch_vccz .LBB196_92
; %bb.67:
	s_sub_i32 s18, s38, s0
	v_mov_b32_e32 v2, 0
	v_cmp_gt_u32_e32 vcc, s18, v0
	v_mov_b32_e32 v3, v2
	v_mov_b32_e32 v4, v2
	;; [unrolled: 1-line block ×4, first 2 shown]
	s_waitcnt lgkmcnt(0)
	v_mov_b32_e32 v7, v2
	v_mov_b32_e32 v8, v2
	;; [unrolled: 1-line block ×11, first 2 shown]
	s_and_saveexec_b64 s[0:1], vcc
	s_cbranch_execz .LBB196_69
; %bb.68:
	v_lshlrev_b32_e32 v1, 3, v0
	global_load_dwordx2 v[4:5], v1, s[14:15]
	v_mov_b32_e32 v6, v2
	v_mov_b32_e32 v7, v2
	;; [unrolled: 1-line block ×14, first 2 shown]
	s_waitcnt vmcnt(0)
	v_mov_b64_e32 v[2:3], v[4:5]
	v_mov_b64_e32 v[4:5], v[6:7]
	;; [unrolled: 1-line block ×8, first 2 shown]
.LBB196_69:
	s_or_b64 exec, exec, s[0:1]
	v_or_b32_e32 v1, 0x100, v0
	v_cmp_gt_u32_e32 vcc, s18, v1
	s_and_saveexec_b64 s[0:1], vcc
	s_cbranch_execz .LBB196_71
; %bb.70:
	v_lshlrev_b32_e32 v1, 3, v0
	global_load_dwordx2 v[4:5], v1, s[14:15] offset:2048
.LBB196_71:
	s_or_b64 exec, exec, s[0:1]
	v_or_b32_e32 v1, 0x200, v0
	v_cmp_gt_u32_e64 s[0:1], s18, v1
	s_and_saveexec_b64 s[4:5], s[0:1]
	s_cbranch_execz .LBB196_73
; %bb.72:
	v_lshlrev_b32_e32 v1, 3, v1
	global_load_dwordx2 v[6:7], v1, s[14:15]
.LBB196_73:
	s_or_b64 exec, exec, s[4:5]
	v_or_b32_e32 v1, 0x300, v0
	v_cmp_gt_u32_e64 s[4:5], s18, v1
	s_and_saveexec_b64 s[6:7], s[4:5]
	s_cbranch_execz .LBB196_75
; %bb.74:
	v_lshlrev_b32_e32 v1, 3, v1
	global_load_dwordx2 v[8:9], v1, s[14:15]
.LBB196_75:
	;; [unrolled: 9-line block ×6, first 2 shown]
	s_or_b64 exec, exec, s[16:17]
	s_waitcnt vmcnt(0)
	v_cndmask_b32_e32 v5, 0, v5, vcc
	v_cndmask_b32_e32 v4, 0, v4, vcc
	v_lshl_add_u64 v[2:3], v[4:5], 0, v[2:3]
	v_cndmask_b32_e64 v5, 0, v7, s[0:1]
	v_cndmask_b32_e64 v4, 0, v6, s[0:1]
	v_lshl_add_u64 v[2:3], v[2:3], 0, v[4:5]
	v_cndmask_b32_e64 v5, 0, v9, s[4:5]
	v_cndmask_b32_e64 v4, 0, v8, s[4:5]
	;; [unrolled: 3-line block ×4, first 2 shown]
	v_mbcnt_lo_u32_b32 v1, -1, 0
	v_lshl_add_u64 v[2:3], v[2:3], 0, v[4:5]
	v_cndmask_b32_e64 v5, 0, v15, s[10:11]
	v_cndmask_b32_e64 v4, 0, v14, s[10:11]
	v_mbcnt_hi_u32_b32 v1, -1, v1
	v_lshl_add_u64 v[2:3], v[2:3], 0, v[4:5]
	v_cndmask_b32_e64 v5, 0, v17, s[12:13]
	v_cndmask_b32_e64 v4, 0, v16, s[12:13]
	v_and_b32_e32 v9, 63, v1
	v_lshl_add_u64 v[2:3], v[2:3], 0, v[4:5]
	s_min_u32 s6, s18, 0x100
	v_and_b32_e32 v4, 0xc0, v0
	v_cmp_ne_u32_e32 vcc, 63, v9
	v_sub_u32_e64 v8, s6, v4 clamp
	v_mov_b32_e32 v6, 0
	v_addc_co_u32_e32 v4, vcc, 0, v1, vcc
	v_lshlrev_b32_e32 v5, 2, v4
	ds_bpermute_b32 v4, v5, v2
	ds_bpermute_b32 v7, v5, v3
	v_add_u32_e32 v10, 1, v9
	v_mov_b32_e32 v5, v6
	v_cmp_lt_u32_e64 s[0:1], v10, v8
	s_waitcnt lgkmcnt(1)
	v_lshl_add_u64 v[4:5], v[2:3], 0, v[4:5]
	v_cmp_gt_u32_e32 vcc, 62, v9
	s_waitcnt lgkmcnt(0)
	v_lshl_add_u64 v[6:7], v[4:5], 0, v[6:7]
	v_cndmask_b32_e64 v12, v2, v4, s[0:1]
	v_cndmask_b32_e64 v4, 0, 2, vcc
	v_cndmask_b32_e64 v5, v3, v7, s[0:1]
	v_add_lshl_u32 v4, v4, v1, 2
	ds_bpermute_b32 v10, v4, v12
	ds_bpermute_b32 v11, v4, v5
	v_cndmask_b32_e64 v4, v2, v6, s[0:1]
	v_add_u32_e32 v13, 2, v9
	v_cmp_lt_u32_e32 vcc, v13, v8
	v_cmp_gt_u32_e64 s[4:5], 60, v9
	s_waitcnt lgkmcnt(0)
	v_lshl_add_u64 v[6:7], v[10:11], 0, v[4:5]
	v_cndmask_b32_e32 v5, v5, v7, vcc
	v_cndmask_b32_e64 v7, 0, 4, s[4:5]
	v_cndmask_b32_e32 v12, v12, v6, vcc
	v_add_lshl_u32 v7, v7, v1, 2
	ds_bpermute_b32 v10, v7, v12
	ds_bpermute_b32 v11, v7, v5
	v_cndmask_b32_e32 v4, v4, v6, vcc
	v_add_u32_e32 v13, 4, v9
	v_cmp_lt_u32_e32 vcc, v13, v8
	v_cmp_gt_u32_e64 s[4:5], 56, v9
	s_waitcnt lgkmcnt(0)
	v_lshl_add_u64 v[6:7], v[10:11], 0, v[4:5]
	v_cndmask_b32_e32 v5, v5, v7, vcc
	v_cndmask_b32_e64 v7, 0, 8, s[4:5]
	v_cndmask_b32_e32 v12, v12, v6, vcc
	v_add_lshl_u32 v7, v7, v1, 2
	ds_bpermute_b32 v10, v7, v12
	ds_bpermute_b32 v11, v7, v5
	v_cndmask_b32_e32 v4, v4, v6, vcc
	;; [unrolled: 12-line block ×3, first 2 shown]
	v_add_u32_e32 v13, 16, v9
	v_cmp_lt_u32_e32 vcc, v13, v8
	s_waitcnt lgkmcnt(0)
	v_lshl_add_u64 v[6:7], v[10:11], 0, v[4:5]
	v_lshlrev_b32_e32 v10, 2, v1
	v_cndmask_b32_e32 v13, v5, v7, vcc
	v_cndmask_b32_e32 v11, v12, v6, vcc
	v_or_b32_e32 v12, 0x80, v10
	ds_bpermute_b32 v11, v12, v11
	ds_bpermute_b32 v12, v12, v13
	s_and_saveexec_b64 s[4:5], s[0:1]
	s_cbranch_execz .LBB196_85
; %bb.84:
	v_add_u32_e32 v9, 32, v9
	v_cndmask_b32_e32 v3, v5, v7, vcc
	v_cndmask_b32_e32 v2, v4, v6, vcc
	v_cmp_lt_u32_e32 vcc, v9, v8
	s_waitcnt lgkmcnt(0)
	s_nop 0
	v_cndmask_b32_e32 v5, 0, v12, vcc
	v_cndmask_b32_e32 v4, 0, v11, vcc
	v_lshl_add_u64 v[2:3], v[2:3], 0, v[4:5]
.LBB196_85:
	s_or_b64 exec, exec, s[4:5]
	v_cmp_eq_u32_e32 vcc, 0, v1
	s_and_saveexec_b64 s[0:1], vcc
; %bb.86:
	v_lshrrev_b32_e32 v4, 3, v0
	v_and_b32_e32 v4, 24, v4
	ds_write_b64 v4, v[2:3] offset:160
; %bb.87:
	s_or_b64 exec, exec, s[0:1]
	v_cmp_gt_u32_e32 vcc, 4, v0
	s_waitcnt lgkmcnt(0)
	s_barrier
	s_and_saveexec_b64 s[0:1], vcc
	s_cbranch_execz .LBB196_91
; %bb.88:
	v_lshlrev_b32_e32 v2, 3, v1
	ds_read_b64 v[2:3], v2 offset:160
	v_and_b32_e32 v6, 3, v1
	v_cmp_ne_u32_e32 vcc, 3, v6
	v_mov_b32_e32 v8, 0
	s_add_i32 s6, s6, 63
	v_addc_co_u32_e32 v1, vcc, 0, v1, vcc
	v_lshlrev_b32_e32 v1, 2, v1
	s_waitcnt lgkmcnt(0)
	ds_bpermute_b32 v4, v1, v2
	ds_bpermute_b32 v9, v1, v3
	v_mov_b32_e32 v5, v8
	s_lshr_b32 s6, s6, 6
	v_add_u32_e32 v1, 1, v6
	s_waitcnt lgkmcnt(1)
	v_lshl_add_u64 v[12:13], v[2:3], 0, v[4:5]
	s_waitcnt lgkmcnt(0)
	v_lshl_add_u64 v[4:5], v[8:9], 0, v[12:13]
	v_cmp_gt_u32_e32 vcc, s6, v1
	v_or_b32_e32 v8, 8, v10
	s_nop 0
	v_cndmask_b32_e32 v7, v3, v5, vcc
	v_cndmask_b32_e32 v1, v2, v12, vcc
	ds_bpermute_b32 v1, v8, v1
	ds_bpermute_b32 v7, v8, v7
	s_and_saveexec_b64 s[4:5], vcc
	s_cbranch_execz .LBB196_90
; %bb.89:
	v_add_u32_e32 v2, 2, v6
	v_cmp_gt_u32_e32 vcc, s6, v2
	s_waitcnt lgkmcnt(0)
	s_nop 0
	v_cndmask_b32_e32 v3, 0, v7, vcc
	v_cndmask_b32_e32 v2, 0, v1, vcc
	v_lshl_add_u64 v[2:3], v[2:3], 0, v[4:5]
.LBB196_90:
	s_or_b64 exec, exec, s[4:5]
.LBB196_91:
	s_or_b64 exec, exec, s[0:1]
.LBB196_92:
	v_cmp_eq_u32_e64 s[0:1], 0, v0
	v_mov_b64_e32 v[4:5], s[2:3]
.LBB196_93:
	s_branch .LBB196_120
.LBB196_94:
	s_cmp_eq_u32 s33, 4
                                        ; implicit-def: $vgpr2_vgpr3
                                        ; implicit-def: $vgpr4_vgpr5
	s_cbranch_scc0 .LBB196_120
; %bb.95:
	s_mov_b32 s3, 0
	s_lshl_b32 s0, s2, 10
	s_mov_b32 s1, s3
	s_lshr_b64 s[4:5], s[38:39], 10
	s_lshl_b64 s[6:7], s[0:1], 3
	s_add_u32 s6, s36, s6
	s_addc_u32 s7, s37, s7
	s_cmp_lg_u64 s[4:5], s[2:3]
	s_cbranch_scc0 .LBB196_101
; %bb.96:
	v_lshlrev_b32_e32 v2, 3, v0
	v_mov_b32_e32 v3, 0
	v_lshl_add_u64 v[4:5], s[6:7], 0, v[2:3]
	v_add_co_u32_e32 v4, vcc, 0x1000, v4
	v_mov_b32_e32 v14, v3
	s_nop 0
	v_addc_co_u32_e32 v5, vcc, 0, v5, vcc
	s_waitcnt lgkmcnt(0)
	global_load_dwordx2 v[6:7], v2, s[6:7]
	global_load_dwordx2 v[8:9], v2, s[6:7] offset:2048
	global_load_dwordx2 v[10:11], v[4:5], off
	global_load_dwordx2 v[12:13], v[4:5], off offset:2048
	v_mov_b32_e32 v16, v3
	v_mov_b32_e32 v18, v3
	;; [unrolled: 1-line block ×3, first 2 shown]
	v_mbcnt_lo_u32_b32 v1, -1, 0
	v_mov_b32_e32 v22, v3
	v_mbcnt_hi_u32_b32 v1, -1, v1
	v_lshlrev_b32_e32 v4, 2, v1
	v_or_b32_e32 v5, 0xfc, v4
	v_cmp_eq_u32_e32 vcc, 0, v1
	s_waitcnt vmcnt(2)
	v_lshl_add_u64 v[6:7], v[8:9], 0, v[6:7]
	s_waitcnt vmcnt(1)
	v_lshl_add_u64 v[6:7], v[6:7], 0, v[10:11]
	;; [unrolled: 2-line block ×3, first 2 shown]
	s_nop 1
	v_mov_b32_dpp v2, v6 quad_perm:[1,0,3,2] row_mask:0xf bank_mask:0xf bound_ctrl:1
	v_mov_b32_dpp v15, v7 quad_perm:[1,0,3,2] row_mask:0xf bank_mask:0xf bound_ctrl:1
	v_lshl_add_u64 v[6:7], v[6:7], 0, v[2:3]
	v_lshl_add_u64 v[8:9], v[14:15], 0, v[6:7]
	s_nop 0
	v_mov_b32_dpp v2, v6 quad_perm:[2,3,0,1] row_mask:0xf bank_mask:0xf bound_ctrl:1
	v_mov_b32_dpp v17, v9 quad_perm:[2,3,0,1] row_mask:0xf bank_mask:0xf bound_ctrl:1
	v_lshl_add_u64 v[6:7], v[8:9], 0, v[2:3]
	v_lshl_add_u64 v[8:9], v[6:7], 0, v[16:17]
	s_nop 0
	v_mov_b32_dpp v2, v6 row_ror:4 row_mask:0xf bank_mask:0xf bound_ctrl:1
	v_mov_b32_dpp v19, v9 row_ror:4 row_mask:0xf bank_mask:0xf bound_ctrl:1
	v_lshl_add_u64 v[6:7], v[8:9], 0, v[2:3]
	v_lshl_add_u64 v[8:9], v[6:7], 0, v[18:19]
	s_nop 0
	v_mov_b32_dpp v2, v6 row_ror:8 row_mask:0xf bank_mask:0xf bound_ctrl:1
	v_mov_b32_dpp v21, v9 row_ror:8 row_mask:0xf bank_mask:0xf bound_ctrl:1
	v_lshl_add_u64 v[6:7], v[8:9], 0, v[2:3]
	v_lshl_add_u64 v[8:9], v[6:7], 0, v[20:21]
	s_nop 0
	v_mov_b32_dpp v2, v6 row_bcast:15 row_mask:0xf bank_mask:0xf bound_ctrl:1
	v_mov_b32_dpp v23, v9 row_bcast:15 row_mask:0xf bank_mask:0xf bound_ctrl:1
	v_lshl_add_u64 v[6:7], v[8:9], 0, v[2:3]
	v_lshl_add_u64 v[8:9], v[6:7], 0, v[22:23]
	s_nop 0
	v_mov_b32_dpp v2, v6 row_bcast:31 row_mask:0xf bank_mask:0xf bound_ctrl:1
	v_lshl_add_u64 v[2:3], v[8:9], 0, v[2:3]
	ds_bpermute_b32 v2, v5, v2
	s_nop 0
	v_add_u32_dpp v3, v9, v3 row_bcast:31 row_mask:0xf bank_mask:0xf bound_ctrl:1
	ds_bpermute_b32 v3, v5, v3
	s_and_saveexec_b64 s[4:5], vcc
	s_cbranch_execz .LBB196_98
; %bb.97:
	v_lshrrev_b32_e32 v5, 3, v0
	v_and_b32_e32 v5, 24, v5
	s_waitcnt lgkmcnt(0)
	ds_write_b64 v5, v[2:3] offset:96
.LBB196_98:
	s_or_b64 exec, exec, s[4:5]
	v_cmp_gt_u32_e32 vcc, 64, v0
	s_waitcnt lgkmcnt(0)
	s_barrier
	s_and_saveexec_b64 s[4:5], vcc
	s_cbranch_execz .LBB196_100
; %bb.99:
	v_and_b32_e32 v5, 3, v1
	v_lshlrev_b32_e32 v2, 3, v5
	ds_read_b64 v[2:3], v2 offset:96
	v_cmp_ne_u32_e32 vcc, 3, v5
	v_mov_b32_e32 v8, 0
	v_mov_b32_e32 v7, v8
	v_addc_co_u32_e32 v1, vcc, 0, v1, vcc
	v_lshlrev_b32_e32 v1, 2, v1
	s_waitcnt lgkmcnt(0)
	ds_bpermute_b32 v6, v1, v2
	ds_bpermute_b32 v9, v1, v3
	v_or_b32_e32 v1, 8, v4
	s_waitcnt lgkmcnt(1)
	v_lshl_add_u64 v[2:3], v[2:3], 0, v[6:7]
	s_waitcnt lgkmcnt(0)
	v_lshl_add_u64 v[4:5], v[8:9], 0, v[2:3]
	ds_bpermute_b32 v2, v1, v2
	ds_bpermute_b32 v9, v1, v5
	v_mov_b32_e32 v3, v8
	s_waitcnt lgkmcnt(1)
	v_lshl_add_u64 v[2:3], v[4:5], 0, v[2:3]
	s_waitcnt lgkmcnt(0)
	v_lshl_add_u64 v[2:3], v[2:3], 0, v[8:9]
.LBB196_100:
	s_or_b64 exec, exec, s[4:5]
	s_branch .LBB196_119
.LBB196_101:
                                        ; implicit-def: $vgpr2_vgpr3
	s_cbranch_execz .LBB196_119
; %bb.102:
	s_sub_i32 s10, s38, s0
	v_mov_b32_e32 v2, 0
	v_cmp_gt_u32_e32 vcc, s10, v0
	v_mov_b32_e32 v3, v2
	v_mov_b32_e32 v4, v2
	;; [unrolled: 1-line block ×4, first 2 shown]
	s_waitcnt lgkmcnt(0)
	v_mov_b32_e32 v7, v2
	v_mov_b32_e32 v8, v2
	;; [unrolled: 1-line block ×3, first 2 shown]
	s_and_saveexec_b64 s[0:1], vcc
	s_cbranch_execz .LBB196_104
; %bb.103:
	v_lshlrev_b32_e32 v1, 3, v0
	global_load_dwordx2 v[4:5], v1, s[6:7]
	v_mov_b32_e32 v6, v2
	v_mov_b32_e32 v7, v2
	;; [unrolled: 1-line block ×6, first 2 shown]
	s_waitcnt vmcnt(0)
	v_mov_b64_e32 v[2:3], v[4:5]
	v_mov_b64_e32 v[4:5], v[6:7]
	v_mov_b64_e32 v[6:7], v[8:9]
	v_mov_b64_e32 v[8:9], v[10:11]
.LBB196_104:
	s_or_b64 exec, exec, s[0:1]
	v_or_b32_e32 v1, 0x100, v0
	v_cmp_gt_u32_e32 vcc, s10, v1
	s_and_saveexec_b64 s[0:1], vcc
	s_cbranch_execz .LBB196_106
; %bb.105:
	v_lshlrev_b32_e32 v1, 3, v0
	global_load_dwordx2 v[4:5], v1, s[6:7] offset:2048
.LBB196_106:
	s_or_b64 exec, exec, s[0:1]
	v_or_b32_e32 v1, 0x200, v0
	v_cmp_gt_u32_e64 s[0:1], s10, v1
	s_and_saveexec_b64 s[4:5], s[0:1]
	s_cbranch_execz .LBB196_108
; %bb.107:
	v_lshlrev_b32_e32 v1, 3, v1
	global_load_dwordx2 v[6:7], v1, s[6:7]
.LBB196_108:
	s_or_b64 exec, exec, s[4:5]
	v_or_b32_e32 v1, 0x300, v0
	v_cmp_gt_u32_e64 s[4:5], s10, v1
	s_and_saveexec_b64 s[8:9], s[4:5]
	s_cbranch_execz .LBB196_110
; %bb.109:
	v_lshlrev_b32_e32 v1, 3, v1
	global_load_dwordx2 v[8:9], v1, s[6:7]
.LBB196_110:
	s_or_b64 exec, exec, s[8:9]
	s_waitcnt vmcnt(0)
	v_cndmask_b32_e32 v5, 0, v5, vcc
	v_cndmask_b32_e32 v4, 0, v4, vcc
	v_mbcnt_lo_u32_b32 v1, -1, 0
	v_lshl_add_u64 v[2:3], v[4:5], 0, v[2:3]
	v_cndmask_b32_e64 v5, 0, v7, s[0:1]
	v_cndmask_b32_e64 v4, 0, v6, s[0:1]
	v_mbcnt_hi_u32_b32 v1, -1, v1
	v_lshl_add_u64 v[2:3], v[2:3], 0, v[4:5]
	v_cndmask_b32_e64 v5, 0, v9, s[4:5]
	v_cndmask_b32_e64 v4, 0, v8, s[4:5]
	v_and_b32_e32 v9, 63, v1
	v_lshl_add_u64 v[2:3], v[2:3], 0, v[4:5]
	s_min_u32 s6, s10, 0x100
	v_and_b32_e32 v4, 0xc0, v0
	v_cmp_ne_u32_e32 vcc, 63, v9
	v_sub_u32_e64 v8, s6, v4 clamp
	v_mov_b32_e32 v6, 0
	v_addc_co_u32_e32 v4, vcc, 0, v1, vcc
	v_lshlrev_b32_e32 v5, 2, v4
	ds_bpermute_b32 v4, v5, v2
	ds_bpermute_b32 v7, v5, v3
	v_add_u32_e32 v10, 1, v9
	v_mov_b32_e32 v5, v6
	v_cmp_lt_u32_e64 s[0:1], v10, v8
	s_waitcnt lgkmcnt(1)
	v_lshl_add_u64 v[4:5], v[2:3], 0, v[4:5]
	v_cmp_gt_u32_e32 vcc, 62, v9
	s_waitcnt lgkmcnt(0)
	v_lshl_add_u64 v[6:7], v[6:7], 0, v[4:5]
	v_cndmask_b32_e64 v12, v2, v4, s[0:1]
	v_cndmask_b32_e64 v4, 0, 2, vcc
	v_cndmask_b32_e64 v5, v3, v7, s[0:1]
	v_add_lshl_u32 v4, v4, v1, 2
	ds_bpermute_b32 v10, v4, v12
	ds_bpermute_b32 v11, v4, v5
	v_cndmask_b32_e64 v4, v2, v6, s[0:1]
	v_add_u32_e32 v13, 2, v9
	v_cmp_lt_u32_e32 vcc, v13, v8
	v_cmp_gt_u32_e64 s[4:5], 60, v9
	s_waitcnt lgkmcnt(0)
	v_lshl_add_u64 v[6:7], v[10:11], 0, v[4:5]
	v_cndmask_b32_e32 v5, v5, v7, vcc
	v_cndmask_b32_e64 v7, 0, 4, s[4:5]
	v_cndmask_b32_e32 v12, v12, v6, vcc
	v_add_lshl_u32 v7, v7, v1, 2
	ds_bpermute_b32 v10, v7, v12
	ds_bpermute_b32 v11, v7, v5
	v_cndmask_b32_e32 v4, v4, v6, vcc
	v_add_u32_e32 v13, 4, v9
	v_cmp_lt_u32_e32 vcc, v13, v8
	v_cmp_gt_u32_e64 s[4:5], 56, v9
	s_waitcnt lgkmcnt(0)
	v_lshl_add_u64 v[6:7], v[10:11], 0, v[4:5]
	v_cndmask_b32_e32 v5, v5, v7, vcc
	v_cndmask_b32_e64 v7, 0, 8, s[4:5]
	v_cndmask_b32_e32 v12, v12, v6, vcc
	v_add_lshl_u32 v7, v7, v1, 2
	ds_bpermute_b32 v10, v7, v12
	ds_bpermute_b32 v11, v7, v5
	v_cndmask_b32_e32 v4, v4, v6, vcc
	;; [unrolled: 12-line block ×3, first 2 shown]
	v_add_u32_e32 v13, 16, v9
	v_cmp_lt_u32_e32 vcc, v13, v8
	s_waitcnt lgkmcnt(0)
	v_lshl_add_u64 v[6:7], v[10:11], 0, v[4:5]
	v_lshlrev_b32_e32 v10, 2, v1
	v_cndmask_b32_e32 v13, v5, v7, vcc
	v_cndmask_b32_e32 v11, v12, v6, vcc
	v_or_b32_e32 v12, 0x80, v10
	ds_bpermute_b32 v11, v12, v11
	ds_bpermute_b32 v12, v12, v13
	s_and_saveexec_b64 s[4:5], s[0:1]
	s_cbranch_execz .LBB196_112
; %bb.111:
	v_add_u32_e32 v9, 32, v9
	v_cndmask_b32_e32 v3, v5, v7, vcc
	v_cndmask_b32_e32 v2, v4, v6, vcc
	v_cmp_lt_u32_e32 vcc, v9, v8
	s_waitcnt lgkmcnt(0)
	s_nop 0
	v_cndmask_b32_e32 v5, 0, v12, vcc
	v_cndmask_b32_e32 v4, 0, v11, vcc
	v_lshl_add_u64 v[2:3], v[4:5], 0, v[2:3]
.LBB196_112:
	s_or_b64 exec, exec, s[4:5]
	v_cmp_eq_u32_e32 vcc, 0, v1
	s_and_saveexec_b64 s[0:1], vcc
; %bb.113:
	v_lshrrev_b32_e32 v4, 3, v0
	v_and_b32_e32 v4, 24, v4
	ds_write_b64 v4, v[2:3] offset:160
; %bb.114:
	s_or_b64 exec, exec, s[0:1]
	v_cmp_gt_u32_e32 vcc, 4, v0
	s_waitcnt lgkmcnt(0)
	s_barrier
	s_and_saveexec_b64 s[0:1], vcc
	s_cbranch_execz .LBB196_118
; %bb.115:
	v_lshlrev_b32_e32 v2, 3, v1
	ds_read_b64 v[2:3], v2 offset:160
	v_and_b32_e32 v6, 3, v1
	v_cmp_ne_u32_e32 vcc, 3, v6
	v_mov_b32_e32 v8, 0
	s_add_i32 s6, s6, 63
	v_addc_co_u32_e32 v1, vcc, 0, v1, vcc
	v_lshlrev_b32_e32 v1, 2, v1
	s_waitcnt lgkmcnt(0)
	ds_bpermute_b32 v4, v1, v2
	ds_bpermute_b32 v9, v1, v3
	v_mov_b32_e32 v5, v8
	s_lshr_b32 s6, s6, 6
	v_add_u32_e32 v1, 1, v6
	s_waitcnt lgkmcnt(1)
	v_lshl_add_u64 v[12:13], v[2:3], 0, v[4:5]
	s_waitcnt lgkmcnt(0)
	v_lshl_add_u64 v[4:5], v[8:9], 0, v[12:13]
	v_cmp_gt_u32_e32 vcc, s6, v1
	v_or_b32_e32 v8, 8, v10
	s_nop 0
	v_cndmask_b32_e32 v7, v3, v5, vcc
	v_cndmask_b32_e32 v1, v2, v12, vcc
	ds_bpermute_b32 v1, v8, v1
	ds_bpermute_b32 v7, v8, v7
	s_and_saveexec_b64 s[4:5], vcc
	s_cbranch_execz .LBB196_117
; %bb.116:
	v_add_u32_e32 v2, 2, v6
	v_cmp_gt_u32_e32 vcc, s6, v2
	s_waitcnt lgkmcnt(0)
	s_nop 0
	v_cndmask_b32_e32 v3, 0, v7, vcc
	v_cndmask_b32_e32 v2, 0, v1, vcc
	v_lshl_add_u64 v[2:3], v[2:3], 0, v[4:5]
.LBB196_117:
	s_or_b64 exec, exec, s[4:5]
.LBB196_118:
	s_or_b64 exec, exec, s[0:1]
.LBB196_119:
	v_cmp_eq_u32_e64 s[0:1], 0, v0
	v_mov_b64_e32 v[4:5], s[2:3]
.LBB196_120:
	s_branch .LBB196_166
.LBB196_121:
	s_cmp_gt_i32 s33, 1
	s_cbranch_scc0 .LBB196_129
; %bb.122:
	s_cmp_eq_u32 s33, 2
                                        ; implicit-def: $vgpr2_vgpr3
                                        ; implicit-def: $vgpr4_vgpr5
	s_cbranch_scc0 .LBB196_130
; %bb.123:
	s_mov_b32 s3, 0
	s_lshl_b32 s4, s2, 9
	s_mov_b32 s5, s3
	s_lshr_b64 s[6:7], s[38:39], 9
	s_lshl_b64 s[0:1], s[4:5], 3
	s_add_u32 s0, s36, s0
	s_addc_u32 s1, s37, s1
	s_cmp_lg_u64 s[6:7], s[2:3]
	s_cbranch_scc0 .LBB196_131
; %bb.124:
	s_waitcnt lgkmcnt(1)
	v_lshlrev_b32_e32 v1, 3, v0
	global_load_dwordx2 v[2:3], v1, s[0:1]
	s_waitcnt lgkmcnt(0)
	global_load_dwordx2 v[6:7], v1, s[0:1] offset:2048
	v_mov_b32_e32 v8, 0
	v_mov_b32_e32 v11, v8
	;; [unrolled: 1-line block ×6, first 2 shown]
	v_mbcnt_lo_u32_b32 v1, -1, 0
	v_mbcnt_hi_u32_b32 v1, -1, v1
	v_mov_b32_e32 v21, v8
	v_lshlrev_b32_e32 v4, 2, v1
	v_or_b32_e32 v5, 0xfc, v4
	v_cmp_eq_u32_e32 vcc, 0, v1
	s_waitcnt vmcnt(0)
	v_lshl_add_u64 v[2:3], v[6:7], 0, v[2:3]
	s_nop 1
	v_mov_b32_dpp v10, v2 quad_perm:[1,0,3,2] row_mask:0xf bank_mask:0xf bound_ctrl:1
	v_mov_b32_dpp v9, v3 quad_perm:[1,0,3,2] row_mask:0xf bank_mask:0xf bound_ctrl:1
	v_lshl_add_u64 v[2:3], v[2:3], 0, v[10:11]
	v_lshl_add_u64 v[6:7], v[8:9], 0, v[2:3]
	s_nop 0
	v_mov_b32_dpp v12, v2 quad_perm:[2,3,0,1] row_mask:0xf bank_mask:0xf bound_ctrl:1
	v_mov_b32_dpp v9, v7 quad_perm:[2,3,0,1] row_mask:0xf bank_mask:0xf bound_ctrl:1
	v_lshl_add_u64 v[2:3], v[6:7], 0, v[12:13]
	v_lshl_add_u64 v[6:7], v[2:3], 0, v[8:9]
	s_nop 0
	v_mov_b32_dpp v14, v2 row_ror:4 row_mask:0xf bank_mask:0xf bound_ctrl:1
	v_mov_b32_dpp v9, v7 row_ror:4 row_mask:0xf bank_mask:0xf bound_ctrl:1
	v_lshl_add_u64 v[2:3], v[6:7], 0, v[14:15]
	v_lshl_add_u64 v[6:7], v[2:3], 0, v[8:9]
	s_nop 0
	v_mov_b32_dpp v16, v2 row_ror:8 row_mask:0xf bank_mask:0xf bound_ctrl:1
	v_mov_b32_dpp v9, v7 row_ror:8 row_mask:0xf bank_mask:0xf bound_ctrl:1
	v_lshl_add_u64 v[2:3], v[6:7], 0, v[16:17]
	v_lshl_add_u64 v[6:7], v[2:3], 0, v[8:9]
	s_nop 0
	v_mov_b32_dpp v18, v2 row_bcast:15 row_mask:0xf bank_mask:0xf bound_ctrl:1
	v_mov_b32_dpp v9, v7 row_bcast:15 row_mask:0xf bank_mask:0xf bound_ctrl:1
	v_lshl_add_u64 v[2:3], v[6:7], 0, v[18:19]
	v_lshl_add_u64 v[6:7], v[2:3], 0, v[8:9]
	s_nop 0
	v_mov_b32_dpp v20, v2 row_bcast:31 row_mask:0xf bank_mask:0xf bound_ctrl:1
	v_lshl_add_u64 v[2:3], v[6:7], 0, v[20:21]
	ds_bpermute_b32 v2, v5, v2
	s_nop 0
	v_add_u32_dpp v3, v7, v3 row_bcast:31 row_mask:0xf bank_mask:0xf bound_ctrl:1
	ds_bpermute_b32 v3, v5, v3
	s_and_saveexec_b64 s[6:7], vcc
	s_cbranch_execz .LBB196_126
; %bb.125:
	v_lshrrev_b32_e32 v5, 3, v0
	v_and_b32_e32 v5, 24, v5
	s_waitcnt lgkmcnt(0)
	ds_write_b64 v5, v[2:3] offset:64
.LBB196_126:
	s_or_b64 exec, exec, s[6:7]
	v_cmp_gt_u32_e32 vcc, 64, v0
	s_waitcnt lgkmcnt(0)
	s_barrier
	s_and_saveexec_b64 s[6:7], vcc
	s_cbranch_execz .LBB196_128
; %bb.127:
	v_and_b32_e32 v5, 3, v1
	v_lshlrev_b32_e32 v2, 3, v5
	ds_read_b64 v[2:3], v2 offset:64
	v_cmp_ne_u32_e32 vcc, 3, v5
	v_mov_b32_e32 v8, 0
	v_mov_b32_e32 v7, v8
	v_addc_co_u32_e32 v1, vcc, 0, v1, vcc
	v_lshlrev_b32_e32 v1, 2, v1
	s_waitcnt lgkmcnt(0)
	ds_bpermute_b32 v6, v1, v2
	ds_bpermute_b32 v9, v1, v3
	v_or_b32_e32 v1, 8, v4
	s_waitcnt lgkmcnt(1)
	v_lshl_add_u64 v[2:3], v[2:3], 0, v[6:7]
	s_waitcnt lgkmcnt(0)
	v_lshl_add_u64 v[4:5], v[8:9], 0, v[2:3]
	ds_bpermute_b32 v2, v1, v2
	ds_bpermute_b32 v9, v1, v5
	v_mov_b32_e32 v3, v8
	s_waitcnt lgkmcnt(1)
	v_lshl_add_u64 v[2:3], v[4:5], 0, v[2:3]
	s_waitcnt lgkmcnt(0)
	v_lshl_add_u64 v[2:3], v[2:3], 0, v[8:9]
.LBB196_128:
	s_or_b64 exec, exec, s[6:7]
	s_branch .LBB196_145
.LBB196_129:
                                        ; implicit-def: $vgpr2_vgpr3
                                        ; implicit-def: $vgpr4_vgpr5
	s_cbranch_execnz .LBB196_146
	s_branch .LBB196_166
.LBB196_130:
	s_branch .LBB196_166
.LBB196_131:
                                        ; implicit-def: $vgpr2_vgpr3
	s_cbranch_execz .LBB196_145
; %bb.132:
	s_sub_i32 s6, s38, s4
	v_mov_b32_e32 v2, 0
	v_cmp_gt_u32_e32 vcc, s6, v0
	v_mov_b32_e32 v3, v2
	v_mov_b32_e32 v4, v2
	;; [unrolled: 1-line block ×3, first 2 shown]
	s_and_saveexec_b64 s[4:5], vcc
	s_cbranch_execz .LBB196_134
; %bb.133:
	s_waitcnt lgkmcnt(1)
	v_lshlrev_b32_e32 v1, 3, v0
	global_load_dwordx2 v[4:5], v1, s[0:1]
	v_mov_b32_e32 v6, v2
	s_waitcnt lgkmcnt(0)
	v_mov_b32_e32 v7, v2
	s_waitcnt vmcnt(0)
	v_mov_b64_e32 v[2:3], v[4:5]
	v_mov_b64_e32 v[4:5], v[6:7]
.LBB196_134:
	s_or_b64 exec, exec, s[4:5]
	s_waitcnt lgkmcnt(1)
	v_or_b32_e32 v1, 0x100, v0
	v_cmp_gt_u32_e32 vcc, s6, v1
	s_and_saveexec_b64 s[4:5], vcc
	s_cbranch_execz .LBB196_136
; %bb.135:
	v_lshlrev_b32_e32 v1, 3, v0
	global_load_dwordx2 v[4:5], v1, s[0:1] offset:2048
.LBB196_136:
	s_or_b64 exec, exec, s[4:5]
	v_mbcnt_lo_u32_b32 v1, -1, 0
	v_mbcnt_hi_u32_b32 v1, -1, v1
	s_waitcnt vmcnt(0)
	v_cndmask_b32_e32 v5, 0, v5, vcc
	v_cndmask_b32_e32 v4, 0, v4, vcc
	v_and_b32_e32 v9, 63, v1
	v_lshl_add_u64 v[2:3], v[4:5], 0, v[2:3]
	s_min_u32 s6, s6, 0x100
	v_and_b32_e32 v4, 0xc0, v0
	v_cmp_ne_u32_e32 vcc, 63, v9
	v_sub_u32_e64 v8, s6, v4 clamp
	v_mov_b32_e32 v6, 0
	v_addc_co_u32_e32 v4, vcc, 0, v1, vcc
	v_lshlrev_b32_e32 v5, 2, v4
	ds_bpermute_b32 v4, v5, v2
	s_waitcnt lgkmcnt(1)
	ds_bpermute_b32 v7, v5, v3
	v_add_u32_e32 v10, 1, v9
	v_mov_b32_e32 v5, v6
	v_cmp_lt_u32_e64 s[0:1], v10, v8
	s_waitcnt lgkmcnt(1)
	v_lshl_add_u64 v[4:5], v[2:3], 0, v[4:5]
	v_cmp_gt_u32_e32 vcc, 62, v9
	s_waitcnt lgkmcnt(0)
	v_lshl_add_u64 v[6:7], v[6:7], 0, v[4:5]
	v_cndmask_b32_e64 v12, v2, v4, s[0:1]
	v_cndmask_b32_e64 v4, 0, 2, vcc
	v_cndmask_b32_e64 v5, v3, v7, s[0:1]
	v_add_lshl_u32 v4, v4, v1, 2
	ds_bpermute_b32 v10, v4, v12
	ds_bpermute_b32 v11, v4, v5
	v_cndmask_b32_e64 v4, v2, v6, s[0:1]
	v_add_u32_e32 v13, 2, v9
	v_cmp_lt_u32_e32 vcc, v13, v8
	v_cmp_gt_u32_e64 s[4:5], 60, v9
	s_waitcnt lgkmcnt(0)
	v_lshl_add_u64 v[6:7], v[10:11], 0, v[4:5]
	v_cndmask_b32_e32 v5, v5, v7, vcc
	v_cndmask_b32_e64 v7, 0, 4, s[4:5]
	v_cndmask_b32_e32 v12, v12, v6, vcc
	v_add_lshl_u32 v7, v7, v1, 2
	ds_bpermute_b32 v10, v7, v12
	ds_bpermute_b32 v11, v7, v5
	v_cndmask_b32_e32 v4, v4, v6, vcc
	v_add_u32_e32 v13, 4, v9
	v_cmp_lt_u32_e32 vcc, v13, v8
	v_cmp_gt_u32_e64 s[4:5], 56, v9
	s_waitcnt lgkmcnt(0)
	v_lshl_add_u64 v[6:7], v[10:11], 0, v[4:5]
	v_cndmask_b32_e32 v5, v5, v7, vcc
	v_cndmask_b32_e64 v7, 0, 8, s[4:5]
	v_cndmask_b32_e32 v12, v12, v6, vcc
	v_add_lshl_u32 v7, v7, v1, 2
	ds_bpermute_b32 v10, v7, v12
	ds_bpermute_b32 v11, v7, v5
	v_cndmask_b32_e32 v4, v4, v6, vcc
	;; [unrolled: 12-line block ×3, first 2 shown]
	v_add_u32_e32 v13, 16, v9
	v_cmp_lt_u32_e32 vcc, v13, v8
	s_waitcnt lgkmcnt(0)
	v_lshl_add_u64 v[6:7], v[10:11], 0, v[4:5]
	v_lshlrev_b32_e32 v10, 2, v1
	v_cndmask_b32_e32 v13, v5, v7, vcc
	v_cndmask_b32_e32 v11, v12, v6, vcc
	v_or_b32_e32 v12, 0x80, v10
	ds_bpermute_b32 v11, v12, v11
	ds_bpermute_b32 v12, v12, v13
	s_and_saveexec_b64 s[4:5], s[0:1]
	s_cbranch_execz .LBB196_138
; %bb.137:
	v_add_u32_e32 v9, 32, v9
	v_cndmask_b32_e32 v3, v5, v7, vcc
	v_cndmask_b32_e32 v2, v4, v6, vcc
	v_cmp_lt_u32_e32 vcc, v9, v8
	s_waitcnt lgkmcnt(0)
	s_nop 0
	v_cndmask_b32_e32 v5, 0, v12, vcc
	v_cndmask_b32_e32 v4, 0, v11, vcc
	v_lshl_add_u64 v[2:3], v[4:5], 0, v[2:3]
.LBB196_138:
	s_or_b64 exec, exec, s[4:5]
	v_cmp_eq_u32_e32 vcc, 0, v1
	s_and_saveexec_b64 s[0:1], vcc
; %bb.139:
	v_lshrrev_b32_e32 v4, 3, v0
	v_and_b32_e32 v4, 24, v4
	ds_write_b64 v4, v[2:3] offset:160
; %bb.140:
	s_or_b64 exec, exec, s[0:1]
	v_cmp_gt_u32_e32 vcc, 4, v0
	s_waitcnt lgkmcnt(0)
	s_barrier
	s_and_saveexec_b64 s[0:1], vcc
	s_cbranch_execz .LBB196_144
; %bb.141:
	v_lshlrev_b32_e32 v2, 3, v1
	ds_read_b64 v[2:3], v2 offset:160
	v_and_b32_e32 v6, 3, v1
	v_cmp_ne_u32_e32 vcc, 3, v6
	v_mov_b32_e32 v8, 0
	s_add_i32 s6, s6, 63
	v_addc_co_u32_e32 v1, vcc, 0, v1, vcc
	v_lshlrev_b32_e32 v1, 2, v1
	s_waitcnt lgkmcnt(0)
	ds_bpermute_b32 v4, v1, v2
	ds_bpermute_b32 v9, v1, v3
	v_mov_b32_e32 v5, v8
	s_lshr_b32 s6, s6, 6
	v_add_u32_e32 v1, 1, v6
	s_waitcnt lgkmcnt(1)
	v_lshl_add_u64 v[12:13], v[2:3], 0, v[4:5]
	s_waitcnt lgkmcnt(0)
	v_lshl_add_u64 v[4:5], v[8:9], 0, v[12:13]
	v_cmp_gt_u32_e32 vcc, s6, v1
	v_or_b32_e32 v8, 8, v10
	s_nop 0
	v_cndmask_b32_e32 v7, v3, v5, vcc
	v_cndmask_b32_e32 v1, v2, v12, vcc
	ds_bpermute_b32 v1, v8, v1
	ds_bpermute_b32 v7, v8, v7
	s_and_saveexec_b64 s[4:5], vcc
	s_cbranch_execz .LBB196_143
; %bb.142:
	v_add_u32_e32 v2, 2, v6
	v_cmp_gt_u32_e32 vcc, s6, v2
	s_waitcnt lgkmcnt(0)
	s_nop 0
	v_cndmask_b32_e32 v3, 0, v7, vcc
	v_cndmask_b32_e32 v2, 0, v1, vcc
	v_lshl_add_u64 v[2:3], v[2:3], 0, v[4:5]
.LBB196_143:
	s_or_b64 exec, exec, s[4:5]
.LBB196_144:
	s_or_b64 exec, exec, s[0:1]
.LBB196_145:
	v_cmp_eq_u32_e64 s[0:1], 0, v0
	v_mov_b64_e32 v[4:5], s[2:3]
	s_branch .LBB196_166
.LBB196_146:
	s_cmp_eq_u32 s33, 1
                                        ; implicit-def: $vgpr2_vgpr3
                                        ; implicit-def: $vgpr4_vgpr5
	s_cbranch_scc0 .LBB196_166
; %bb.147:
	s_mov_b32 s1, 0
	s_lshl_b32 s0, s2, 8
	s_mov_b32 s3, s1
	s_lshr_b64 s[4:5], s[38:39], 8
	s_cmp_lg_u64 s[4:5], s[2:3]
	s_waitcnt lgkmcnt(1)
	v_mbcnt_lo_u32_b32 v1, -1, 0
	s_cbranch_scc0 .LBB196_153
; %bb.148:
	s_lshl_b64 s[4:5], s[0:1], 3
	s_add_u32 s4, s36, s4
	s_addc_u32 s5, s37, s5
	v_lshlrev_b32_e32 v2, 3, v0
	global_load_dwordx2 v[2:3], v2, s[4:5]
	v_mov_b32_e32 v6, 0
	v_mov_b32_e32 v9, v6
	;; [unrolled: 1-line block ×6, first 2 shown]
	v_mbcnt_hi_u32_b32 v4, -1, v1
	v_mov_b32_e32 v19, v6
	v_lshlrev_b32_e32 v5, 2, v4
	v_or_b32_e32 v20, 0xfc, v5
	v_cmp_eq_u32_e32 vcc, 0, v4
	s_waitcnt vmcnt(0)
	v_mov_b32_dpp v8, v2 quad_perm:[1,0,3,2] row_mask:0xf bank_mask:0xf bound_ctrl:1
	s_waitcnt lgkmcnt(0)
	v_mov_b32_dpp v7, v3 quad_perm:[1,0,3,2] row_mask:0xf bank_mask:0xf bound_ctrl:1
	v_lshl_add_u64 v[2:3], v[2:3], 0, v[8:9]
	v_lshl_add_u64 v[8:9], v[6:7], 0, v[2:3]
	s_nop 0
	v_mov_b32_dpp v10, v2 quad_perm:[2,3,0,1] row_mask:0xf bank_mask:0xf bound_ctrl:1
	v_mov_b32_dpp v7, v9 quad_perm:[2,3,0,1] row_mask:0xf bank_mask:0xf bound_ctrl:1
	v_lshl_add_u64 v[2:3], v[8:9], 0, v[10:11]
	v_lshl_add_u64 v[8:9], v[2:3], 0, v[6:7]
	s_nop 0
	v_mov_b32_dpp v12, v2 row_ror:4 row_mask:0xf bank_mask:0xf bound_ctrl:1
	v_mov_b32_dpp v7, v9 row_ror:4 row_mask:0xf bank_mask:0xf bound_ctrl:1
	v_lshl_add_u64 v[2:3], v[8:9], 0, v[12:13]
	v_lshl_add_u64 v[8:9], v[2:3], 0, v[6:7]
	s_nop 0
	v_mov_b32_dpp v14, v2 row_ror:8 row_mask:0xf bank_mask:0xf bound_ctrl:1
	v_mov_b32_dpp v7, v9 row_ror:8 row_mask:0xf bank_mask:0xf bound_ctrl:1
	v_lshl_add_u64 v[2:3], v[8:9], 0, v[14:15]
	v_lshl_add_u64 v[8:9], v[2:3], 0, v[6:7]
	s_nop 0
	v_mov_b32_dpp v16, v2 row_bcast:15 row_mask:0xf bank_mask:0xf bound_ctrl:1
	v_mov_b32_dpp v7, v9 row_bcast:15 row_mask:0xf bank_mask:0xf bound_ctrl:1
	v_lshl_add_u64 v[2:3], v[8:9], 0, v[16:17]
	v_lshl_add_u64 v[6:7], v[2:3], 0, v[6:7]
	s_nop 0
	v_mov_b32_dpp v18, v2 row_bcast:31 row_mask:0xf bank_mask:0xf bound_ctrl:1
	v_lshl_add_u64 v[2:3], v[6:7], 0, v[18:19]
	ds_bpermute_b32 v2, v20, v2
	s_nop 0
	v_add_u32_dpp v3, v7, v3 row_bcast:31 row_mask:0xf bank_mask:0xf bound_ctrl:1
	ds_bpermute_b32 v3, v20, v3
	s_and_saveexec_b64 s[4:5], vcc
	s_cbranch_execz .LBB196_150
; %bb.149:
	v_lshrrev_b32_e32 v6, 3, v0
	v_and_b32_e32 v6, 24, v6
	s_waitcnt lgkmcnt(0)
	ds_write_b64 v6, v[2:3] offset:32
.LBB196_150:
	s_or_b64 exec, exec, s[4:5]
	v_cmp_gt_u32_e32 vcc, 64, v0
	s_waitcnt lgkmcnt(0)
	s_barrier
	s_and_saveexec_b64 s[4:5], vcc
	s_cbranch_execz .LBB196_152
; %bb.151:
	v_and_b32_e32 v6, 3, v4
	v_lshlrev_b32_e32 v2, 3, v6
	ds_read_b64 v[2:3], v2 offset:32
	v_cmp_ne_u32_e32 vcc, 3, v6
	v_or_b32_e32 v8, 8, v5
	s_nop 0
	v_addc_co_u32_e32 v4, vcc, 0, v4, vcc
	v_lshlrev_b32_e32 v6, 2, v4
	s_waitcnt lgkmcnt(0)
	ds_bpermute_b32 v4, v6, v2
	ds_bpermute_b32 v7, v6, v3
	v_mov_b32_e32 v6, 0
	v_mov_b32_e32 v5, v6
	s_waitcnt lgkmcnt(1)
	v_lshl_add_u64 v[2:3], v[2:3], 0, v[4:5]
	s_waitcnt lgkmcnt(0)
	v_lshl_add_u64 v[4:5], v[6:7], 0, v[2:3]
	ds_bpermute_b32 v2, v8, v2
	ds_bpermute_b32 v7, v8, v5
	v_mov_b32_e32 v3, v6
	s_waitcnt lgkmcnt(1)
	v_lshl_add_u64 v[2:3], v[4:5], 0, v[2:3]
	s_waitcnt lgkmcnt(0)
	v_lshl_add_u64 v[2:3], v[2:3], 0, v[6:7]
.LBB196_152:
	s_or_b64 exec, exec, s[4:5]
	s_branch .LBB196_165
.LBB196_153:
                                        ; implicit-def: $vgpr2_vgpr3
	s_cbranch_execz .LBB196_165
; %bb.154:
	s_sub_i32 s6, s38, s0
	v_cmp_gt_u32_e32 vcc, s6, v0
                                        ; implicit-def: $vgpr2_vgpr3
	s_and_saveexec_b64 s[4:5], vcc
	s_cbranch_execz .LBB196_156
; %bb.155:
	s_lshl_b64 s[0:1], s[0:1], 3
	s_add_u32 s0, s36, s0
	s_addc_u32 s1, s37, s1
	v_lshlrev_b32_e32 v2, 3, v0
	global_load_dwordx2 v[2:3], v2, s[0:1]
.LBB196_156:
	s_or_b64 exec, exec, s[4:5]
	v_mbcnt_hi_u32_b32 v1, -1, v1
	v_and_b32_e32 v9, 63, v1
	s_min_u32 s6, s6, 0x100
	v_and_b32_e32 v4, 0xc0, v0
	v_cmp_ne_u32_e32 vcc, 63, v9
	v_sub_u32_e64 v8, s6, v4 clamp
	v_mov_b32_e32 v6, 0
	v_addc_co_u32_e32 v4, vcc, 0, v1, vcc
	v_lshlrev_b32_e32 v5, 2, v4
	s_waitcnt vmcnt(0)
	ds_bpermute_b32 v4, v5, v2
	s_waitcnt lgkmcnt(1)
	ds_bpermute_b32 v7, v5, v3
	v_add_u32_e32 v10, 1, v9
	v_mov_b32_e32 v5, v6
	v_cmp_lt_u32_e64 s[0:1], v10, v8
	s_waitcnt lgkmcnt(1)
	v_lshl_add_u64 v[4:5], v[2:3], 0, v[4:5]
	v_cmp_gt_u32_e32 vcc, 62, v9
	s_waitcnt lgkmcnt(0)
	v_lshl_add_u64 v[6:7], v[6:7], 0, v[4:5]
	v_cndmask_b32_e64 v12, v2, v4, s[0:1]
	v_cndmask_b32_e64 v4, 0, 2, vcc
	v_cndmask_b32_e64 v5, v3, v7, s[0:1]
	v_add_lshl_u32 v4, v4, v1, 2
	ds_bpermute_b32 v10, v4, v12
	ds_bpermute_b32 v11, v4, v5
	v_cndmask_b32_e64 v4, v2, v6, s[0:1]
	v_add_u32_e32 v13, 2, v9
	v_cmp_lt_u32_e32 vcc, v13, v8
	v_cmp_gt_u32_e64 s[4:5], 60, v9
	s_waitcnt lgkmcnt(0)
	v_lshl_add_u64 v[6:7], v[10:11], 0, v[4:5]
	v_cndmask_b32_e32 v5, v5, v7, vcc
	v_cndmask_b32_e64 v7, 0, 4, s[4:5]
	v_cndmask_b32_e32 v12, v12, v6, vcc
	v_add_lshl_u32 v7, v7, v1, 2
	ds_bpermute_b32 v10, v7, v12
	ds_bpermute_b32 v11, v7, v5
	v_cndmask_b32_e32 v4, v4, v6, vcc
	v_add_u32_e32 v13, 4, v9
	v_cmp_lt_u32_e32 vcc, v13, v8
	v_cmp_gt_u32_e64 s[4:5], 56, v9
	s_waitcnt lgkmcnt(0)
	v_lshl_add_u64 v[6:7], v[10:11], 0, v[4:5]
	v_cndmask_b32_e32 v5, v5, v7, vcc
	v_cndmask_b32_e64 v7, 0, 8, s[4:5]
	v_cndmask_b32_e32 v12, v12, v6, vcc
	v_add_lshl_u32 v7, v7, v1, 2
	ds_bpermute_b32 v10, v7, v12
	ds_bpermute_b32 v11, v7, v5
	v_cndmask_b32_e32 v4, v4, v6, vcc
	;; [unrolled: 12-line block ×3, first 2 shown]
	v_add_u32_e32 v13, 16, v9
	v_cmp_lt_u32_e32 vcc, v13, v8
	s_waitcnt lgkmcnt(0)
	v_lshl_add_u64 v[6:7], v[10:11], 0, v[4:5]
	v_lshlrev_b32_e32 v10, 2, v1
	v_cndmask_b32_e32 v13, v5, v7, vcc
	v_cndmask_b32_e32 v11, v12, v6, vcc
	v_or_b32_e32 v12, 0x80, v10
	ds_bpermute_b32 v11, v12, v11
	ds_bpermute_b32 v12, v12, v13
	s_and_saveexec_b64 s[4:5], s[0:1]
	s_cbranch_execz .LBB196_158
; %bb.157:
	v_add_u32_e32 v9, 32, v9
	v_cndmask_b32_e32 v3, v5, v7, vcc
	v_cndmask_b32_e32 v2, v4, v6, vcc
	v_cmp_lt_u32_e32 vcc, v9, v8
	s_waitcnt lgkmcnt(0)
	s_nop 0
	v_cndmask_b32_e32 v5, 0, v12, vcc
	v_cndmask_b32_e32 v4, 0, v11, vcc
	v_lshl_add_u64 v[2:3], v[4:5], 0, v[2:3]
.LBB196_158:
	s_or_b64 exec, exec, s[4:5]
	v_cmp_eq_u32_e32 vcc, 0, v1
	s_and_saveexec_b64 s[0:1], vcc
; %bb.159:
	v_lshrrev_b32_e32 v4, 3, v0
	v_and_b32_e32 v4, 24, v4
	ds_write_b64 v4, v[2:3] offset:160
; %bb.160:
	s_or_b64 exec, exec, s[0:1]
	v_cmp_gt_u32_e32 vcc, 4, v0
	s_waitcnt lgkmcnt(0)
	s_barrier
	s_and_saveexec_b64 s[0:1], vcc
	s_cbranch_execz .LBB196_164
; %bb.161:
	v_lshlrev_b32_e32 v2, 3, v1
	ds_read_b64 v[2:3], v2 offset:160
	v_and_b32_e32 v6, 3, v1
	v_cmp_ne_u32_e32 vcc, 3, v6
	v_mov_b32_e32 v8, 0
	s_add_i32 s6, s6, 63
	v_addc_co_u32_e32 v1, vcc, 0, v1, vcc
	v_lshlrev_b32_e32 v1, 2, v1
	s_waitcnt lgkmcnt(0)
	ds_bpermute_b32 v4, v1, v2
	ds_bpermute_b32 v9, v1, v3
	v_mov_b32_e32 v5, v8
	s_lshr_b32 s6, s6, 6
	v_add_u32_e32 v1, 1, v6
	s_waitcnt lgkmcnt(1)
	v_lshl_add_u64 v[12:13], v[2:3], 0, v[4:5]
	s_waitcnt lgkmcnt(0)
	v_lshl_add_u64 v[4:5], v[8:9], 0, v[12:13]
	v_cmp_gt_u32_e32 vcc, s6, v1
	v_or_b32_e32 v8, 8, v10
	s_nop 0
	v_cndmask_b32_e32 v7, v3, v5, vcc
	v_cndmask_b32_e32 v1, v2, v12, vcc
	ds_bpermute_b32 v1, v8, v1
	ds_bpermute_b32 v7, v8, v7
	s_and_saveexec_b64 s[4:5], vcc
	s_cbranch_execz .LBB196_163
; %bb.162:
	v_add_u32_e32 v2, 2, v6
	v_cmp_gt_u32_e32 vcc, s6, v2
	s_waitcnt lgkmcnt(0)
	s_nop 0
	v_cndmask_b32_e32 v3, 0, v7, vcc
	v_cndmask_b32_e32 v2, 0, v1, vcc
	v_lshl_add_u64 v[2:3], v[2:3], 0, v[4:5]
.LBB196_163:
	s_or_b64 exec, exec, s[4:5]
.LBB196_164:
	s_or_b64 exec, exec, s[0:1]
.LBB196_165:
	v_cmp_eq_u32_e64 s[0:1], 0, v0
	v_mov_b64_e32 v[4:5], s[2:3]
.LBB196_166:
	s_and_saveexec_b64 s[2:3], s[0:1]
	s_cbranch_execz .LBB196_168
; %bb.167:
	s_cmp_lg_u64 s[38:39], 0
	s_cselect_b64 vcc, -1, 0
	s_waitcnt lgkmcnt(1)
	v_lshlrev_b64 v[0:1], 3, v[4:5]
	v_cndmask_b32_e32 v3, 0, v3, vcc
	v_cndmask_b32_e32 v2, 0, v2, vcc
	v_lshl_add_u64 v[0:1], s[40:41], 0, v[0:1]
	v_lshl_add_u64 v[2:3], v[2:3], 0, s[42:43]
	global_store_dwordx2 v[0:1], v[2:3], off
.LBB196_168:
	s_endpgm
	.section	.rodata,"a",@progbits
	.p2align	6, 0x0
	.amdhsa_kernel _ZN7rocprim17ROCPRIM_400000_NS6detail17trampoline_kernelINS0_14default_configENS1_22reduce_config_selectorIxEEZNS1_11reduce_implILb1ES3_PxS7_xN6thrust23THRUST_200600_302600_NS4plusIxEEEE10hipError_tPvRmT1_T2_T3_mT4_P12ihipStream_tbEUlT_E1_NS1_11comp_targetILNS1_3genE0ELNS1_11target_archE4294967295ELNS1_3gpuE0ELNS1_3repE0EEENS1_30default_config_static_selectorELNS0_4arch9wavefront6targetE1EEEvSF_
		.amdhsa_group_segment_fixed_size 192
		.amdhsa_private_segment_fixed_size 0
		.amdhsa_kernarg_size 48
		.amdhsa_user_sgpr_count 2
		.amdhsa_user_sgpr_dispatch_ptr 0
		.amdhsa_user_sgpr_queue_ptr 0
		.amdhsa_user_sgpr_kernarg_segment_ptr 1
		.amdhsa_user_sgpr_dispatch_id 0
		.amdhsa_user_sgpr_kernarg_preload_length 0
		.amdhsa_user_sgpr_kernarg_preload_offset 0
		.amdhsa_user_sgpr_private_segment_size 0
		.amdhsa_uses_dynamic_stack 0
		.amdhsa_enable_private_segment 0
		.amdhsa_system_sgpr_workgroup_id_x 1
		.amdhsa_system_sgpr_workgroup_id_y 0
		.amdhsa_system_sgpr_workgroup_id_z 0
		.amdhsa_system_sgpr_workgroup_info 0
		.amdhsa_system_vgpr_workitem_id 0
		.amdhsa_next_free_vgpr 48
		.amdhsa_next_free_sgpr 47
		.amdhsa_accum_offset 48
		.amdhsa_reserve_vcc 1
		.amdhsa_float_round_mode_32 0
		.amdhsa_float_round_mode_16_64 0
		.amdhsa_float_denorm_mode_32 3
		.amdhsa_float_denorm_mode_16_64 3
		.amdhsa_dx10_clamp 1
		.amdhsa_ieee_mode 1
		.amdhsa_fp16_overflow 0
		.amdhsa_tg_split 0
		.amdhsa_exception_fp_ieee_invalid_op 0
		.amdhsa_exception_fp_denorm_src 0
		.amdhsa_exception_fp_ieee_div_zero 0
		.amdhsa_exception_fp_ieee_overflow 0
		.amdhsa_exception_fp_ieee_underflow 0
		.amdhsa_exception_fp_ieee_inexact 0
		.amdhsa_exception_int_div_zero 0
	.end_amdhsa_kernel
	.section	.text._ZN7rocprim17ROCPRIM_400000_NS6detail17trampoline_kernelINS0_14default_configENS1_22reduce_config_selectorIxEEZNS1_11reduce_implILb1ES3_PxS7_xN6thrust23THRUST_200600_302600_NS4plusIxEEEE10hipError_tPvRmT1_T2_T3_mT4_P12ihipStream_tbEUlT_E1_NS1_11comp_targetILNS1_3genE0ELNS1_11target_archE4294967295ELNS1_3gpuE0ELNS1_3repE0EEENS1_30default_config_static_selectorELNS0_4arch9wavefront6targetE1EEEvSF_,"axG",@progbits,_ZN7rocprim17ROCPRIM_400000_NS6detail17trampoline_kernelINS0_14default_configENS1_22reduce_config_selectorIxEEZNS1_11reduce_implILb1ES3_PxS7_xN6thrust23THRUST_200600_302600_NS4plusIxEEEE10hipError_tPvRmT1_T2_T3_mT4_P12ihipStream_tbEUlT_E1_NS1_11comp_targetILNS1_3genE0ELNS1_11target_archE4294967295ELNS1_3gpuE0ELNS1_3repE0EEENS1_30default_config_static_selectorELNS0_4arch9wavefront6targetE1EEEvSF_,comdat
.Lfunc_end196:
	.size	_ZN7rocprim17ROCPRIM_400000_NS6detail17trampoline_kernelINS0_14default_configENS1_22reduce_config_selectorIxEEZNS1_11reduce_implILb1ES3_PxS7_xN6thrust23THRUST_200600_302600_NS4plusIxEEEE10hipError_tPvRmT1_T2_T3_mT4_P12ihipStream_tbEUlT_E1_NS1_11comp_targetILNS1_3genE0ELNS1_11target_archE4294967295ELNS1_3gpuE0ELNS1_3repE0EEENS1_30default_config_static_selectorELNS0_4arch9wavefront6targetE1EEEvSF_, .Lfunc_end196-_ZN7rocprim17ROCPRIM_400000_NS6detail17trampoline_kernelINS0_14default_configENS1_22reduce_config_selectorIxEEZNS1_11reduce_implILb1ES3_PxS7_xN6thrust23THRUST_200600_302600_NS4plusIxEEEE10hipError_tPvRmT1_T2_T3_mT4_P12ihipStream_tbEUlT_E1_NS1_11comp_targetILNS1_3genE0ELNS1_11target_archE4294967295ELNS1_3gpuE0ELNS1_3repE0EEENS1_30default_config_static_selectorELNS0_4arch9wavefront6targetE1EEEvSF_
                                        ; -- End function
	.set _ZN7rocprim17ROCPRIM_400000_NS6detail17trampoline_kernelINS0_14default_configENS1_22reduce_config_selectorIxEEZNS1_11reduce_implILb1ES3_PxS7_xN6thrust23THRUST_200600_302600_NS4plusIxEEEE10hipError_tPvRmT1_T2_T3_mT4_P12ihipStream_tbEUlT_E1_NS1_11comp_targetILNS1_3genE0ELNS1_11target_archE4294967295ELNS1_3gpuE0ELNS1_3repE0EEENS1_30default_config_static_selectorELNS0_4arch9wavefront6targetE1EEEvSF_.num_vgpr, 48
	.set _ZN7rocprim17ROCPRIM_400000_NS6detail17trampoline_kernelINS0_14default_configENS1_22reduce_config_selectorIxEEZNS1_11reduce_implILb1ES3_PxS7_xN6thrust23THRUST_200600_302600_NS4plusIxEEEE10hipError_tPvRmT1_T2_T3_mT4_P12ihipStream_tbEUlT_E1_NS1_11comp_targetILNS1_3genE0ELNS1_11target_archE4294967295ELNS1_3gpuE0ELNS1_3repE0EEENS1_30default_config_static_selectorELNS0_4arch9wavefront6targetE1EEEvSF_.num_agpr, 0
	.set _ZN7rocprim17ROCPRIM_400000_NS6detail17trampoline_kernelINS0_14default_configENS1_22reduce_config_selectorIxEEZNS1_11reduce_implILb1ES3_PxS7_xN6thrust23THRUST_200600_302600_NS4plusIxEEEE10hipError_tPvRmT1_T2_T3_mT4_P12ihipStream_tbEUlT_E1_NS1_11comp_targetILNS1_3genE0ELNS1_11target_archE4294967295ELNS1_3gpuE0ELNS1_3repE0EEENS1_30default_config_static_selectorELNS0_4arch9wavefront6targetE1EEEvSF_.numbered_sgpr, 47
	.set _ZN7rocprim17ROCPRIM_400000_NS6detail17trampoline_kernelINS0_14default_configENS1_22reduce_config_selectorIxEEZNS1_11reduce_implILb1ES3_PxS7_xN6thrust23THRUST_200600_302600_NS4plusIxEEEE10hipError_tPvRmT1_T2_T3_mT4_P12ihipStream_tbEUlT_E1_NS1_11comp_targetILNS1_3genE0ELNS1_11target_archE4294967295ELNS1_3gpuE0ELNS1_3repE0EEENS1_30default_config_static_selectorELNS0_4arch9wavefront6targetE1EEEvSF_.num_named_barrier, 0
	.set _ZN7rocprim17ROCPRIM_400000_NS6detail17trampoline_kernelINS0_14default_configENS1_22reduce_config_selectorIxEEZNS1_11reduce_implILb1ES3_PxS7_xN6thrust23THRUST_200600_302600_NS4plusIxEEEE10hipError_tPvRmT1_T2_T3_mT4_P12ihipStream_tbEUlT_E1_NS1_11comp_targetILNS1_3genE0ELNS1_11target_archE4294967295ELNS1_3gpuE0ELNS1_3repE0EEENS1_30default_config_static_selectorELNS0_4arch9wavefront6targetE1EEEvSF_.private_seg_size, 0
	.set _ZN7rocprim17ROCPRIM_400000_NS6detail17trampoline_kernelINS0_14default_configENS1_22reduce_config_selectorIxEEZNS1_11reduce_implILb1ES3_PxS7_xN6thrust23THRUST_200600_302600_NS4plusIxEEEE10hipError_tPvRmT1_T2_T3_mT4_P12ihipStream_tbEUlT_E1_NS1_11comp_targetILNS1_3genE0ELNS1_11target_archE4294967295ELNS1_3gpuE0ELNS1_3repE0EEENS1_30default_config_static_selectorELNS0_4arch9wavefront6targetE1EEEvSF_.uses_vcc, 1
	.set _ZN7rocprim17ROCPRIM_400000_NS6detail17trampoline_kernelINS0_14default_configENS1_22reduce_config_selectorIxEEZNS1_11reduce_implILb1ES3_PxS7_xN6thrust23THRUST_200600_302600_NS4plusIxEEEE10hipError_tPvRmT1_T2_T3_mT4_P12ihipStream_tbEUlT_E1_NS1_11comp_targetILNS1_3genE0ELNS1_11target_archE4294967295ELNS1_3gpuE0ELNS1_3repE0EEENS1_30default_config_static_selectorELNS0_4arch9wavefront6targetE1EEEvSF_.uses_flat_scratch, 0
	.set _ZN7rocprim17ROCPRIM_400000_NS6detail17trampoline_kernelINS0_14default_configENS1_22reduce_config_selectorIxEEZNS1_11reduce_implILb1ES3_PxS7_xN6thrust23THRUST_200600_302600_NS4plusIxEEEE10hipError_tPvRmT1_T2_T3_mT4_P12ihipStream_tbEUlT_E1_NS1_11comp_targetILNS1_3genE0ELNS1_11target_archE4294967295ELNS1_3gpuE0ELNS1_3repE0EEENS1_30default_config_static_selectorELNS0_4arch9wavefront6targetE1EEEvSF_.has_dyn_sized_stack, 0
	.set _ZN7rocprim17ROCPRIM_400000_NS6detail17trampoline_kernelINS0_14default_configENS1_22reduce_config_selectorIxEEZNS1_11reduce_implILb1ES3_PxS7_xN6thrust23THRUST_200600_302600_NS4plusIxEEEE10hipError_tPvRmT1_T2_T3_mT4_P12ihipStream_tbEUlT_E1_NS1_11comp_targetILNS1_3genE0ELNS1_11target_archE4294967295ELNS1_3gpuE0ELNS1_3repE0EEENS1_30default_config_static_selectorELNS0_4arch9wavefront6targetE1EEEvSF_.has_recursion, 0
	.set _ZN7rocprim17ROCPRIM_400000_NS6detail17trampoline_kernelINS0_14default_configENS1_22reduce_config_selectorIxEEZNS1_11reduce_implILb1ES3_PxS7_xN6thrust23THRUST_200600_302600_NS4plusIxEEEE10hipError_tPvRmT1_T2_T3_mT4_P12ihipStream_tbEUlT_E1_NS1_11comp_targetILNS1_3genE0ELNS1_11target_archE4294967295ELNS1_3gpuE0ELNS1_3repE0EEENS1_30default_config_static_selectorELNS0_4arch9wavefront6targetE1EEEvSF_.has_indirect_call, 0
	.section	.AMDGPU.csdata,"",@progbits
; Kernel info:
; codeLenInByte = 9732
; TotalNumSgprs: 53
; NumVgprs: 48
; NumAgprs: 0
; TotalNumVgprs: 48
; ScratchSize: 0
; MemoryBound: 0
; FloatMode: 240
; IeeeMode: 1
; LDSByteSize: 192 bytes/workgroup (compile time only)
; SGPRBlocks: 6
; VGPRBlocks: 5
; NumSGPRsForWavesPerEU: 53
; NumVGPRsForWavesPerEU: 48
; AccumOffset: 48
; Occupancy: 8
; WaveLimiterHint : 1
; COMPUTE_PGM_RSRC2:SCRATCH_EN: 0
; COMPUTE_PGM_RSRC2:USER_SGPR: 2
; COMPUTE_PGM_RSRC2:TRAP_HANDLER: 0
; COMPUTE_PGM_RSRC2:TGID_X_EN: 1
; COMPUTE_PGM_RSRC2:TGID_Y_EN: 0
; COMPUTE_PGM_RSRC2:TGID_Z_EN: 0
; COMPUTE_PGM_RSRC2:TIDIG_COMP_CNT: 0
; COMPUTE_PGM_RSRC3_GFX90A:ACCUM_OFFSET: 11
; COMPUTE_PGM_RSRC3_GFX90A:TG_SPLIT: 0
	.section	.text._ZN7rocprim17ROCPRIM_400000_NS6detail17trampoline_kernelINS0_14default_configENS1_22reduce_config_selectorIxEEZNS1_11reduce_implILb1ES3_PxS7_xN6thrust23THRUST_200600_302600_NS4plusIxEEEE10hipError_tPvRmT1_T2_T3_mT4_P12ihipStream_tbEUlT_E1_NS1_11comp_targetILNS1_3genE5ELNS1_11target_archE942ELNS1_3gpuE9ELNS1_3repE0EEENS1_30default_config_static_selectorELNS0_4arch9wavefront6targetE1EEEvSF_,"axG",@progbits,_ZN7rocprim17ROCPRIM_400000_NS6detail17trampoline_kernelINS0_14default_configENS1_22reduce_config_selectorIxEEZNS1_11reduce_implILb1ES3_PxS7_xN6thrust23THRUST_200600_302600_NS4plusIxEEEE10hipError_tPvRmT1_T2_T3_mT4_P12ihipStream_tbEUlT_E1_NS1_11comp_targetILNS1_3genE5ELNS1_11target_archE942ELNS1_3gpuE9ELNS1_3repE0EEENS1_30default_config_static_selectorELNS0_4arch9wavefront6targetE1EEEvSF_,comdat
	.protected	_ZN7rocprim17ROCPRIM_400000_NS6detail17trampoline_kernelINS0_14default_configENS1_22reduce_config_selectorIxEEZNS1_11reduce_implILb1ES3_PxS7_xN6thrust23THRUST_200600_302600_NS4plusIxEEEE10hipError_tPvRmT1_T2_T3_mT4_P12ihipStream_tbEUlT_E1_NS1_11comp_targetILNS1_3genE5ELNS1_11target_archE942ELNS1_3gpuE9ELNS1_3repE0EEENS1_30default_config_static_selectorELNS0_4arch9wavefront6targetE1EEEvSF_ ; -- Begin function _ZN7rocprim17ROCPRIM_400000_NS6detail17trampoline_kernelINS0_14default_configENS1_22reduce_config_selectorIxEEZNS1_11reduce_implILb1ES3_PxS7_xN6thrust23THRUST_200600_302600_NS4plusIxEEEE10hipError_tPvRmT1_T2_T3_mT4_P12ihipStream_tbEUlT_E1_NS1_11comp_targetILNS1_3genE5ELNS1_11target_archE942ELNS1_3gpuE9ELNS1_3repE0EEENS1_30default_config_static_selectorELNS0_4arch9wavefront6targetE1EEEvSF_
	.globl	_ZN7rocprim17ROCPRIM_400000_NS6detail17trampoline_kernelINS0_14default_configENS1_22reduce_config_selectorIxEEZNS1_11reduce_implILb1ES3_PxS7_xN6thrust23THRUST_200600_302600_NS4plusIxEEEE10hipError_tPvRmT1_T2_T3_mT4_P12ihipStream_tbEUlT_E1_NS1_11comp_targetILNS1_3genE5ELNS1_11target_archE942ELNS1_3gpuE9ELNS1_3repE0EEENS1_30default_config_static_selectorELNS0_4arch9wavefront6targetE1EEEvSF_
	.p2align	8
	.type	_ZN7rocprim17ROCPRIM_400000_NS6detail17trampoline_kernelINS0_14default_configENS1_22reduce_config_selectorIxEEZNS1_11reduce_implILb1ES3_PxS7_xN6thrust23THRUST_200600_302600_NS4plusIxEEEE10hipError_tPvRmT1_T2_T3_mT4_P12ihipStream_tbEUlT_E1_NS1_11comp_targetILNS1_3genE5ELNS1_11target_archE942ELNS1_3gpuE9ELNS1_3repE0EEENS1_30default_config_static_selectorELNS0_4arch9wavefront6targetE1EEEvSF_,@function
_ZN7rocprim17ROCPRIM_400000_NS6detail17trampoline_kernelINS0_14default_configENS1_22reduce_config_selectorIxEEZNS1_11reduce_implILb1ES3_PxS7_xN6thrust23THRUST_200600_302600_NS4plusIxEEEE10hipError_tPvRmT1_T2_T3_mT4_P12ihipStream_tbEUlT_E1_NS1_11comp_targetILNS1_3genE5ELNS1_11target_archE942ELNS1_3gpuE9ELNS1_3repE0EEENS1_30default_config_static_selectorELNS0_4arch9wavefront6targetE1EEEvSF_: ; @_ZN7rocprim17ROCPRIM_400000_NS6detail17trampoline_kernelINS0_14default_configENS1_22reduce_config_selectorIxEEZNS1_11reduce_implILb1ES3_PxS7_xN6thrust23THRUST_200600_302600_NS4plusIxEEEE10hipError_tPvRmT1_T2_T3_mT4_P12ihipStream_tbEUlT_E1_NS1_11comp_targetILNS1_3genE5ELNS1_11target_archE942ELNS1_3gpuE9ELNS1_3repE0EEENS1_30default_config_static_selectorELNS0_4arch9wavefront6targetE1EEEvSF_
; %bb.0:
	.section	.rodata,"a",@progbits
	.p2align	6, 0x0
	.amdhsa_kernel _ZN7rocprim17ROCPRIM_400000_NS6detail17trampoline_kernelINS0_14default_configENS1_22reduce_config_selectorIxEEZNS1_11reduce_implILb1ES3_PxS7_xN6thrust23THRUST_200600_302600_NS4plusIxEEEE10hipError_tPvRmT1_T2_T3_mT4_P12ihipStream_tbEUlT_E1_NS1_11comp_targetILNS1_3genE5ELNS1_11target_archE942ELNS1_3gpuE9ELNS1_3repE0EEENS1_30default_config_static_selectorELNS0_4arch9wavefront6targetE1EEEvSF_
		.amdhsa_group_segment_fixed_size 0
		.amdhsa_private_segment_fixed_size 0
		.amdhsa_kernarg_size 48
		.amdhsa_user_sgpr_count 2
		.amdhsa_user_sgpr_dispatch_ptr 0
		.amdhsa_user_sgpr_queue_ptr 0
		.amdhsa_user_sgpr_kernarg_segment_ptr 1
		.amdhsa_user_sgpr_dispatch_id 0
		.amdhsa_user_sgpr_kernarg_preload_length 0
		.amdhsa_user_sgpr_kernarg_preload_offset 0
		.amdhsa_user_sgpr_private_segment_size 0
		.amdhsa_uses_dynamic_stack 0
		.amdhsa_enable_private_segment 0
		.amdhsa_system_sgpr_workgroup_id_x 1
		.amdhsa_system_sgpr_workgroup_id_y 0
		.amdhsa_system_sgpr_workgroup_id_z 0
		.amdhsa_system_sgpr_workgroup_info 0
		.amdhsa_system_vgpr_workitem_id 0
		.amdhsa_next_free_vgpr 1
		.amdhsa_next_free_sgpr 0
		.amdhsa_accum_offset 4
		.amdhsa_reserve_vcc 0
		.amdhsa_float_round_mode_32 0
		.amdhsa_float_round_mode_16_64 0
		.amdhsa_float_denorm_mode_32 3
		.amdhsa_float_denorm_mode_16_64 3
		.amdhsa_dx10_clamp 1
		.amdhsa_ieee_mode 1
		.amdhsa_fp16_overflow 0
		.amdhsa_tg_split 0
		.amdhsa_exception_fp_ieee_invalid_op 0
		.amdhsa_exception_fp_denorm_src 0
		.amdhsa_exception_fp_ieee_div_zero 0
		.amdhsa_exception_fp_ieee_overflow 0
		.amdhsa_exception_fp_ieee_underflow 0
		.amdhsa_exception_fp_ieee_inexact 0
		.amdhsa_exception_int_div_zero 0
	.end_amdhsa_kernel
	.section	.text._ZN7rocprim17ROCPRIM_400000_NS6detail17trampoline_kernelINS0_14default_configENS1_22reduce_config_selectorIxEEZNS1_11reduce_implILb1ES3_PxS7_xN6thrust23THRUST_200600_302600_NS4plusIxEEEE10hipError_tPvRmT1_T2_T3_mT4_P12ihipStream_tbEUlT_E1_NS1_11comp_targetILNS1_3genE5ELNS1_11target_archE942ELNS1_3gpuE9ELNS1_3repE0EEENS1_30default_config_static_selectorELNS0_4arch9wavefront6targetE1EEEvSF_,"axG",@progbits,_ZN7rocprim17ROCPRIM_400000_NS6detail17trampoline_kernelINS0_14default_configENS1_22reduce_config_selectorIxEEZNS1_11reduce_implILb1ES3_PxS7_xN6thrust23THRUST_200600_302600_NS4plusIxEEEE10hipError_tPvRmT1_T2_T3_mT4_P12ihipStream_tbEUlT_E1_NS1_11comp_targetILNS1_3genE5ELNS1_11target_archE942ELNS1_3gpuE9ELNS1_3repE0EEENS1_30default_config_static_selectorELNS0_4arch9wavefront6targetE1EEEvSF_,comdat
.Lfunc_end197:
	.size	_ZN7rocprim17ROCPRIM_400000_NS6detail17trampoline_kernelINS0_14default_configENS1_22reduce_config_selectorIxEEZNS1_11reduce_implILb1ES3_PxS7_xN6thrust23THRUST_200600_302600_NS4plusIxEEEE10hipError_tPvRmT1_T2_T3_mT4_P12ihipStream_tbEUlT_E1_NS1_11comp_targetILNS1_3genE5ELNS1_11target_archE942ELNS1_3gpuE9ELNS1_3repE0EEENS1_30default_config_static_selectorELNS0_4arch9wavefront6targetE1EEEvSF_, .Lfunc_end197-_ZN7rocprim17ROCPRIM_400000_NS6detail17trampoline_kernelINS0_14default_configENS1_22reduce_config_selectorIxEEZNS1_11reduce_implILb1ES3_PxS7_xN6thrust23THRUST_200600_302600_NS4plusIxEEEE10hipError_tPvRmT1_T2_T3_mT4_P12ihipStream_tbEUlT_E1_NS1_11comp_targetILNS1_3genE5ELNS1_11target_archE942ELNS1_3gpuE9ELNS1_3repE0EEENS1_30default_config_static_selectorELNS0_4arch9wavefront6targetE1EEEvSF_
                                        ; -- End function
	.set _ZN7rocprim17ROCPRIM_400000_NS6detail17trampoline_kernelINS0_14default_configENS1_22reduce_config_selectorIxEEZNS1_11reduce_implILb1ES3_PxS7_xN6thrust23THRUST_200600_302600_NS4plusIxEEEE10hipError_tPvRmT1_T2_T3_mT4_P12ihipStream_tbEUlT_E1_NS1_11comp_targetILNS1_3genE5ELNS1_11target_archE942ELNS1_3gpuE9ELNS1_3repE0EEENS1_30default_config_static_selectorELNS0_4arch9wavefront6targetE1EEEvSF_.num_vgpr, 0
	.set _ZN7rocprim17ROCPRIM_400000_NS6detail17trampoline_kernelINS0_14default_configENS1_22reduce_config_selectorIxEEZNS1_11reduce_implILb1ES3_PxS7_xN6thrust23THRUST_200600_302600_NS4plusIxEEEE10hipError_tPvRmT1_T2_T3_mT4_P12ihipStream_tbEUlT_E1_NS1_11comp_targetILNS1_3genE5ELNS1_11target_archE942ELNS1_3gpuE9ELNS1_3repE0EEENS1_30default_config_static_selectorELNS0_4arch9wavefront6targetE1EEEvSF_.num_agpr, 0
	.set _ZN7rocprim17ROCPRIM_400000_NS6detail17trampoline_kernelINS0_14default_configENS1_22reduce_config_selectorIxEEZNS1_11reduce_implILb1ES3_PxS7_xN6thrust23THRUST_200600_302600_NS4plusIxEEEE10hipError_tPvRmT1_T2_T3_mT4_P12ihipStream_tbEUlT_E1_NS1_11comp_targetILNS1_3genE5ELNS1_11target_archE942ELNS1_3gpuE9ELNS1_3repE0EEENS1_30default_config_static_selectorELNS0_4arch9wavefront6targetE1EEEvSF_.numbered_sgpr, 0
	.set _ZN7rocprim17ROCPRIM_400000_NS6detail17trampoline_kernelINS0_14default_configENS1_22reduce_config_selectorIxEEZNS1_11reduce_implILb1ES3_PxS7_xN6thrust23THRUST_200600_302600_NS4plusIxEEEE10hipError_tPvRmT1_T2_T3_mT4_P12ihipStream_tbEUlT_E1_NS1_11comp_targetILNS1_3genE5ELNS1_11target_archE942ELNS1_3gpuE9ELNS1_3repE0EEENS1_30default_config_static_selectorELNS0_4arch9wavefront6targetE1EEEvSF_.num_named_barrier, 0
	.set _ZN7rocprim17ROCPRIM_400000_NS6detail17trampoline_kernelINS0_14default_configENS1_22reduce_config_selectorIxEEZNS1_11reduce_implILb1ES3_PxS7_xN6thrust23THRUST_200600_302600_NS4plusIxEEEE10hipError_tPvRmT1_T2_T3_mT4_P12ihipStream_tbEUlT_E1_NS1_11comp_targetILNS1_3genE5ELNS1_11target_archE942ELNS1_3gpuE9ELNS1_3repE0EEENS1_30default_config_static_selectorELNS0_4arch9wavefront6targetE1EEEvSF_.private_seg_size, 0
	.set _ZN7rocprim17ROCPRIM_400000_NS6detail17trampoline_kernelINS0_14default_configENS1_22reduce_config_selectorIxEEZNS1_11reduce_implILb1ES3_PxS7_xN6thrust23THRUST_200600_302600_NS4plusIxEEEE10hipError_tPvRmT1_T2_T3_mT4_P12ihipStream_tbEUlT_E1_NS1_11comp_targetILNS1_3genE5ELNS1_11target_archE942ELNS1_3gpuE9ELNS1_3repE0EEENS1_30default_config_static_selectorELNS0_4arch9wavefront6targetE1EEEvSF_.uses_vcc, 0
	.set _ZN7rocprim17ROCPRIM_400000_NS6detail17trampoline_kernelINS0_14default_configENS1_22reduce_config_selectorIxEEZNS1_11reduce_implILb1ES3_PxS7_xN6thrust23THRUST_200600_302600_NS4plusIxEEEE10hipError_tPvRmT1_T2_T3_mT4_P12ihipStream_tbEUlT_E1_NS1_11comp_targetILNS1_3genE5ELNS1_11target_archE942ELNS1_3gpuE9ELNS1_3repE0EEENS1_30default_config_static_selectorELNS0_4arch9wavefront6targetE1EEEvSF_.uses_flat_scratch, 0
	.set _ZN7rocprim17ROCPRIM_400000_NS6detail17trampoline_kernelINS0_14default_configENS1_22reduce_config_selectorIxEEZNS1_11reduce_implILb1ES3_PxS7_xN6thrust23THRUST_200600_302600_NS4plusIxEEEE10hipError_tPvRmT1_T2_T3_mT4_P12ihipStream_tbEUlT_E1_NS1_11comp_targetILNS1_3genE5ELNS1_11target_archE942ELNS1_3gpuE9ELNS1_3repE0EEENS1_30default_config_static_selectorELNS0_4arch9wavefront6targetE1EEEvSF_.has_dyn_sized_stack, 0
	.set _ZN7rocprim17ROCPRIM_400000_NS6detail17trampoline_kernelINS0_14default_configENS1_22reduce_config_selectorIxEEZNS1_11reduce_implILb1ES3_PxS7_xN6thrust23THRUST_200600_302600_NS4plusIxEEEE10hipError_tPvRmT1_T2_T3_mT4_P12ihipStream_tbEUlT_E1_NS1_11comp_targetILNS1_3genE5ELNS1_11target_archE942ELNS1_3gpuE9ELNS1_3repE0EEENS1_30default_config_static_selectorELNS0_4arch9wavefront6targetE1EEEvSF_.has_recursion, 0
	.set _ZN7rocprim17ROCPRIM_400000_NS6detail17trampoline_kernelINS0_14default_configENS1_22reduce_config_selectorIxEEZNS1_11reduce_implILb1ES3_PxS7_xN6thrust23THRUST_200600_302600_NS4plusIxEEEE10hipError_tPvRmT1_T2_T3_mT4_P12ihipStream_tbEUlT_E1_NS1_11comp_targetILNS1_3genE5ELNS1_11target_archE942ELNS1_3gpuE9ELNS1_3repE0EEENS1_30default_config_static_selectorELNS0_4arch9wavefront6targetE1EEEvSF_.has_indirect_call, 0
	.section	.AMDGPU.csdata,"",@progbits
; Kernel info:
; codeLenInByte = 0
; TotalNumSgprs: 6
; NumVgprs: 0
; NumAgprs: 0
; TotalNumVgprs: 0
; ScratchSize: 0
; MemoryBound: 0
; FloatMode: 240
; IeeeMode: 1
; LDSByteSize: 0 bytes/workgroup (compile time only)
; SGPRBlocks: 0
; VGPRBlocks: 0
; NumSGPRsForWavesPerEU: 6
; NumVGPRsForWavesPerEU: 1
; AccumOffset: 4
; Occupancy: 8
; WaveLimiterHint : 0
; COMPUTE_PGM_RSRC2:SCRATCH_EN: 0
; COMPUTE_PGM_RSRC2:USER_SGPR: 2
; COMPUTE_PGM_RSRC2:TRAP_HANDLER: 0
; COMPUTE_PGM_RSRC2:TGID_X_EN: 1
; COMPUTE_PGM_RSRC2:TGID_Y_EN: 0
; COMPUTE_PGM_RSRC2:TGID_Z_EN: 0
; COMPUTE_PGM_RSRC2:TIDIG_COMP_CNT: 0
; COMPUTE_PGM_RSRC3_GFX90A:ACCUM_OFFSET: 0
; COMPUTE_PGM_RSRC3_GFX90A:TG_SPLIT: 0
	.section	.text._ZN7rocprim17ROCPRIM_400000_NS6detail17trampoline_kernelINS0_14default_configENS1_22reduce_config_selectorIxEEZNS1_11reduce_implILb1ES3_PxS7_xN6thrust23THRUST_200600_302600_NS4plusIxEEEE10hipError_tPvRmT1_T2_T3_mT4_P12ihipStream_tbEUlT_E1_NS1_11comp_targetILNS1_3genE4ELNS1_11target_archE910ELNS1_3gpuE8ELNS1_3repE0EEENS1_30default_config_static_selectorELNS0_4arch9wavefront6targetE1EEEvSF_,"axG",@progbits,_ZN7rocprim17ROCPRIM_400000_NS6detail17trampoline_kernelINS0_14default_configENS1_22reduce_config_selectorIxEEZNS1_11reduce_implILb1ES3_PxS7_xN6thrust23THRUST_200600_302600_NS4plusIxEEEE10hipError_tPvRmT1_T2_T3_mT4_P12ihipStream_tbEUlT_E1_NS1_11comp_targetILNS1_3genE4ELNS1_11target_archE910ELNS1_3gpuE8ELNS1_3repE0EEENS1_30default_config_static_selectorELNS0_4arch9wavefront6targetE1EEEvSF_,comdat
	.protected	_ZN7rocprim17ROCPRIM_400000_NS6detail17trampoline_kernelINS0_14default_configENS1_22reduce_config_selectorIxEEZNS1_11reduce_implILb1ES3_PxS7_xN6thrust23THRUST_200600_302600_NS4plusIxEEEE10hipError_tPvRmT1_T2_T3_mT4_P12ihipStream_tbEUlT_E1_NS1_11comp_targetILNS1_3genE4ELNS1_11target_archE910ELNS1_3gpuE8ELNS1_3repE0EEENS1_30default_config_static_selectorELNS0_4arch9wavefront6targetE1EEEvSF_ ; -- Begin function _ZN7rocprim17ROCPRIM_400000_NS6detail17trampoline_kernelINS0_14default_configENS1_22reduce_config_selectorIxEEZNS1_11reduce_implILb1ES3_PxS7_xN6thrust23THRUST_200600_302600_NS4plusIxEEEE10hipError_tPvRmT1_T2_T3_mT4_P12ihipStream_tbEUlT_E1_NS1_11comp_targetILNS1_3genE4ELNS1_11target_archE910ELNS1_3gpuE8ELNS1_3repE0EEENS1_30default_config_static_selectorELNS0_4arch9wavefront6targetE1EEEvSF_
	.globl	_ZN7rocprim17ROCPRIM_400000_NS6detail17trampoline_kernelINS0_14default_configENS1_22reduce_config_selectorIxEEZNS1_11reduce_implILb1ES3_PxS7_xN6thrust23THRUST_200600_302600_NS4plusIxEEEE10hipError_tPvRmT1_T2_T3_mT4_P12ihipStream_tbEUlT_E1_NS1_11comp_targetILNS1_3genE4ELNS1_11target_archE910ELNS1_3gpuE8ELNS1_3repE0EEENS1_30default_config_static_selectorELNS0_4arch9wavefront6targetE1EEEvSF_
	.p2align	8
	.type	_ZN7rocprim17ROCPRIM_400000_NS6detail17trampoline_kernelINS0_14default_configENS1_22reduce_config_selectorIxEEZNS1_11reduce_implILb1ES3_PxS7_xN6thrust23THRUST_200600_302600_NS4plusIxEEEE10hipError_tPvRmT1_T2_T3_mT4_P12ihipStream_tbEUlT_E1_NS1_11comp_targetILNS1_3genE4ELNS1_11target_archE910ELNS1_3gpuE8ELNS1_3repE0EEENS1_30default_config_static_selectorELNS0_4arch9wavefront6targetE1EEEvSF_,@function
_ZN7rocprim17ROCPRIM_400000_NS6detail17trampoline_kernelINS0_14default_configENS1_22reduce_config_selectorIxEEZNS1_11reduce_implILb1ES3_PxS7_xN6thrust23THRUST_200600_302600_NS4plusIxEEEE10hipError_tPvRmT1_T2_T3_mT4_P12ihipStream_tbEUlT_E1_NS1_11comp_targetILNS1_3genE4ELNS1_11target_archE910ELNS1_3gpuE8ELNS1_3repE0EEENS1_30default_config_static_selectorELNS0_4arch9wavefront6targetE1EEEvSF_: ; @_ZN7rocprim17ROCPRIM_400000_NS6detail17trampoline_kernelINS0_14default_configENS1_22reduce_config_selectorIxEEZNS1_11reduce_implILb1ES3_PxS7_xN6thrust23THRUST_200600_302600_NS4plusIxEEEE10hipError_tPvRmT1_T2_T3_mT4_P12ihipStream_tbEUlT_E1_NS1_11comp_targetILNS1_3genE4ELNS1_11target_archE910ELNS1_3gpuE8ELNS1_3repE0EEENS1_30default_config_static_selectorELNS0_4arch9wavefront6targetE1EEEvSF_
; %bb.0:
	.section	.rodata,"a",@progbits
	.p2align	6, 0x0
	.amdhsa_kernel _ZN7rocprim17ROCPRIM_400000_NS6detail17trampoline_kernelINS0_14default_configENS1_22reduce_config_selectorIxEEZNS1_11reduce_implILb1ES3_PxS7_xN6thrust23THRUST_200600_302600_NS4plusIxEEEE10hipError_tPvRmT1_T2_T3_mT4_P12ihipStream_tbEUlT_E1_NS1_11comp_targetILNS1_3genE4ELNS1_11target_archE910ELNS1_3gpuE8ELNS1_3repE0EEENS1_30default_config_static_selectorELNS0_4arch9wavefront6targetE1EEEvSF_
		.amdhsa_group_segment_fixed_size 0
		.amdhsa_private_segment_fixed_size 0
		.amdhsa_kernarg_size 48
		.amdhsa_user_sgpr_count 2
		.amdhsa_user_sgpr_dispatch_ptr 0
		.amdhsa_user_sgpr_queue_ptr 0
		.amdhsa_user_sgpr_kernarg_segment_ptr 1
		.amdhsa_user_sgpr_dispatch_id 0
		.amdhsa_user_sgpr_kernarg_preload_length 0
		.amdhsa_user_sgpr_kernarg_preload_offset 0
		.amdhsa_user_sgpr_private_segment_size 0
		.amdhsa_uses_dynamic_stack 0
		.amdhsa_enable_private_segment 0
		.amdhsa_system_sgpr_workgroup_id_x 1
		.amdhsa_system_sgpr_workgroup_id_y 0
		.amdhsa_system_sgpr_workgroup_id_z 0
		.amdhsa_system_sgpr_workgroup_info 0
		.amdhsa_system_vgpr_workitem_id 0
		.amdhsa_next_free_vgpr 1
		.amdhsa_next_free_sgpr 0
		.amdhsa_accum_offset 4
		.amdhsa_reserve_vcc 0
		.amdhsa_float_round_mode_32 0
		.amdhsa_float_round_mode_16_64 0
		.amdhsa_float_denorm_mode_32 3
		.amdhsa_float_denorm_mode_16_64 3
		.amdhsa_dx10_clamp 1
		.amdhsa_ieee_mode 1
		.amdhsa_fp16_overflow 0
		.amdhsa_tg_split 0
		.amdhsa_exception_fp_ieee_invalid_op 0
		.amdhsa_exception_fp_denorm_src 0
		.amdhsa_exception_fp_ieee_div_zero 0
		.amdhsa_exception_fp_ieee_overflow 0
		.amdhsa_exception_fp_ieee_underflow 0
		.amdhsa_exception_fp_ieee_inexact 0
		.amdhsa_exception_int_div_zero 0
	.end_amdhsa_kernel
	.section	.text._ZN7rocprim17ROCPRIM_400000_NS6detail17trampoline_kernelINS0_14default_configENS1_22reduce_config_selectorIxEEZNS1_11reduce_implILb1ES3_PxS7_xN6thrust23THRUST_200600_302600_NS4plusIxEEEE10hipError_tPvRmT1_T2_T3_mT4_P12ihipStream_tbEUlT_E1_NS1_11comp_targetILNS1_3genE4ELNS1_11target_archE910ELNS1_3gpuE8ELNS1_3repE0EEENS1_30default_config_static_selectorELNS0_4arch9wavefront6targetE1EEEvSF_,"axG",@progbits,_ZN7rocprim17ROCPRIM_400000_NS6detail17trampoline_kernelINS0_14default_configENS1_22reduce_config_selectorIxEEZNS1_11reduce_implILb1ES3_PxS7_xN6thrust23THRUST_200600_302600_NS4plusIxEEEE10hipError_tPvRmT1_T2_T3_mT4_P12ihipStream_tbEUlT_E1_NS1_11comp_targetILNS1_3genE4ELNS1_11target_archE910ELNS1_3gpuE8ELNS1_3repE0EEENS1_30default_config_static_selectorELNS0_4arch9wavefront6targetE1EEEvSF_,comdat
.Lfunc_end198:
	.size	_ZN7rocprim17ROCPRIM_400000_NS6detail17trampoline_kernelINS0_14default_configENS1_22reduce_config_selectorIxEEZNS1_11reduce_implILb1ES3_PxS7_xN6thrust23THRUST_200600_302600_NS4plusIxEEEE10hipError_tPvRmT1_T2_T3_mT4_P12ihipStream_tbEUlT_E1_NS1_11comp_targetILNS1_3genE4ELNS1_11target_archE910ELNS1_3gpuE8ELNS1_3repE0EEENS1_30default_config_static_selectorELNS0_4arch9wavefront6targetE1EEEvSF_, .Lfunc_end198-_ZN7rocprim17ROCPRIM_400000_NS6detail17trampoline_kernelINS0_14default_configENS1_22reduce_config_selectorIxEEZNS1_11reduce_implILb1ES3_PxS7_xN6thrust23THRUST_200600_302600_NS4plusIxEEEE10hipError_tPvRmT1_T2_T3_mT4_P12ihipStream_tbEUlT_E1_NS1_11comp_targetILNS1_3genE4ELNS1_11target_archE910ELNS1_3gpuE8ELNS1_3repE0EEENS1_30default_config_static_selectorELNS0_4arch9wavefront6targetE1EEEvSF_
                                        ; -- End function
	.set _ZN7rocprim17ROCPRIM_400000_NS6detail17trampoline_kernelINS0_14default_configENS1_22reduce_config_selectorIxEEZNS1_11reduce_implILb1ES3_PxS7_xN6thrust23THRUST_200600_302600_NS4plusIxEEEE10hipError_tPvRmT1_T2_T3_mT4_P12ihipStream_tbEUlT_E1_NS1_11comp_targetILNS1_3genE4ELNS1_11target_archE910ELNS1_3gpuE8ELNS1_3repE0EEENS1_30default_config_static_selectorELNS0_4arch9wavefront6targetE1EEEvSF_.num_vgpr, 0
	.set _ZN7rocprim17ROCPRIM_400000_NS6detail17trampoline_kernelINS0_14default_configENS1_22reduce_config_selectorIxEEZNS1_11reduce_implILb1ES3_PxS7_xN6thrust23THRUST_200600_302600_NS4plusIxEEEE10hipError_tPvRmT1_T2_T3_mT4_P12ihipStream_tbEUlT_E1_NS1_11comp_targetILNS1_3genE4ELNS1_11target_archE910ELNS1_3gpuE8ELNS1_3repE0EEENS1_30default_config_static_selectorELNS0_4arch9wavefront6targetE1EEEvSF_.num_agpr, 0
	.set _ZN7rocprim17ROCPRIM_400000_NS6detail17trampoline_kernelINS0_14default_configENS1_22reduce_config_selectorIxEEZNS1_11reduce_implILb1ES3_PxS7_xN6thrust23THRUST_200600_302600_NS4plusIxEEEE10hipError_tPvRmT1_T2_T3_mT4_P12ihipStream_tbEUlT_E1_NS1_11comp_targetILNS1_3genE4ELNS1_11target_archE910ELNS1_3gpuE8ELNS1_3repE0EEENS1_30default_config_static_selectorELNS0_4arch9wavefront6targetE1EEEvSF_.numbered_sgpr, 0
	.set _ZN7rocprim17ROCPRIM_400000_NS6detail17trampoline_kernelINS0_14default_configENS1_22reduce_config_selectorIxEEZNS1_11reduce_implILb1ES3_PxS7_xN6thrust23THRUST_200600_302600_NS4plusIxEEEE10hipError_tPvRmT1_T2_T3_mT4_P12ihipStream_tbEUlT_E1_NS1_11comp_targetILNS1_3genE4ELNS1_11target_archE910ELNS1_3gpuE8ELNS1_3repE0EEENS1_30default_config_static_selectorELNS0_4arch9wavefront6targetE1EEEvSF_.num_named_barrier, 0
	.set _ZN7rocprim17ROCPRIM_400000_NS6detail17trampoline_kernelINS0_14default_configENS1_22reduce_config_selectorIxEEZNS1_11reduce_implILb1ES3_PxS7_xN6thrust23THRUST_200600_302600_NS4plusIxEEEE10hipError_tPvRmT1_T2_T3_mT4_P12ihipStream_tbEUlT_E1_NS1_11comp_targetILNS1_3genE4ELNS1_11target_archE910ELNS1_3gpuE8ELNS1_3repE0EEENS1_30default_config_static_selectorELNS0_4arch9wavefront6targetE1EEEvSF_.private_seg_size, 0
	.set _ZN7rocprim17ROCPRIM_400000_NS6detail17trampoline_kernelINS0_14default_configENS1_22reduce_config_selectorIxEEZNS1_11reduce_implILb1ES3_PxS7_xN6thrust23THRUST_200600_302600_NS4plusIxEEEE10hipError_tPvRmT1_T2_T3_mT4_P12ihipStream_tbEUlT_E1_NS1_11comp_targetILNS1_3genE4ELNS1_11target_archE910ELNS1_3gpuE8ELNS1_3repE0EEENS1_30default_config_static_selectorELNS0_4arch9wavefront6targetE1EEEvSF_.uses_vcc, 0
	.set _ZN7rocprim17ROCPRIM_400000_NS6detail17trampoline_kernelINS0_14default_configENS1_22reduce_config_selectorIxEEZNS1_11reduce_implILb1ES3_PxS7_xN6thrust23THRUST_200600_302600_NS4plusIxEEEE10hipError_tPvRmT1_T2_T3_mT4_P12ihipStream_tbEUlT_E1_NS1_11comp_targetILNS1_3genE4ELNS1_11target_archE910ELNS1_3gpuE8ELNS1_3repE0EEENS1_30default_config_static_selectorELNS0_4arch9wavefront6targetE1EEEvSF_.uses_flat_scratch, 0
	.set _ZN7rocprim17ROCPRIM_400000_NS6detail17trampoline_kernelINS0_14default_configENS1_22reduce_config_selectorIxEEZNS1_11reduce_implILb1ES3_PxS7_xN6thrust23THRUST_200600_302600_NS4plusIxEEEE10hipError_tPvRmT1_T2_T3_mT4_P12ihipStream_tbEUlT_E1_NS1_11comp_targetILNS1_3genE4ELNS1_11target_archE910ELNS1_3gpuE8ELNS1_3repE0EEENS1_30default_config_static_selectorELNS0_4arch9wavefront6targetE1EEEvSF_.has_dyn_sized_stack, 0
	.set _ZN7rocprim17ROCPRIM_400000_NS6detail17trampoline_kernelINS0_14default_configENS1_22reduce_config_selectorIxEEZNS1_11reduce_implILb1ES3_PxS7_xN6thrust23THRUST_200600_302600_NS4plusIxEEEE10hipError_tPvRmT1_T2_T3_mT4_P12ihipStream_tbEUlT_E1_NS1_11comp_targetILNS1_3genE4ELNS1_11target_archE910ELNS1_3gpuE8ELNS1_3repE0EEENS1_30default_config_static_selectorELNS0_4arch9wavefront6targetE1EEEvSF_.has_recursion, 0
	.set _ZN7rocprim17ROCPRIM_400000_NS6detail17trampoline_kernelINS0_14default_configENS1_22reduce_config_selectorIxEEZNS1_11reduce_implILb1ES3_PxS7_xN6thrust23THRUST_200600_302600_NS4plusIxEEEE10hipError_tPvRmT1_T2_T3_mT4_P12ihipStream_tbEUlT_E1_NS1_11comp_targetILNS1_3genE4ELNS1_11target_archE910ELNS1_3gpuE8ELNS1_3repE0EEENS1_30default_config_static_selectorELNS0_4arch9wavefront6targetE1EEEvSF_.has_indirect_call, 0
	.section	.AMDGPU.csdata,"",@progbits
; Kernel info:
; codeLenInByte = 0
; TotalNumSgprs: 6
; NumVgprs: 0
; NumAgprs: 0
; TotalNumVgprs: 0
; ScratchSize: 0
; MemoryBound: 0
; FloatMode: 240
; IeeeMode: 1
; LDSByteSize: 0 bytes/workgroup (compile time only)
; SGPRBlocks: 0
; VGPRBlocks: 0
; NumSGPRsForWavesPerEU: 6
; NumVGPRsForWavesPerEU: 1
; AccumOffset: 4
; Occupancy: 8
; WaveLimiterHint : 0
; COMPUTE_PGM_RSRC2:SCRATCH_EN: 0
; COMPUTE_PGM_RSRC2:USER_SGPR: 2
; COMPUTE_PGM_RSRC2:TRAP_HANDLER: 0
; COMPUTE_PGM_RSRC2:TGID_X_EN: 1
; COMPUTE_PGM_RSRC2:TGID_Y_EN: 0
; COMPUTE_PGM_RSRC2:TGID_Z_EN: 0
; COMPUTE_PGM_RSRC2:TIDIG_COMP_CNT: 0
; COMPUTE_PGM_RSRC3_GFX90A:ACCUM_OFFSET: 0
; COMPUTE_PGM_RSRC3_GFX90A:TG_SPLIT: 0
	.section	.text._ZN7rocprim17ROCPRIM_400000_NS6detail17trampoline_kernelINS0_14default_configENS1_22reduce_config_selectorIxEEZNS1_11reduce_implILb1ES3_PxS7_xN6thrust23THRUST_200600_302600_NS4plusIxEEEE10hipError_tPvRmT1_T2_T3_mT4_P12ihipStream_tbEUlT_E1_NS1_11comp_targetILNS1_3genE3ELNS1_11target_archE908ELNS1_3gpuE7ELNS1_3repE0EEENS1_30default_config_static_selectorELNS0_4arch9wavefront6targetE1EEEvSF_,"axG",@progbits,_ZN7rocprim17ROCPRIM_400000_NS6detail17trampoline_kernelINS0_14default_configENS1_22reduce_config_selectorIxEEZNS1_11reduce_implILb1ES3_PxS7_xN6thrust23THRUST_200600_302600_NS4plusIxEEEE10hipError_tPvRmT1_T2_T3_mT4_P12ihipStream_tbEUlT_E1_NS1_11comp_targetILNS1_3genE3ELNS1_11target_archE908ELNS1_3gpuE7ELNS1_3repE0EEENS1_30default_config_static_selectorELNS0_4arch9wavefront6targetE1EEEvSF_,comdat
	.protected	_ZN7rocprim17ROCPRIM_400000_NS6detail17trampoline_kernelINS0_14default_configENS1_22reduce_config_selectorIxEEZNS1_11reduce_implILb1ES3_PxS7_xN6thrust23THRUST_200600_302600_NS4plusIxEEEE10hipError_tPvRmT1_T2_T3_mT4_P12ihipStream_tbEUlT_E1_NS1_11comp_targetILNS1_3genE3ELNS1_11target_archE908ELNS1_3gpuE7ELNS1_3repE0EEENS1_30default_config_static_selectorELNS0_4arch9wavefront6targetE1EEEvSF_ ; -- Begin function _ZN7rocprim17ROCPRIM_400000_NS6detail17trampoline_kernelINS0_14default_configENS1_22reduce_config_selectorIxEEZNS1_11reduce_implILb1ES3_PxS7_xN6thrust23THRUST_200600_302600_NS4plusIxEEEE10hipError_tPvRmT1_T2_T3_mT4_P12ihipStream_tbEUlT_E1_NS1_11comp_targetILNS1_3genE3ELNS1_11target_archE908ELNS1_3gpuE7ELNS1_3repE0EEENS1_30default_config_static_selectorELNS0_4arch9wavefront6targetE1EEEvSF_
	.globl	_ZN7rocprim17ROCPRIM_400000_NS6detail17trampoline_kernelINS0_14default_configENS1_22reduce_config_selectorIxEEZNS1_11reduce_implILb1ES3_PxS7_xN6thrust23THRUST_200600_302600_NS4plusIxEEEE10hipError_tPvRmT1_T2_T3_mT4_P12ihipStream_tbEUlT_E1_NS1_11comp_targetILNS1_3genE3ELNS1_11target_archE908ELNS1_3gpuE7ELNS1_3repE0EEENS1_30default_config_static_selectorELNS0_4arch9wavefront6targetE1EEEvSF_
	.p2align	8
	.type	_ZN7rocprim17ROCPRIM_400000_NS6detail17trampoline_kernelINS0_14default_configENS1_22reduce_config_selectorIxEEZNS1_11reduce_implILb1ES3_PxS7_xN6thrust23THRUST_200600_302600_NS4plusIxEEEE10hipError_tPvRmT1_T2_T3_mT4_P12ihipStream_tbEUlT_E1_NS1_11comp_targetILNS1_3genE3ELNS1_11target_archE908ELNS1_3gpuE7ELNS1_3repE0EEENS1_30default_config_static_selectorELNS0_4arch9wavefront6targetE1EEEvSF_,@function
_ZN7rocprim17ROCPRIM_400000_NS6detail17trampoline_kernelINS0_14default_configENS1_22reduce_config_selectorIxEEZNS1_11reduce_implILb1ES3_PxS7_xN6thrust23THRUST_200600_302600_NS4plusIxEEEE10hipError_tPvRmT1_T2_T3_mT4_P12ihipStream_tbEUlT_E1_NS1_11comp_targetILNS1_3genE3ELNS1_11target_archE908ELNS1_3gpuE7ELNS1_3repE0EEENS1_30default_config_static_selectorELNS0_4arch9wavefront6targetE1EEEvSF_: ; @_ZN7rocprim17ROCPRIM_400000_NS6detail17trampoline_kernelINS0_14default_configENS1_22reduce_config_selectorIxEEZNS1_11reduce_implILb1ES3_PxS7_xN6thrust23THRUST_200600_302600_NS4plusIxEEEE10hipError_tPvRmT1_T2_T3_mT4_P12ihipStream_tbEUlT_E1_NS1_11comp_targetILNS1_3genE3ELNS1_11target_archE908ELNS1_3gpuE7ELNS1_3repE0EEENS1_30default_config_static_selectorELNS0_4arch9wavefront6targetE1EEEvSF_
; %bb.0:
	.section	.rodata,"a",@progbits
	.p2align	6, 0x0
	.amdhsa_kernel _ZN7rocprim17ROCPRIM_400000_NS6detail17trampoline_kernelINS0_14default_configENS1_22reduce_config_selectorIxEEZNS1_11reduce_implILb1ES3_PxS7_xN6thrust23THRUST_200600_302600_NS4plusIxEEEE10hipError_tPvRmT1_T2_T3_mT4_P12ihipStream_tbEUlT_E1_NS1_11comp_targetILNS1_3genE3ELNS1_11target_archE908ELNS1_3gpuE7ELNS1_3repE0EEENS1_30default_config_static_selectorELNS0_4arch9wavefront6targetE1EEEvSF_
		.amdhsa_group_segment_fixed_size 0
		.amdhsa_private_segment_fixed_size 0
		.amdhsa_kernarg_size 48
		.amdhsa_user_sgpr_count 2
		.amdhsa_user_sgpr_dispatch_ptr 0
		.amdhsa_user_sgpr_queue_ptr 0
		.amdhsa_user_sgpr_kernarg_segment_ptr 1
		.amdhsa_user_sgpr_dispatch_id 0
		.amdhsa_user_sgpr_kernarg_preload_length 0
		.amdhsa_user_sgpr_kernarg_preload_offset 0
		.amdhsa_user_sgpr_private_segment_size 0
		.amdhsa_uses_dynamic_stack 0
		.amdhsa_enable_private_segment 0
		.amdhsa_system_sgpr_workgroup_id_x 1
		.amdhsa_system_sgpr_workgroup_id_y 0
		.amdhsa_system_sgpr_workgroup_id_z 0
		.amdhsa_system_sgpr_workgroup_info 0
		.amdhsa_system_vgpr_workitem_id 0
		.amdhsa_next_free_vgpr 1
		.amdhsa_next_free_sgpr 0
		.amdhsa_accum_offset 4
		.amdhsa_reserve_vcc 0
		.amdhsa_float_round_mode_32 0
		.amdhsa_float_round_mode_16_64 0
		.amdhsa_float_denorm_mode_32 3
		.amdhsa_float_denorm_mode_16_64 3
		.amdhsa_dx10_clamp 1
		.amdhsa_ieee_mode 1
		.amdhsa_fp16_overflow 0
		.amdhsa_tg_split 0
		.amdhsa_exception_fp_ieee_invalid_op 0
		.amdhsa_exception_fp_denorm_src 0
		.amdhsa_exception_fp_ieee_div_zero 0
		.amdhsa_exception_fp_ieee_overflow 0
		.amdhsa_exception_fp_ieee_underflow 0
		.amdhsa_exception_fp_ieee_inexact 0
		.amdhsa_exception_int_div_zero 0
	.end_amdhsa_kernel
	.section	.text._ZN7rocprim17ROCPRIM_400000_NS6detail17trampoline_kernelINS0_14default_configENS1_22reduce_config_selectorIxEEZNS1_11reduce_implILb1ES3_PxS7_xN6thrust23THRUST_200600_302600_NS4plusIxEEEE10hipError_tPvRmT1_T2_T3_mT4_P12ihipStream_tbEUlT_E1_NS1_11comp_targetILNS1_3genE3ELNS1_11target_archE908ELNS1_3gpuE7ELNS1_3repE0EEENS1_30default_config_static_selectorELNS0_4arch9wavefront6targetE1EEEvSF_,"axG",@progbits,_ZN7rocprim17ROCPRIM_400000_NS6detail17trampoline_kernelINS0_14default_configENS1_22reduce_config_selectorIxEEZNS1_11reduce_implILb1ES3_PxS7_xN6thrust23THRUST_200600_302600_NS4plusIxEEEE10hipError_tPvRmT1_T2_T3_mT4_P12ihipStream_tbEUlT_E1_NS1_11comp_targetILNS1_3genE3ELNS1_11target_archE908ELNS1_3gpuE7ELNS1_3repE0EEENS1_30default_config_static_selectorELNS0_4arch9wavefront6targetE1EEEvSF_,comdat
.Lfunc_end199:
	.size	_ZN7rocprim17ROCPRIM_400000_NS6detail17trampoline_kernelINS0_14default_configENS1_22reduce_config_selectorIxEEZNS1_11reduce_implILb1ES3_PxS7_xN6thrust23THRUST_200600_302600_NS4plusIxEEEE10hipError_tPvRmT1_T2_T3_mT4_P12ihipStream_tbEUlT_E1_NS1_11comp_targetILNS1_3genE3ELNS1_11target_archE908ELNS1_3gpuE7ELNS1_3repE0EEENS1_30default_config_static_selectorELNS0_4arch9wavefront6targetE1EEEvSF_, .Lfunc_end199-_ZN7rocprim17ROCPRIM_400000_NS6detail17trampoline_kernelINS0_14default_configENS1_22reduce_config_selectorIxEEZNS1_11reduce_implILb1ES3_PxS7_xN6thrust23THRUST_200600_302600_NS4plusIxEEEE10hipError_tPvRmT1_T2_T3_mT4_P12ihipStream_tbEUlT_E1_NS1_11comp_targetILNS1_3genE3ELNS1_11target_archE908ELNS1_3gpuE7ELNS1_3repE0EEENS1_30default_config_static_selectorELNS0_4arch9wavefront6targetE1EEEvSF_
                                        ; -- End function
	.set _ZN7rocprim17ROCPRIM_400000_NS6detail17trampoline_kernelINS0_14default_configENS1_22reduce_config_selectorIxEEZNS1_11reduce_implILb1ES3_PxS7_xN6thrust23THRUST_200600_302600_NS4plusIxEEEE10hipError_tPvRmT1_T2_T3_mT4_P12ihipStream_tbEUlT_E1_NS1_11comp_targetILNS1_3genE3ELNS1_11target_archE908ELNS1_3gpuE7ELNS1_3repE0EEENS1_30default_config_static_selectorELNS0_4arch9wavefront6targetE1EEEvSF_.num_vgpr, 0
	.set _ZN7rocprim17ROCPRIM_400000_NS6detail17trampoline_kernelINS0_14default_configENS1_22reduce_config_selectorIxEEZNS1_11reduce_implILb1ES3_PxS7_xN6thrust23THRUST_200600_302600_NS4plusIxEEEE10hipError_tPvRmT1_T2_T3_mT4_P12ihipStream_tbEUlT_E1_NS1_11comp_targetILNS1_3genE3ELNS1_11target_archE908ELNS1_3gpuE7ELNS1_3repE0EEENS1_30default_config_static_selectorELNS0_4arch9wavefront6targetE1EEEvSF_.num_agpr, 0
	.set _ZN7rocprim17ROCPRIM_400000_NS6detail17trampoline_kernelINS0_14default_configENS1_22reduce_config_selectorIxEEZNS1_11reduce_implILb1ES3_PxS7_xN6thrust23THRUST_200600_302600_NS4plusIxEEEE10hipError_tPvRmT1_T2_T3_mT4_P12ihipStream_tbEUlT_E1_NS1_11comp_targetILNS1_3genE3ELNS1_11target_archE908ELNS1_3gpuE7ELNS1_3repE0EEENS1_30default_config_static_selectorELNS0_4arch9wavefront6targetE1EEEvSF_.numbered_sgpr, 0
	.set _ZN7rocprim17ROCPRIM_400000_NS6detail17trampoline_kernelINS0_14default_configENS1_22reduce_config_selectorIxEEZNS1_11reduce_implILb1ES3_PxS7_xN6thrust23THRUST_200600_302600_NS4plusIxEEEE10hipError_tPvRmT1_T2_T3_mT4_P12ihipStream_tbEUlT_E1_NS1_11comp_targetILNS1_3genE3ELNS1_11target_archE908ELNS1_3gpuE7ELNS1_3repE0EEENS1_30default_config_static_selectorELNS0_4arch9wavefront6targetE1EEEvSF_.num_named_barrier, 0
	.set _ZN7rocprim17ROCPRIM_400000_NS6detail17trampoline_kernelINS0_14default_configENS1_22reduce_config_selectorIxEEZNS1_11reduce_implILb1ES3_PxS7_xN6thrust23THRUST_200600_302600_NS4plusIxEEEE10hipError_tPvRmT1_T2_T3_mT4_P12ihipStream_tbEUlT_E1_NS1_11comp_targetILNS1_3genE3ELNS1_11target_archE908ELNS1_3gpuE7ELNS1_3repE0EEENS1_30default_config_static_selectorELNS0_4arch9wavefront6targetE1EEEvSF_.private_seg_size, 0
	.set _ZN7rocprim17ROCPRIM_400000_NS6detail17trampoline_kernelINS0_14default_configENS1_22reduce_config_selectorIxEEZNS1_11reduce_implILb1ES3_PxS7_xN6thrust23THRUST_200600_302600_NS4plusIxEEEE10hipError_tPvRmT1_T2_T3_mT4_P12ihipStream_tbEUlT_E1_NS1_11comp_targetILNS1_3genE3ELNS1_11target_archE908ELNS1_3gpuE7ELNS1_3repE0EEENS1_30default_config_static_selectorELNS0_4arch9wavefront6targetE1EEEvSF_.uses_vcc, 0
	.set _ZN7rocprim17ROCPRIM_400000_NS6detail17trampoline_kernelINS0_14default_configENS1_22reduce_config_selectorIxEEZNS1_11reduce_implILb1ES3_PxS7_xN6thrust23THRUST_200600_302600_NS4plusIxEEEE10hipError_tPvRmT1_T2_T3_mT4_P12ihipStream_tbEUlT_E1_NS1_11comp_targetILNS1_3genE3ELNS1_11target_archE908ELNS1_3gpuE7ELNS1_3repE0EEENS1_30default_config_static_selectorELNS0_4arch9wavefront6targetE1EEEvSF_.uses_flat_scratch, 0
	.set _ZN7rocprim17ROCPRIM_400000_NS6detail17trampoline_kernelINS0_14default_configENS1_22reduce_config_selectorIxEEZNS1_11reduce_implILb1ES3_PxS7_xN6thrust23THRUST_200600_302600_NS4plusIxEEEE10hipError_tPvRmT1_T2_T3_mT4_P12ihipStream_tbEUlT_E1_NS1_11comp_targetILNS1_3genE3ELNS1_11target_archE908ELNS1_3gpuE7ELNS1_3repE0EEENS1_30default_config_static_selectorELNS0_4arch9wavefront6targetE1EEEvSF_.has_dyn_sized_stack, 0
	.set _ZN7rocprim17ROCPRIM_400000_NS6detail17trampoline_kernelINS0_14default_configENS1_22reduce_config_selectorIxEEZNS1_11reduce_implILb1ES3_PxS7_xN6thrust23THRUST_200600_302600_NS4plusIxEEEE10hipError_tPvRmT1_T2_T3_mT4_P12ihipStream_tbEUlT_E1_NS1_11comp_targetILNS1_3genE3ELNS1_11target_archE908ELNS1_3gpuE7ELNS1_3repE0EEENS1_30default_config_static_selectorELNS0_4arch9wavefront6targetE1EEEvSF_.has_recursion, 0
	.set _ZN7rocprim17ROCPRIM_400000_NS6detail17trampoline_kernelINS0_14default_configENS1_22reduce_config_selectorIxEEZNS1_11reduce_implILb1ES3_PxS7_xN6thrust23THRUST_200600_302600_NS4plusIxEEEE10hipError_tPvRmT1_T2_T3_mT4_P12ihipStream_tbEUlT_E1_NS1_11comp_targetILNS1_3genE3ELNS1_11target_archE908ELNS1_3gpuE7ELNS1_3repE0EEENS1_30default_config_static_selectorELNS0_4arch9wavefront6targetE1EEEvSF_.has_indirect_call, 0
	.section	.AMDGPU.csdata,"",@progbits
; Kernel info:
; codeLenInByte = 0
; TotalNumSgprs: 6
; NumVgprs: 0
; NumAgprs: 0
; TotalNumVgprs: 0
; ScratchSize: 0
; MemoryBound: 0
; FloatMode: 240
; IeeeMode: 1
; LDSByteSize: 0 bytes/workgroup (compile time only)
; SGPRBlocks: 0
; VGPRBlocks: 0
; NumSGPRsForWavesPerEU: 6
; NumVGPRsForWavesPerEU: 1
; AccumOffset: 4
; Occupancy: 8
; WaveLimiterHint : 0
; COMPUTE_PGM_RSRC2:SCRATCH_EN: 0
; COMPUTE_PGM_RSRC2:USER_SGPR: 2
; COMPUTE_PGM_RSRC2:TRAP_HANDLER: 0
; COMPUTE_PGM_RSRC2:TGID_X_EN: 1
; COMPUTE_PGM_RSRC2:TGID_Y_EN: 0
; COMPUTE_PGM_RSRC2:TGID_Z_EN: 0
; COMPUTE_PGM_RSRC2:TIDIG_COMP_CNT: 0
; COMPUTE_PGM_RSRC3_GFX90A:ACCUM_OFFSET: 0
; COMPUTE_PGM_RSRC3_GFX90A:TG_SPLIT: 0
	.section	.text._ZN7rocprim17ROCPRIM_400000_NS6detail17trampoline_kernelINS0_14default_configENS1_22reduce_config_selectorIxEEZNS1_11reduce_implILb1ES3_PxS7_xN6thrust23THRUST_200600_302600_NS4plusIxEEEE10hipError_tPvRmT1_T2_T3_mT4_P12ihipStream_tbEUlT_E1_NS1_11comp_targetILNS1_3genE2ELNS1_11target_archE906ELNS1_3gpuE6ELNS1_3repE0EEENS1_30default_config_static_selectorELNS0_4arch9wavefront6targetE1EEEvSF_,"axG",@progbits,_ZN7rocprim17ROCPRIM_400000_NS6detail17trampoline_kernelINS0_14default_configENS1_22reduce_config_selectorIxEEZNS1_11reduce_implILb1ES3_PxS7_xN6thrust23THRUST_200600_302600_NS4plusIxEEEE10hipError_tPvRmT1_T2_T3_mT4_P12ihipStream_tbEUlT_E1_NS1_11comp_targetILNS1_3genE2ELNS1_11target_archE906ELNS1_3gpuE6ELNS1_3repE0EEENS1_30default_config_static_selectorELNS0_4arch9wavefront6targetE1EEEvSF_,comdat
	.protected	_ZN7rocprim17ROCPRIM_400000_NS6detail17trampoline_kernelINS0_14default_configENS1_22reduce_config_selectorIxEEZNS1_11reduce_implILb1ES3_PxS7_xN6thrust23THRUST_200600_302600_NS4plusIxEEEE10hipError_tPvRmT1_T2_T3_mT4_P12ihipStream_tbEUlT_E1_NS1_11comp_targetILNS1_3genE2ELNS1_11target_archE906ELNS1_3gpuE6ELNS1_3repE0EEENS1_30default_config_static_selectorELNS0_4arch9wavefront6targetE1EEEvSF_ ; -- Begin function _ZN7rocprim17ROCPRIM_400000_NS6detail17trampoline_kernelINS0_14default_configENS1_22reduce_config_selectorIxEEZNS1_11reduce_implILb1ES3_PxS7_xN6thrust23THRUST_200600_302600_NS4plusIxEEEE10hipError_tPvRmT1_T2_T3_mT4_P12ihipStream_tbEUlT_E1_NS1_11comp_targetILNS1_3genE2ELNS1_11target_archE906ELNS1_3gpuE6ELNS1_3repE0EEENS1_30default_config_static_selectorELNS0_4arch9wavefront6targetE1EEEvSF_
	.globl	_ZN7rocprim17ROCPRIM_400000_NS6detail17trampoline_kernelINS0_14default_configENS1_22reduce_config_selectorIxEEZNS1_11reduce_implILb1ES3_PxS7_xN6thrust23THRUST_200600_302600_NS4plusIxEEEE10hipError_tPvRmT1_T2_T3_mT4_P12ihipStream_tbEUlT_E1_NS1_11comp_targetILNS1_3genE2ELNS1_11target_archE906ELNS1_3gpuE6ELNS1_3repE0EEENS1_30default_config_static_selectorELNS0_4arch9wavefront6targetE1EEEvSF_
	.p2align	8
	.type	_ZN7rocprim17ROCPRIM_400000_NS6detail17trampoline_kernelINS0_14default_configENS1_22reduce_config_selectorIxEEZNS1_11reduce_implILb1ES3_PxS7_xN6thrust23THRUST_200600_302600_NS4plusIxEEEE10hipError_tPvRmT1_T2_T3_mT4_P12ihipStream_tbEUlT_E1_NS1_11comp_targetILNS1_3genE2ELNS1_11target_archE906ELNS1_3gpuE6ELNS1_3repE0EEENS1_30default_config_static_selectorELNS0_4arch9wavefront6targetE1EEEvSF_,@function
_ZN7rocprim17ROCPRIM_400000_NS6detail17trampoline_kernelINS0_14default_configENS1_22reduce_config_selectorIxEEZNS1_11reduce_implILb1ES3_PxS7_xN6thrust23THRUST_200600_302600_NS4plusIxEEEE10hipError_tPvRmT1_T2_T3_mT4_P12ihipStream_tbEUlT_E1_NS1_11comp_targetILNS1_3genE2ELNS1_11target_archE906ELNS1_3gpuE6ELNS1_3repE0EEENS1_30default_config_static_selectorELNS0_4arch9wavefront6targetE1EEEvSF_: ; @_ZN7rocprim17ROCPRIM_400000_NS6detail17trampoline_kernelINS0_14default_configENS1_22reduce_config_selectorIxEEZNS1_11reduce_implILb1ES3_PxS7_xN6thrust23THRUST_200600_302600_NS4plusIxEEEE10hipError_tPvRmT1_T2_T3_mT4_P12ihipStream_tbEUlT_E1_NS1_11comp_targetILNS1_3genE2ELNS1_11target_archE906ELNS1_3gpuE6ELNS1_3repE0EEENS1_30default_config_static_selectorELNS0_4arch9wavefront6targetE1EEEvSF_
; %bb.0:
	.section	.rodata,"a",@progbits
	.p2align	6, 0x0
	.amdhsa_kernel _ZN7rocprim17ROCPRIM_400000_NS6detail17trampoline_kernelINS0_14default_configENS1_22reduce_config_selectorIxEEZNS1_11reduce_implILb1ES3_PxS7_xN6thrust23THRUST_200600_302600_NS4plusIxEEEE10hipError_tPvRmT1_T2_T3_mT4_P12ihipStream_tbEUlT_E1_NS1_11comp_targetILNS1_3genE2ELNS1_11target_archE906ELNS1_3gpuE6ELNS1_3repE0EEENS1_30default_config_static_selectorELNS0_4arch9wavefront6targetE1EEEvSF_
		.amdhsa_group_segment_fixed_size 0
		.amdhsa_private_segment_fixed_size 0
		.amdhsa_kernarg_size 48
		.amdhsa_user_sgpr_count 2
		.amdhsa_user_sgpr_dispatch_ptr 0
		.amdhsa_user_sgpr_queue_ptr 0
		.amdhsa_user_sgpr_kernarg_segment_ptr 1
		.amdhsa_user_sgpr_dispatch_id 0
		.amdhsa_user_sgpr_kernarg_preload_length 0
		.amdhsa_user_sgpr_kernarg_preload_offset 0
		.amdhsa_user_sgpr_private_segment_size 0
		.amdhsa_uses_dynamic_stack 0
		.amdhsa_enable_private_segment 0
		.amdhsa_system_sgpr_workgroup_id_x 1
		.amdhsa_system_sgpr_workgroup_id_y 0
		.amdhsa_system_sgpr_workgroup_id_z 0
		.amdhsa_system_sgpr_workgroup_info 0
		.amdhsa_system_vgpr_workitem_id 0
		.amdhsa_next_free_vgpr 1
		.amdhsa_next_free_sgpr 0
		.amdhsa_accum_offset 4
		.amdhsa_reserve_vcc 0
		.amdhsa_float_round_mode_32 0
		.amdhsa_float_round_mode_16_64 0
		.amdhsa_float_denorm_mode_32 3
		.amdhsa_float_denorm_mode_16_64 3
		.amdhsa_dx10_clamp 1
		.amdhsa_ieee_mode 1
		.amdhsa_fp16_overflow 0
		.amdhsa_tg_split 0
		.amdhsa_exception_fp_ieee_invalid_op 0
		.amdhsa_exception_fp_denorm_src 0
		.amdhsa_exception_fp_ieee_div_zero 0
		.amdhsa_exception_fp_ieee_overflow 0
		.amdhsa_exception_fp_ieee_underflow 0
		.amdhsa_exception_fp_ieee_inexact 0
		.amdhsa_exception_int_div_zero 0
	.end_amdhsa_kernel
	.section	.text._ZN7rocprim17ROCPRIM_400000_NS6detail17trampoline_kernelINS0_14default_configENS1_22reduce_config_selectorIxEEZNS1_11reduce_implILb1ES3_PxS7_xN6thrust23THRUST_200600_302600_NS4plusIxEEEE10hipError_tPvRmT1_T2_T3_mT4_P12ihipStream_tbEUlT_E1_NS1_11comp_targetILNS1_3genE2ELNS1_11target_archE906ELNS1_3gpuE6ELNS1_3repE0EEENS1_30default_config_static_selectorELNS0_4arch9wavefront6targetE1EEEvSF_,"axG",@progbits,_ZN7rocprim17ROCPRIM_400000_NS6detail17trampoline_kernelINS0_14default_configENS1_22reduce_config_selectorIxEEZNS1_11reduce_implILb1ES3_PxS7_xN6thrust23THRUST_200600_302600_NS4plusIxEEEE10hipError_tPvRmT1_T2_T3_mT4_P12ihipStream_tbEUlT_E1_NS1_11comp_targetILNS1_3genE2ELNS1_11target_archE906ELNS1_3gpuE6ELNS1_3repE0EEENS1_30default_config_static_selectorELNS0_4arch9wavefront6targetE1EEEvSF_,comdat
.Lfunc_end200:
	.size	_ZN7rocprim17ROCPRIM_400000_NS6detail17trampoline_kernelINS0_14default_configENS1_22reduce_config_selectorIxEEZNS1_11reduce_implILb1ES3_PxS7_xN6thrust23THRUST_200600_302600_NS4plusIxEEEE10hipError_tPvRmT1_T2_T3_mT4_P12ihipStream_tbEUlT_E1_NS1_11comp_targetILNS1_3genE2ELNS1_11target_archE906ELNS1_3gpuE6ELNS1_3repE0EEENS1_30default_config_static_selectorELNS0_4arch9wavefront6targetE1EEEvSF_, .Lfunc_end200-_ZN7rocprim17ROCPRIM_400000_NS6detail17trampoline_kernelINS0_14default_configENS1_22reduce_config_selectorIxEEZNS1_11reduce_implILb1ES3_PxS7_xN6thrust23THRUST_200600_302600_NS4plusIxEEEE10hipError_tPvRmT1_T2_T3_mT4_P12ihipStream_tbEUlT_E1_NS1_11comp_targetILNS1_3genE2ELNS1_11target_archE906ELNS1_3gpuE6ELNS1_3repE0EEENS1_30default_config_static_selectorELNS0_4arch9wavefront6targetE1EEEvSF_
                                        ; -- End function
	.set _ZN7rocprim17ROCPRIM_400000_NS6detail17trampoline_kernelINS0_14default_configENS1_22reduce_config_selectorIxEEZNS1_11reduce_implILb1ES3_PxS7_xN6thrust23THRUST_200600_302600_NS4plusIxEEEE10hipError_tPvRmT1_T2_T3_mT4_P12ihipStream_tbEUlT_E1_NS1_11comp_targetILNS1_3genE2ELNS1_11target_archE906ELNS1_3gpuE6ELNS1_3repE0EEENS1_30default_config_static_selectorELNS0_4arch9wavefront6targetE1EEEvSF_.num_vgpr, 0
	.set _ZN7rocprim17ROCPRIM_400000_NS6detail17trampoline_kernelINS0_14default_configENS1_22reduce_config_selectorIxEEZNS1_11reduce_implILb1ES3_PxS7_xN6thrust23THRUST_200600_302600_NS4plusIxEEEE10hipError_tPvRmT1_T2_T3_mT4_P12ihipStream_tbEUlT_E1_NS1_11comp_targetILNS1_3genE2ELNS1_11target_archE906ELNS1_3gpuE6ELNS1_3repE0EEENS1_30default_config_static_selectorELNS0_4arch9wavefront6targetE1EEEvSF_.num_agpr, 0
	.set _ZN7rocprim17ROCPRIM_400000_NS6detail17trampoline_kernelINS0_14default_configENS1_22reduce_config_selectorIxEEZNS1_11reduce_implILb1ES3_PxS7_xN6thrust23THRUST_200600_302600_NS4plusIxEEEE10hipError_tPvRmT1_T2_T3_mT4_P12ihipStream_tbEUlT_E1_NS1_11comp_targetILNS1_3genE2ELNS1_11target_archE906ELNS1_3gpuE6ELNS1_3repE0EEENS1_30default_config_static_selectorELNS0_4arch9wavefront6targetE1EEEvSF_.numbered_sgpr, 0
	.set _ZN7rocprim17ROCPRIM_400000_NS6detail17trampoline_kernelINS0_14default_configENS1_22reduce_config_selectorIxEEZNS1_11reduce_implILb1ES3_PxS7_xN6thrust23THRUST_200600_302600_NS4plusIxEEEE10hipError_tPvRmT1_T2_T3_mT4_P12ihipStream_tbEUlT_E1_NS1_11comp_targetILNS1_3genE2ELNS1_11target_archE906ELNS1_3gpuE6ELNS1_3repE0EEENS1_30default_config_static_selectorELNS0_4arch9wavefront6targetE1EEEvSF_.num_named_barrier, 0
	.set _ZN7rocprim17ROCPRIM_400000_NS6detail17trampoline_kernelINS0_14default_configENS1_22reduce_config_selectorIxEEZNS1_11reduce_implILb1ES3_PxS7_xN6thrust23THRUST_200600_302600_NS4plusIxEEEE10hipError_tPvRmT1_T2_T3_mT4_P12ihipStream_tbEUlT_E1_NS1_11comp_targetILNS1_3genE2ELNS1_11target_archE906ELNS1_3gpuE6ELNS1_3repE0EEENS1_30default_config_static_selectorELNS0_4arch9wavefront6targetE1EEEvSF_.private_seg_size, 0
	.set _ZN7rocprim17ROCPRIM_400000_NS6detail17trampoline_kernelINS0_14default_configENS1_22reduce_config_selectorIxEEZNS1_11reduce_implILb1ES3_PxS7_xN6thrust23THRUST_200600_302600_NS4plusIxEEEE10hipError_tPvRmT1_T2_T3_mT4_P12ihipStream_tbEUlT_E1_NS1_11comp_targetILNS1_3genE2ELNS1_11target_archE906ELNS1_3gpuE6ELNS1_3repE0EEENS1_30default_config_static_selectorELNS0_4arch9wavefront6targetE1EEEvSF_.uses_vcc, 0
	.set _ZN7rocprim17ROCPRIM_400000_NS6detail17trampoline_kernelINS0_14default_configENS1_22reduce_config_selectorIxEEZNS1_11reduce_implILb1ES3_PxS7_xN6thrust23THRUST_200600_302600_NS4plusIxEEEE10hipError_tPvRmT1_T2_T3_mT4_P12ihipStream_tbEUlT_E1_NS1_11comp_targetILNS1_3genE2ELNS1_11target_archE906ELNS1_3gpuE6ELNS1_3repE0EEENS1_30default_config_static_selectorELNS0_4arch9wavefront6targetE1EEEvSF_.uses_flat_scratch, 0
	.set _ZN7rocprim17ROCPRIM_400000_NS6detail17trampoline_kernelINS0_14default_configENS1_22reduce_config_selectorIxEEZNS1_11reduce_implILb1ES3_PxS7_xN6thrust23THRUST_200600_302600_NS4plusIxEEEE10hipError_tPvRmT1_T2_T3_mT4_P12ihipStream_tbEUlT_E1_NS1_11comp_targetILNS1_3genE2ELNS1_11target_archE906ELNS1_3gpuE6ELNS1_3repE0EEENS1_30default_config_static_selectorELNS0_4arch9wavefront6targetE1EEEvSF_.has_dyn_sized_stack, 0
	.set _ZN7rocprim17ROCPRIM_400000_NS6detail17trampoline_kernelINS0_14default_configENS1_22reduce_config_selectorIxEEZNS1_11reduce_implILb1ES3_PxS7_xN6thrust23THRUST_200600_302600_NS4plusIxEEEE10hipError_tPvRmT1_T2_T3_mT4_P12ihipStream_tbEUlT_E1_NS1_11comp_targetILNS1_3genE2ELNS1_11target_archE906ELNS1_3gpuE6ELNS1_3repE0EEENS1_30default_config_static_selectorELNS0_4arch9wavefront6targetE1EEEvSF_.has_recursion, 0
	.set _ZN7rocprim17ROCPRIM_400000_NS6detail17trampoline_kernelINS0_14default_configENS1_22reduce_config_selectorIxEEZNS1_11reduce_implILb1ES3_PxS7_xN6thrust23THRUST_200600_302600_NS4plusIxEEEE10hipError_tPvRmT1_T2_T3_mT4_P12ihipStream_tbEUlT_E1_NS1_11comp_targetILNS1_3genE2ELNS1_11target_archE906ELNS1_3gpuE6ELNS1_3repE0EEENS1_30default_config_static_selectorELNS0_4arch9wavefront6targetE1EEEvSF_.has_indirect_call, 0
	.section	.AMDGPU.csdata,"",@progbits
; Kernel info:
; codeLenInByte = 0
; TotalNumSgprs: 6
; NumVgprs: 0
; NumAgprs: 0
; TotalNumVgprs: 0
; ScratchSize: 0
; MemoryBound: 0
; FloatMode: 240
; IeeeMode: 1
; LDSByteSize: 0 bytes/workgroup (compile time only)
; SGPRBlocks: 0
; VGPRBlocks: 0
; NumSGPRsForWavesPerEU: 6
; NumVGPRsForWavesPerEU: 1
; AccumOffset: 4
; Occupancy: 8
; WaveLimiterHint : 0
; COMPUTE_PGM_RSRC2:SCRATCH_EN: 0
; COMPUTE_PGM_RSRC2:USER_SGPR: 2
; COMPUTE_PGM_RSRC2:TRAP_HANDLER: 0
; COMPUTE_PGM_RSRC2:TGID_X_EN: 1
; COMPUTE_PGM_RSRC2:TGID_Y_EN: 0
; COMPUTE_PGM_RSRC2:TGID_Z_EN: 0
; COMPUTE_PGM_RSRC2:TIDIG_COMP_CNT: 0
; COMPUTE_PGM_RSRC3_GFX90A:ACCUM_OFFSET: 0
; COMPUTE_PGM_RSRC3_GFX90A:TG_SPLIT: 0
	.section	.text._ZN7rocprim17ROCPRIM_400000_NS6detail17trampoline_kernelINS0_14default_configENS1_22reduce_config_selectorIxEEZNS1_11reduce_implILb1ES3_PxS7_xN6thrust23THRUST_200600_302600_NS4plusIxEEEE10hipError_tPvRmT1_T2_T3_mT4_P12ihipStream_tbEUlT_E1_NS1_11comp_targetILNS1_3genE10ELNS1_11target_archE1201ELNS1_3gpuE5ELNS1_3repE0EEENS1_30default_config_static_selectorELNS0_4arch9wavefront6targetE1EEEvSF_,"axG",@progbits,_ZN7rocprim17ROCPRIM_400000_NS6detail17trampoline_kernelINS0_14default_configENS1_22reduce_config_selectorIxEEZNS1_11reduce_implILb1ES3_PxS7_xN6thrust23THRUST_200600_302600_NS4plusIxEEEE10hipError_tPvRmT1_T2_T3_mT4_P12ihipStream_tbEUlT_E1_NS1_11comp_targetILNS1_3genE10ELNS1_11target_archE1201ELNS1_3gpuE5ELNS1_3repE0EEENS1_30default_config_static_selectorELNS0_4arch9wavefront6targetE1EEEvSF_,comdat
	.protected	_ZN7rocprim17ROCPRIM_400000_NS6detail17trampoline_kernelINS0_14default_configENS1_22reduce_config_selectorIxEEZNS1_11reduce_implILb1ES3_PxS7_xN6thrust23THRUST_200600_302600_NS4plusIxEEEE10hipError_tPvRmT1_T2_T3_mT4_P12ihipStream_tbEUlT_E1_NS1_11comp_targetILNS1_3genE10ELNS1_11target_archE1201ELNS1_3gpuE5ELNS1_3repE0EEENS1_30default_config_static_selectorELNS0_4arch9wavefront6targetE1EEEvSF_ ; -- Begin function _ZN7rocprim17ROCPRIM_400000_NS6detail17trampoline_kernelINS0_14default_configENS1_22reduce_config_selectorIxEEZNS1_11reduce_implILb1ES3_PxS7_xN6thrust23THRUST_200600_302600_NS4plusIxEEEE10hipError_tPvRmT1_T2_T3_mT4_P12ihipStream_tbEUlT_E1_NS1_11comp_targetILNS1_3genE10ELNS1_11target_archE1201ELNS1_3gpuE5ELNS1_3repE0EEENS1_30default_config_static_selectorELNS0_4arch9wavefront6targetE1EEEvSF_
	.globl	_ZN7rocprim17ROCPRIM_400000_NS6detail17trampoline_kernelINS0_14default_configENS1_22reduce_config_selectorIxEEZNS1_11reduce_implILb1ES3_PxS7_xN6thrust23THRUST_200600_302600_NS4plusIxEEEE10hipError_tPvRmT1_T2_T3_mT4_P12ihipStream_tbEUlT_E1_NS1_11comp_targetILNS1_3genE10ELNS1_11target_archE1201ELNS1_3gpuE5ELNS1_3repE0EEENS1_30default_config_static_selectorELNS0_4arch9wavefront6targetE1EEEvSF_
	.p2align	8
	.type	_ZN7rocprim17ROCPRIM_400000_NS6detail17trampoline_kernelINS0_14default_configENS1_22reduce_config_selectorIxEEZNS1_11reduce_implILb1ES3_PxS7_xN6thrust23THRUST_200600_302600_NS4plusIxEEEE10hipError_tPvRmT1_T2_T3_mT4_P12ihipStream_tbEUlT_E1_NS1_11comp_targetILNS1_3genE10ELNS1_11target_archE1201ELNS1_3gpuE5ELNS1_3repE0EEENS1_30default_config_static_selectorELNS0_4arch9wavefront6targetE1EEEvSF_,@function
_ZN7rocprim17ROCPRIM_400000_NS6detail17trampoline_kernelINS0_14default_configENS1_22reduce_config_selectorIxEEZNS1_11reduce_implILb1ES3_PxS7_xN6thrust23THRUST_200600_302600_NS4plusIxEEEE10hipError_tPvRmT1_T2_T3_mT4_P12ihipStream_tbEUlT_E1_NS1_11comp_targetILNS1_3genE10ELNS1_11target_archE1201ELNS1_3gpuE5ELNS1_3repE0EEENS1_30default_config_static_selectorELNS0_4arch9wavefront6targetE1EEEvSF_: ; @_ZN7rocprim17ROCPRIM_400000_NS6detail17trampoline_kernelINS0_14default_configENS1_22reduce_config_selectorIxEEZNS1_11reduce_implILb1ES3_PxS7_xN6thrust23THRUST_200600_302600_NS4plusIxEEEE10hipError_tPvRmT1_T2_T3_mT4_P12ihipStream_tbEUlT_E1_NS1_11comp_targetILNS1_3genE10ELNS1_11target_archE1201ELNS1_3gpuE5ELNS1_3repE0EEENS1_30default_config_static_selectorELNS0_4arch9wavefront6targetE1EEEvSF_
; %bb.0:
	.section	.rodata,"a",@progbits
	.p2align	6, 0x0
	.amdhsa_kernel _ZN7rocprim17ROCPRIM_400000_NS6detail17trampoline_kernelINS0_14default_configENS1_22reduce_config_selectorIxEEZNS1_11reduce_implILb1ES3_PxS7_xN6thrust23THRUST_200600_302600_NS4plusIxEEEE10hipError_tPvRmT1_T2_T3_mT4_P12ihipStream_tbEUlT_E1_NS1_11comp_targetILNS1_3genE10ELNS1_11target_archE1201ELNS1_3gpuE5ELNS1_3repE0EEENS1_30default_config_static_selectorELNS0_4arch9wavefront6targetE1EEEvSF_
		.amdhsa_group_segment_fixed_size 0
		.amdhsa_private_segment_fixed_size 0
		.amdhsa_kernarg_size 48
		.amdhsa_user_sgpr_count 2
		.amdhsa_user_sgpr_dispatch_ptr 0
		.amdhsa_user_sgpr_queue_ptr 0
		.amdhsa_user_sgpr_kernarg_segment_ptr 1
		.amdhsa_user_sgpr_dispatch_id 0
		.amdhsa_user_sgpr_kernarg_preload_length 0
		.amdhsa_user_sgpr_kernarg_preload_offset 0
		.amdhsa_user_sgpr_private_segment_size 0
		.amdhsa_uses_dynamic_stack 0
		.amdhsa_enable_private_segment 0
		.amdhsa_system_sgpr_workgroup_id_x 1
		.amdhsa_system_sgpr_workgroup_id_y 0
		.amdhsa_system_sgpr_workgroup_id_z 0
		.amdhsa_system_sgpr_workgroup_info 0
		.amdhsa_system_vgpr_workitem_id 0
		.amdhsa_next_free_vgpr 1
		.amdhsa_next_free_sgpr 0
		.amdhsa_accum_offset 4
		.amdhsa_reserve_vcc 0
		.amdhsa_float_round_mode_32 0
		.amdhsa_float_round_mode_16_64 0
		.amdhsa_float_denorm_mode_32 3
		.amdhsa_float_denorm_mode_16_64 3
		.amdhsa_dx10_clamp 1
		.amdhsa_ieee_mode 1
		.amdhsa_fp16_overflow 0
		.amdhsa_tg_split 0
		.amdhsa_exception_fp_ieee_invalid_op 0
		.amdhsa_exception_fp_denorm_src 0
		.amdhsa_exception_fp_ieee_div_zero 0
		.amdhsa_exception_fp_ieee_overflow 0
		.amdhsa_exception_fp_ieee_underflow 0
		.amdhsa_exception_fp_ieee_inexact 0
		.amdhsa_exception_int_div_zero 0
	.end_amdhsa_kernel
	.section	.text._ZN7rocprim17ROCPRIM_400000_NS6detail17trampoline_kernelINS0_14default_configENS1_22reduce_config_selectorIxEEZNS1_11reduce_implILb1ES3_PxS7_xN6thrust23THRUST_200600_302600_NS4plusIxEEEE10hipError_tPvRmT1_T2_T3_mT4_P12ihipStream_tbEUlT_E1_NS1_11comp_targetILNS1_3genE10ELNS1_11target_archE1201ELNS1_3gpuE5ELNS1_3repE0EEENS1_30default_config_static_selectorELNS0_4arch9wavefront6targetE1EEEvSF_,"axG",@progbits,_ZN7rocprim17ROCPRIM_400000_NS6detail17trampoline_kernelINS0_14default_configENS1_22reduce_config_selectorIxEEZNS1_11reduce_implILb1ES3_PxS7_xN6thrust23THRUST_200600_302600_NS4plusIxEEEE10hipError_tPvRmT1_T2_T3_mT4_P12ihipStream_tbEUlT_E1_NS1_11comp_targetILNS1_3genE10ELNS1_11target_archE1201ELNS1_3gpuE5ELNS1_3repE0EEENS1_30default_config_static_selectorELNS0_4arch9wavefront6targetE1EEEvSF_,comdat
.Lfunc_end201:
	.size	_ZN7rocprim17ROCPRIM_400000_NS6detail17trampoline_kernelINS0_14default_configENS1_22reduce_config_selectorIxEEZNS1_11reduce_implILb1ES3_PxS7_xN6thrust23THRUST_200600_302600_NS4plusIxEEEE10hipError_tPvRmT1_T2_T3_mT4_P12ihipStream_tbEUlT_E1_NS1_11comp_targetILNS1_3genE10ELNS1_11target_archE1201ELNS1_3gpuE5ELNS1_3repE0EEENS1_30default_config_static_selectorELNS0_4arch9wavefront6targetE1EEEvSF_, .Lfunc_end201-_ZN7rocprim17ROCPRIM_400000_NS6detail17trampoline_kernelINS0_14default_configENS1_22reduce_config_selectorIxEEZNS1_11reduce_implILb1ES3_PxS7_xN6thrust23THRUST_200600_302600_NS4plusIxEEEE10hipError_tPvRmT1_T2_T3_mT4_P12ihipStream_tbEUlT_E1_NS1_11comp_targetILNS1_3genE10ELNS1_11target_archE1201ELNS1_3gpuE5ELNS1_3repE0EEENS1_30default_config_static_selectorELNS0_4arch9wavefront6targetE1EEEvSF_
                                        ; -- End function
	.set _ZN7rocprim17ROCPRIM_400000_NS6detail17trampoline_kernelINS0_14default_configENS1_22reduce_config_selectorIxEEZNS1_11reduce_implILb1ES3_PxS7_xN6thrust23THRUST_200600_302600_NS4plusIxEEEE10hipError_tPvRmT1_T2_T3_mT4_P12ihipStream_tbEUlT_E1_NS1_11comp_targetILNS1_3genE10ELNS1_11target_archE1201ELNS1_3gpuE5ELNS1_3repE0EEENS1_30default_config_static_selectorELNS0_4arch9wavefront6targetE1EEEvSF_.num_vgpr, 0
	.set _ZN7rocprim17ROCPRIM_400000_NS6detail17trampoline_kernelINS0_14default_configENS1_22reduce_config_selectorIxEEZNS1_11reduce_implILb1ES3_PxS7_xN6thrust23THRUST_200600_302600_NS4plusIxEEEE10hipError_tPvRmT1_T2_T3_mT4_P12ihipStream_tbEUlT_E1_NS1_11comp_targetILNS1_3genE10ELNS1_11target_archE1201ELNS1_3gpuE5ELNS1_3repE0EEENS1_30default_config_static_selectorELNS0_4arch9wavefront6targetE1EEEvSF_.num_agpr, 0
	.set _ZN7rocprim17ROCPRIM_400000_NS6detail17trampoline_kernelINS0_14default_configENS1_22reduce_config_selectorIxEEZNS1_11reduce_implILb1ES3_PxS7_xN6thrust23THRUST_200600_302600_NS4plusIxEEEE10hipError_tPvRmT1_T2_T3_mT4_P12ihipStream_tbEUlT_E1_NS1_11comp_targetILNS1_3genE10ELNS1_11target_archE1201ELNS1_3gpuE5ELNS1_3repE0EEENS1_30default_config_static_selectorELNS0_4arch9wavefront6targetE1EEEvSF_.numbered_sgpr, 0
	.set _ZN7rocprim17ROCPRIM_400000_NS6detail17trampoline_kernelINS0_14default_configENS1_22reduce_config_selectorIxEEZNS1_11reduce_implILb1ES3_PxS7_xN6thrust23THRUST_200600_302600_NS4plusIxEEEE10hipError_tPvRmT1_T2_T3_mT4_P12ihipStream_tbEUlT_E1_NS1_11comp_targetILNS1_3genE10ELNS1_11target_archE1201ELNS1_3gpuE5ELNS1_3repE0EEENS1_30default_config_static_selectorELNS0_4arch9wavefront6targetE1EEEvSF_.num_named_barrier, 0
	.set _ZN7rocprim17ROCPRIM_400000_NS6detail17trampoline_kernelINS0_14default_configENS1_22reduce_config_selectorIxEEZNS1_11reduce_implILb1ES3_PxS7_xN6thrust23THRUST_200600_302600_NS4plusIxEEEE10hipError_tPvRmT1_T2_T3_mT4_P12ihipStream_tbEUlT_E1_NS1_11comp_targetILNS1_3genE10ELNS1_11target_archE1201ELNS1_3gpuE5ELNS1_3repE0EEENS1_30default_config_static_selectorELNS0_4arch9wavefront6targetE1EEEvSF_.private_seg_size, 0
	.set _ZN7rocprim17ROCPRIM_400000_NS6detail17trampoline_kernelINS0_14default_configENS1_22reduce_config_selectorIxEEZNS1_11reduce_implILb1ES3_PxS7_xN6thrust23THRUST_200600_302600_NS4plusIxEEEE10hipError_tPvRmT1_T2_T3_mT4_P12ihipStream_tbEUlT_E1_NS1_11comp_targetILNS1_3genE10ELNS1_11target_archE1201ELNS1_3gpuE5ELNS1_3repE0EEENS1_30default_config_static_selectorELNS0_4arch9wavefront6targetE1EEEvSF_.uses_vcc, 0
	.set _ZN7rocprim17ROCPRIM_400000_NS6detail17trampoline_kernelINS0_14default_configENS1_22reduce_config_selectorIxEEZNS1_11reduce_implILb1ES3_PxS7_xN6thrust23THRUST_200600_302600_NS4plusIxEEEE10hipError_tPvRmT1_T2_T3_mT4_P12ihipStream_tbEUlT_E1_NS1_11comp_targetILNS1_3genE10ELNS1_11target_archE1201ELNS1_3gpuE5ELNS1_3repE0EEENS1_30default_config_static_selectorELNS0_4arch9wavefront6targetE1EEEvSF_.uses_flat_scratch, 0
	.set _ZN7rocprim17ROCPRIM_400000_NS6detail17trampoline_kernelINS0_14default_configENS1_22reduce_config_selectorIxEEZNS1_11reduce_implILb1ES3_PxS7_xN6thrust23THRUST_200600_302600_NS4plusIxEEEE10hipError_tPvRmT1_T2_T3_mT4_P12ihipStream_tbEUlT_E1_NS1_11comp_targetILNS1_3genE10ELNS1_11target_archE1201ELNS1_3gpuE5ELNS1_3repE0EEENS1_30default_config_static_selectorELNS0_4arch9wavefront6targetE1EEEvSF_.has_dyn_sized_stack, 0
	.set _ZN7rocprim17ROCPRIM_400000_NS6detail17trampoline_kernelINS0_14default_configENS1_22reduce_config_selectorIxEEZNS1_11reduce_implILb1ES3_PxS7_xN6thrust23THRUST_200600_302600_NS4plusIxEEEE10hipError_tPvRmT1_T2_T3_mT4_P12ihipStream_tbEUlT_E1_NS1_11comp_targetILNS1_3genE10ELNS1_11target_archE1201ELNS1_3gpuE5ELNS1_3repE0EEENS1_30default_config_static_selectorELNS0_4arch9wavefront6targetE1EEEvSF_.has_recursion, 0
	.set _ZN7rocprim17ROCPRIM_400000_NS6detail17trampoline_kernelINS0_14default_configENS1_22reduce_config_selectorIxEEZNS1_11reduce_implILb1ES3_PxS7_xN6thrust23THRUST_200600_302600_NS4plusIxEEEE10hipError_tPvRmT1_T2_T3_mT4_P12ihipStream_tbEUlT_E1_NS1_11comp_targetILNS1_3genE10ELNS1_11target_archE1201ELNS1_3gpuE5ELNS1_3repE0EEENS1_30default_config_static_selectorELNS0_4arch9wavefront6targetE1EEEvSF_.has_indirect_call, 0
	.section	.AMDGPU.csdata,"",@progbits
; Kernel info:
; codeLenInByte = 0
; TotalNumSgprs: 6
; NumVgprs: 0
; NumAgprs: 0
; TotalNumVgprs: 0
; ScratchSize: 0
; MemoryBound: 0
; FloatMode: 240
; IeeeMode: 1
; LDSByteSize: 0 bytes/workgroup (compile time only)
; SGPRBlocks: 0
; VGPRBlocks: 0
; NumSGPRsForWavesPerEU: 6
; NumVGPRsForWavesPerEU: 1
; AccumOffset: 4
; Occupancy: 8
; WaveLimiterHint : 0
; COMPUTE_PGM_RSRC2:SCRATCH_EN: 0
; COMPUTE_PGM_RSRC2:USER_SGPR: 2
; COMPUTE_PGM_RSRC2:TRAP_HANDLER: 0
; COMPUTE_PGM_RSRC2:TGID_X_EN: 1
; COMPUTE_PGM_RSRC2:TGID_Y_EN: 0
; COMPUTE_PGM_RSRC2:TGID_Z_EN: 0
; COMPUTE_PGM_RSRC2:TIDIG_COMP_CNT: 0
; COMPUTE_PGM_RSRC3_GFX90A:ACCUM_OFFSET: 0
; COMPUTE_PGM_RSRC3_GFX90A:TG_SPLIT: 0
	.section	.text._ZN7rocprim17ROCPRIM_400000_NS6detail17trampoline_kernelINS0_14default_configENS1_22reduce_config_selectorIxEEZNS1_11reduce_implILb1ES3_PxS7_xN6thrust23THRUST_200600_302600_NS4plusIxEEEE10hipError_tPvRmT1_T2_T3_mT4_P12ihipStream_tbEUlT_E1_NS1_11comp_targetILNS1_3genE10ELNS1_11target_archE1200ELNS1_3gpuE4ELNS1_3repE0EEENS1_30default_config_static_selectorELNS0_4arch9wavefront6targetE1EEEvSF_,"axG",@progbits,_ZN7rocprim17ROCPRIM_400000_NS6detail17trampoline_kernelINS0_14default_configENS1_22reduce_config_selectorIxEEZNS1_11reduce_implILb1ES3_PxS7_xN6thrust23THRUST_200600_302600_NS4plusIxEEEE10hipError_tPvRmT1_T2_T3_mT4_P12ihipStream_tbEUlT_E1_NS1_11comp_targetILNS1_3genE10ELNS1_11target_archE1200ELNS1_3gpuE4ELNS1_3repE0EEENS1_30default_config_static_selectorELNS0_4arch9wavefront6targetE1EEEvSF_,comdat
	.protected	_ZN7rocprim17ROCPRIM_400000_NS6detail17trampoline_kernelINS0_14default_configENS1_22reduce_config_selectorIxEEZNS1_11reduce_implILb1ES3_PxS7_xN6thrust23THRUST_200600_302600_NS4plusIxEEEE10hipError_tPvRmT1_T2_T3_mT4_P12ihipStream_tbEUlT_E1_NS1_11comp_targetILNS1_3genE10ELNS1_11target_archE1200ELNS1_3gpuE4ELNS1_3repE0EEENS1_30default_config_static_selectorELNS0_4arch9wavefront6targetE1EEEvSF_ ; -- Begin function _ZN7rocprim17ROCPRIM_400000_NS6detail17trampoline_kernelINS0_14default_configENS1_22reduce_config_selectorIxEEZNS1_11reduce_implILb1ES3_PxS7_xN6thrust23THRUST_200600_302600_NS4plusIxEEEE10hipError_tPvRmT1_T2_T3_mT4_P12ihipStream_tbEUlT_E1_NS1_11comp_targetILNS1_3genE10ELNS1_11target_archE1200ELNS1_3gpuE4ELNS1_3repE0EEENS1_30default_config_static_selectorELNS0_4arch9wavefront6targetE1EEEvSF_
	.globl	_ZN7rocprim17ROCPRIM_400000_NS6detail17trampoline_kernelINS0_14default_configENS1_22reduce_config_selectorIxEEZNS1_11reduce_implILb1ES3_PxS7_xN6thrust23THRUST_200600_302600_NS4plusIxEEEE10hipError_tPvRmT1_T2_T3_mT4_P12ihipStream_tbEUlT_E1_NS1_11comp_targetILNS1_3genE10ELNS1_11target_archE1200ELNS1_3gpuE4ELNS1_3repE0EEENS1_30default_config_static_selectorELNS0_4arch9wavefront6targetE1EEEvSF_
	.p2align	8
	.type	_ZN7rocprim17ROCPRIM_400000_NS6detail17trampoline_kernelINS0_14default_configENS1_22reduce_config_selectorIxEEZNS1_11reduce_implILb1ES3_PxS7_xN6thrust23THRUST_200600_302600_NS4plusIxEEEE10hipError_tPvRmT1_T2_T3_mT4_P12ihipStream_tbEUlT_E1_NS1_11comp_targetILNS1_3genE10ELNS1_11target_archE1200ELNS1_3gpuE4ELNS1_3repE0EEENS1_30default_config_static_selectorELNS0_4arch9wavefront6targetE1EEEvSF_,@function
_ZN7rocprim17ROCPRIM_400000_NS6detail17trampoline_kernelINS0_14default_configENS1_22reduce_config_selectorIxEEZNS1_11reduce_implILb1ES3_PxS7_xN6thrust23THRUST_200600_302600_NS4plusIxEEEE10hipError_tPvRmT1_T2_T3_mT4_P12ihipStream_tbEUlT_E1_NS1_11comp_targetILNS1_3genE10ELNS1_11target_archE1200ELNS1_3gpuE4ELNS1_3repE0EEENS1_30default_config_static_selectorELNS0_4arch9wavefront6targetE1EEEvSF_: ; @_ZN7rocprim17ROCPRIM_400000_NS6detail17trampoline_kernelINS0_14default_configENS1_22reduce_config_selectorIxEEZNS1_11reduce_implILb1ES3_PxS7_xN6thrust23THRUST_200600_302600_NS4plusIxEEEE10hipError_tPvRmT1_T2_T3_mT4_P12ihipStream_tbEUlT_E1_NS1_11comp_targetILNS1_3genE10ELNS1_11target_archE1200ELNS1_3gpuE4ELNS1_3repE0EEENS1_30default_config_static_selectorELNS0_4arch9wavefront6targetE1EEEvSF_
; %bb.0:
	.section	.rodata,"a",@progbits
	.p2align	6, 0x0
	.amdhsa_kernel _ZN7rocprim17ROCPRIM_400000_NS6detail17trampoline_kernelINS0_14default_configENS1_22reduce_config_selectorIxEEZNS1_11reduce_implILb1ES3_PxS7_xN6thrust23THRUST_200600_302600_NS4plusIxEEEE10hipError_tPvRmT1_T2_T3_mT4_P12ihipStream_tbEUlT_E1_NS1_11comp_targetILNS1_3genE10ELNS1_11target_archE1200ELNS1_3gpuE4ELNS1_3repE0EEENS1_30default_config_static_selectorELNS0_4arch9wavefront6targetE1EEEvSF_
		.amdhsa_group_segment_fixed_size 0
		.amdhsa_private_segment_fixed_size 0
		.amdhsa_kernarg_size 48
		.amdhsa_user_sgpr_count 2
		.amdhsa_user_sgpr_dispatch_ptr 0
		.amdhsa_user_sgpr_queue_ptr 0
		.amdhsa_user_sgpr_kernarg_segment_ptr 1
		.amdhsa_user_sgpr_dispatch_id 0
		.amdhsa_user_sgpr_kernarg_preload_length 0
		.amdhsa_user_sgpr_kernarg_preload_offset 0
		.amdhsa_user_sgpr_private_segment_size 0
		.amdhsa_uses_dynamic_stack 0
		.amdhsa_enable_private_segment 0
		.amdhsa_system_sgpr_workgroup_id_x 1
		.amdhsa_system_sgpr_workgroup_id_y 0
		.amdhsa_system_sgpr_workgroup_id_z 0
		.amdhsa_system_sgpr_workgroup_info 0
		.amdhsa_system_vgpr_workitem_id 0
		.amdhsa_next_free_vgpr 1
		.amdhsa_next_free_sgpr 0
		.amdhsa_accum_offset 4
		.amdhsa_reserve_vcc 0
		.amdhsa_float_round_mode_32 0
		.amdhsa_float_round_mode_16_64 0
		.amdhsa_float_denorm_mode_32 3
		.amdhsa_float_denorm_mode_16_64 3
		.amdhsa_dx10_clamp 1
		.amdhsa_ieee_mode 1
		.amdhsa_fp16_overflow 0
		.amdhsa_tg_split 0
		.amdhsa_exception_fp_ieee_invalid_op 0
		.amdhsa_exception_fp_denorm_src 0
		.amdhsa_exception_fp_ieee_div_zero 0
		.amdhsa_exception_fp_ieee_overflow 0
		.amdhsa_exception_fp_ieee_underflow 0
		.amdhsa_exception_fp_ieee_inexact 0
		.amdhsa_exception_int_div_zero 0
	.end_amdhsa_kernel
	.section	.text._ZN7rocprim17ROCPRIM_400000_NS6detail17trampoline_kernelINS0_14default_configENS1_22reduce_config_selectorIxEEZNS1_11reduce_implILb1ES3_PxS7_xN6thrust23THRUST_200600_302600_NS4plusIxEEEE10hipError_tPvRmT1_T2_T3_mT4_P12ihipStream_tbEUlT_E1_NS1_11comp_targetILNS1_3genE10ELNS1_11target_archE1200ELNS1_3gpuE4ELNS1_3repE0EEENS1_30default_config_static_selectorELNS0_4arch9wavefront6targetE1EEEvSF_,"axG",@progbits,_ZN7rocprim17ROCPRIM_400000_NS6detail17trampoline_kernelINS0_14default_configENS1_22reduce_config_selectorIxEEZNS1_11reduce_implILb1ES3_PxS7_xN6thrust23THRUST_200600_302600_NS4plusIxEEEE10hipError_tPvRmT1_T2_T3_mT4_P12ihipStream_tbEUlT_E1_NS1_11comp_targetILNS1_3genE10ELNS1_11target_archE1200ELNS1_3gpuE4ELNS1_3repE0EEENS1_30default_config_static_selectorELNS0_4arch9wavefront6targetE1EEEvSF_,comdat
.Lfunc_end202:
	.size	_ZN7rocprim17ROCPRIM_400000_NS6detail17trampoline_kernelINS0_14default_configENS1_22reduce_config_selectorIxEEZNS1_11reduce_implILb1ES3_PxS7_xN6thrust23THRUST_200600_302600_NS4plusIxEEEE10hipError_tPvRmT1_T2_T3_mT4_P12ihipStream_tbEUlT_E1_NS1_11comp_targetILNS1_3genE10ELNS1_11target_archE1200ELNS1_3gpuE4ELNS1_3repE0EEENS1_30default_config_static_selectorELNS0_4arch9wavefront6targetE1EEEvSF_, .Lfunc_end202-_ZN7rocprim17ROCPRIM_400000_NS6detail17trampoline_kernelINS0_14default_configENS1_22reduce_config_selectorIxEEZNS1_11reduce_implILb1ES3_PxS7_xN6thrust23THRUST_200600_302600_NS4plusIxEEEE10hipError_tPvRmT1_T2_T3_mT4_P12ihipStream_tbEUlT_E1_NS1_11comp_targetILNS1_3genE10ELNS1_11target_archE1200ELNS1_3gpuE4ELNS1_3repE0EEENS1_30default_config_static_selectorELNS0_4arch9wavefront6targetE1EEEvSF_
                                        ; -- End function
	.set _ZN7rocprim17ROCPRIM_400000_NS6detail17trampoline_kernelINS0_14default_configENS1_22reduce_config_selectorIxEEZNS1_11reduce_implILb1ES3_PxS7_xN6thrust23THRUST_200600_302600_NS4plusIxEEEE10hipError_tPvRmT1_T2_T3_mT4_P12ihipStream_tbEUlT_E1_NS1_11comp_targetILNS1_3genE10ELNS1_11target_archE1200ELNS1_3gpuE4ELNS1_3repE0EEENS1_30default_config_static_selectorELNS0_4arch9wavefront6targetE1EEEvSF_.num_vgpr, 0
	.set _ZN7rocprim17ROCPRIM_400000_NS6detail17trampoline_kernelINS0_14default_configENS1_22reduce_config_selectorIxEEZNS1_11reduce_implILb1ES3_PxS7_xN6thrust23THRUST_200600_302600_NS4plusIxEEEE10hipError_tPvRmT1_T2_T3_mT4_P12ihipStream_tbEUlT_E1_NS1_11comp_targetILNS1_3genE10ELNS1_11target_archE1200ELNS1_3gpuE4ELNS1_3repE0EEENS1_30default_config_static_selectorELNS0_4arch9wavefront6targetE1EEEvSF_.num_agpr, 0
	.set _ZN7rocprim17ROCPRIM_400000_NS6detail17trampoline_kernelINS0_14default_configENS1_22reduce_config_selectorIxEEZNS1_11reduce_implILb1ES3_PxS7_xN6thrust23THRUST_200600_302600_NS4plusIxEEEE10hipError_tPvRmT1_T2_T3_mT4_P12ihipStream_tbEUlT_E1_NS1_11comp_targetILNS1_3genE10ELNS1_11target_archE1200ELNS1_3gpuE4ELNS1_3repE0EEENS1_30default_config_static_selectorELNS0_4arch9wavefront6targetE1EEEvSF_.numbered_sgpr, 0
	.set _ZN7rocprim17ROCPRIM_400000_NS6detail17trampoline_kernelINS0_14default_configENS1_22reduce_config_selectorIxEEZNS1_11reduce_implILb1ES3_PxS7_xN6thrust23THRUST_200600_302600_NS4plusIxEEEE10hipError_tPvRmT1_T2_T3_mT4_P12ihipStream_tbEUlT_E1_NS1_11comp_targetILNS1_3genE10ELNS1_11target_archE1200ELNS1_3gpuE4ELNS1_3repE0EEENS1_30default_config_static_selectorELNS0_4arch9wavefront6targetE1EEEvSF_.num_named_barrier, 0
	.set _ZN7rocprim17ROCPRIM_400000_NS6detail17trampoline_kernelINS0_14default_configENS1_22reduce_config_selectorIxEEZNS1_11reduce_implILb1ES3_PxS7_xN6thrust23THRUST_200600_302600_NS4plusIxEEEE10hipError_tPvRmT1_T2_T3_mT4_P12ihipStream_tbEUlT_E1_NS1_11comp_targetILNS1_3genE10ELNS1_11target_archE1200ELNS1_3gpuE4ELNS1_3repE0EEENS1_30default_config_static_selectorELNS0_4arch9wavefront6targetE1EEEvSF_.private_seg_size, 0
	.set _ZN7rocprim17ROCPRIM_400000_NS6detail17trampoline_kernelINS0_14default_configENS1_22reduce_config_selectorIxEEZNS1_11reduce_implILb1ES3_PxS7_xN6thrust23THRUST_200600_302600_NS4plusIxEEEE10hipError_tPvRmT1_T2_T3_mT4_P12ihipStream_tbEUlT_E1_NS1_11comp_targetILNS1_3genE10ELNS1_11target_archE1200ELNS1_3gpuE4ELNS1_3repE0EEENS1_30default_config_static_selectorELNS0_4arch9wavefront6targetE1EEEvSF_.uses_vcc, 0
	.set _ZN7rocprim17ROCPRIM_400000_NS6detail17trampoline_kernelINS0_14default_configENS1_22reduce_config_selectorIxEEZNS1_11reduce_implILb1ES3_PxS7_xN6thrust23THRUST_200600_302600_NS4plusIxEEEE10hipError_tPvRmT1_T2_T3_mT4_P12ihipStream_tbEUlT_E1_NS1_11comp_targetILNS1_3genE10ELNS1_11target_archE1200ELNS1_3gpuE4ELNS1_3repE0EEENS1_30default_config_static_selectorELNS0_4arch9wavefront6targetE1EEEvSF_.uses_flat_scratch, 0
	.set _ZN7rocprim17ROCPRIM_400000_NS6detail17trampoline_kernelINS0_14default_configENS1_22reduce_config_selectorIxEEZNS1_11reduce_implILb1ES3_PxS7_xN6thrust23THRUST_200600_302600_NS4plusIxEEEE10hipError_tPvRmT1_T2_T3_mT4_P12ihipStream_tbEUlT_E1_NS1_11comp_targetILNS1_3genE10ELNS1_11target_archE1200ELNS1_3gpuE4ELNS1_3repE0EEENS1_30default_config_static_selectorELNS0_4arch9wavefront6targetE1EEEvSF_.has_dyn_sized_stack, 0
	.set _ZN7rocprim17ROCPRIM_400000_NS6detail17trampoline_kernelINS0_14default_configENS1_22reduce_config_selectorIxEEZNS1_11reduce_implILb1ES3_PxS7_xN6thrust23THRUST_200600_302600_NS4plusIxEEEE10hipError_tPvRmT1_T2_T3_mT4_P12ihipStream_tbEUlT_E1_NS1_11comp_targetILNS1_3genE10ELNS1_11target_archE1200ELNS1_3gpuE4ELNS1_3repE0EEENS1_30default_config_static_selectorELNS0_4arch9wavefront6targetE1EEEvSF_.has_recursion, 0
	.set _ZN7rocprim17ROCPRIM_400000_NS6detail17trampoline_kernelINS0_14default_configENS1_22reduce_config_selectorIxEEZNS1_11reduce_implILb1ES3_PxS7_xN6thrust23THRUST_200600_302600_NS4plusIxEEEE10hipError_tPvRmT1_T2_T3_mT4_P12ihipStream_tbEUlT_E1_NS1_11comp_targetILNS1_3genE10ELNS1_11target_archE1200ELNS1_3gpuE4ELNS1_3repE0EEENS1_30default_config_static_selectorELNS0_4arch9wavefront6targetE1EEEvSF_.has_indirect_call, 0
	.section	.AMDGPU.csdata,"",@progbits
; Kernel info:
; codeLenInByte = 0
; TotalNumSgprs: 6
; NumVgprs: 0
; NumAgprs: 0
; TotalNumVgprs: 0
; ScratchSize: 0
; MemoryBound: 0
; FloatMode: 240
; IeeeMode: 1
; LDSByteSize: 0 bytes/workgroup (compile time only)
; SGPRBlocks: 0
; VGPRBlocks: 0
; NumSGPRsForWavesPerEU: 6
; NumVGPRsForWavesPerEU: 1
; AccumOffset: 4
; Occupancy: 8
; WaveLimiterHint : 0
; COMPUTE_PGM_RSRC2:SCRATCH_EN: 0
; COMPUTE_PGM_RSRC2:USER_SGPR: 2
; COMPUTE_PGM_RSRC2:TRAP_HANDLER: 0
; COMPUTE_PGM_RSRC2:TGID_X_EN: 1
; COMPUTE_PGM_RSRC2:TGID_Y_EN: 0
; COMPUTE_PGM_RSRC2:TGID_Z_EN: 0
; COMPUTE_PGM_RSRC2:TIDIG_COMP_CNT: 0
; COMPUTE_PGM_RSRC3_GFX90A:ACCUM_OFFSET: 0
; COMPUTE_PGM_RSRC3_GFX90A:TG_SPLIT: 0
	.section	.text._ZN7rocprim17ROCPRIM_400000_NS6detail17trampoline_kernelINS0_14default_configENS1_22reduce_config_selectorIxEEZNS1_11reduce_implILb1ES3_PxS7_xN6thrust23THRUST_200600_302600_NS4plusIxEEEE10hipError_tPvRmT1_T2_T3_mT4_P12ihipStream_tbEUlT_E1_NS1_11comp_targetILNS1_3genE9ELNS1_11target_archE1100ELNS1_3gpuE3ELNS1_3repE0EEENS1_30default_config_static_selectorELNS0_4arch9wavefront6targetE1EEEvSF_,"axG",@progbits,_ZN7rocprim17ROCPRIM_400000_NS6detail17trampoline_kernelINS0_14default_configENS1_22reduce_config_selectorIxEEZNS1_11reduce_implILb1ES3_PxS7_xN6thrust23THRUST_200600_302600_NS4plusIxEEEE10hipError_tPvRmT1_T2_T3_mT4_P12ihipStream_tbEUlT_E1_NS1_11comp_targetILNS1_3genE9ELNS1_11target_archE1100ELNS1_3gpuE3ELNS1_3repE0EEENS1_30default_config_static_selectorELNS0_4arch9wavefront6targetE1EEEvSF_,comdat
	.protected	_ZN7rocprim17ROCPRIM_400000_NS6detail17trampoline_kernelINS0_14default_configENS1_22reduce_config_selectorIxEEZNS1_11reduce_implILb1ES3_PxS7_xN6thrust23THRUST_200600_302600_NS4plusIxEEEE10hipError_tPvRmT1_T2_T3_mT4_P12ihipStream_tbEUlT_E1_NS1_11comp_targetILNS1_3genE9ELNS1_11target_archE1100ELNS1_3gpuE3ELNS1_3repE0EEENS1_30default_config_static_selectorELNS0_4arch9wavefront6targetE1EEEvSF_ ; -- Begin function _ZN7rocprim17ROCPRIM_400000_NS6detail17trampoline_kernelINS0_14default_configENS1_22reduce_config_selectorIxEEZNS1_11reduce_implILb1ES3_PxS7_xN6thrust23THRUST_200600_302600_NS4plusIxEEEE10hipError_tPvRmT1_T2_T3_mT4_P12ihipStream_tbEUlT_E1_NS1_11comp_targetILNS1_3genE9ELNS1_11target_archE1100ELNS1_3gpuE3ELNS1_3repE0EEENS1_30default_config_static_selectorELNS0_4arch9wavefront6targetE1EEEvSF_
	.globl	_ZN7rocprim17ROCPRIM_400000_NS6detail17trampoline_kernelINS0_14default_configENS1_22reduce_config_selectorIxEEZNS1_11reduce_implILb1ES3_PxS7_xN6thrust23THRUST_200600_302600_NS4plusIxEEEE10hipError_tPvRmT1_T2_T3_mT4_P12ihipStream_tbEUlT_E1_NS1_11comp_targetILNS1_3genE9ELNS1_11target_archE1100ELNS1_3gpuE3ELNS1_3repE0EEENS1_30default_config_static_selectorELNS0_4arch9wavefront6targetE1EEEvSF_
	.p2align	8
	.type	_ZN7rocprim17ROCPRIM_400000_NS6detail17trampoline_kernelINS0_14default_configENS1_22reduce_config_selectorIxEEZNS1_11reduce_implILb1ES3_PxS7_xN6thrust23THRUST_200600_302600_NS4plusIxEEEE10hipError_tPvRmT1_T2_T3_mT4_P12ihipStream_tbEUlT_E1_NS1_11comp_targetILNS1_3genE9ELNS1_11target_archE1100ELNS1_3gpuE3ELNS1_3repE0EEENS1_30default_config_static_selectorELNS0_4arch9wavefront6targetE1EEEvSF_,@function
_ZN7rocprim17ROCPRIM_400000_NS6detail17trampoline_kernelINS0_14default_configENS1_22reduce_config_selectorIxEEZNS1_11reduce_implILb1ES3_PxS7_xN6thrust23THRUST_200600_302600_NS4plusIxEEEE10hipError_tPvRmT1_T2_T3_mT4_P12ihipStream_tbEUlT_E1_NS1_11comp_targetILNS1_3genE9ELNS1_11target_archE1100ELNS1_3gpuE3ELNS1_3repE0EEENS1_30default_config_static_selectorELNS0_4arch9wavefront6targetE1EEEvSF_: ; @_ZN7rocprim17ROCPRIM_400000_NS6detail17trampoline_kernelINS0_14default_configENS1_22reduce_config_selectorIxEEZNS1_11reduce_implILb1ES3_PxS7_xN6thrust23THRUST_200600_302600_NS4plusIxEEEE10hipError_tPvRmT1_T2_T3_mT4_P12ihipStream_tbEUlT_E1_NS1_11comp_targetILNS1_3genE9ELNS1_11target_archE1100ELNS1_3gpuE3ELNS1_3repE0EEENS1_30default_config_static_selectorELNS0_4arch9wavefront6targetE1EEEvSF_
; %bb.0:
	.section	.rodata,"a",@progbits
	.p2align	6, 0x0
	.amdhsa_kernel _ZN7rocprim17ROCPRIM_400000_NS6detail17trampoline_kernelINS0_14default_configENS1_22reduce_config_selectorIxEEZNS1_11reduce_implILb1ES3_PxS7_xN6thrust23THRUST_200600_302600_NS4plusIxEEEE10hipError_tPvRmT1_T2_T3_mT4_P12ihipStream_tbEUlT_E1_NS1_11comp_targetILNS1_3genE9ELNS1_11target_archE1100ELNS1_3gpuE3ELNS1_3repE0EEENS1_30default_config_static_selectorELNS0_4arch9wavefront6targetE1EEEvSF_
		.amdhsa_group_segment_fixed_size 0
		.amdhsa_private_segment_fixed_size 0
		.amdhsa_kernarg_size 48
		.amdhsa_user_sgpr_count 2
		.amdhsa_user_sgpr_dispatch_ptr 0
		.amdhsa_user_sgpr_queue_ptr 0
		.amdhsa_user_sgpr_kernarg_segment_ptr 1
		.amdhsa_user_sgpr_dispatch_id 0
		.amdhsa_user_sgpr_kernarg_preload_length 0
		.amdhsa_user_sgpr_kernarg_preload_offset 0
		.amdhsa_user_sgpr_private_segment_size 0
		.amdhsa_uses_dynamic_stack 0
		.amdhsa_enable_private_segment 0
		.amdhsa_system_sgpr_workgroup_id_x 1
		.amdhsa_system_sgpr_workgroup_id_y 0
		.amdhsa_system_sgpr_workgroup_id_z 0
		.amdhsa_system_sgpr_workgroup_info 0
		.amdhsa_system_vgpr_workitem_id 0
		.amdhsa_next_free_vgpr 1
		.amdhsa_next_free_sgpr 0
		.amdhsa_accum_offset 4
		.amdhsa_reserve_vcc 0
		.amdhsa_float_round_mode_32 0
		.amdhsa_float_round_mode_16_64 0
		.amdhsa_float_denorm_mode_32 3
		.amdhsa_float_denorm_mode_16_64 3
		.amdhsa_dx10_clamp 1
		.amdhsa_ieee_mode 1
		.amdhsa_fp16_overflow 0
		.amdhsa_tg_split 0
		.amdhsa_exception_fp_ieee_invalid_op 0
		.amdhsa_exception_fp_denorm_src 0
		.amdhsa_exception_fp_ieee_div_zero 0
		.amdhsa_exception_fp_ieee_overflow 0
		.amdhsa_exception_fp_ieee_underflow 0
		.amdhsa_exception_fp_ieee_inexact 0
		.amdhsa_exception_int_div_zero 0
	.end_amdhsa_kernel
	.section	.text._ZN7rocprim17ROCPRIM_400000_NS6detail17trampoline_kernelINS0_14default_configENS1_22reduce_config_selectorIxEEZNS1_11reduce_implILb1ES3_PxS7_xN6thrust23THRUST_200600_302600_NS4plusIxEEEE10hipError_tPvRmT1_T2_T3_mT4_P12ihipStream_tbEUlT_E1_NS1_11comp_targetILNS1_3genE9ELNS1_11target_archE1100ELNS1_3gpuE3ELNS1_3repE0EEENS1_30default_config_static_selectorELNS0_4arch9wavefront6targetE1EEEvSF_,"axG",@progbits,_ZN7rocprim17ROCPRIM_400000_NS6detail17trampoline_kernelINS0_14default_configENS1_22reduce_config_selectorIxEEZNS1_11reduce_implILb1ES3_PxS7_xN6thrust23THRUST_200600_302600_NS4plusIxEEEE10hipError_tPvRmT1_T2_T3_mT4_P12ihipStream_tbEUlT_E1_NS1_11comp_targetILNS1_3genE9ELNS1_11target_archE1100ELNS1_3gpuE3ELNS1_3repE0EEENS1_30default_config_static_selectorELNS0_4arch9wavefront6targetE1EEEvSF_,comdat
.Lfunc_end203:
	.size	_ZN7rocprim17ROCPRIM_400000_NS6detail17trampoline_kernelINS0_14default_configENS1_22reduce_config_selectorIxEEZNS1_11reduce_implILb1ES3_PxS7_xN6thrust23THRUST_200600_302600_NS4plusIxEEEE10hipError_tPvRmT1_T2_T3_mT4_P12ihipStream_tbEUlT_E1_NS1_11comp_targetILNS1_3genE9ELNS1_11target_archE1100ELNS1_3gpuE3ELNS1_3repE0EEENS1_30default_config_static_selectorELNS0_4arch9wavefront6targetE1EEEvSF_, .Lfunc_end203-_ZN7rocprim17ROCPRIM_400000_NS6detail17trampoline_kernelINS0_14default_configENS1_22reduce_config_selectorIxEEZNS1_11reduce_implILb1ES3_PxS7_xN6thrust23THRUST_200600_302600_NS4plusIxEEEE10hipError_tPvRmT1_T2_T3_mT4_P12ihipStream_tbEUlT_E1_NS1_11comp_targetILNS1_3genE9ELNS1_11target_archE1100ELNS1_3gpuE3ELNS1_3repE0EEENS1_30default_config_static_selectorELNS0_4arch9wavefront6targetE1EEEvSF_
                                        ; -- End function
	.set _ZN7rocprim17ROCPRIM_400000_NS6detail17trampoline_kernelINS0_14default_configENS1_22reduce_config_selectorIxEEZNS1_11reduce_implILb1ES3_PxS7_xN6thrust23THRUST_200600_302600_NS4plusIxEEEE10hipError_tPvRmT1_T2_T3_mT4_P12ihipStream_tbEUlT_E1_NS1_11comp_targetILNS1_3genE9ELNS1_11target_archE1100ELNS1_3gpuE3ELNS1_3repE0EEENS1_30default_config_static_selectorELNS0_4arch9wavefront6targetE1EEEvSF_.num_vgpr, 0
	.set _ZN7rocprim17ROCPRIM_400000_NS6detail17trampoline_kernelINS0_14default_configENS1_22reduce_config_selectorIxEEZNS1_11reduce_implILb1ES3_PxS7_xN6thrust23THRUST_200600_302600_NS4plusIxEEEE10hipError_tPvRmT1_T2_T3_mT4_P12ihipStream_tbEUlT_E1_NS1_11comp_targetILNS1_3genE9ELNS1_11target_archE1100ELNS1_3gpuE3ELNS1_3repE0EEENS1_30default_config_static_selectorELNS0_4arch9wavefront6targetE1EEEvSF_.num_agpr, 0
	.set _ZN7rocprim17ROCPRIM_400000_NS6detail17trampoline_kernelINS0_14default_configENS1_22reduce_config_selectorIxEEZNS1_11reduce_implILb1ES3_PxS7_xN6thrust23THRUST_200600_302600_NS4plusIxEEEE10hipError_tPvRmT1_T2_T3_mT4_P12ihipStream_tbEUlT_E1_NS1_11comp_targetILNS1_3genE9ELNS1_11target_archE1100ELNS1_3gpuE3ELNS1_3repE0EEENS1_30default_config_static_selectorELNS0_4arch9wavefront6targetE1EEEvSF_.numbered_sgpr, 0
	.set _ZN7rocprim17ROCPRIM_400000_NS6detail17trampoline_kernelINS0_14default_configENS1_22reduce_config_selectorIxEEZNS1_11reduce_implILb1ES3_PxS7_xN6thrust23THRUST_200600_302600_NS4plusIxEEEE10hipError_tPvRmT1_T2_T3_mT4_P12ihipStream_tbEUlT_E1_NS1_11comp_targetILNS1_3genE9ELNS1_11target_archE1100ELNS1_3gpuE3ELNS1_3repE0EEENS1_30default_config_static_selectorELNS0_4arch9wavefront6targetE1EEEvSF_.num_named_barrier, 0
	.set _ZN7rocprim17ROCPRIM_400000_NS6detail17trampoline_kernelINS0_14default_configENS1_22reduce_config_selectorIxEEZNS1_11reduce_implILb1ES3_PxS7_xN6thrust23THRUST_200600_302600_NS4plusIxEEEE10hipError_tPvRmT1_T2_T3_mT4_P12ihipStream_tbEUlT_E1_NS1_11comp_targetILNS1_3genE9ELNS1_11target_archE1100ELNS1_3gpuE3ELNS1_3repE0EEENS1_30default_config_static_selectorELNS0_4arch9wavefront6targetE1EEEvSF_.private_seg_size, 0
	.set _ZN7rocprim17ROCPRIM_400000_NS6detail17trampoline_kernelINS0_14default_configENS1_22reduce_config_selectorIxEEZNS1_11reduce_implILb1ES3_PxS7_xN6thrust23THRUST_200600_302600_NS4plusIxEEEE10hipError_tPvRmT1_T2_T3_mT4_P12ihipStream_tbEUlT_E1_NS1_11comp_targetILNS1_3genE9ELNS1_11target_archE1100ELNS1_3gpuE3ELNS1_3repE0EEENS1_30default_config_static_selectorELNS0_4arch9wavefront6targetE1EEEvSF_.uses_vcc, 0
	.set _ZN7rocprim17ROCPRIM_400000_NS6detail17trampoline_kernelINS0_14default_configENS1_22reduce_config_selectorIxEEZNS1_11reduce_implILb1ES3_PxS7_xN6thrust23THRUST_200600_302600_NS4plusIxEEEE10hipError_tPvRmT1_T2_T3_mT4_P12ihipStream_tbEUlT_E1_NS1_11comp_targetILNS1_3genE9ELNS1_11target_archE1100ELNS1_3gpuE3ELNS1_3repE0EEENS1_30default_config_static_selectorELNS0_4arch9wavefront6targetE1EEEvSF_.uses_flat_scratch, 0
	.set _ZN7rocprim17ROCPRIM_400000_NS6detail17trampoline_kernelINS0_14default_configENS1_22reduce_config_selectorIxEEZNS1_11reduce_implILb1ES3_PxS7_xN6thrust23THRUST_200600_302600_NS4plusIxEEEE10hipError_tPvRmT1_T2_T3_mT4_P12ihipStream_tbEUlT_E1_NS1_11comp_targetILNS1_3genE9ELNS1_11target_archE1100ELNS1_3gpuE3ELNS1_3repE0EEENS1_30default_config_static_selectorELNS0_4arch9wavefront6targetE1EEEvSF_.has_dyn_sized_stack, 0
	.set _ZN7rocprim17ROCPRIM_400000_NS6detail17trampoline_kernelINS0_14default_configENS1_22reduce_config_selectorIxEEZNS1_11reduce_implILb1ES3_PxS7_xN6thrust23THRUST_200600_302600_NS4plusIxEEEE10hipError_tPvRmT1_T2_T3_mT4_P12ihipStream_tbEUlT_E1_NS1_11comp_targetILNS1_3genE9ELNS1_11target_archE1100ELNS1_3gpuE3ELNS1_3repE0EEENS1_30default_config_static_selectorELNS0_4arch9wavefront6targetE1EEEvSF_.has_recursion, 0
	.set _ZN7rocprim17ROCPRIM_400000_NS6detail17trampoline_kernelINS0_14default_configENS1_22reduce_config_selectorIxEEZNS1_11reduce_implILb1ES3_PxS7_xN6thrust23THRUST_200600_302600_NS4plusIxEEEE10hipError_tPvRmT1_T2_T3_mT4_P12ihipStream_tbEUlT_E1_NS1_11comp_targetILNS1_3genE9ELNS1_11target_archE1100ELNS1_3gpuE3ELNS1_3repE0EEENS1_30default_config_static_selectorELNS0_4arch9wavefront6targetE1EEEvSF_.has_indirect_call, 0
	.section	.AMDGPU.csdata,"",@progbits
; Kernel info:
; codeLenInByte = 0
; TotalNumSgprs: 6
; NumVgprs: 0
; NumAgprs: 0
; TotalNumVgprs: 0
; ScratchSize: 0
; MemoryBound: 0
; FloatMode: 240
; IeeeMode: 1
; LDSByteSize: 0 bytes/workgroup (compile time only)
; SGPRBlocks: 0
; VGPRBlocks: 0
; NumSGPRsForWavesPerEU: 6
; NumVGPRsForWavesPerEU: 1
; AccumOffset: 4
; Occupancy: 8
; WaveLimiterHint : 0
; COMPUTE_PGM_RSRC2:SCRATCH_EN: 0
; COMPUTE_PGM_RSRC2:USER_SGPR: 2
; COMPUTE_PGM_RSRC2:TRAP_HANDLER: 0
; COMPUTE_PGM_RSRC2:TGID_X_EN: 1
; COMPUTE_PGM_RSRC2:TGID_Y_EN: 0
; COMPUTE_PGM_RSRC2:TGID_Z_EN: 0
; COMPUTE_PGM_RSRC2:TIDIG_COMP_CNT: 0
; COMPUTE_PGM_RSRC3_GFX90A:ACCUM_OFFSET: 0
; COMPUTE_PGM_RSRC3_GFX90A:TG_SPLIT: 0
	.section	.text._ZN7rocprim17ROCPRIM_400000_NS6detail17trampoline_kernelINS0_14default_configENS1_22reduce_config_selectorIxEEZNS1_11reduce_implILb1ES3_PxS7_xN6thrust23THRUST_200600_302600_NS4plusIxEEEE10hipError_tPvRmT1_T2_T3_mT4_P12ihipStream_tbEUlT_E1_NS1_11comp_targetILNS1_3genE8ELNS1_11target_archE1030ELNS1_3gpuE2ELNS1_3repE0EEENS1_30default_config_static_selectorELNS0_4arch9wavefront6targetE1EEEvSF_,"axG",@progbits,_ZN7rocprim17ROCPRIM_400000_NS6detail17trampoline_kernelINS0_14default_configENS1_22reduce_config_selectorIxEEZNS1_11reduce_implILb1ES3_PxS7_xN6thrust23THRUST_200600_302600_NS4plusIxEEEE10hipError_tPvRmT1_T2_T3_mT4_P12ihipStream_tbEUlT_E1_NS1_11comp_targetILNS1_3genE8ELNS1_11target_archE1030ELNS1_3gpuE2ELNS1_3repE0EEENS1_30default_config_static_selectorELNS0_4arch9wavefront6targetE1EEEvSF_,comdat
	.protected	_ZN7rocprim17ROCPRIM_400000_NS6detail17trampoline_kernelINS0_14default_configENS1_22reduce_config_selectorIxEEZNS1_11reduce_implILb1ES3_PxS7_xN6thrust23THRUST_200600_302600_NS4plusIxEEEE10hipError_tPvRmT1_T2_T3_mT4_P12ihipStream_tbEUlT_E1_NS1_11comp_targetILNS1_3genE8ELNS1_11target_archE1030ELNS1_3gpuE2ELNS1_3repE0EEENS1_30default_config_static_selectorELNS0_4arch9wavefront6targetE1EEEvSF_ ; -- Begin function _ZN7rocprim17ROCPRIM_400000_NS6detail17trampoline_kernelINS0_14default_configENS1_22reduce_config_selectorIxEEZNS1_11reduce_implILb1ES3_PxS7_xN6thrust23THRUST_200600_302600_NS4plusIxEEEE10hipError_tPvRmT1_T2_T3_mT4_P12ihipStream_tbEUlT_E1_NS1_11comp_targetILNS1_3genE8ELNS1_11target_archE1030ELNS1_3gpuE2ELNS1_3repE0EEENS1_30default_config_static_selectorELNS0_4arch9wavefront6targetE1EEEvSF_
	.globl	_ZN7rocprim17ROCPRIM_400000_NS6detail17trampoline_kernelINS0_14default_configENS1_22reduce_config_selectorIxEEZNS1_11reduce_implILb1ES3_PxS7_xN6thrust23THRUST_200600_302600_NS4plusIxEEEE10hipError_tPvRmT1_T2_T3_mT4_P12ihipStream_tbEUlT_E1_NS1_11comp_targetILNS1_3genE8ELNS1_11target_archE1030ELNS1_3gpuE2ELNS1_3repE0EEENS1_30default_config_static_selectorELNS0_4arch9wavefront6targetE1EEEvSF_
	.p2align	8
	.type	_ZN7rocprim17ROCPRIM_400000_NS6detail17trampoline_kernelINS0_14default_configENS1_22reduce_config_selectorIxEEZNS1_11reduce_implILb1ES3_PxS7_xN6thrust23THRUST_200600_302600_NS4plusIxEEEE10hipError_tPvRmT1_T2_T3_mT4_P12ihipStream_tbEUlT_E1_NS1_11comp_targetILNS1_3genE8ELNS1_11target_archE1030ELNS1_3gpuE2ELNS1_3repE0EEENS1_30default_config_static_selectorELNS0_4arch9wavefront6targetE1EEEvSF_,@function
_ZN7rocprim17ROCPRIM_400000_NS6detail17trampoline_kernelINS0_14default_configENS1_22reduce_config_selectorIxEEZNS1_11reduce_implILb1ES3_PxS7_xN6thrust23THRUST_200600_302600_NS4plusIxEEEE10hipError_tPvRmT1_T2_T3_mT4_P12ihipStream_tbEUlT_E1_NS1_11comp_targetILNS1_3genE8ELNS1_11target_archE1030ELNS1_3gpuE2ELNS1_3repE0EEENS1_30default_config_static_selectorELNS0_4arch9wavefront6targetE1EEEvSF_: ; @_ZN7rocprim17ROCPRIM_400000_NS6detail17trampoline_kernelINS0_14default_configENS1_22reduce_config_selectorIxEEZNS1_11reduce_implILb1ES3_PxS7_xN6thrust23THRUST_200600_302600_NS4plusIxEEEE10hipError_tPvRmT1_T2_T3_mT4_P12ihipStream_tbEUlT_E1_NS1_11comp_targetILNS1_3genE8ELNS1_11target_archE1030ELNS1_3gpuE2ELNS1_3repE0EEENS1_30default_config_static_selectorELNS0_4arch9wavefront6targetE1EEEvSF_
; %bb.0:
	.section	.rodata,"a",@progbits
	.p2align	6, 0x0
	.amdhsa_kernel _ZN7rocprim17ROCPRIM_400000_NS6detail17trampoline_kernelINS0_14default_configENS1_22reduce_config_selectorIxEEZNS1_11reduce_implILb1ES3_PxS7_xN6thrust23THRUST_200600_302600_NS4plusIxEEEE10hipError_tPvRmT1_T2_T3_mT4_P12ihipStream_tbEUlT_E1_NS1_11comp_targetILNS1_3genE8ELNS1_11target_archE1030ELNS1_3gpuE2ELNS1_3repE0EEENS1_30default_config_static_selectorELNS0_4arch9wavefront6targetE1EEEvSF_
		.amdhsa_group_segment_fixed_size 0
		.amdhsa_private_segment_fixed_size 0
		.amdhsa_kernarg_size 48
		.amdhsa_user_sgpr_count 2
		.amdhsa_user_sgpr_dispatch_ptr 0
		.amdhsa_user_sgpr_queue_ptr 0
		.amdhsa_user_sgpr_kernarg_segment_ptr 1
		.amdhsa_user_sgpr_dispatch_id 0
		.amdhsa_user_sgpr_kernarg_preload_length 0
		.amdhsa_user_sgpr_kernarg_preload_offset 0
		.amdhsa_user_sgpr_private_segment_size 0
		.amdhsa_uses_dynamic_stack 0
		.amdhsa_enable_private_segment 0
		.amdhsa_system_sgpr_workgroup_id_x 1
		.amdhsa_system_sgpr_workgroup_id_y 0
		.amdhsa_system_sgpr_workgroup_id_z 0
		.amdhsa_system_sgpr_workgroup_info 0
		.amdhsa_system_vgpr_workitem_id 0
		.amdhsa_next_free_vgpr 1
		.amdhsa_next_free_sgpr 0
		.amdhsa_accum_offset 4
		.amdhsa_reserve_vcc 0
		.amdhsa_float_round_mode_32 0
		.amdhsa_float_round_mode_16_64 0
		.amdhsa_float_denorm_mode_32 3
		.amdhsa_float_denorm_mode_16_64 3
		.amdhsa_dx10_clamp 1
		.amdhsa_ieee_mode 1
		.amdhsa_fp16_overflow 0
		.amdhsa_tg_split 0
		.amdhsa_exception_fp_ieee_invalid_op 0
		.amdhsa_exception_fp_denorm_src 0
		.amdhsa_exception_fp_ieee_div_zero 0
		.amdhsa_exception_fp_ieee_overflow 0
		.amdhsa_exception_fp_ieee_underflow 0
		.amdhsa_exception_fp_ieee_inexact 0
		.amdhsa_exception_int_div_zero 0
	.end_amdhsa_kernel
	.section	.text._ZN7rocprim17ROCPRIM_400000_NS6detail17trampoline_kernelINS0_14default_configENS1_22reduce_config_selectorIxEEZNS1_11reduce_implILb1ES3_PxS7_xN6thrust23THRUST_200600_302600_NS4plusIxEEEE10hipError_tPvRmT1_T2_T3_mT4_P12ihipStream_tbEUlT_E1_NS1_11comp_targetILNS1_3genE8ELNS1_11target_archE1030ELNS1_3gpuE2ELNS1_3repE0EEENS1_30default_config_static_selectorELNS0_4arch9wavefront6targetE1EEEvSF_,"axG",@progbits,_ZN7rocprim17ROCPRIM_400000_NS6detail17trampoline_kernelINS0_14default_configENS1_22reduce_config_selectorIxEEZNS1_11reduce_implILb1ES3_PxS7_xN6thrust23THRUST_200600_302600_NS4plusIxEEEE10hipError_tPvRmT1_T2_T3_mT4_P12ihipStream_tbEUlT_E1_NS1_11comp_targetILNS1_3genE8ELNS1_11target_archE1030ELNS1_3gpuE2ELNS1_3repE0EEENS1_30default_config_static_selectorELNS0_4arch9wavefront6targetE1EEEvSF_,comdat
.Lfunc_end204:
	.size	_ZN7rocprim17ROCPRIM_400000_NS6detail17trampoline_kernelINS0_14default_configENS1_22reduce_config_selectorIxEEZNS1_11reduce_implILb1ES3_PxS7_xN6thrust23THRUST_200600_302600_NS4plusIxEEEE10hipError_tPvRmT1_T2_T3_mT4_P12ihipStream_tbEUlT_E1_NS1_11comp_targetILNS1_3genE8ELNS1_11target_archE1030ELNS1_3gpuE2ELNS1_3repE0EEENS1_30default_config_static_selectorELNS0_4arch9wavefront6targetE1EEEvSF_, .Lfunc_end204-_ZN7rocprim17ROCPRIM_400000_NS6detail17trampoline_kernelINS0_14default_configENS1_22reduce_config_selectorIxEEZNS1_11reduce_implILb1ES3_PxS7_xN6thrust23THRUST_200600_302600_NS4plusIxEEEE10hipError_tPvRmT1_T2_T3_mT4_P12ihipStream_tbEUlT_E1_NS1_11comp_targetILNS1_3genE8ELNS1_11target_archE1030ELNS1_3gpuE2ELNS1_3repE0EEENS1_30default_config_static_selectorELNS0_4arch9wavefront6targetE1EEEvSF_
                                        ; -- End function
	.set _ZN7rocprim17ROCPRIM_400000_NS6detail17trampoline_kernelINS0_14default_configENS1_22reduce_config_selectorIxEEZNS1_11reduce_implILb1ES3_PxS7_xN6thrust23THRUST_200600_302600_NS4plusIxEEEE10hipError_tPvRmT1_T2_T3_mT4_P12ihipStream_tbEUlT_E1_NS1_11comp_targetILNS1_3genE8ELNS1_11target_archE1030ELNS1_3gpuE2ELNS1_3repE0EEENS1_30default_config_static_selectorELNS0_4arch9wavefront6targetE1EEEvSF_.num_vgpr, 0
	.set _ZN7rocprim17ROCPRIM_400000_NS6detail17trampoline_kernelINS0_14default_configENS1_22reduce_config_selectorIxEEZNS1_11reduce_implILb1ES3_PxS7_xN6thrust23THRUST_200600_302600_NS4plusIxEEEE10hipError_tPvRmT1_T2_T3_mT4_P12ihipStream_tbEUlT_E1_NS1_11comp_targetILNS1_3genE8ELNS1_11target_archE1030ELNS1_3gpuE2ELNS1_3repE0EEENS1_30default_config_static_selectorELNS0_4arch9wavefront6targetE1EEEvSF_.num_agpr, 0
	.set _ZN7rocprim17ROCPRIM_400000_NS6detail17trampoline_kernelINS0_14default_configENS1_22reduce_config_selectorIxEEZNS1_11reduce_implILb1ES3_PxS7_xN6thrust23THRUST_200600_302600_NS4plusIxEEEE10hipError_tPvRmT1_T2_T3_mT4_P12ihipStream_tbEUlT_E1_NS1_11comp_targetILNS1_3genE8ELNS1_11target_archE1030ELNS1_3gpuE2ELNS1_3repE0EEENS1_30default_config_static_selectorELNS0_4arch9wavefront6targetE1EEEvSF_.numbered_sgpr, 0
	.set _ZN7rocprim17ROCPRIM_400000_NS6detail17trampoline_kernelINS0_14default_configENS1_22reduce_config_selectorIxEEZNS1_11reduce_implILb1ES3_PxS7_xN6thrust23THRUST_200600_302600_NS4plusIxEEEE10hipError_tPvRmT1_T2_T3_mT4_P12ihipStream_tbEUlT_E1_NS1_11comp_targetILNS1_3genE8ELNS1_11target_archE1030ELNS1_3gpuE2ELNS1_3repE0EEENS1_30default_config_static_selectorELNS0_4arch9wavefront6targetE1EEEvSF_.num_named_barrier, 0
	.set _ZN7rocprim17ROCPRIM_400000_NS6detail17trampoline_kernelINS0_14default_configENS1_22reduce_config_selectorIxEEZNS1_11reduce_implILb1ES3_PxS7_xN6thrust23THRUST_200600_302600_NS4plusIxEEEE10hipError_tPvRmT1_T2_T3_mT4_P12ihipStream_tbEUlT_E1_NS1_11comp_targetILNS1_3genE8ELNS1_11target_archE1030ELNS1_3gpuE2ELNS1_3repE0EEENS1_30default_config_static_selectorELNS0_4arch9wavefront6targetE1EEEvSF_.private_seg_size, 0
	.set _ZN7rocprim17ROCPRIM_400000_NS6detail17trampoline_kernelINS0_14default_configENS1_22reduce_config_selectorIxEEZNS1_11reduce_implILb1ES3_PxS7_xN6thrust23THRUST_200600_302600_NS4plusIxEEEE10hipError_tPvRmT1_T2_T3_mT4_P12ihipStream_tbEUlT_E1_NS1_11comp_targetILNS1_3genE8ELNS1_11target_archE1030ELNS1_3gpuE2ELNS1_3repE0EEENS1_30default_config_static_selectorELNS0_4arch9wavefront6targetE1EEEvSF_.uses_vcc, 0
	.set _ZN7rocprim17ROCPRIM_400000_NS6detail17trampoline_kernelINS0_14default_configENS1_22reduce_config_selectorIxEEZNS1_11reduce_implILb1ES3_PxS7_xN6thrust23THRUST_200600_302600_NS4plusIxEEEE10hipError_tPvRmT1_T2_T3_mT4_P12ihipStream_tbEUlT_E1_NS1_11comp_targetILNS1_3genE8ELNS1_11target_archE1030ELNS1_3gpuE2ELNS1_3repE0EEENS1_30default_config_static_selectorELNS0_4arch9wavefront6targetE1EEEvSF_.uses_flat_scratch, 0
	.set _ZN7rocprim17ROCPRIM_400000_NS6detail17trampoline_kernelINS0_14default_configENS1_22reduce_config_selectorIxEEZNS1_11reduce_implILb1ES3_PxS7_xN6thrust23THRUST_200600_302600_NS4plusIxEEEE10hipError_tPvRmT1_T2_T3_mT4_P12ihipStream_tbEUlT_E1_NS1_11comp_targetILNS1_3genE8ELNS1_11target_archE1030ELNS1_3gpuE2ELNS1_3repE0EEENS1_30default_config_static_selectorELNS0_4arch9wavefront6targetE1EEEvSF_.has_dyn_sized_stack, 0
	.set _ZN7rocprim17ROCPRIM_400000_NS6detail17trampoline_kernelINS0_14default_configENS1_22reduce_config_selectorIxEEZNS1_11reduce_implILb1ES3_PxS7_xN6thrust23THRUST_200600_302600_NS4plusIxEEEE10hipError_tPvRmT1_T2_T3_mT4_P12ihipStream_tbEUlT_E1_NS1_11comp_targetILNS1_3genE8ELNS1_11target_archE1030ELNS1_3gpuE2ELNS1_3repE0EEENS1_30default_config_static_selectorELNS0_4arch9wavefront6targetE1EEEvSF_.has_recursion, 0
	.set _ZN7rocprim17ROCPRIM_400000_NS6detail17trampoline_kernelINS0_14default_configENS1_22reduce_config_selectorIxEEZNS1_11reduce_implILb1ES3_PxS7_xN6thrust23THRUST_200600_302600_NS4plusIxEEEE10hipError_tPvRmT1_T2_T3_mT4_P12ihipStream_tbEUlT_E1_NS1_11comp_targetILNS1_3genE8ELNS1_11target_archE1030ELNS1_3gpuE2ELNS1_3repE0EEENS1_30default_config_static_selectorELNS0_4arch9wavefront6targetE1EEEvSF_.has_indirect_call, 0
	.section	.AMDGPU.csdata,"",@progbits
; Kernel info:
; codeLenInByte = 0
; TotalNumSgprs: 6
; NumVgprs: 0
; NumAgprs: 0
; TotalNumVgprs: 0
; ScratchSize: 0
; MemoryBound: 0
; FloatMode: 240
; IeeeMode: 1
; LDSByteSize: 0 bytes/workgroup (compile time only)
; SGPRBlocks: 0
; VGPRBlocks: 0
; NumSGPRsForWavesPerEU: 6
; NumVGPRsForWavesPerEU: 1
; AccumOffset: 4
; Occupancy: 8
; WaveLimiterHint : 0
; COMPUTE_PGM_RSRC2:SCRATCH_EN: 0
; COMPUTE_PGM_RSRC2:USER_SGPR: 2
; COMPUTE_PGM_RSRC2:TRAP_HANDLER: 0
; COMPUTE_PGM_RSRC2:TGID_X_EN: 1
; COMPUTE_PGM_RSRC2:TGID_Y_EN: 0
; COMPUTE_PGM_RSRC2:TGID_Z_EN: 0
; COMPUTE_PGM_RSRC2:TIDIG_COMP_CNT: 0
; COMPUTE_PGM_RSRC3_GFX90A:ACCUM_OFFSET: 0
; COMPUTE_PGM_RSRC3_GFX90A:TG_SPLIT: 0
	.section	.text._ZN7rocprim17ROCPRIM_400000_NS6detail17trampoline_kernelINS0_14default_configENS1_22reduce_config_selectorIxEEZNS1_11reduce_implILb1ES3_N6thrust23THRUST_200600_302600_NS6detail15normal_iteratorINS8_10device_ptrIxEEEEPxxNS8_4plusIxEEEE10hipError_tPvRmT1_T2_T3_mT4_P12ihipStream_tbEUlT_E0_NS1_11comp_targetILNS1_3genE0ELNS1_11target_archE4294967295ELNS1_3gpuE0ELNS1_3repE0EEENS1_30default_config_static_selectorELNS0_4arch9wavefront6targetE1EEEvSK_,"axG",@progbits,_ZN7rocprim17ROCPRIM_400000_NS6detail17trampoline_kernelINS0_14default_configENS1_22reduce_config_selectorIxEEZNS1_11reduce_implILb1ES3_N6thrust23THRUST_200600_302600_NS6detail15normal_iteratorINS8_10device_ptrIxEEEEPxxNS8_4plusIxEEEE10hipError_tPvRmT1_T2_T3_mT4_P12ihipStream_tbEUlT_E0_NS1_11comp_targetILNS1_3genE0ELNS1_11target_archE4294967295ELNS1_3gpuE0ELNS1_3repE0EEENS1_30default_config_static_selectorELNS0_4arch9wavefront6targetE1EEEvSK_,comdat
	.protected	_ZN7rocprim17ROCPRIM_400000_NS6detail17trampoline_kernelINS0_14default_configENS1_22reduce_config_selectorIxEEZNS1_11reduce_implILb1ES3_N6thrust23THRUST_200600_302600_NS6detail15normal_iteratorINS8_10device_ptrIxEEEEPxxNS8_4plusIxEEEE10hipError_tPvRmT1_T2_T3_mT4_P12ihipStream_tbEUlT_E0_NS1_11comp_targetILNS1_3genE0ELNS1_11target_archE4294967295ELNS1_3gpuE0ELNS1_3repE0EEENS1_30default_config_static_selectorELNS0_4arch9wavefront6targetE1EEEvSK_ ; -- Begin function _ZN7rocprim17ROCPRIM_400000_NS6detail17trampoline_kernelINS0_14default_configENS1_22reduce_config_selectorIxEEZNS1_11reduce_implILb1ES3_N6thrust23THRUST_200600_302600_NS6detail15normal_iteratorINS8_10device_ptrIxEEEEPxxNS8_4plusIxEEEE10hipError_tPvRmT1_T2_T3_mT4_P12ihipStream_tbEUlT_E0_NS1_11comp_targetILNS1_3genE0ELNS1_11target_archE4294967295ELNS1_3gpuE0ELNS1_3repE0EEENS1_30default_config_static_selectorELNS0_4arch9wavefront6targetE1EEEvSK_
	.globl	_ZN7rocprim17ROCPRIM_400000_NS6detail17trampoline_kernelINS0_14default_configENS1_22reduce_config_selectorIxEEZNS1_11reduce_implILb1ES3_N6thrust23THRUST_200600_302600_NS6detail15normal_iteratorINS8_10device_ptrIxEEEEPxxNS8_4plusIxEEEE10hipError_tPvRmT1_T2_T3_mT4_P12ihipStream_tbEUlT_E0_NS1_11comp_targetILNS1_3genE0ELNS1_11target_archE4294967295ELNS1_3gpuE0ELNS1_3repE0EEENS1_30default_config_static_selectorELNS0_4arch9wavefront6targetE1EEEvSK_
	.p2align	8
	.type	_ZN7rocprim17ROCPRIM_400000_NS6detail17trampoline_kernelINS0_14default_configENS1_22reduce_config_selectorIxEEZNS1_11reduce_implILb1ES3_N6thrust23THRUST_200600_302600_NS6detail15normal_iteratorINS8_10device_ptrIxEEEEPxxNS8_4plusIxEEEE10hipError_tPvRmT1_T2_T3_mT4_P12ihipStream_tbEUlT_E0_NS1_11comp_targetILNS1_3genE0ELNS1_11target_archE4294967295ELNS1_3gpuE0ELNS1_3repE0EEENS1_30default_config_static_selectorELNS0_4arch9wavefront6targetE1EEEvSK_,@function
_ZN7rocprim17ROCPRIM_400000_NS6detail17trampoline_kernelINS0_14default_configENS1_22reduce_config_selectorIxEEZNS1_11reduce_implILb1ES3_N6thrust23THRUST_200600_302600_NS6detail15normal_iteratorINS8_10device_ptrIxEEEEPxxNS8_4plusIxEEEE10hipError_tPvRmT1_T2_T3_mT4_P12ihipStream_tbEUlT_E0_NS1_11comp_targetILNS1_3genE0ELNS1_11target_archE4294967295ELNS1_3gpuE0ELNS1_3repE0EEENS1_30default_config_static_selectorELNS0_4arch9wavefront6targetE1EEEvSK_: ; @_ZN7rocprim17ROCPRIM_400000_NS6detail17trampoline_kernelINS0_14default_configENS1_22reduce_config_selectorIxEEZNS1_11reduce_implILb1ES3_N6thrust23THRUST_200600_302600_NS6detail15normal_iteratorINS8_10device_ptrIxEEEEPxxNS8_4plusIxEEEE10hipError_tPvRmT1_T2_T3_mT4_P12ihipStream_tbEUlT_E0_NS1_11comp_targetILNS1_3genE0ELNS1_11target_archE4294967295ELNS1_3gpuE0ELNS1_3repE0EEENS1_30default_config_static_selectorELNS0_4arch9wavefront6targetE1EEEvSK_
; %bb.0:
	s_load_dwordx8 s[36:43], s[0:1], 0x0
	s_load_dwordx4 s[44:47], s[0:1], 0x20
	s_load_dwordx2 s[30:31], s[0:1], 0x30
	v_lshlrev_b32_e32 v34, 3, v0
	v_mbcnt_lo_u32_b32 v1, -1, 0
	s_waitcnt lgkmcnt(0)
	s_lshl_b64 s[0:1], s[38:39], 3
	s_add_u32 s8, s36, s0
	s_addc_u32 s9, s37, s1
	s_lshl_b32 s0, s2, 12
	s_mov_b32 s1, 0
	s_lshr_b64 s[4:5], s[40:41], 12
	s_lshl_b64 s[6:7], s[0:1], 3
	s_add_u32 s34, s8, s6
	s_mov_b32 s3, s1
	s_addc_u32 s35, s9, s7
	s_cmp_lg_u64 s[4:5], s[2:3]
	s_cbranch_scc0 .LBB205_6
; %bb.1:
	v_mov_b32_e32 v35, 0
	v_lshl_add_u64 v[2:3], s[34:35], 0, v[34:35]
	v_add_co_u32_e32 v4, vcc, 0x1000, v2
	v_mov_b32_e32 v41, v35
	s_nop 0
	v_addc_co_u32_e32 v5, vcc, 0, v3, vcc
	flat_load_dwordx2 v[6:7], v[2:3]
	flat_load_dwordx2 v[8:9], v[2:3] offset:2048
	flat_load_dwordx2 v[10:11], v[4:5]
	flat_load_dwordx2 v[12:13], v[4:5] offset:2048
	v_add_co_u32_e32 v4, vcc, 0x2000, v2
	v_mov_b32_e32 v45, v35
	s_nop 0
	v_addc_co_u32_e32 v5, vcc, 0, v3, vcc
	v_add_co_u32_e32 v14, vcc, 0x3000, v2
	v_mov_b32_e32 v42, v35
	s_nop 0
	v_addc_co_u32_e32 v15, vcc, 0, v3, vcc
	flat_load_dwordx2 v[16:17], v[4:5]
	flat_load_dwordx2 v[18:19], v[4:5] offset:2048
	flat_load_dwordx2 v[20:21], v[14:15]
	flat_load_dwordx2 v[22:23], v[14:15] offset:2048
	v_add_co_u32_e32 v4, vcc, 0x4000, v2
	v_mov_b32_e32 v49, v35
	s_nop 0
	v_addc_co_u32_e32 v5, vcc, 0, v3, vcc
	;; [unrolled: 12-line block ×3, first 2 shown]
	v_add_co_u32_e32 v2, vcc, 0x7000, v2
	v_mov_b32_e32 v50, v35
	s_nop 0
	v_addc_co_u32_e32 v3, vcc, 0, v3, vcc
	flat_load_dwordx2 v[14:15], v[4:5]
	flat_load_dwordx2 v[32:33], v[4:5] offset:2048
	flat_load_dwordx2 v[36:37], v[2:3]
	flat_load_dwordx2 v[38:39], v[2:3] offset:2048
	v_mov_b32_e32 v2, v35
	v_mov_b32_e32 v57, v35
	;; [unrolled: 1-line block ×3, first 2 shown]
	v_mbcnt_hi_u32_b32 v4, -1, v1
	v_mov_b32_e32 v59, v35
	v_lshlrev_b32_e32 v5, 2, v4
	v_or_b32_e32 v35, 0xfc, v5
	v_cmp_eq_u32_e32 vcc, 0, v4
	s_waitcnt vmcnt(0) lgkmcnt(0)
	v_lshl_add_u64 v[6:7], v[8:9], 0, v[6:7]
	v_lshl_add_u64 v[6:7], v[6:7], 0, v[10:11]
	;; [unrolled: 1-line block ×15, first 2 shown]
	s_nop 1
	v_mov_b32_dpp v40, v6 quad_perm:[1,0,3,2] row_mask:0xf bank_mask:0xf bound_ctrl:1
	v_mov_b32_dpp v3, v7 quad_perm:[1,0,3,2] row_mask:0xf bank_mask:0xf bound_ctrl:1
	v_lshl_add_u64 v[6:7], v[6:7], 0, v[40:41]
	v_lshl_add_u64 v[2:3], v[2:3], 0, v[6:7]
	s_nop 0
	v_mov_b32_dpp v44, v6 quad_perm:[2,3,0,1] row_mask:0xf bank_mask:0xf bound_ctrl:1
	v_mov_b32_dpp v43, v3 quad_perm:[2,3,0,1] row_mask:0xf bank_mask:0xf bound_ctrl:1
	v_lshl_add_u64 v[2:3], v[2:3], 0, v[44:45]
	v_lshl_add_u64 v[6:7], v[2:3], 0, v[42:43]
	s_nop 0
	v_mov_b32_dpp v48, v2 row_ror:4 row_mask:0xf bank_mask:0xf bound_ctrl:1
	v_mov_b32_dpp v47, v7 row_ror:4 row_mask:0xf bank_mask:0xf bound_ctrl:1
	v_lshl_add_u64 v[2:3], v[6:7], 0, v[48:49]
	v_lshl_add_u64 v[6:7], v[2:3], 0, v[46:47]
	s_nop 0
	v_mov_b32_dpp v52, v2 row_ror:8 row_mask:0xf bank_mask:0xf bound_ctrl:1
	v_mov_b32_dpp v51, v7 row_ror:8 row_mask:0xf bank_mask:0xf bound_ctrl:1
	v_lshl_add_u64 v[2:3], v[6:7], 0, v[52:53]
	v_lshl_add_u64 v[6:7], v[2:3], 0, v[50:51]
	s_nop 0
	v_mov_b32_dpp v56, v2 row_bcast:15 row_mask:0xf bank_mask:0xf bound_ctrl:1
	v_mov_b32_dpp v55, v7 row_bcast:15 row_mask:0xf bank_mask:0xf bound_ctrl:1
	v_lshl_add_u64 v[2:3], v[6:7], 0, v[56:57]
	v_lshl_add_u64 v[6:7], v[2:3], 0, v[54:55]
	s_nop 0
	v_mov_b32_dpp v58, v2 row_bcast:31 row_mask:0xf bank_mask:0xf bound_ctrl:1
	v_lshl_add_u64 v[2:3], v[6:7], 0, v[58:59]
	ds_bpermute_b32 v2, v35, v2
	s_nop 0
	v_add_u32_dpp v3, v7, v3 row_bcast:31 row_mask:0xf bank_mask:0xf bound_ctrl:1
	ds_bpermute_b32 v3, v35, v3
	s_and_saveexec_b64 s[4:5], vcc
	s_cbranch_execz .LBB205_3
; %bb.2:
	v_lshrrev_b32_e32 v6, 3, v0
	v_and_b32_e32 v6, 24, v6
	s_waitcnt lgkmcnt(0)
	ds_write_b64 v6, v[2:3]
.LBB205_3:
	s_or_b64 exec, exec, s[4:5]
	v_cmp_gt_u32_e32 vcc, 64, v0
	s_waitcnt lgkmcnt(0)
	s_barrier
	s_and_saveexec_b64 s[4:5], vcc
	s_cbranch_execz .LBB205_5
; %bb.4:
	v_and_b32_e32 v6, 3, v4
	v_lshlrev_b32_e32 v2, 3, v6
	ds_read_b64 v[2:3], v2
	v_cmp_ne_u32_e32 vcc, 3, v6
	v_or_b32_e32 v8, 8, v5
	s_nop 0
	v_addc_co_u32_e32 v4, vcc, 0, v4, vcc
	v_lshlrev_b32_e32 v6, 2, v4
	s_waitcnt lgkmcnt(0)
	ds_bpermute_b32 v4, v6, v2
	ds_bpermute_b32 v7, v6, v3
	v_mov_b32_e32 v6, 0
	v_mov_b32_e32 v5, v6
	s_waitcnt lgkmcnt(1)
	v_lshl_add_u64 v[2:3], v[2:3], 0, v[4:5]
	s_waitcnt lgkmcnt(0)
	v_lshl_add_u64 v[4:5], v[6:7], 0, v[2:3]
	ds_bpermute_b32 v2, v8, v2
	ds_bpermute_b32 v7, v8, v5
	v_mov_b32_e32 v3, v6
	s_waitcnt lgkmcnt(1)
	v_lshl_add_u64 v[2:3], v[4:5], 0, v[2:3]
	s_waitcnt lgkmcnt(0)
	v_lshl_add_u64 v[2:3], v[2:3], 0, v[6:7]
.LBB205_5:
	s_or_b64 exec, exec, s[4:5]
	s_branch .LBB205_48
.LBB205_6:
                                        ; implicit-def: $vgpr2_vgpr3
	s_cbranch_execz .LBB205_48
; %bb.7:
	s_sub_i32 s33, s40, s0
	v_mov_b32_e32 v2, 0
	v_cmp_gt_u32_e32 vcc, s33, v0
	v_mov_b32_e32 v3, v2
	v_mov_b32_e32 v4, v2
	;; [unrolled: 1-line block ×31, first 2 shown]
	s_and_saveexec_b64 s[0:1], vcc
	s_cbranch_execz .LBB205_9
; %bb.8:
	v_mov_b32_e32 v35, v2
	v_lshl_add_u64 v[4:5], s[34:35], 0, v[34:35]
	flat_load_dwordx2 v[36:37], v[4:5]
	v_mov_b32_e32 v38, v2
	v_mov_b32_e32 v39, v2
	;; [unrolled: 1-line block ×30, first 2 shown]
	s_waitcnt vmcnt(0) lgkmcnt(0)
	v_mov_b64_e32 v[2:3], v[36:37]
	v_mov_b64_e32 v[4:5], v[38:39]
	;; [unrolled: 1-line block ×16, first 2 shown]
.LBB205_9:
	s_or_b64 exec, exec, s[0:1]
	v_or_b32_e32 v35, 0x100, v0
	v_cmp_gt_u32_e32 vcc, s33, v35
	s_and_saveexec_b64 s[0:1], vcc
	s_cbranch_execz .LBB205_11
; %bb.10:
	v_mov_b32_e32 v35, 0
	v_lshl_add_u64 v[4:5], s[34:35], 0, v[34:35]
	flat_load_dwordx2 v[4:5], v[4:5] offset:2048
.LBB205_11:
	s_or_b64 exec, exec, s[0:1]
	v_or_b32_e32 v34, 0x200, v0
	v_cmp_gt_u32_e64 s[0:1], s33, v34
	s_and_saveexec_b64 s[4:5], s[0:1]
	s_cbranch_execz .LBB205_13
; %bb.12:
	v_lshlrev_b32_e32 v6, 3, v34
	v_mov_b32_e32 v7, 0
	v_lshl_add_u64 v[6:7], s[34:35], 0, v[6:7]
	flat_load_dwordx2 v[6:7], v[6:7]
.LBB205_13:
	s_or_b64 exec, exec, s[4:5]
	v_or_b32_e32 v34, 0x300, v0
	v_cmp_gt_u32_e64 s[4:5], s33, v34
	s_and_saveexec_b64 s[6:7], s[4:5]
	s_cbranch_execz .LBB205_15
; %bb.14:
	v_lshlrev_b32_e32 v8, 3, v34
	v_mov_b32_e32 v9, 0
	v_lshl_add_u64 v[8:9], s[34:35], 0, v[8:9]
	flat_load_dwordx2 v[8:9], v[8:9]
.LBB205_15:
	;; [unrolled: 11-line block ×14, first 2 shown]
	s_or_b64 exec, exec, s[36:37]
	s_waitcnt vmcnt(0) lgkmcnt(0)
	v_cndmask_b32_e32 v5, 0, v5, vcc
	v_cndmask_b32_e32 v4, 0, v4, vcc
	v_lshl_add_u64 v[2:3], v[4:5], 0, v[2:3]
	v_cndmask_b32_e64 v5, 0, v7, s[0:1]
	v_cndmask_b32_e64 v4, 0, v6, s[0:1]
	v_lshl_add_u64 v[2:3], v[2:3], 0, v[4:5]
	v_cndmask_b32_e64 v5, 0, v9, s[4:5]
	v_cndmask_b32_e64 v4, 0, v8, s[4:5]
	;; [unrolled: 3-line block ×13, first 2 shown]
	v_mbcnt_hi_u32_b32 v1, -1, v1
	v_lshl_add_u64 v[2:3], v[2:3], 0, v[4:5]
	v_cndmask_b32_e64 v5, 0, v33, s[28:29]
	v_cndmask_b32_e64 v4, 0, v32, s[28:29]
	v_and_b32_e32 v9, 63, v1
	v_lshl_add_u64 v[2:3], v[2:3], 0, v[4:5]
	s_min_u32 s6, s33, 0x100
	v_and_b32_e32 v4, 0xc0, v0
	v_cmp_ne_u32_e32 vcc, 63, v9
	v_sub_u32_e64 v8, s6, v4 clamp
	v_mov_b32_e32 v6, 0
	v_addc_co_u32_e32 v4, vcc, 0, v1, vcc
	v_lshlrev_b32_e32 v5, 2, v4
	ds_bpermute_b32 v4, v5, v2
	ds_bpermute_b32 v7, v5, v3
	v_add_u32_e32 v10, 1, v9
	v_mov_b32_e32 v5, v6
	v_cmp_lt_u32_e64 s[0:1], v10, v8
	s_waitcnt lgkmcnt(1)
	v_lshl_add_u64 v[4:5], v[2:3], 0, v[4:5]
	v_cmp_gt_u32_e32 vcc, 62, v9
	s_waitcnt lgkmcnt(0)
	v_lshl_add_u64 v[6:7], v[4:5], 0, v[6:7]
	v_cndmask_b32_e64 v12, v2, v4, s[0:1]
	v_cndmask_b32_e64 v4, 0, 2, vcc
	v_cndmask_b32_e64 v5, v3, v7, s[0:1]
	v_add_lshl_u32 v4, v4, v1, 2
	ds_bpermute_b32 v10, v4, v12
	ds_bpermute_b32 v11, v4, v5
	v_cndmask_b32_e64 v4, v2, v6, s[0:1]
	v_add_u32_e32 v13, 2, v9
	v_cmp_lt_u32_e32 vcc, v13, v8
	v_cmp_gt_u32_e64 s[4:5], 60, v9
	s_waitcnt lgkmcnt(0)
	v_lshl_add_u64 v[6:7], v[10:11], 0, v[4:5]
	v_cndmask_b32_e32 v5, v5, v7, vcc
	v_cndmask_b32_e64 v7, 0, 4, s[4:5]
	v_cndmask_b32_e32 v12, v12, v6, vcc
	v_add_lshl_u32 v7, v7, v1, 2
	ds_bpermute_b32 v10, v7, v12
	ds_bpermute_b32 v11, v7, v5
	v_cndmask_b32_e32 v4, v4, v6, vcc
	v_add_u32_e32 v13, 4, v9
	v_cmp_lt_u32_e32 vcc, v13, v8
	v_cmp_gt_u32_e64 s[4:5], 56, v9
	s_waitcnt lgkmcnt(0)
	v_lshl_add_u64 v[6:7], v[10:11], 0, v[4:5]
	v_cndmask_b32_e32 v5, v5, v7, vcc
	v_cndmask_b32_e64 v7, 0, 8, s[4:5]
	v_cndmask_b32_e32 v12, v12, v6, vcc
	v_add_lshl_u32 v7, v7, v1, 2
	ds_bpermute_b32 v10, v7, v12
	ds_bpermute_b32 v11, v7, v5
	v_cndmask_b32_e32 v4, v4, v6, vcc
	;; [unrolled: 12-line block ×3, first 2 shown]
	v_add_u32_e32 v13, 16, v9
	v_cmp_lt_u32_e32 vcc, v13, v8
	s_waitcnt lgkmcnt(0)
	v_lshl_add_u64 v[6:7], v[10:11], 0, v[4:5]
	v_lshlrev_b32_e32 v10, 2, v1
	v_cndmask_b32_e32 v13, v5, v7, vcc
	v_cndmask_b32_e32 v11, v12, v6, vcc
	v_or_b32_e32 v12, 0x80, v10
	ds_bpermute_b32 v11, v12, v11
	ds_bpermute_b32 v12, v12, v13
	s_and_saveexec_b64 s[4:5], s[0:1]
	s_cbranch_execz .LBB205_41
; %bb.40:
	v_add_u32_e32 v9, 32, v9
	v_cndmask_b32_e32 v3, v5, v7, vcc
	v_cndmask_b32_e32 v2, v4, v6, vcc
	v_cmp_lt_u32_e32 vcc, v9, v8
	s_waitcnt lgkmcnt(0)
	s_nop 0
	v_cndmask_b32_e32 v5, 0, v12, vcc
	v_cndmask_b32_e32 v4, 0, v11, vcc
	v_lshl_add_u64 v[2:3], v[2:3], 0, v[4:5]
.LBB205_41:
	s_or_b64 exec, exec, s[4:5]
	v_cmp_eq_u32_e32 vcc, 0, v1
	s_and_saveexec_b64 s[0:1], vcc
; %bb.42:
	v_lshrrev_b32_e32 v4, 3, v0
	v_and_b32_e32 v4, 24, v4
	ds_write_b64 v4, v[2:3] offset:32
; %bb.43:
	s_or_b64 exec, exec, s[0:1]
	v_cmp_gt_u32_e32 vcc, 4, v0
	s_waitcnt lgkmcnt(0)
	s_barrier
	s_and_saveexec_b64 s[0:1], vcc
	s_cbranch_execz .LBB205_47
; %bb.44:
	v_lshlrev_b32_e32 v2, 3, v1
	ds_read_b64 v[2:3], v2 offset:32
	v_and_b32_e32 v6, 3, v1
	v_cmp_ne_u32_e32 vcc, 3, v6
	v_mov_b32_e32 v8, 0
	s_add_i32 s6, s6, 63
	v_addc_co_u32_e32 v1, vcc, 0, v1, vcc
	v_lshlrev_b32_e32 v1, 2, v1
	s_waitcnt lgkmcnt(0)
	ds_bpermute_b32 v4, v1, v2
	ds_bpermute_b32 v9, v1, v3
	v_mov_b32_e32 v5, v8
	s_lshr_b32 s6, s6, 6
	v_add_u32_e32 v1, 1, v6
	s_waitcnt lgkmcnt(1)
	v_lshl_add_u64 v[12:13], v[2:3], 0, v[4:5]
	s_waitcnt lgkmcnt(0)
	v_lshl_add_u64 v[4:5], v[8:9], 0, v[12:13]
	v_cmp_gt_u32_e32 vcc, s6, v1
	v_or_b32_e32 v8, 8, v10
	s_nop 0
	v_cndmask_b32_e32 v7, v3, v5, vcc
	v_cndmask_b32_e32 v1, v2, v12, vcc
	ds_bpermute_b32 v1, v8, v1
	ds_bpermute_b32 v7, v8, v7
	s_and_saveexec_b64 s[4:5], vcc
	s_cbranch_execz .LBB205_46
; %bb.45:
	v_add_u32_e32 v2, 2, v6
	v_cmp_gt_u32_e32 vcc, s6, v2
	s_waitcnt lgkmcnt(0)
	s_nop 0
	v_cndmask_b32_e32 v3, 0, v7, vcc
	v_cndmask_b32_e32 v2, 0, v1, vcc
	v_lshl_add_u64 v[2:3], v[2:3], 0, v[4:5]
.LBB205_46:
	s_or_b64 exec, exec, s[4:5]
.LBB205_47:
	s_or_b64 exec, exec, s[0:1]
.LBB205_48:
	v_cmp_eq_u32_e32 vcc, 0, v0
	s_and_saveexec_b64 s[0:1], vcc
	s_cbranch_execnz .LBB205_50
; %bb.49:
	s_endpgm
.LBB205_50:
	s_mul_i32 s0, s46, s45
	s_mul_hi_u32 s1, s46, s44
	s_add_i32 s0, s1, s0
	s_mul_i32 s1, s47, s44
	s_add_i32 s1, s0, s1
	s_mul_i32 s0, s46, s44
	s_lshl_b64 s[0:1], s[0:1], 3
	s_add_u32 s4, s42, s0
	s_addc_u32 s5, s43, s1
	s_cmp_eq_u64 s[40:41], 0
	v_mov_b32_e32 v0, s31
	s_cselect_b64 vcc, -1, 0
	s_lshl_b64 s[0:1], s[2:3], 3
	s_waitcnt lgkmcnt(1)
	v_cndmask_b32_e32 v1, v3, v0, vcc
	v_mov_b32_e32 v0, s30
	s_add_u32 s0, s4, s0
	v_cndmask_b32_e32 v0, v2, v0, vcc
	s_addc_u32 s1, s5, s1
	v_mov_b32_e32 v2, 0
	global_store_dwordx2 v2, v[0:1], s[0:1]
	s_endpgm
	.section	.rodata,"a",@progbits
	.p2align	6, 0x0
	.amdhsa_kernel _ZN7rocprim17ROCPRIM_400000_NS6detail17trampoline_kernelINS0_14default_configENS1_22reduce_config_selectorIxEEZNS1_11reduce_implILb1ES3_N6thrust23THRUST_200600_302600_NS6detail15normal_iteratorINS8_10device_ptrIxEEEEPxxNS8_4plusIxEEEE10hipError_tPvRmT1_T2_T3_mT4_P12ihipStream_tbEUlT_E0_NS1_11comp_targetILNS1_3genE0ELNS1_11target_archE4294967295ELNS1_3gpuE0ELNS1_3repE0EEENS1_30default_config_static_selectorELNS0_4arch9wavefront6targetE1EEEvSK_
		.amdhsa_group_segment_fixed_size 64
		.amdhsa_private_segment_fixed_size 0
		.amdhsa_kernarg_size 64
		.amdhsa_user_sgpr_count 2
		.amdhsa_user_sgpr_dispatch_ptr 0
		.amdhsa_user_sgpr_queue_ptr 0
		.amdhsa_user_sgpr_kernarg_segment_ptr 1
		.amdhsa_user_sgpr_dispatch_id 0
		.amdhsa_user_sgpr_kernarg_preload_length 0
		.amdhsa_user_sgpr_kernarg_preload_offset 0
		.amdhsa_user_sgpr_private_segment_size 0
		.amdhsa_uses_dynamic_stack 0
		.amdhsa_enable_private_segment 0
		.amdhsa_system_sgpr_workgroup_id_x 1
		.amdhsa_system_sgpr_workgroup_id_y 0
		.amdhsa_system_sgpr_workgroup_id_z 0
		.amdhsa_system_sgpr_workgroup_info 0
		.amdhsa_system_vgpr_workitem_id 0
		.amdhsa_next_free_vgpr 68
		.amdhsa_next_free_sgpr 48
		.amdhsa_accum_offset 68
		.amdhsa_reserve_vcc 1
		.amdhsa_float_round_mode_32 0
		.amdhsa_float_round_mode_16_64 0
		.amdhsa_float_denorm_mode_32 3
		.amdhsa_float_denorm_mode_16_64 3
		.amdhsa_dx10_clamp 1
		.amdhsa_ieee_mode 1
		.amdhsa_fp16_overflow 0
		.amdhsa_tg_split 0
		.amdhsa_exception_fp_ieee_invalid_op 0
		.amdhsa_exception_fp_denorm_src 0
		.amdhsa_exception_fp_ieee_div_zero 0
		.amdhsa_exception_fp_ieee_overflow 0
		.amdhsa_exception_fp_ieee_underflow 0
		.amdhsa_exception_fp_ieee_inexact 0
		.amdhsa_exception_int_div_zero 0
	.end_amdhsa_kernel
	.section	.text._ZN7rocprim17ROCPRIM_400000_NS6detail17trampoline_kernelINS0_14default_configENS1_22reduce_config_selectorIxEEZNS1_11reduce_implILb1ES3_N6thrust23THRUST_200600_302600_NS6detail15normal_iteratorINS8_10device_ptrIxEEEEPxxNS8_4plusIxEEEE10hipError_tPvRmT1_T2_T3_mT4_P12ihipStream_tbEUlT_E0_NS1_11comp_targetILNS1_3genE0ELNS1_11target_archE4294967295ELNS1_3gpuE0ELNS1_3repE0EEENS1_30default_config_static_selectorELNS0_4arch9wavefront6targetE1EEEvSK_,"axG",@progbits,_ZN7rocprim17ROCPRIM_400000_NS6detail17trampoline_kernelINS0_14default_configENS1_22reduce_config_selectorIxEEZNS1_11reduce_implILb1ES3_N6thrust23THRUST_200600_302600_NS6detail15normal_iteratorINS8_10device_ptrIxEEEEPxxNS8_4plusIxEEEE10hipError_tPvRmT1_T2_T3_mT4_P12ihipStream_tbEUlT_E0_NS1_11comp_targetILNS1_3genE0ELNS1_11target_archE4294967295ELNS1_3gpuE0ELNS1_3repE0EEENS1_30default_config_static_selectorELNS0_4arch9wavefront6targetE1EEEvSK_,comdat
.Lfunc_end205:
	.size	_ZN7rocprim17ROCPRIM_400000_NS6detail17trampoline_kernelINS0_14default_configENS1_22reduce_config_selectorIxEEZNS1_11reduce_implILb1ES3_N6thrust23THRUST_200600_302600_NS6detail15normal_iteratorINS8_10device_ptrIxEEEEPxxNS8_4plusIxEEEE10hipError_tPvRmT1_T2_T3_mT4_P12ihipStream_tbEUlT_E0_NS1_11comp_targetILNS1_3genE0ELNS1_11target_archE4294967295ELNS1_3gpuE0ELNS1_3repE0EEENS1_30default_config_static_selectorELNS0_4arch9wavefront6targetE1EEEvSK_, .Lfunc_end205-_ZN7rocprim17ROCPRIM_400000_NS6detail17trampoline_kernelINS0_14default_configENS1_22reduce_config_selectorIxEEZNS1_11reduce_implILb1ES3_N6thrust23THRUST_200600_302600_NS6detail15normal_iteratorINS8_10device_ptrIxEEEEPxxNS8_4plusIxEEEE10hipError_tPvRmT1_T2_T3_mT4_P12ihipStream_tbEUlT_E0_NS1_11comp_targetILNS1_3genE0ELNS1_11target_archE4294967295ELNS1_3gpuE0ELNS1_3repE0EEENS1_30default_config_static_selectorELNS0_4arch9wavefront6targetE1EEEvSK_
                                        ; -- End function
	.set _ZN7rocprim17ROCPRIM_400000_NS6detail17trampoline_kernelINS0_14default_configENS1_22reduce_config_selectorIxEEZNS1_11reduce_implILb1ES3_N6thrust23THRUST_200600_302600_NS6detail15normal_iteratorINS8_10device_ptrIxEEEEPxxNS8_4plusIxEEEE10hipError_tPvRmT1_T2_T3_mT4_P12ihipStream_tbEUlT_E0_NS1_11comp_targetILNS1_3genE0ELNS1_11target_archE4294967295ELNS1_3gpuE0ELNS1_3repE0EEENS1_30default_config_static_selectorELNS0_4arch9wavefront6targetE1EEEvSK_.num_vgpr, 68
	.set _ZN7rocprim17ROCPRIM_400000_NS6detail17trampoline_kernelINS0_14default_configENS1_22reduce_config_selectorIxEEZNS1_11reduce_implILb1ES3_N6thrust23THRUST_200600_302600_NS6detail15normal_iteratorINS8_10device_ptrIxEEEEPxxNS8_4plusIxEEEE10hipError_tPvRmT1_T2_T3_mT4_P12ihipStream_tbEUlT_E0_NS1_11comp_targetILNS1_3genE0ELNS1_11target_archE4294967295ELNS1_3gpuE0ELNS1_3repE0EEENS1_30default_config_static_selectorELNS0_4arch9wavefront6targetE1EEEvSK_.num_agpr, 0
	.set _ZN7rocprim17ROCPRIM_400000_NS6detail17trampoline_kernelINS0_14default_configENS1_22reduce_config_selectorIxEEZNS1_11reduce_implILb1ES3_N6thrust23THRUST_200600_302600_NS6detail15normal_iteratorINS8_10device_ptrIxEEEEPxxNS8_4plusIxEEEE10hipError_tPvRmT1_T2_T3_mT4_P12ihipStream_tbEUlT_E0_NS1_11comp_targetILNS1_3genE0ELNS1_11target_archE4294967295ELNS1_3gpuE0ELNS1_3repE0EEENS1_30default_config_static_selectorELNS0_4arch9wavefront6targetE1EEEvSK_.numbered_sgpr, 48
	.set _ZN7rocprim17ROCPRIM_400000_NS6detail17trampoline_kernelINS0_14default_configENS1_22reduce_config_selectorIxEEZNS1_11reduce_implILb1ES3_N6thrust23THRUST_200600_302600_NS6detail15normal_iteratorINS8_10device_ptrIxEEEEPxxNS8_4plusIxEEEE10hipError_tPvRmT1_T2_T3_mT4_P12ihipStream_tbEUlT_E0_NS1_11comp_targetILNS1_3genE0ELNS1_11target_archE4294967295ELNS1_3gpuE0ELNS1_3repE0EEENS1_30default_config_static_selectorELNS0_4arch9wavefront6targetE1EEEvSK_.num_named_barrier, 0
	.set _ZN7rocprim17ROCPRIM_400000_NS6detail17trampoline_kernelINS0_14default_configENS1_22reduce_config_selectorIxEEZNS1_11reduce_implILb1ES3_N6thrust23THRUST_200600_302600_NS6detail15normal_iteratorINS8_10device_ptrIxEEEEPxxNS8_4plusIxEEEE10hipError_tPvRmT1_T2_T3_mT4_P12ihipStream_tbEUlT_E0_NS1_11comp_targetILNS1_3genE0ELNS1_11target_archE4294967295ELNS1_3gpuE0ELNS1_3repE0EEENS1_30default_config_static_selectorELNS0_4arch9wavefront6targetE1EEEvSK_.private_seg_size, 0
	.set _ZN7rocprim17ROCPRIM_400000_NS6detail17trampoline_kernelINS0_14default_configENS1_22reduce_config_selectorIxEEZNS1_11reduce_implILb1ES3_N6thrust23THRUST_200600_302600_NS6detail15normal_iteratorINS8_10device_ptrIxEEEEPxxNS8_4plusIxEEEE10hipError_tPvRmT1_T2_T3_mT4_P12ihipStream_tbEUlT_E0_NS1_11comp_targetILNS1_3genE0ELNS1_11target_archE4294967295ELNS1_3gpuE0ELNS1_3repE0EEENS1_30default_config_static_selectorELNS0_4arch9wavefront6targetE1EEEvSK_.uses_vcc, 1
	.set _ZN7rocprim17ROCPRIM_400000_NS6detail17trampoline_kernelINS0_14default_configENS1_22reduce_config_selectorIxEEZNS1_11reduce_implILb1ES3_N6thrust23THRUST_200600_302600_NS6detail15normal_iteratorINS8_10device_ptrIxEEEEPxxNS8_4plusIxEEEE10hipError_tPvRmT1_T2_T3_mT4_P12ihipStream_tbEUlT_E0_NS1_11comp_targetILNS1_3genE0ELNS1_11target_archE4294967295ELNS1_3gpuE0ELNS1_3repE0EEENS1_30default_config_static_selectorELNS0_4arch9wavefront6targetE1EEEvSK_.uses_flat_scratch, 0
	.set _ZN7rocprim17ROCPRIM_400000_NS6detail17trampoline_kernelINS0_14default_configENS1_22reduce_config_selectorIxEEZNS1_11reduce_implILb1ES3_N6thrust23THRUST_200600_302600_NS6detail15normal_iteratorINS8_10device_ptrIxEEEEPxxNS8_4plusIxEEEE10hipError_tPvRmT1_T2_T3_mT4_P12ihipStream_tbEUlT_E0_NS1_11comp_targetILNS1_3genE0ELNS1_11target_archE4294967295ELNS1_3gpuE0ELNS1_3repE0EEENS1_30default_config_static_selectorELNS0_4arch9wavefront6targetE1EEEvSK_.has_dyn_sized_stack, 0
	.set _ZN7rocprim17ROCPRIM_400000_NS6detail17trampoline_kernelINS0_14default_configENS1_22reduce_config_selectorIxEEZNS1_11reduce_implILb1ES3_N6thrust23THRUST_200600_302600_NS6detail15normal_iteratorINS8_10device_ptrIxEEEEPxxNS8_4plusIxEEEE10hipError_tPvRmT1_T2_T3_mT4_P12ihipStream_tbEUlT_E0_NS1_11comp_targetILNS1_3genE0ELNS1_11target_archE4294967295ELNS1_3gpuE0ELNS1_3repE0EEENS1_30default_config_static_selectorELNS0_4arch9wavefront6targetE1EEEvSK_.has_recursion, 0
	.set _ZN7rocprim17ROCPRIM_400000_NS6detail17trampoline_kernelINS0_14default_configENS1_22reduce_config_selectorIxEEZNS1_11reduce_implILb1ES3_N6thrust23THRUST_200600_302600_NS6detail15normal_iteratorINS8_10device_ptrIxEEEEPxxNS8_4plusIxEEEE10hipError_tPvRmT1_T2_T3_mT4_P12ihipStream_tbEUlT_E0_NS1_11comp_targetILNS1_3genE0ELNS1_11target_archE4294967295ELNS1_3gpuE0ELNS1_3repE0EEENS1_30default_config_static_selectorELNS0_4arch9wavefront6targetE1EEEvSK_.has_indirect_call, 0
	.section	.AMDGPU.csdata,"",@progbits
; Kernel info:
; codeLenInByte = 3264
; TotalNumSgprs: 54
; NumVgprs: 68
; NumAgprs: 0
; TotalNumVgprs: 68
; ScratchSize: 0
; MemoryBound: 0
; FloatMode: 240
; IeeeMode: 1
; LDSByteSize: 64 bytes/workgroup (compile time only)
; SGPRBlocks: 6
; VGPRBlocks: 8
; NumSGPRsForWavesPerEU: 54
; NumVGPRsForWavesPerEU: 68
; AccumOffset: 68
; Occupancy: 7
; WaveLimiterHint : 1
; COMPUTE_PGM_RSRC2:SCRATCH_EN: 0
; COMPUTE_PGM_RSRC2:USER_SGPR: 2
; COMPUTE_PGM_RSRC2:TRAP_HANDLER: 0
; COMPUTE_PGM_RSRC2:TGID_X_EN: 1
; COMPUTE_PGM_RSRC2:TGID_Y_EN: 0
; COMPUTE_PGM_RSRC2:TGID_Z_EN: 0
; COMPUTE_PGM_RSRC2:TIDIG_COMP_CNT: 0
; COMPUTE_PGM_RSRC3_GFX90A:ACCUM_OFFSET: 16
; COMPUTE_PGM_RSRC3_GFX90A:TG_SPLIT: 0
	.section	.text._ZN7rocprim17ROCPRIM_400000_NS6detail17trampoline_kernelINS0_14default_configENS1_22reduce_config_selectorIxEEZNS1_11reduce_implILb1ES3_N6thrust23THRUST_200600_302600_NS6detail15normal_iteratorINS8_10device_ptrIxEEEEPxxNS8_4plusIxEEEE10hipError_tPvRmT1_T2_T3_mT4_P12ihipStream_tbEUlT_E0_NS1_11comp_targetILNS1_3genE5ELNS1_11target_archE942ELNS1_3gpuE9ELNS1_3repE0EEENS1_30default_config_static_selectorELNS0_4arch9wavefront6targetE1EEEvSK_,"axG",@progbits,_ZN7rocprim17ROCPRIM_400000_NS6detail17trampoline_kernelINS0_14default_configENS1_22reduce_config_selectorIxEEZNS1_11reduce_implILb1ES3_N6thrust23THRUST_200600_302600_NS6detail15normal_iteratorINS8_10device_ptrIxEEEEPxxNS8_4plusIxEEEE10hipError_tPvRmT1_T2_T3_mT4_P12ihipStream_tbEUlT_E0_NS1_11comp_targetILNS1_3genE5ELNS1_11target_archE942ELNS1_3gpuE9ELNS1_3repE0EEENS1_30default_config_static_selectorELNS0_4arch9wavefront6targetE1EEEvSK_,comdat
	.protected	_ZN7rocprim17ROCPRIM_400000_NS6detail17trampoline_kernelINS0_14default_configENS1_22reduce_config_selectorIxEEZNS1_11reduce_implILb1ES3_N6thrust23THRUST_200600_302600_NS6detail15normal_iteratorINS8_10device_ptrIxEEEEPxxNS8_4plusIxEEEE10hipError_tPvRmT1_T2_T3_mT4_P12ihipStream_tbEUlT_E0_NS1_11comp_targetILNS1_3genE5ELNS1_11target_archE942ELNS1_3gpuE9ELNS1_3repE0EEENS1_30default_config_static_selectorELNS0_4arch9wavefront6targetE1EEEvSK_ ; -- Begin function _ZN7rocprim17ROCPRIM_400000_NS6detail17trampoline_kernelINS0_14default_configENS1_22reduce_config_selectorIxEEZNS1_11reduce_implILb1ES3_N6thrust23THRUST_200600_302600_NS6detail15normal_iteratorINS8_10device_ptrIxEEEEPxxNS8_4plusIxEEEE10hipError_tPvRmT1_T2_T3_mT4_P12ihipStream_tbEUlT_E0_NS1_11comp_targetILNS1_3genE5ELNS1_11target_archE942ELNS1_3gpuE9ELNS1_3repE0EEENS1_30default_config_static_selectorELNS0_4arch9wavefront6targetE1EEEvSK_
	.globl	_ZN7rocprim17ROCPRIM_400000_NS6detail17trampoline_kernelINS0_14default_configENS1_22reduce_config_selectorIxEEZNS1_11reduce_implILb1ES3_N6thrust23THRUST_200600_302600_NS6detail15normal_iteratorINS8_10device_ptrIxEEEEPxxNS8_4plusIxEEEE10hipError_tPvRmT1_T2_T3_mT4_P12ihipStream_tbEUlT_E0_NS1_11comp_targetILNS1_3genE5ELNS1_11target_archE942ELNS1_3gpuE9ELNS1_3repE0EEENS1_30default_config_static_selectorELNS0_4arch9wavefront6targetE1EEEvSK_
	.p2align	8
	.type	_ZN7rocprim17ROCPRIM_400000_NS6detail17trampoline_kernelINS0_14default_configENS1_22reduce_config_selectorIxEEZNS1_11reduce_implILb1ES3_N6thrust23THRUST_200600_302600_NS6detail15normal_iteratorINS8_10device_ptrIxEEEEPxxNS8_4plusIxEEEE10hipError_tPvRmT1_T2_T3_mT4_P12ihipStream_tbEUlT_E0_NS1_11comp_targetILNS1_3genE5ELNS1_11target_archE942ELNS1_3gpuE9ELNS1_3repE0EEENS1_30default_config_static_selectorELNS0_4arch9wavefront6targetE1EEEvSK_,@function
_ZN7rocprim17ROCPRIM_400000_NS6detail17trampoline_kernelINS0_14default_configENS1_22reduce_config_selectorIxEEZNS1_11reduce_implILb1ES3_N6thrust23THRUST_200600_302600_NS6detail15normal_iteratorINS8_10device_ptrIxEEEEPxxNS8_4plusIxEEEE10hipError_tPvRmT1_T2_T3_mT4_P12ihipStream_tbEUlT_E0_NS1_11comp_targetILNS1_3genE5ELNS1_11target_archE942ELNS1_3gpuE9ELNS1_3repE0EEENS1_30default_config_static_selectorELNS0_4arch9wavefront6targetE1EEEvSK_: ; @_ZN7rocprim17ROCPRIM_400000_NS6detail17trampoline_kernelINS0_14default_configENS1_22reduce_config_selectorIxEEZNS1_11reduce_implILb1ES3_N6thrust23THRUST_200600_302600_NS6detail15normal_iteratorINS8_10device_ptrIxEEEEPxxNS8_4plusIxEEEE10hipError_tPvRmT1_T2_T3_mT4_P12ihipStream_tbEUlT_E0_NS1_11comp_targetILNS1_3genE5ELNS1_11target_archE942ELNS1_3gpuE9ELNS1_3repE0EEENS1_30default_config_static_selectorELNS0_4arch9wavefront6targetE1EEEvSK_
; %bb.0:
	.section	.rodata,"a",@progbits
	.p2align	6, 0x0
	.amdhsa_kernel _ZN7rocprim17ROCPRIM_400000_NS6detail17trampoline_kernelINS0_14default_configENS1_22reduce_config_selectorIxEEZNS1_11reduce_implILb1ES3_N6thrust23THRUST_200600_302600_NS6detail15normal_iteratorINS8_10device_ptrIxEEEEPxxNS8_4plusIxEEEE10hipError_tPvRmT1_T2_T3_mT4_P12ihipStream_tbEUlT_E0_NS1_11comp_targetILNS1_3genE5ELNS1_11target_archE942ELNS1_3gpuE9ELNS1_3repE0EEENS1_30default_config_static_selectorELNS0_4arch9wavefront6targetE1EEEvSK_
		.amdhsa_group_segment_fixed_size 0
		.amdhsa_private_segment_fixed_size 0
		.amdhsa_kernarg_size 64
		.amdhsa_user_sgpr_count 2
		.amdhsa_user_sgpr_dispatch_ptr 0
		.amdhsa_user_sgpr_queue_ptr 0
		.amdhsa_user_sgpr_kernarg_segment_ptr 1
		.amdhsa_user_sgpr_dispatch_id 0
		.amdhsa_user_sgpr_kernarg_preload_length 0
		.amdhsa_user_sgpr_kernarg_preload_offset 0
		.amdhsa_user_sgpr_private_segment_size 0
		.amdhsa_uses_dynamic_stack 0
		.amdhsa_enable_private_segment 0
		.amdhsa_system_sgpr_workgroup_id_x 1
		.amdhsa_system_sgpr_workgroup_id_y 0
		.amdhsa_system_sgpr_workgroup_id_z 0
		.amdhsa_system_sgpr_workgroup_info 0
		.amdhsa_system_vgpr_workitem_id 0
		.amdhsa_next_free_vgpr 1
		.amdhsa_next_free_sgpr 0
		.amdhsa_accum_offset 4
		.amdhsa_reserve_vcc 0
		.amdhsa_float_round_mode_32 0
		.amdhsa_float_round_mode_16_64 0
		.amdhsa_float_denorm_mode_32 3
		.amdhsa_float_denorm_mode_16_64 3
		.amdhsa_dx10_clamp 1
		.amdhsa_ieee_mode 1
		.amdhsa_fp16_overflow 0
		.amdhsa_tg_split 0
		.amdhsa_exception_fp_ieee_invalid_op 0
		.amdhsa_exception_fp_denorm_src 0
		.amdhsa_exception_fp_ieee_div_zero 0
		.amdhsa_exception_fp_ieee_overflow 0
		.amdhsa_exception_fp_ieee_underflow 0
		.amdhsa_exception_fp_ieee_inexact 0
		.amdhsa_exception_int_div_zero 0
	.end_amdhsa_kernel
	.section	.text._ZN7rocprim17ROCPRIM_400000_NS6detail17trampoline_kernelINS0_14default_configENS1_22reduce_config_selectorIxEEZNS1_11reduce_implILb1ES3_N6thrust23THRUST_200600_302600_NS6detail15normal_iteratorINS8_10device_ptrIxEEEEPxxNS8_4plusIxEEEE10hipError_tPvRmT1_T2_T3_mT4_P12ihipStream_tbEUlT_E0_NS1_11comp_targetILNS1_3genE5ELNS1_11target_archE942ELNS1_3gpuE9ELNS1_3repE0EEENS1_30default_config_static_selectorELNS0_4arch9wavefront6targetE1EEEvSK_,"axG",@progbits,_ZN7rocprim17ROCPRIM_400000_NS6detail17trampoline_kernelINS0_14default_configENS1_22reduce_config_selectorIxEEZNS1_11reduce_implILb1ES3_N6thrust23THRUST_200600_302600_NS6detail15normal_iteratorINS8_10device_ptrIxEEEEPxxNS8_4plusIxEEEE10hipError_tPvRmT1_T2_T3_mT4_P12ihipStream_tbEUlT_E0_NS1_11comp_targetILNS1_3genE5ELNS1_11target_archE942ELNS1_3gpuE9ELNS1_3repE0EEENS1_30default_config_static_selectorELNS0_4arch9wavefront6targetE1EEEvSK_,comdat
.Lfunc_end206:
	.size	_ZN7rocprim17ROCPRIM_400000_NS6detail17trampoline_kernelINS0_14default_configENS1_22reduce_config_selectorIxEEZNS1_11reduce_implILb1ES3_N6thrust23THRUST_200600_302600_NS6detail15normal_iteratorINS8_10device_ptrIxEEEEPxxNS8_4plusIxEEEE10hipError_tPvRmT1_T2_T3_mT4_P12ihipStream_tbEUlT_E0_NS1_11comp_targetILNS1_3genE5ELNS1_11target_archE942ELNS1_3gpuE9ELNS1_3repE0EEENS1_30default_config_static_selectorELNS0_4arch9wavefront6targetE1EEEvSK_, .Lfunc_end206-_ZN7rocprim17ROCPRIM_400000_NS6detail17trampoline_kernelINS0_14default_configENS1_22reduce_config_selectorIxEEZNS1_11reduce_implILb1ES3_N6thrust23THRUST_200600_302600_NS6detail15normal_iteratorINS8_10device_ptrIxEEEEPxxNS8_4plusIxEEEE10hipError_tPvRmT1_T2_T3_mT4_P12ihipStream_tbEUlT_E0_NS1_11comp_targetILNS1_3genE5ELNS1_11target_archE942ELNS1_3gpuE9ELNS1_3repE0EEENS1_30default_config_static_selectorELNS0_4arch9wavefront6targetE1EEEvSK_
                                        ; -- End function
	.set _ZN7rocprim17ROCPRIM_400000_NS6detail17trampoline_kernelINS0_14default_configENS1_22reduce_config_selectorIxEEZNS1_11reduce_implILb1ES3_N6thrust23THRUST_200600_302600_NS6detail15normal_iteratorINS8_10device_ptrIxEEEEPxxNS8_4plusIxEEEE10hipError_tPvRmT1_T2_T3_mT4_P12ihipStream_tbEUlT_E0_NS1_11comp_targetILNS1_3genE5ELNS1_11target_archE942ELNS1_3gpuE9ELNS1_3repE0EEENS1_30default_config_static_selectorELNS0_4arch9wavefront6targetE1EEEvSK_.num_vgpr, 0
	.set _ZN7rocprim17ROCPRIM_400000_NS6detail17trampoline_kernelINS0_14default_configENS1_22reduce_config_selectorIxEEZNS1_11reduce_implILb1ES3_N6thrust23THRUST_200600_302600_NS6detail15normal_iteratorINS8_10device_ptrIxEEEEPxxNS8_4plusIxEEEE10hipError_tPvRmT1_T2_T3_mT4_P12ihipStream_tbEUlT_E0_NS1_11comp_targetILNS1_3genE5ELNS1_11target_archE942ELNS1_3gpuE9ELNS1_3repE0EEENS1_30default_config_static_selectorELNS0_4arch9wavefront6targetE1EEEvSK_.num_agpr, 0
	.set _ZN7rocprim17ROCPRIM_400000_NS6detail17trampoline_kernelINS0_14default_configENS1_22reduce_config_selectorIxEEZNS1_11reduce_implILb1ES3_N6thrust23THRUST_200600_302600_NS6detail15normal_iteratorINS8_10device_ptrIxEEEEPxxNS8_4plusIxEEEE10hipError_tPvRmT1_T2_T3_mT4_P12ihipStream_tbEUlT_E0_NS1_11comp_targetILNS1_3genE5ELNS1_11target_archE942ELNS1_3gpuE9ELNS1_3repE0EEENS1_30default_config_static_selectorELNS0_4arch9wavefront6targetE1EEEvSK_.numbered_sgpr, 0
	.set _ZN7rocprim17ROCPRIM_400000_NS6detail17trampoline_kernelINS0_14default_configENS1_22reduce_config_selectorIxEEZNS1_11reduce_implILb1ES3_N6thrust23THRUST_200600_302600_NS6detail15normal_iteratorINS8_10device_ptrIxEEEEPxxNS8_4plusIxEEEE10hipError_tPvRmT1_T2_T3_mT4_P12ihipStream_tbEUlT_E0_NS1_11comp_targetILNS1_3genE5ELNS1_11target_archE942ELNS1_3gpuE9ELNS1_3repE0EEENS1_30default_config_static_selectorELNS0_4arch9wavefront6targetE1EEEvSK_.num_named_barrier, 0
	.set _ZN7rocprim17ROCPRIM_400000_NS6detail17trampoline_kernelINS0_14default_configENS1_22reduce_config_selectorIxEEZNS1_11reduce_implILb1ES3_N6thrust23THRUST_200600_302600_NS6detail15normal_iteratorINS8_10device_ptrIxEEEEPxxNS8_4plusIxEEEE10hipError_tPvRmT1_T2_T3_mT4_P12ihipStream_tbEUlT_E0_NS1_11comp_targetILNS1_3genE5ELNS1_11target_archE942ELNS1_3gpuE9ELNS1_3repE0EEENS1_30default_config_static_selectorELNS0_4arch9wavefront6targetE1EEEvSK_.private_seg_size, 0
	.set _ZN7rocprim17ROCPRIM_400000_NS6detail17trampoline_kernelINS0_14default_configENS1_22reduce_config_selectorIxEEZNS1_11reduce_implILb1ES3_N6thrust23THRUST_200600_302600_NS6detail15normal_iteratorINS8_10device_ptrIxEEEEPxxNS8_4plusIxEEEE10hipError_tPvRmT1_T2_T3_mT4_P12ihipStream_tbEUlT_E0_NS1_11comp_targetILNS1_3genE5ELNS1_11target_archE942ELNS1_3gpuE9ELNS1_3repE0EEENS1_30default_config_static_selectorELNS0_4arch9wavefront6targetE1EEEvSK_.uses_vcc, 0
	.set _ZN7rocprim17ROCPRIM_400000_NS6detail17trampoline_kernelINS0_14default_configENS1_22reduce_config_selectorIxEEZNS1_11reduce_implILb1ES3_N6thrust23THRUST_200600_302600_NS6detail15normal_iteratorINS8_10device_ptrIxEEEEPxxNS8_4plusIxEEEE10hipError_tPvRmT1_T2_T3_mT4_P12ihipStream_tbEUlT_E0_NS1_11comp_targetILNS1_3genE5ELNS1_11target_archE942ELNS1_3gpuE9ELNS1_3repE0EEENS1_30default_config_static_selectorELNS0_4arch9wavefront6targetE1EEEvSK_.uses_flat_scratch, 0
	.set _ZN7rocprim17ROCPRIM_400000_NS6detail17trampoline_kernelINS0_14default_configENS1_22reduce_config_selectorIxEEZNS1_11reduce_implILb1ES3_N6thrust23THRUST_200600_302600_NS6detail15normal_iteratorINS8_10device_ptrIxEEEEPxxNS8_4plusIxEEEE10hipError_tPvRmT1_T2_T3_mT4_P12ihipStream_tbEUlT_E0_NS1_11comp_targetILNS1_3genE5ELNS1_11target_archE942ELNS1_3gpuE9ELNS1_3repE0EEENS1_30default_config_static_selectorELNS0_4arch9wavefront6targetE1EEEvSK_.has_dyn_sized_stack, 0
	.set _ZN7rocprim17ROCPRIM_400000_NS6detail17trampoline_kernelINS0_14default_configENS1_22reduce_config_selectorIxEEZNS1_11reduce_implILb1ES3_N6thrust23THRUST_200600_302600_NS6detail15normal_iteratorINS8_10device_ptrIxEEEEPxxNS8_4plusIxEEEE10hipError_tPvRmT1_T2_T3_mT4_P12ihipStream_tbEUlT_E0_NS1_11comp_targetILNS1_3genE5ELNS1_11target_archE942ELNS1_3gpuE9ELNS1_3repE0EEENS1_30default_config_static_selectorELNS0_4arch9wavefront6targetE1EEEvSK_.has_recursion, 0
	.set _ZN7rocprim17ROCPRIM_400000_NS6detail17trampoline_kernelINS0_14default_configENS1_22reduce_config_selectorIxEEZNS1_11reduce_implILb1ES3_N6thrust23THRUST_200600_302600_NS6detail15normal_iteratorINS8_10device_ptrIxEEEEPxxNS8_4plusIxEEEE10hipError_tPvRmT1_T2_T3_mT4_P12ihipStream_tbEUlT_E0_NS1_11comp_targetILNS1_3genE5ELNS1_11target_archE942ELNS1_3gpuE9ELNS1_3repE0EEENS1_30default_config_static_selectorELNS0_4arch9wavefront6targetE1EEEvSK_.has_indirect_call, 0
	.section	.AMDGPU.csdata,"",@progbits
; Kernel info:
; codeLenInByte = 0
; TotalNumSgprs: 6
; NumVgprs: 0
; NumAgprs: 0
; TotalNumVgprs: 0
; ScratchSize: 0
; MemoryBound: 0
; FloatMode: 240
; IeeeMode: 1
; LDSByteSize: 0 bytes/workgroup (compile time only)
; SGPRBlocks: 0
; VGPRBlocks: 0
; NumSGPRsForWavesPerEU: 6
; NumVGPRsForWavesPerEU: 1
; AccumOffset: 4
; Occupancy: 8
; WaveLimiterHint : 0
; COMPUTE_PGM_RSRC2:SCRATCH_EN: 0
; COMPUTE_PGM_RSRC2:USER_SGPR: 2
; COMPUTE_PGM_RSRC2:TRAP_HANDLER: 0
; COMPUTE_PGM_RSRC2:TGID_X_EN: 1
; COMPUTE_PGM_RSRC2:TGID_Y_EN: 0
; COMPUTE_PGM_RSRC2:TGID_Z_EN: 0
; COMPUTE_PGM_RSRC2:TIDIG_COMP_CNT: 0
; COMPUTE_PGM_RSRC3_GFX90A:ACCUM_OFFSET: 0
; COMPUTE_PGM_RSRC3_GFX90A:TG_SPLIT: 0
	.section	.text._ZN7rocprim17ROCPRIM_400000_NS6detail17trampoline_kernelINS0_14default_configENS1_22reduce_config_selectorIxEEZNS1_11reduce_implILb1ES3_N6thrust23THRUST_200600_302600_NS6detail15normal_iteratorINS8_10device_ptrIxEEEEPxxNS8_4plusIxEEEE10hipError_tPvRmT1_T2_T3_mT4_P12ihipStream_tbEUlT_E0_NS1_11comp_targetILNS1_3genE4ELNS1_11target_archE910ELNS1_3gpuE8ELNS1_3repE0EEENS1_30default_config_static_selectorELNS0_4arch9wavefront6targetE1EEEvSK_,"axG",@progbits,_ZN7rocprim17ROCPRIM_400000_NS6detail17trampoline_kernelINS0_14default_configENS1_22reduce_config_selectorIxEEZNS1_11reduce_implILb1ES3_N6thrust23THRUST_200600_302600_NS6detail15normal_iteratorINS8_10device_ptrIxEEEEPxxNS8_4plusIxEEEE10hipError_tPvRmT1_T2_T3_mT4_P12ihipStream_tbEUlT_E0_NS1_11comp_targetILNS1_3genE4ELNS1_11target_archE910ELNS1_3gpuE8ELNS1_3repE0EEENS1_30default_config_static_selectorELNS0_4arch9wavefront6targetE1EEEvSK_,comdat
	.protected	_ZN7rocprim17ROCPRIM_400000_NS6detail17trampoline_kernelINS0_14default_configENS1_22reduce_config_selectorIxEEZNS1_11reduce_implILb1ES3_N6thrust23THRUST_200600_302600_NS6detail15normal_iteratorINS8_10device_ptrIxEEEEPxxNS8_4plusIxEEEE10hipError_tPvRmT1_T2_T3_mT4_P12ihipStream_tbEUlT_E0_NS1_11comp_targetILNS1_3genE4ELNS1_11target_archE910ELNS1_3gpuE8ELNS1_3repE0EEENS1_30default_config_static_selectorELNS0_4arch9wavefront6targetE1EEEvSK_ ; -- Begin function _ZN7rocprim17ROCPRIM_400000_NS6detail17trampoline_kernelINS0_14default_configENS1_22reduce_config_selectorIxEEZNS1_11reduce_implILb1ES3_N6thrust23THRUST_200600_302600_NS6detail15normal_iteratorINS8_10device_ptrIxEEEEPxxNS8_4plusIxEEEE10hipError_tPvRmT1_T2_T3_mT4_P12ihipStream_tbEUlT_E0_NS1_11comp_targetILNS1_3genE4ELNS1_11target_archE910ELNS1_3gpuE8ELNS1_3repE0EEENS1_30default_config_static_selectorELNS0_4arch9wavefront6targetE1EEEvSK_
	.globl	_ZN7rocprim17ROCPRIM_400000_NS6detail17trampoline_kernelINS0_14default_configENS1_22reduce_config_selectorIxEEZNS1_11reduce_implILb1ES3_N6thrust23THRUST_200600_302600_NS6detail15normal_iteratorINS8_10device_ptrIxEEEEPxxNS8_4plusIxEEEE10hipError_tPvRmT1_T2_T3_mT4_P12ihipStream_tbEUlT_E0_NS1_11comp_targetILNS1_3genE4ELNS1_11target_archE910ELNS1_3gpuE8ELNS1_3repE0EEENS1_30default_config_static_selectorELNS0_4arch9wavefront6targetE1EEEvSK_
	.p2align	8
	.type	_ZN7rocprim17ROCPRIM_400000_NS6detail17trampoline_kernelINS0_14default_configENS1_22reduce_config_selectorIxEEZNS1_11reduce_implILb1ES3_N6thrust23THRUST_200600_302600_NS6detail15normal_iteratorINS8_10device_ptrIxEEEEPxxNS8_4plusIxEEEE10hipError_tPvRmT1_T2_T3_mT4_P12ihipStream_tbEUlT_E0_NS1_11comp_targetILNS1_3genE4ELNS1_11target_archE910ELNS1_3gpuE8ELNS1_3repE0EEENS1_30default_config_static_selectorELNS0_4arch9wavefront6targetE1EEEvSK_,@function
_ZN7rocprim17ROCPRIM_400000_NS6detail17trampoline_kernelINS0_14default_configENS1_22reduce_config_selectorIxEEZNS1_11reduce_implILb1ES3_N6thrust23THRUST_200600_302600_NS6detail15normal_iteratorINS8_10device_ptrIxEEEEPxxNS8_4plusIxEEEE10hipError_tPvRmT1_T2_T3_mT4_P12ihipStream_tbEUlT_E0_NS1_11comp_targetILNS1_3genE4ELNS1_11target_archE910ELNS1_3gpuE8ELNS1_3repE0EEENS1_30default_config_static_selectorELNS0_4arch9wavefront6targetE1EEEvSK_: ; @_ZN7rocprim17ROCPRIM_400000_NS6detail17trampoline_kernelINS0_14default_configENS1_22reduce_config_selectorIxEEZNS1_11reduce_implILb1ES3_N6thrust23THRUST_200600_302600_NS6detail15normal_iteratorINS8_10device_ptrIxEEEEPxxNS8_4plusIxEEEE10hipError_tPvRmT1_T2_T3_mT4_P12ihipStream_tbEUlT_E0_NS1_11comp_targetILNS1_3genE4ELNS1_11target_archE910ELNS1_3gpuE8ELNS1_3repE0EEENS1_30default_config_static_selectorELNS0_4arch9wavefront6targetE1EEEvSK_
; %bb.0:
	.section	.rodata,"a",@progbits
	.p2align	6, 0x0
	.amdhsa_kernel _ZN7rocprim17ROCPRIM_400000_NS6detail17trampoline_kernelINS0_14default_configENS1_22reduce_config_selectorIxEEZNS1_11reduce_implILb1ES3_N6thrust23THRUST_200600_302600_NS6detail15normal_iteratorINS8_10device_ptrIxEEEEPxxNS8_4plusIxEEEE10hipError_tPvRmT1_T2_T3_mT4_P12ihipStream_tbEUlT_E0_NS1_11comp_targetILNS1_3genE4ELNS1_11target_archE910ELNS1_3gpuE8ELNS1_3repE0EEENS1_30default_config_static_selectorELNS0_4arch9wavefront6targetE1EEEvSK_
		.amdhsa_group_segment_fixed_size 0
		.amdhsa_private_segment_fixed_size 0
		.amdhsa_kernarg_size 64
		.amdhsa_user_sgpr_count 2
		.amdhsa_user_sgpr_dispatch_ptr 0
		.amdhsa_user_sgpr_queue_ptr 0
		.amdhsa_user_sgpr_kernarg_segment_ptr 1
		.amdhsa_user_sgpr_dispatch_id 0
		.amdhsa_user_sgpr_kernarg_preload_length 0
		.amdhsa_user_sgpr_kernarg_preload_offset 0
		.amdhsa_user_sgpr_private_segment_size 0
		.amdhsa_uses_dynamic_stack 0
		.amdhsa_enable_private_segment 0
		.amdhsa_system_sgpr_workgroup_id_x 1
		.amdhsa_system_sgpr_workgroup_id_y 0
		.amdhsa_system_sgpr_workgroup_id_z 0
		.amdhsa_system_sgpr_workgroup_info 0
		.amdhsa_system_vgpr_workitem_id 0
		.amdhsa_next_free_vgpr 1
		.amdhsa_next_free_sgpr 0
		.amdhsa_accum_offset 4
		.amdhsa_reserve_vcc 0
		.amdhsa_float_round_mode_32 0
		.amdhsa_float_round_mode_16_64 0
		.amdhsa_float_denorm_mode_32 3
		.amdhsa_float_denorm_mode_16_64 3
		.amdhsa_dx10_clamp 1
		.amdhsa_ieee_mode 1
		.amdhsa_fp16_overflow 0
		.amdhsa_tg_split 0
		.amdhsa_exception_fp_ieee_invalid_op 0
		.amdhsa_exception_fp_denorm_src 0
		.amdhsa_exception_fp_ieee_div_zero 0
		.amdhsa_exception_fp_ieee_overflow 0
		.amdhsa_exception_fp_ieee_underflow 0
		.amdhsa_exception_fp_ieee_inexact 0
		.amdhsa_exception_int_div_zero 0
	.end_amdhsa_kernel
	.section	.text._ZN7rocprim17ROCPRIM_400000_NS6detail17trampoline_kernelINS0_14default_configENS1_22reduce_config_selectorIxEEZNS1_11reduce_implILb1ES3_N6thrust23THRUST_200600_302600_NS6detail15normal_iteratorINS8_10device_ptrIxEEEEPxxNS8_4plusIxEEEE10hipError_tPvRmT1_T2_T3_mT4_P12ihipStream_tbEUlT_E0_NS1_11comp_targetILNS1_3genE4ELNS1_11target_archE910ELNS1_3gpuE8ELNS1_3repE0EEENS1_30default_config_static_selectorELNS0_4arch9wavefront6targetE1EEEvSK_,"axG",@progbits,_ZN7rocprim17ROCPRIM_400000_NS6detail17trampoline_kernelINS0_14default_configENS1_22reduce_config_selectorIxEEZNS1_11reduce_implILb1ES3_N6thrust23THRUST_200600_302600_NS6detail15normal_iteratorINS8_10device_ptrIxEEEEPxxNS8_4plusIxEEEE10hipError_tPvRmT1_T2_T3_mT4_P12ihipStream_tbEUlT_E0_NS1_11comp_targetILNS1_3genE4ELNS1_11target_archE910ELNS1_3gpuE8ELNS1_3repE0EEENS1_30default_config_static_selectorELNS0_4arch9wavefront6targetE1EEEvSK_,comdat
.Lfunc_end207:
	.size	_ZN7rocprim17ROCPRIM_400000_NS6detail17trampoline_kernelINS0_14default_configENS1_22reduce_config_selectorIxEEZNS1_11reduce_implILb1ES3_N6thrust23THRUST_200600_302600_NS6detail15normal_iteratorINS8_10device_ptrIxEEEEPxxNS8_4plusIxEEEE10hipError_tPvRmT1_T2_T3_mT4_P12ihipStream_tbEUlT_E0_NS1_11comp_targetILNS1_3genE4ELNS1_11target_archE910ELNS1_3gpuE8ELNS1_3repE0EEENS1_30default_config_static_selectorELNS0_4arch9wavefront6targetE1EEEvSK_, .Lfunc_end207-_ZN7rocprim17ROCPRIM_400000_NS6detail17trampoline_kernelINS0_14default_configENS1_22reduce_config_selectorIxEEZNS1_11reduce_implILb1ES3_N6thrust23THRUST_200600_302600_NS6detail15normal_iteratorINS8_10device_ptrIxEEEEPxxNS8_4plusIxEEEE10hipError_tPvRmT1_T2_T3_mT4_P12ihipStream_tbEUlT_E0_NS1_11comp_targetILNS1_3genE4ELNS1_11target_archE910ELNS1_3gpuE8ELNS1_3repE0EEENS1_30default_config_static_selectorELNS0_4arch9wavefront6targetE1EEEvSK_
                                        ; -- End function
	.set _ZN7rocprim17ROCPRIM_400000_NS6detail17trampoline_kernelINS0_14default_configENS1_22reduce_config_selectorIxEEZNS1_11reduce_implILb1ES3_N6thrust23THRUST_200600_302600_NS6detail15normal_iteratorINS8_10device_ptrIxEEEEPxxNS8_4plusIxEEEE10hipError_tPvRmT1_T2_T3_mT4_P12ihipStream_tbEUlT_E0_NS1_11comp_targetILNS1_3genE4ELNS1_11target_archE910ELNS1_3gpuE8ELNS1_3repE0EEENS1_30default_config_static_selectorELNS0_4arch9wavefront6targetE1EEEvSK_.num_vgpr, 0
	.set _ZN7rocprim17ROCPRIM_400000_NS6detail17trampoline_kernelINS0_14default_configENS1_22reduce_config_selectorIxEEZNS1_11reduce_implILb1ES3_N6thrust23THRUST_200600_302600_NS6detail15normal_iteratorINS8_10device_ptrIxEEEEPxxNS8_4plusIxEEEE10hipError_tPvRmT1_T2_T3_mT4_P12ihipStream_tbEUlT_E0_NS1_11comp_targetILNS1_3genE4ELNS1_11target_archE910ELNS1_3gpuE8ELNS1_3repE0EEENS1_30default_config_static_selectorELNS0_4arch9wavefront6targetE1EEEvSK_.num_agpr, 0
	.set _ZN7rocprim17ROCPRIM_400000_NS6detail17trampoline_kernelINS0_14default_configENS1_22reduce_config_selectorIxEEZNS1_11reduce_implILb1ES3_N6thrust23THRUST_200600_302600_NS6detail15normal_iteratorINS8_10device_ptrIxEEEEPxxNS8_4plusIxEEEE10hipError_tPvRmT1_T2_T3_mT4_P12ihipStream_tbEUlT_E0_NS1_11comp_targetILNS1_3genE4ELNS1_11target_archE910ELNS1_3gpuE8ELNS1_3repE0EEENS1_30default_config_static_selectorELNS0_4arch9wavefront6targetE1EEEvSK_.numbered_sgpr, 0
	.set _ZN7rocprim17ROCPRIM_400000_NS6detail17trampoline_kernelINS0_14default_configENS1_22reduce_config_selectorIxEEZNS1_11reduce_implILb1ES3_N6thrust23THRUST_200600_302600_NS6detail15normal_iteratorINS8_10device_ptrIxEEEEPxxNS8_4plusIxEEEE10hipError_tPvRmT1_T2_T3_mT4_P12ihipStream_tbEUlT_E0_NS1_11comp_targetILNS1_3genE4ELNS1_11target_archE910ELNS1_3gpuE8ELNS1_3repE0EEENS1_30default_config_static_selectorELNS0_4arch9wavefront6targetE1EEEvSK_.num_named_barrier, 0
	.set _ZN7rocprim17ROCPRIM_400000_NS6detail17trampoline_kernelINS0_14default_configENS1_22reduce_config_selectorIxEEZNS1_11reduce_implILb1ES3_N6thrust23THRUST_200600_302600_NS6detail15normal_iteratorINS8_10device_ptrIxEEEEPxxNS8_4plusIxEEEE10hipError_tPvRmT1_T2_T3_mT4_P12ihipStream_tbEUlT_E0_NS1_11comp_targetILNS1_3genE4ELNS1_11target_archE910ELNS1_3gpuE8ELNS1_3repE0EEENS1_30default_config_static_selectorELNS0_4arch9wavefront6targetE1EEEvSK_.private_seg_size, 0
	.set _ZN7rocprim17ROCPRIM_400000_NS6detail17trampoline_kernelINS0_14default_configENS1_22reduce_config_selectorIxEEZNS1_11reduce_implILb1ES3_N6thrust23THRUST_200600_302600_NS6detail15normal_iteratorINS8_10device_ptrIxEEEEPxxNS8_4plusIxEEEE10hipError_tPvRmT1_T2_T3_mT4_P12ihipStream_tbEUlT_E0_NS1_11comp_targetILNS1_3genE4ELNS1_11target_archE910ELNS1_3gpuE8ELNS1_3repE0EEENS1_30default_config_static_selectorELNS0_4arch9wavefront6targetE1EEEvSK_.uses_vcc, 0
	.set _ZN7rocprim17ROCPRIM_400000_NS6detail17trampoline_kernelINS0_14default_configENS1_22reduce_config_selectorIxEEZNS1_11reduce_implILb1ES3_N6thrust23THRUST_200600_302600_NS6detail15normal_iteratorINS8_10device_ptrIxEEEEPxxNS8_4plusIxEEEE10hipError_tPvRmT1_T2_T3_mT4_P12ihipStream_tbEUlT_E0_NS1_11comp_targetILNS1_3genE4ELNS1_11target_archE910ELNS1_3gpuE8ELNS1_3repE0EEENS1_30default_config_static_selectorELNS0_4arch9wavefront6targetE1EEEvSK_.uses_flat_scratch, 0
	.set _ZN7rocprim17ROCPRIM_400000_NS6detail17trampoline_kernelINS0_14default_configENS1_22reduce_config_selectorIxEEZNS1_11reduce_implILb1ES3_N6thrust23THRUST_200600_302600_NS6detail15normal_iteratorINS8_10device_ptrIxEEEEPxxNS8_4plusIxEEEE10hipError_tPvRmT1_T2_T3_mT4_P12ihipStream_tbEUlT_E0_NS1_11comp_targetILNS1_3genE4ELNS1_11target_archE910ELNS1_3gpuE8ELNS1_3repE0EEENS1_30default_config_static_selectorELNS0_4arch9wavefront6targetE1EEEvSK_.has_dyn_sized_stack, 0
	.set _ZN7rocprim17ROCPRIM_400000_NS6detail17trampoline_kernelINS0_14default_configENS1_22reduce_config_selectorIxEEZNS1_11reduce_implILb1ES3_N6thrust23THRUST_200600_302600_NS6detail15normal_iteratorINS8_10device_ptrIxEEEEPxxNS8_4plusIxEEEE10hipError_tPvRmT1_T2_T3_mT4_P12ihipStream_tbEUlT_E0_NS1_11comp_targetILNS1_3genE4ELNS1_11target_archE910ELNS1_3gpuE8ELNS1_3repE0EEENS1_30default_config_static_selectorELNS0_4arch9wavefront6targetE1EEEvSK_.has_recursion, 0
	.set _ZN7rocprim17ROCPRIM_400000_NS6detail17trampoline_kernelINS0_14default_configENS1_22reduce_config_selectorIxEEZNS1_11reduce_implILb1ES3_N6thrust23THRUST_200600_302600_NS6detail15normal_iteratorINS8_10device_ptrIxEEEEPxxNS8_4plusIxEEEE10hipError_tPvRmT1_T2_T3_mT4_P12ihipStream_tbEUlT_E0_NS1_11comp_targetILNS1_3genE4ELNS1_11target_archE910ELNS1_3gpuE8ELNS1_3repE0EEENS1_30default_config_static_selectorELNS0_4arch9wavefront6targetE1EEEvSK_.has_indirect_call, 0
	.section	.AMDGPU.csdata,"",@progbits
; Kernel info:
; codeLenInByte = 0
; TotalNumSgprs: 6
; NumVgprs: 0
; NumAgprs: 0
; TotalNumVgprs: 0
; ScratchSize: 0
; MemoryBound: 0
; FloatMode: 240
; IeeeMode: 1
; LDSByteSize: 0 bytes/workgroup (compile time only)
; SGPRBlocks: 0
; VGPRBlocks: 0
; NumSGPRsForWavesPerEU: 6
; NumVGPRsForWavesPerEU: 1
; AccumOffset: 4
; Occupancy: 8
; WaveLimiterHint : 0
; COMPUTE_PGM_RSRC2:SCRATCH_EN: 0
; COMPUTE_PGM_RSRC2:USER_SGPR: 2
; COMPUTE_PGM_RSRC2:TRAP_HANDLER: 0
; COMPUTE_PGM_RSRC2:TGID_X_EN: 1
; COMPUTE_PGM_RSRC2:TGID_Y_EN: 0
; COMPUTE_PGM_RSRC2:TGID_Z_EN: 0
; COMPUTE_PGM_RSRC2:TIDIG_COMP_CNT: 0
; COMPUTE_PGM_RSRC3_GFX90A:ACCUM_OFFSET: 0
; COMPUTE_PGM_RSRC3_GFX90A:TG_SPLIT: 0
	.section	.text._ZN7rocprim17ROCPRIM_400000_NS6detail17trampoline_kernelINS0_14default_configENS1_22reduce_config_selectorIxEEZNS1_11reduce_implILb1ES3_N6thrust23THRUST_200600_302600_NS6detail15normal_iteratorINS8_10device_ptrIxEEEEPxxNS8_4plusIxEEEE10hipError_tPvRmT1_T2_T3_mT4_P12ihipStream_tbEUlT_E0_NS1_11comp_targetILNS1_3genE3ELNS1_11target_archE908ELNS1_3gpuE7ELNS1_3repE0EEENS1_30default_config_static_selectorELNS0_4arch9wavefront6targetE1EEEvSK_,"axG",@progbits,_ZN7rocprim17ROCPRIM_400000_NS6detail17trampoline_kernelINS0_14default_configENS1_22reduce_config_selectorIxEEZNS1_11reduce_implILb1ES3_N6thrust23THRUST_200600_302600_NS6detail15normal_iteratorINS8_10device_ptrIxEEEEPxxNS8_4plusIxEEEE10hipError_tPvRmT1_T2_T3_mT4_P12ihipStream_tbEUlT_E0_NS1_11comp_targetILNS1_3genE3ELNS1_11target_archE908ELNS1_3gpuE7ELNS1_3repE0EEENS1_30default_config_static_selectorELNS0_4arch9wavefront6targetE1EEEvSK_,comdat
	.protected	_ZN7rocprim17ROCPRIM_400000_NS6detail17trampoline_kernelINS0_14default_configENS1_22reduce_config_selectorIxEEZNS1_11reduce_implILb1ES3_N6thrust23THRUST_200600_302600_NS6detail15normal_iteratorINS8_10device_ptrIxEEEEPxxNS8_4plusIxEEEE10hipError_tPvRmT1_T2_T3_mT4_P12ihipStream_tbEUlT_E0_NS1_11comp_targetILNS1_3genE3ELNS1_11target_archE908ELNS1_3gpuE7ELNS1_3repE0EEENS1_30default_config_static_selectorELNS0_4arch9wavefront6targetE1EEEvSK_ ; -- Begin function _ZN7rocprim17ROCPRIM_400000_NS6detail17trampoline_kernelINS0_14default_configENS1_22reduce_config_selectorIxEEZNS1_11reduce_implILb1ES3_N6thrust23THRUST_200600_302600_NS6detail15normal_iteratorINS8_10device_ptrIxEEEEPxxNS8_4plusIxEEEE10hipError_tPvRmT1_T2_T3_mT4_P12ihipStream_tbEUlT_E0_NS1_11comp_targetILNS1_3genE3ELNS1_11target_archE908ELNS1_3gpuE7ELNS1_3repE0EEENS1_30default_config_static_selectorELNS0_4arch9wavefront6targetE1EEEvSK_
	.globl	_ZN7rocprim17ROCPRIM_400000_NS6detail17trampoline_kernelINS0_14default_configENS1_22reduce_config_selectorIxEEZNS1_11reduce_implILb1ES3_N6thrust23THRUST_200600_302600_NS6detail15normal_iteratorINS8_10device_ptrIxEEEEPxxNS8_4plusIxEEEE10hipError_tPvRmT1_T2_T3_mT4_P12ihipStream_tbEUlT_E0_NS1_11comp_targetILNS1_3genE3ELNS1_11target_archE908ELNS1_3gpuE7ELNS1_3repE0EEENS1_30default_config_static_selectorELNS0_4arch9wavefront6targetE1EEEvSK_
	.p2align	8
	.type	_ZN7rocprim17ROCPRIM_400000_NS6detail17trampoline_kernelINS0_14default_configENS1_22reduce_config_selectorIxEEZNS1_11reduce_implILb1ES3_N6thrust23THRUST_200600_302600_NS6detail15normal_iteratorINS8_10device_ptrIxEEEEPxxNS8_4plusIxEEEE10hipError_tPvRmT1_T2_T3_mT4_P12ihipStream_tbEUlT_E0_NS1_11comp_targetILNS1_3genE3ELNS1_11target_archE908ELNS1_3gpuE7ELNS1_3repE0EEENS1_30default_config_static_selectorELNS0_4arch9wavefront6targetE1EEEvSK_,@function
_ZN7rocprim17ROCPRIM_400000_NS6detail17trampoline_kernelINS0_14default_configENS1_22reduce_config_selectorIxEEZNS1_11reduce_implILb1ES3_N6thrust23THRUST_200600_302600_NS6detail15normal_iteratorINS8_10device_ptrIxEEEEPxxNS8_4plusIxEEEE10hipError_tPvRmT1_T2_T3_mT4_P12ihipStream_tbEUlT_E0_NS1_11comp_targetILNS1_3genE3ELNS1_11target_archE908ELNS1_3gpuE7ELNS1_3repE0EEENS1_30default_config_static_selectorELNS0_4arch9wavefront6targetE1EEEvSK_: ; @_ZN7rocprim17ROCPRIM_400000_NS6detail17trampoline_kernelINS0_14default_configENS1_22reduce_config_selectorIxEEZNS1_11reduce_implILb1ES3_N6thrust23THRUST_200600_302600_NS6detail15normal_iteratorINS8_10device_ptrIxEEEEPxxNS8_4plusIxEEEE10hipError_tPvRmT1_T2_T3_mT4_P12ihipStream_tbEUlT_E0_NS1_11comp_targetILNS1_3genE3ELNS1_11target_archE908ELNS1_3gpuE7ELNS1_3repE0EEENS1_30default_config_static_selectorELNS0_4arch9wavefront6targetE1EEEvSK_
; %bb.0:
	.section	.rodata,"a",@progbits
	.p2align	6, 0x0
	.amdhsa_kernel _ZN7rocprim17ROCPRIM_400000_NS6detail17trampoline_kernelINS0_14default_configENS1_22reduce_config_selectorIxEEZNS1_11reduce_implILb1ES3_N6thrust23THRUST_200600_302600_NS6detail15normal_iteratorINS8_10device_ptrIxEEEEPxxNS8_4plusIxEEEE10hipError_tPvRmT1_T2_T3_mT4_P12ihipStream_tbEUlT_E0_NS1_11comp_targetILNS1_3genE3ELNS1_11target_archE908ELNS1_3gpuE7ELNS1_3repE0EEENS1_30default_config_static_selectorELNS0_4arch9wavefront6targetE1EEEvSK_
		.amdhsa_group_segment_fixed_size 0
		.amdhsa_private_segment_fixed_size 0
		.amdhsa_kernarg_size 64
		.amdhsa_user_sgpr_count 2
		.amdhsa_user_sgpr_dispatch_ptr 0
		.amdhsa_user_sgpr_queue_ptr 0
		.amdhsa_user_sgpr_kernarg_segment_ptr 1
		.amdhsa_user_sgpr_dispatch_id 0
		.amdhsa_user_sgpr_kernarg_preload_length 0
		.amdhsa_user_sgpr_kernarg_preload_offset 0
		.amdhsa_user_sgpr_private_segment_size 0
		.amdhsa_uses_dynamic_stack 0
		.amdhsa_enable_private_segment 0
		.amdhsa_system_sgpr_workgroup_id_x 1
		.amdhsa_system_sgpr_workgroup_id_y 0
		.amdhsa_system_sgpr_workgroup_id_z 0
		.amdhsa_system_sgpr_workgroup_info 0
		.amdhsa_system_vgpr_workitem_id 0
		.amdhsa_next_free_vgpr 1
		.amdhsa_next_free_sgpr 0
		.amdhsa_accum_offset 4
		.amdhsa_reserve_vcc 0
		.amdhsa_float_round_mode_32 0
		.amdhsa_float_round_mode_16_64 0
		.amdhsa_float_denorm_mode_32 3
		.amdhsa_float_denorm_mode_16_64 3
		.amdhsa_dx10_clamp 1
		.amdhsa_ieee_mode 1
		.amdhsa_fp16_overflow 0
		.amdhsa_tg_split 0
		.amdhsa_exception_fp_ieee_invalid_op 0
		.amdhsa_exception_fp_denorm_src 0
		.amdhsa_exception_fp_ieee_div_zero 0
		.amdhsa_exception_fp_ieee_overflow 0
		.amdhsa_exception_fp_ieee_underflow 0
		.amdhsa_exception_fp_ieee_inexact 0
		.amdhsa_exception_int_div_zero 0
	.end_amdhsa_kernel
	.section	.text._ZN7rocprim17ROCPRIM_400000_NS6detail17trampoline_kernelINS0_14default_configENS1_22reduce_config_selectorIxEEZNS1_11reduce_implILb1ES3_N6thrust23THRUST_200600_302600_NS6detail15normal_iteratorINS8_10device_ptrIxEEEEPxxNS8_4plusIxEEEE10hipError_tPvRmT1_T2_T3_mT4_P12ihipStream_tbEUlT_E0_NS1_11comp_targetILNS1_3genE3ELNS1_11target_archE908ELNS1_3gpuE7ELNS1_3repE0EEENS1_30default_config_static_selectorELNS0_4arch9wavefront6targetE1EEEvSK_,"axG",@progbits,_ZN7rocprim17ROCPRIM_400000_NS6detail17trampoline_kernelINS0_14default_configENS1_22reduce_config_selectorIxEEZNS1_11reduce_implILb1ES3_N6thrust23THRUST_200600_302600_NS6detail15normal_iteratorINS8_10device_ptrIxEEEEPxxNS8_4plusIxEEEE10hipError_tPvRmT1_T2_T3_mT4_P12ihipStream_tbEUlT_E0_NS1_11comp_targetILNS1_3genE3ELNS1_11target_archE908ELNS1_3gpuE7ELNS1_3repE0EEENS1_30default_config_static_selectorELNS0_4arch9wavefront6targetE1EEEvSK_,comdat
.Lfunc_end208:
	.size	_ZN7rocprim17ROCPRIM_400000_NS6detail17trampoline_kernelINS0_14default_configENS1_22reduce_config_selectorIxEEZNS1_11reduce_implILb1ES3_N6thrust23THRUST_200600_302600_NS6detail15normal_iteratorINS8_10device_ptrIxEEEEPxxNS8_4plusIxEEEE10hipError_tPvRmT1_T2_T3_mT4_P12ihipStream_tbEUlT_E0_NS1_11comp_targetILNS1_3genE3ELNS1_11target_archE908ELNS1_3gpuE7ELNS1_3repE0EEENS1_30default_config_static_selectorELNS0_4arch9wavefront6targetE1EEEvSK_, .Lfunc_end208-_ZN7rocprim17ROCPRIM_400000_NS6detail17trampoline_kernelINS0_14default_configENS1_22reduce_config_selectorIxEEZNS1_11reduce_implILb1ES3_N6thrust23THRUST_200600_302600_NS6detail15normal_iteratorINS8_10device_ptrIxEEEEPxxNS8_4plusIxEEEE10hipError_tPvRmT1_T2_T3_mT4_P12ihipStream_tbEUlT_E0_NS1_11comp_targetILNS1_3genE3ELNS1_11target_archE908ELNS1_3gpuE7ELNS1_3repE0EEENS1_30default_config_static_selectorELNS0_4arch9wavefront6targetE1EEEvSK_
                                        ; -- End function
	.set _ZN7rocprim17ROCPRIM_400000_NS6detail17trampoline_kernelINS0_14default_configENS1_22reduce_config_selectorIxEEZNS1_11reduce_implILb1ES3_N6thrust23THRUST_200600_302600_NS6detail15normal_iteratorINS8_10device_ptrIxEEEEPxxNS8_4plusIxEEEE10hipError_tPvRmT1_T2_T3_mT4_P12ihipStream_tbEUlT_E0_NS1_11comp_targetILNS1_3genE3ELNS1_11target_archE908ELNS1_3gpuE7ELNS1_3repE0EEENS1_30default_config_static_selectorELNS0_4arch9wavefront6targetE1EEEvSK_.num_vgpr, 0
	.set _ZN7rocprim17ROCPRIM_400000_NS6detail17trampoline_kernelINS0_14default_configENS1_22reduce_config_selectorIxEEZNS1_11reduce_implILb1ES3_N6thrust23THRUST_200600_302600_NS6detail15normal_iteratorINS8_10device_ptrIxEEEEPxxNS8_4plusIxEEEE10hipError_tPvRmT1_T2_T3_mT4_P12ihipStream_tbEUlT_E0_NS1_11comp_targetILNS1_3genE3ELNS1_11target_archE908ELNS1_3gpuE7ELNS1_3repE0EEENS1_30default_config_static_selectorELNS0_4arch9wavefront6targetE1EEEvSK_.num_agpr, 0
	.set _ZN7rocprim17ROCPRIM_400000_NS6detail17trampoline_kernelINS0_14default_configENS1_22reduce_config_selectorIxEEZNS1_11reduce_implILb1ES3_N6thrust23THRUST_200600_302600_NS6detail15normal_iteratorINS8_10device_ptrIxEEEEPxxNS8_4plusIxEEEE10hipError_tPvRmT1_T2_T3_mT4_P12ihipStream_tbEUlT_E0_NS1_11comp_targetILNS1_3genE3ELNS1_11target_archE908ELNS1_3gpuE7ELNS1_3repE0EEENS1_30default_config_static_selectorELNS0_4arch9wavefront6targetE1EEEvSK_.numbered_sgpr, 0
	.set _ZN7rocprim17ROCPRIM_400000_NS6detail17trampoline_kernelINS0_14default_configENS1_22reduce_config_selectorIxEEZNS1_11reduce_implILb1ES3_N6thrust23THRUST_200600_302600_NS6detail15normal_iteratorINS8_10device_ptrIxEEEEPxxNS8_4plusIxEEEE10hipError_tPvRmT1_T2_T3_mT4_P12ihipStream_tbEUlT_E0_NS1_11comp_targetILNS1_3genE3ELNS1_11target_archE908ELNS1_3gpuE7ELNS1_3repE0EEENS1_30default_config_static_selectorELNS0_4arch9wavefront6targetE1EEEvSK_.num_named_barrier, 0
	.set _ZN7rocprim17ROCPRIM_400000_NS6detail17trampoline_kernelINS0_14default_configENS1_22reduce_config_selectorIxEEZNS1_11reduce_implILb1ES3_N6thrust23THRUST_200600_302600_NS6detail15normal_iteratorINS8_10device_ptrIxEEEEPxxNS8_4plusIxEEEE10hipError_tPvRmT1_T2_T3_mT4_P12ihipStream_tbEUlT_E0_NS1_11comp_targetILNS1_3genE3ELNS1_11target_archE908ELNS1_3gpuE7ELNS1_3repE0EEENS1_30default_config_static_selectorELNS0_4arch9wavefront6targetE1EEEvSK_.private_seg_size, 0
	.set _ZN7rocprim17ROCPRIM_400000_NS6detail17trampoline_kernelINS0_14default_configENS1_22reduce_config_selectorIxEEZNS1_11reduce_implILb1ES3_N6thrust23THRUST_200600_302600_NS6detail15normal_iteratorINS8_10device_ptrIxEEEEPxxNS8_4plusIxEEEE10hipError_tPvRmT1_T2_T3_mT4_P12ihipStream_tbEUlT_E0_NS1_11comp_targetILNS1_3genE3ELNS1_11target_archE908ELNS1_3gpuE7ELNS1_3repE0EEENS1_30default_config_static_selectorELNS0_4arch9wavefront6targetE1EEEvSK_.uses_vcc, 0
	.set _ZN7rocprim17ROCPRIM_400000_NS6detail17trampoline_kernelINS0_14default_configENS1_22reduce_config_selectorIxEEZNS1_11reduce_implILb1ES3_N6thrust23THRUST_200600_302600_NS6detail15normal_iteratorINS8_10device_ptrIxEEEEPxxNS8_4plusIxEEEE10hipError_tPvRmT1_T2_T3_mT4_P12ihipStream_tbEUlT_E0_NS1_11comp_targetILNS1_3genE3ELNS1_11target_archE908ELNS1_3gpuE7ELNS1_3repE0EEENS1_30default_config_static_selectorELNS0_4arch9wavefront6targetE1EEEvSK_.uses_flat_scratch, 0
	.set _ZN7rocprim17ROCPRIM_400000_NS6detail17trampoline_kernelINS0_14default_configENS1_22reduce_config_selectorIxEEZNS1_11reduce_implILb1ES3_N6thrust23THRUST_200600_302600_NS6detail15normal_iteratorINS8_10device_ptrIxEEEEPxxNS8_4plusIxEEEE10hipError_tPvRmT1_T2_T3_mT4_P12ihipStream_tbEUlT_E0_NS1_11comp_targetILNS1_3genE3ELNS1_11target_archE908ELNS1_3gpuE7ELNS1_3repE0EEENS1_30default_config_static_selectorELNS0_4arch9wavefront6targetE1EEEvSK_.has_dyn_sized_stack, 0
	.set _ZN7rocprim17ROCPRIM_400000_NS6detail17trampoline_kernelINS0_14default_configENS1_22reduce_config_selectorIxEEZNS1_11reduce_implILb1ES3_N6thrust23THRUST_200600_302600_NS6detail15normal_iteratorINS8_10device_ptrIxEEEEPxxNS8_4plusIxEEEE10hipError_tPvRmT1_T2_T3_mT4_P12ihipStream_tbEUlT_E0_NS1_11comp_targetILNS1_3genE3ELNS1_11target_archE908ELNS1_3gpuE7ELNS1_3repE0EEENS1_30default_config_static_selectorELNS0_4arch9wavefront6targetE1EEEvSK_.has_recursion, 0
	.set _ZN7rocprim17ROCPRIM_400000_NS6detail17trampoline_kernelINS0_14default_configENS1_22reduce_config_selectorIxEEZNS1_11reduce_implILb1ES3_N6thrust23THRUST_200600_302600_NS6detail15normal_iteratorINS8_10device_ptrIxEEEEPxxNS8_4plusIxEEEE10hipError_tPvRmT1_T2_T3_mT4_P12ihipStream_tbEUlT_E0_NS1_11comp_targetILNS1_3genE3ELNS1_11target_archE908ELNS1_3gpuE7ELNS1_3repE0EEENS1_30default_config_static_selectorELNS0_4arch9wavefront6targetE1EEEvSK_.has_indirect_call, 0
	.section	.AMDGPU.csdata,"",@progbits
; Kernel info:
; codeLenInByte = 0
; TotalNumSgprs: 6
; NumVgprs: 0
; NumAgprs: 0
; TotalNumVgprs: 0
; ScratchSize: 0
; MemoryBound: 0
; FloatMode: 240
; IeeeMode: 1
; LDSByteSize: 0 bytes/workgroup (compile time only)
; SGPRBlocks: 0
; VGPRBlocks: 0
; NumSGPRsForWavesPerEU: 6
; NumVGPRsForWavesPerEU: 1
; AccumOffset: 4
; Occupancy: 8
; WaveLimiterHint : 0
; COMPUTE_PGM_RSRC2:SCRATCH_EN: 0
; COMPUTE_PGM_RSRC2:USER_SGPR: 2
; COMPUTE_PGM_RSRC2:TRAP_HANDLER: 0
; COMPUTE_PGM_RSRC2:TGID_X_EN: 1
; COMPUTE_PGM_RSRC2:TGID_Y_EN: 0
; COMPUTE_PGM_RSRC2:TGID_Z_EN: 0
; COMPUTE_PGM_RSRC2:TIDIG_COMP_CNT: 0
; COMPUTE_PGM_RSRC3_GFX90A:ACCUM_OFFSET: 0
; COMPUTE_PGM_RSRC3_GFX90A:TG_SPLIT: 0
	.section	.text._ZN7rocprim17ROCPRIM_400000_NS6detail17trampoline_kernelINS0_14default_configENS1_22reduce_config_selectorIxEEZNS1_11reduce_implILb1ES3_N6thrust23THRUST_200600_302600_NS6detail15normal_iteratorINS8_10device_ptrIxEEEEPxxNS8_4plusIxEEEE10hipError_tPvRmT1_T2_T3_mT4_P12ihipStream_tbEUlT_E0_NS1_11comp_targetILNS1_3genE2ELNS1_11target_archE906ELNS1_3gpuE6ELNS1_3repE0EEENS1_30default_config_static_selectorELNS0_4arch9wavefront6targetE1EEEvSK_,"axG",@progbits,_ZN7rocprim17ROCPRIM_400000_NS6detail17trampoline_kernelINS0_14default_configENS1_22reduce_config_selectorIxEEZNS1_11reduce_implILb1ES3_N6thrust23THRUST_200600_302600_NS6detail15normal_iteratorINS8_10device_ptrIxEEEEPxxNS8_4plusIxEEEE10hipError_tPvRmT1_T2_T3_mT4_P12ihipStream_tbEUlT_E0_NS1_11comp_targetILNS1_3genE2ELNS1_11target_archE906ELNS1_3gpuE6ELNS1_3repE0EEENS1_30default_config_static_selectorELNS0_4arch9wavefront6targetE1EEEvSK_,comdat
	.protected	_ZN7rocprim17ROCPRIM_400000_NS6detail17trampoline_kernelINS0_14default_configENS1_22reduce_config_selectorIxEEZNS1_11reduce_implILb1ES3_N6thrust23THRUST_200600_302600_NS6detail15normal_iteratorINS8_10device_ptrIxEEEEPxxNS8_4plusIxEEEE10hipError_tPvRmT1_T2_T3_mT4_P12ihipStream_tbEUlT_E0_NS1_11comp_targetILNS1_3genE2ELNS1_11target_archE906ELNS1_3gpuE6ELNS1_3repE0EEENS1_30default_config_static_selectorELNS0_4arch9wavefront6targetE1EEEvSK_ ; -- Begin function _ZN7rocprim17ROCPRIM_400000_NS6detail17trampoline_kernelINS0_14default_configENS1_22reduce_config_selectorIxEEZNS1_11reduce_implILb1ES3_N6thrust23THRUST_200600_302600_NS6detail15normal_iteratorINS8_10device_ptrIxEEEEPxxNS8_4plusIxEEEE10hipError_tPvRmT1_T2_T3_mT4_P12ihipStream_tbEUlT_E0_NS1_11comp_targetILNS1_3genE2ELNS1_11target_archE906ELNS1_3gpuE6ELNS1_3repE0EEENS1_30default_config_static_selectorELNS0_4arch9wavefront6targetE1EEEvSK_
	.globl	_ZN7rocprim17ROCPRIM_400000_NS6detail17trampoline_kernelINS0_14default_configENS1_22reduce_config_selectorIxEEZNS1_11reduce_implILb1ES3_N6thrust23THRUST_200600_302600_NS6detail15normal_iteratorINS8_10device_ptrIxEEEEPxxNS8_4plusIxEEEE10hipError_tPvRmT1_T2_T3_mT4_P12ihipStream_tbEUlT_E0_NS1_11comp_targetILNS1_3genE2ELNS1_11target_archE906ELNS1_3gpuE6ELNS1_3repE0EEENS1_30default_config_static_selectorELNS0_4arch9wavefront6targetE1EEEvSK_
	.p2align	8
	.type	_ZN7rocprim17ROCPRIM_400000_NS6detail17trampoline_kernelINS0_14default_configENS1_22reduce_config_selectorIxEEZNS1_11reduce_implILb1ES3_N6thrust23THRUST_200600_302600_NS6detail15normal_iteratorINS8_10device_ptrIxEEEEPxxNS8_4plusIxEEEE10hipError_tPvRmT1_T2_T3_mT4_P12ihipStream_tbEUlT_E0_NS1_11comp_targetILNS1_3genE2ELNS1_11target_archE906ELNS1_3gpuE6ELNS1_3repE0EEENS1_30default_config_static_selectorELNS0_4arch9wavefront6targetE1EEEvSK_,@function
_ZN7rocprim17ROCPRIM_400000_NS6detail17trampoline_kernelINS0_14default_configENS1_22reduce_config_selectorIxEEZNS1_11reduce_implILb1ES3_N6thrust23THRUST_200600_302600_NS6detail15normal_iteratorINS8_10device_ptrIxEEEEPxxNS8_4plusIxEEEE10hipError_tPvRmT1_T2_T3_mT4_P12ihipStream_tbEUlT_E0_NS1_11comp_targetILNS1_3genE2ELNS1_11target_archE906ELNS1_3gpuE6ELNS1_3repE0EEENS1_30default_config_static_selectorELNS0_4arch9wavefront6targetE1EEEvSK_: ; @_ZN7rocprim17ROCPRIM_400000_NS6detail17trampoline_kernelINS0_14default_configENS1_22reduce_config_selectorIxEEZNS1_11reduce_implILb1ES3_N6thrust23THRUST_200600_302600_NS6detail15normal_iteratorINS8_10device_ptrIxEEEEPxxNS8_4plusIxEEEE10hipError_tPvRmT1_T2_T3_mT4_P12ihipStream_tbEUlT_E0_NS1_11comp_targetILNS1_3genE2ELNS1_11target_archE906ELNS1_3gpuE6ELNS1_3repE0EEENS1_30default_config_static_selectorELNS0_4arch9wavefront6targetE1EEEvSK_
; %bb.0:
	.section	.rodata,"a",@progbits
	.p2align	6, 0x0
	.amdhsa_kernel _ZN7rocprim17ROCPRIM_400000_NS6detail17trampoline_kernelINS0_14default_configENS1_22reduce_config_selectorIxEEZNS1_11reduce_implILb1ES3_N6thrust23THRUST_200600_302600_NS6detail15normal_iteratorINS8_10device_ptrIxEEEEPxxNS8_4plusIxEEEE10hipError_tPvRmT1_T2_T3_mT4_P12ihipStream_tbEUlT_E0_NS1_11comp_targetILNS1_3genE2ELNS1_11target_archE906ELNS1_3gpuE6ELNS1_3repE0EEENS1_30default_config_static_selectorELNS0_4arch9wavefront6targetE1EEEvSK_
		.amdhsa_group_segment_fixed_size 0
		.amdhsa_private_segment_fixed_size 0
		.amdhsa_kernarg_size 64
		.amdhsa_user_sgpr_count 2
		.amdhsa_user_sgpr_dispatch_ptr 0
		.amdhsa_user_sgpr_queue_ptr 0
		.amdhsa_user_sgpr_kernarg_segment_ptr 1
		.amdhsa_user_sgpr_dispatch_id 0
		.amdhsa_user_sgpr_kernarg_preload_length 0
		.amdhsa_user_sgpr_kernarg_preload_offset 0
		.amdhsa_user_sgpr_private_segment_size 0
		.amdhsa_uses_dynamic_stack 0
		.amdhsa_enable_private_segment 0
		.amdhsa_system_sgpr_workgroup_id_x 1
		.amdhsa_system_sgpr_workgroup_id_y 0
		.amdhsa_system_sgpr_workgroup_id_z 0
		.amdhsa_system_sgpr_workgroup_info 0
		.amdhsa_system_vgpr_workitem_id 0
		.amdhsa_next_free_vgpr 1
		.amdhsa_next_free_sgpr 0
		.amdhsa_accum_offset 4
		.amdhsa_reserve_vcc 0
		.amdhsa_float_round_mode_32 0
		.amdhsa_float_round_mode_16_64 0
		.amdhsa_float_denorm_mode_32 3
		.amdhsa_float_denorm_mode_16_64 3
		.amdhsa_dx10_clamp 1
		.amdhsa_ieee_mode 1
		.amdhsa_fp16_overflow 0
		.amdhsa_tg_split 0
		.amdhsa_exception_fp_ieee_invalid_op 0
		.amdhsa_exception_fp_denorm_src 0
		.amdhsa_exception_fp_ieee_div_zero 0
		.amdhsa_exception_fp_ieee_overflow 0
		.amdhsa_exception_fp_ieee_underflow 0
		.amdhsa_exception_fp_ieee_inexact 0
		.amdhsa_exception_int_div_zero 0
	.end_amdhsa_kernel
	.section	.text._ZN7rocprim17ROCPRIM_400000_NS6detail17trampoline_kernelINS0_14default_configENS1_22reduce_config_selectorIxEEZNS1_11reduce_implILb1ES3_N6thrust23THRUST_200600_302600_NS6detail15normal_iteratorINS8_10device_ptrIxEEEEPxxNS8_4plusIxEEEE10hipError_tPvRmT1_T2_T3_mT4_P12ihipStream_tbEUlT_E0_NS1_11comp_targetILNS1_3genE2ELNS1_11target_archE906ELNS1_3gpuE6ELNS1_3repE0EEENS1_30default_config_static_selectorELNS0_4arch9wavefront6targetE1EEEvSK_,"axG",@progbits,_ZN7rocprim17ROCPRIM_400000_NS6detail17trampoline_kernelINS0_14default_configENS1_22reduce_config_selectorIxEEZNS1_11reduce_implILb1ES3_N6thrust23THRUST_200600_302600_NS6detail15normal_iteratorINS8_10device_ptrIxEEEEPxxNS8_4plusIxEEEE10hipError_tPvRmT1_T2_T3_mT4_P12ihipStream_tbEUlT_E0_NS1_11comp_targetILNS1_3genE2ELNS1_11target_archE906ELNS1_3gpuE6ELNS1_3repE0EEENS1_30default_config_static_selectorELNS0_4arch9wavefront6targetE1EEEvSK_,comdat
.Lfunc_end209:
	.size	_ZN7rocprim17ROCPRIM_400000_NS6detail17trampoline_kernelINS0_14default_configENS1_22reduce_config_selectorIxEEZNS1_11reduce_implILb1ES3_N6thrust23THRUST_200600_302600_NS6detail15normal_iteratorINS8_10device_ptrIxEEEEPxxNS8_4plusIxEEEE10hipError_tPvRmT1_T2_T3_mT4_P12ihipStream_tbEUlT_E0_NS1_11comp_targetILNS1_3genE2ELNS1_11target_archE906ELNS1_3gpuE6ELNS1_3repE0EEENS1_30default_config_static_selectorELNS0_4arch9wavefront6targetE1EEEvSK_, .Lfunc_end209-_ZN7rocprim17ROCPRIM_400000_NS6detail17trampoline_kernelINS0_14default_configENS1_22reduce_config_selectorIxEEZNS1_11reduce_implILb1ES3_N6thrust23THRUST_200600_302600_NS6detail15normal_iteratorINS8_10device_ptrIxEEEEPxxNS8_4plusIxEEEE10hipError_tPvRmT1_T2_T3_mT4_P12ihipStream_tbEUlT_E0_NS1_11comp_targetILNS1_3genE2ELNS1_11target_archE906ELNS1_3gpuE6ELNS1_3repE0EEENS1_30default_config_static_selectorELNS0_4arch9wavefront6targetE1EEEvSK_
                                        ; -- End function
	.set _ZN7rocprim17ROCPRIM_400000_NS6detail17trampoline_kernelINS0_14default_configENS1_22reduce_config_selectorIxEEZNS1_11reduce_implILb1ES3_N6thrust23THRUST_200600_302600_NS6detail15normal_iteratorINS8_10device_ptrIxEEEEPxxNS8_4plusIxEEEE10hipError_tPvRmT1_T2_T3_mT4_P12ihipStream_tbEUlT_E0_NS1_11comp_targetILNS1_3genE2ELNS1_11target_archE906ELNS1_3gpuE6ELNS1_3repE0EEENS1_30default_config_static_selectorELNS0_4arch9wavefront6targetE1EEEvSK_.num_vgpr, 0
	.set _ZN7rocprim17ROCPRIM_400000_NS6detail17trampoline_kernelINS0_14default_configENS1_22reduce_config_selectorIxEEZNS1_11reduce_implILb1ES3_N6thrust23THRUST_200600_302600_NS6detail15normal_iteratorINS8_10device_ptrIxEEEEPxxNS8_4plusIxEEEE10hipError_tPvRmT1_T2_T3_mT4_P12ihipStream_tbEUlT_E0_NS1_11comp_targetILNS1_3genE2ELNS1_11target_archE906ELNS1_3gpuE6ELNS1_3repE0EEENS1_30default_config_static_selectorELNS0_4arch9wavefront6targetE1EEEvSK_.num_agpr, 0
	.set _ZN7rocprim17ROCPRIM_400000_NS6detail17trampoline_kernelINS0_14default_configENS1_22reduce_config_selectorIxEEZNS1_11reduce_implILb1ES3_N6thrust23THRUST_200600_302600_NS6detail15normal_iteratorINS8_10device_ptrIxEEEEPxxNS8_4plusIxEEEE10hipError_tPvRmT1_T2_T3_mT4_P12ihipStream_tbEUlT_E0_NS1_11comp_targetILNS1_3genE2ELNS1_11target_archE906ELNS1_3gpuE6ELNS1_3repE0EEENS1_30default_config_static_selectorELNS0_4arch9wavefront6targetE1EEEvSK_.numbered_sgpr, 0
	.set _ZN7rocprim17ROCPRIM_400000_NS6detail17trampoline_kernelINS0_14default_configENS1_22reduce_config_selectorIxEEZNS1_11reduce_implILb1ES3_N6thrust23THRUST_200600_302600_NS6detail15normal_iteratorINS8_10device_ptrIxEEEEPxxNS8_4plusIxEEEE10hipError_tPvRmT1_T2_T3_mT4_P12ihipStream_tbEUlT_E0_NS1_11comp_targetILNS1_3genE2ELNS1_11target_archE906ELNS1_3gpuE6ELNS1_3repE0EEENS1_30default_config_static_selectorELNS0_4arch9wavefront6targetE1EEEvSK_.num_named_barrier, 0
	.set _ZN7rocprim17ROCPRIM_400000_NS6detail17trampoline_kernelINS0_14default_configENS1_22reduce_config_selectorIxEEZNS1_11reduce_implILb1ES3_N6thrust23THRUST_200600_302600_NS6detail15normal_iteratorINS8_10device_ptrIxEEEEPxxNS8_4plusIxEEEE10hipError_tPvRmT1_T2_T3_mT4_P12ihipStream_tbEUlT_E0_NS1_11comp_targetILNS1_3genE2ELNS1_11target_archE906ELNS1_3gpuE6ELNS1_3repE0EEENS1_30default_config_static_selectorELNS0_4arch9wavefront6targetE1EEEvSK_.private_seg_size, 0
	.set _ZN7rocprim17ROCPRIM_400000_NS6detail17trampoline_kernelINS0_14default_configENS1_22reduce_config_selectorIxEEZNS1_11reduce_implILb1ES3_N6thrust23THRUST_200600_302600_NS6detail15normal_iteratorINS8_10device_ptrIxEEEEPxxNS8_4plusIxEEEE10hipError_tPvRmT1_T2_T3_mT4_P12ihipStream_tbEUlT_E0_NS1_11comp_targetILNS1_3genE2ELNS1_11target_archE906ELNS1_3gpuE6ELNS1_3repE0EEENS1_30default_config_static_selectorELNS0_4arch9wavefront6targetE1EEEvSK_.uses_vcc, 0
	.set _ZN7rocprim17ROCPRIM_400000_NS6detail17trampoline_kernelINS0_14default_configENS1_22reduce_config_selectorIxEEZNS1_11reduce_implILb1ES3_N6thrust23THRUST_200600_302600_NS6detail15normal_iteratorINS8_10device_ptrIxEEEEPxxNS8_4plusIxEEEE10hipError_tPvRmT1_T2_T3_mT4_P12ihipStream_tbEUlT_E0_NS1_11comp_targetILNS1_3genE2ELNS1_11target_archE906ELNS1_3gpuE6ELNS1_3repE0EEENS1_30default_config_static_selectorELNS0_4arch9wavefront6targetE1EEEvSK_.uses_flat_scratch, 0
	.set _ZN7rocprim17ROCPRIM_400000_NS6detail17trampoline_kernelINS0_14default_configENS1_22reduce_config_selectorIxEEZNS1_11reduce_implILb1ES3_N6thrust23THRUST_200600_302600_NS6detail15normal_iteratorINS8_10device_ptrIxEEEEPxxNS8_4plusIxEEEE10hipError_tPvRmT1_T2_T3_mT4_P12ihipStream_tbEUlT_E0_NS1_11comp_targetILNS1_3genE2ELNS1_11target_archE906ELNS1_3gpuE6ELNS1_3repE0EEENS1_30default_config_static_selectorELNS0_4arch9wavefront6targetE1EEEvSK_.has_dyn_sized_stack, 0
	.set _ZN7rocprim17ROCPRIM_400000_NS6detail17trampoline_kernelINS0_14default_configENS1_22reduce_config_selectorIxEEZNS1_11reduce_implILb1ES3_N6thrust23THRUST_200600_302600_NS6detail15normal_iteratorINS8_10device_ptrIxEEEEPxxNS8_4plusIxEEEE10hipError_tPvRmT1_T2_T3_mT4_P12ihipStream_tbEUlT_E0_NS1_11comp_targetILNS1_3genE2ELNS1_11target_archE906ELNS1_3gpuE6ELNS1_3repE0EEENS1_30default_config_static_selectorELNS0_4arch9wavefront6targetE1EEEvSK_.has_recursion, 0
	.set _ZN7rocprim17ROCPRIM_400000_NS6detail17trampoline_kernelINS0_14default_configENS1_22reduce_config_selectorIxEEZNS1_11reduce_implILb1ES3_N6thrust23THRUST_200600_302600_NS6detail15normal_iteratorINS8_10device_ptrIxEEEEPxxNS8_4plusIxEEEE10hipError_tPvRmT1_T2_T3_mT4_P12ihipStream_tbEUlT_E0_NS1_11comp_targetILNS1_3genE2ELNS1_11target_archE906ELNS1_3gpuE6ELNS1_3repE0EEENS1_30default_config_static_selectorELNS0_4arch9wavefront6targetE1EEEvSK_.has_indirect_call, 0
	.section	.AMDGPU.csdata,"",@progbits
; Kernel info:
; codeLenInByte = 0
; TotalNumSgprs: 6
; NumVgprs: 0
; NumAgprs: 0
; TotalNumVgprs: 0
; ScratchSize: 0
; MemoryBound: 0
; FloatMode: 240
; IeeeMode: 1
; LDSByteSize: 0 bytes/workgroup (compile time only)
; SGPRBlocks: 0
; VGPRBlocks: 0
; NumSGPRsForWavesPerEU: 6
; NumVGPRsForWavesPerEU: 1
; AccumOffset: 4
; Occupancy: 8
; WaveLimiterHint : 0
; COMPUTE_PGM_RSRC2:SCRATCH_EN: 0
; COMPUTE_PGM_RSRC2:USER_SGPR: 2
; COMPUTE_PGM_RSRC2:TRAP_HANDLER: 0
; COMPUTE_PGM_RSRC2:TGID_X_EN: 1
; COMPUTE_PGM_RSRC2:TGID_Y_EN: 0
; COMPUTE_PGM_RSRC2:TGID_Z_EN: 0
; COMPUTE_PGM_RSRC2:TIDIG_COMP_CNT: 0
; COMPUTE_PGM_RSRC3_GFX90A:ACCUM_OFFSET: 0
; COMPUTE_PGM_RSRC3_GFX90A:TG_SPLIT: 0
	.section	.text._ZN7rocprim17ROCPRIM_400000_NS6detail17trampoline_kernelINS0_14default_configENS1_22reduce_config_selectorIxEEZNS1_11reduce_implILb1ES3_N6thrust23THRUST_200600_302600_NS6detail15normal_iteratorINS8_10device_ptrIxEEEEPxxNS8_4plusIxEEEE10hipError_tPvRmT1_T2_T3_mT4_P12ihipStream_tbEUlT_E0_NS1_11comp_targetILNS1_3genE10ELNS1_11target_archE1201ELNS1_3gpuE5ELNS1_3repE0EEENS1_30default_config_static_selectorELNS0_4arch9wavefront6targetE1EEEvSK_,"axG",@progbits,_ZN7rocprim17ROCPRIM_400000_NS6detail17trampoline_kernelINS0_14default_configENS1_22reduce_config_selectorIxEEZNS1_11reduce_implILb1ES3_N6thrust23THRUST_200600_302600_NS6detail15normal_iteratorINS8_10device_ptrIxEEEEPxxNS8_4plusIxEEEE10hipError_tPvRmT1_T2_T3_mT4_P12ihipStream_tbEUlT_E0_NS1_11comp_targetILNS1_3genE10ELNS1_11target_archE1201ELNS1_3gpuE5ELNS1_3repE0EEENS1_30default_config_static_selectorELNS0_4arch9wavefront6targetE1EEEvSK_,comdat
	.protected	_ZN7rocprim17ROCPRIM_400000_NS6detail17trampoline_kernelINS0_14default_configENS1_22reduce_config_selectorIxEEZNS1_11reduce_implILb1ES3_N6thrust23THRUST_200600_302600_NS6detail15normal_iteratorINS8_10device_ptrIxEEEEPxxNS8_4plusIxEEEE10hipError_tPvRmT1_T2_T3_mT4_P12ihipStream_tbEUlT_E0_NS1_11comp_targetILNS1_3genE10ELNS1_11target_archE1201ELNS1_3gpuE5ELNS1_3repE0EEENS1_30default_config_static_selectorELNS0_4arch9wavefront6targetE1EEEvSK_ ; -- Begin function _ZN7rocprim17ROCPRIM_400000_NS6detail17trampoline_kernelINS0_14default_configENS1_22reduce_config_selectorIxEEZNS1_11reduce_implILb1ES3_N6thrust23THRUST_200600_302600_NS6detail15normal_iteratorINS8_10device_ptrIxEEEEPxxNS8_4plusIxEEEE10hipError_tPvRmT1_T2_T3_mT4_P12ihipStream_tbEUlT_E0_NS1_11comp_targetILNS1_3genE10ELNS1_11target_archE1201ELNS1_3gpuE5ELNS1_3repE0EEENS1_30default_config_static_selectorELNS0_4arch9wavefront6targetE1EEEvSK_
	.globl	_ZN7rocprim17ROCPRIM_400000_NS6detail17trampoline_kernelINS0_14default_configENS1_22reduce_config_selectorIxEEZNS1_11reduce_implILb1ES3_N6thrust23THRUST_200600_302600_NS6detail15normal_iteratorINS8_10device_ptrIxEEEEPxxNS8_4plusIxEEEE10hipError_tPvRmT1_T2_T3_mT4_P12ihipStream_tbEUlT_E0_NS1_11comp_targetILNS1_3genE10ELNS1_11target_archE1201ELNS1_3gpuE5ELNS1_3repE0EEENS1_30default_config_static_selectorELNS0_4arch9wavefront6targetE1EEEvSK_
	.p2align	8
	.type	_ZN7rocprim17ROCPRIM_400000_NS6detail17trampoline_kernelINS0_14default_configENS1_22reduce_config_selectorIxEEZNS1_11reduce_implILb1ES3_N6thrust23THRUST_200600_302600_NS6detail15normal_iteratorINS8_10device_ptrIxEEEEPxxNS8_4plusIxEEEE10hipError_tPvRmT1_T2_T3_mT4_P12ihipStream_tbEUlT_E0_NS1_11comp_targetILNS1_3genE10ELNS1_11target_archE1201ELNS1_3gpuE5ELNS1_3repE0EEENS1_30default_config_static_selectorELNS0_4arch9wavefront6targetE1EEEvSK_,@function
_ZN7rocprim17ROCPRIM_400000_NS6detail17trampoline_kernelINS0_14default_configENS1_22reduce_config_selectorIxEEZNS1_11reduce_implILb1ES3_N6thrust23THRUST_200600_302600_NS6detail15normal_iteratorINS8_10device_ptrIxEEEEPxxNS8_4plusIxEEEE10hipError_tPvRmT1_T2_T3_mT4_P12ihipStream_tbEUlT_E0_NS1_11comp_targetILNS1_3genE10ELNS1_11target_archE1201ELNS1_3gpuE5ELNS1_3repE0EEENS1_30default_config_static_selectorELNS0_4arch9wavefront6targetE1EEEvSK_: ; @_ZN7rocprim17ROCPRIM_400000_NS6detail17trampoline_kernelINS0_14default_configENS1_22reduce_config_selectorIxEEZNS1_11reduce_implILb1ES3_N6thrust23THRUST_200600_302600_NS6detail15normal_iteratorINS8_10device_ptrIxEEEEPxxNS8_4plusIxEEEE10hipError_tPvRmT1_T2_T3_mT4_P12ihipStream_tbEUlT_E0_NS1_11comp_targetILNS1_3genE10ELNS1_11target_archE1201ELNS1_3gpuE5ELNS1_3repE0EEENS1_30default_config_static_selectorELNS0_4arch9wavefront6targetE1EEEvSK_
; %bb.0:
	.section	.rodata,"a",@progbits
	.p2align	6, 0x0
	.amdhsa_kernel _ZN7rocprim17ROCPRIM_400000_NS6detail17trampoline_kernelINS0_14default_configENS1_22reduce_config_selectorIxEEZNS1_11reduce_implILb1ES3_N6thrust23THRUST_200600_302600_NS6detail15normal_iteratorINS8_10device_ptrIxEEEEPxxNS8_4plusIxEEEE10hipError_tPvRmT1_T2_T3_mT4_P12ihipStream_tbEUlT_E0_NS1_11comp_targetILNS1_3genE10ELNS1_11target_archE1201ELNS1_3gpuE5ELNS1_3repE0EEENS1_30default_config_static_selectorELNS0_4arch9wavefront6targetE1EEEvSK_
		.amdhsa_group_segment_fixed_size 0
		.amdhsa_private_segment_fixed_size 0
		.amdhsa_kernarg_size 64
		.amdhsa_user_sgpr_count 2
		.amdhsa_user_sgpr_dispatch_ptr 0
		.amdhsa_user_sgpr_queue_ptr 0
		.amdhsa_user_sgpr_kernarg_segment_ptr 1
		.amdhsa_user_sgpr_dispatch_id 0
		.amdhsa_user_sgpr_kernarg_preload_length 0
		.amdhsa_user_sgpr_kernarg_preload_offset 0
		.amdhsa_user_sgpr_private_segment_size 0
		.amdhsa_uses_dynamic_stack 0
		.amdhsa_enable_private_segment 0
		.amdhsa_system_sgpr_workgroup_id_x 1
		.amdhsa_system_sgpr_workgroup_id_y 0
		.amdhsa_system_sgpr_workgroup_id_z 0
		.amdhsa_system_sgpr_workgroup_info 0
		.amdhsa_system_vgpr_workitem_id 0
		.amdhsa_next_free_vgpr 1
		.amdhsa_next_free_sgpr 0
		.amdhsa_accum_offset 4
		.amdhsa_reserve_vcc 0
		.amdhsa_float_round_mode_32 0
		.amdhsa_float_round_mode_16_64 0
		.amdhsa_float_denorm_mode_32 3
		.amdhsa_float_denorm_mode_16_64 3
		.amdhsa_dx10_clamp 1
		.amdhsa_ieee_mode 1
		.amdhsa_fp16_overflow 0
		.amdhsa_tg_split 0
		.amdhsa_exception_fp_ieee_invalid_op 0
		.amdhsa_exception_fp_denorm_src 0
		.amdhsa_exception_fp_ieee_div_zero 0
		.amdhsa_exception_fp_ieee_overflow 0
		.amdhsa_exception_fp_ieee_underflow 0
		.amdhsa_exception_fp_ieee_inexact 0
		.amdhsa_exception_int_div_zero 0
	.end_amdhsa_kernel
	.section	.text._ZN7rocprim17ROCPRIM_400000_NS6detail17trampoline_kernelINS0_14default_configENS1_22reduce_config_selectorIxEEZNS1_11reduce_implILb1ES3_N6thrust23THRUST_200600_302600_NS6detail15normal_iteratorINS8_10device_ptrIxEEEEPxxNS8_4plusIxEEEE10hipError_tPvRmT1_T2_T3_mT4_P12ihipStream_tbEUlT_E0_NS1_11comp_targetILNS1_3genE10ELNS1_11target_archE1201ELNS1_3gpuE5ELNS1_3repE0EEENS1_30default_config_static_selectorELNS0_4arch9wavefront6targetE1EEEvSK_,"axG",@progbits,_ZN7rocprim17ROCPRIM_400000_NS6detail17trampoline_kernelINS0_14default_configENS1_22reduce_config_selectorIxEEZNS1_11reduce_implILb1ES3_N6thrust23THRUST_200600_302600_NS6detail15normal_iteratorINS8_10device_ptrIxEEEEPxxNS8_4plusIxEEEE10hipError_tPvRmT1_T2_T3_mT4_P12ihipStream_tbEUlT_E0_NS1_11comp_targetILNS1_3genE10ELNS1_11target_archE1201ELNS1_3gpuE5ELNS1_3repE0EEENS1_30default_config_static_selectorELNS0_4arch9wavefront6targetE1EEEvSK_,comdat
.Lfunc_end210:
	.size	_ZN7rocprim17ROCPRIM_400000_NS6detail17trampoline_kernelINS0_14default_configENS1_22reduce_config_selectorIxEEZNS1_11reduce_implILb1ES3_N6thrust23THRUST_200600_302600_NS6detail15normal_iteratorINS8_10device_ptrIxEEEEPxxNS8_4plusIxEEEE10hipError_tPvRmT1_T2_T3_mT4_P12ihipStream_tbEUlT_E0_NS1_11comp_targetILNS1_3genE10ELNS1_11target_archE1201ELNS1_3gpuE5ELNS1_3repE0EEENS1_30default_config_static_selectorELNS0_4arch9wavefront6targetE1EEEvSK_, .Lfunc_end210-_ZN7rocprim17ROCPRIM_400000_NS6detail17trampoline_kernelINS0_14default_configENS1_22reduce_config_selectorIxEEZNS1_11reduce_implILb1ES3_N6thrust23THRUST_200600_302600_NS6detail15normal_iteratorINS8_10device_ptrIxEEEEPxxNS8_4plusIxEEEE10hipError_tPvRmT1_T2_T3_mT4_P12ihipStream_tbEUlT_E0_NS1_11comp_targetILNS1_3genE10ELNS1_11target_archE1201ELNS1_3gpuE5ELNS1_3repE0EEENS1_30default_config_static_selectorELNS0_4arch9wavefront6targetE1EEEvSK_
                                        ; -- End function
	.set _ZN7rocprim17ROCPRIM_400000_NS6detail17trampoline_kernelINS0_14default_configENS1_22reduce_config_selectorIxEEZNS1_11reduce_implILb1ES3_N6thrust23THRUST_200600_302600_NS6detail15normal_iteratorINS8_10device_ptrIxEEEEPxxNS8_4plusIxEEEE10hipError_tPvRmT1_T2_T3_mT4_P12ihipStream_tbEUlT_E0_NS1_11comp_targetILNS1_3genE10ELNS1_11target_archE1201ELNS1_3gpuE5ELNS1_3repE0EEENS1_30default_config_static_selectorELNS0_4arch9wavefront6targetE1EEEvSK_.num_vgpr, 0
	.set _ZN7rocprim17ROCPRIM_400000_NS6detail17trampoline_kernelINS0_14default_configENS1_22reduce_config_selectorIxEEZNS1_11reduce_implILb1ES3_N6thrust23THRUST_200600_302600_NS6detail15normal_iteratorINS8_10device_ptrIxEEEEPxxNS8_4plusIxEEEE10hipError_tPvRmT1_T2_T3_mT4_P12ihipStream_tbEUlT_E0_NS1_11comp_targetILNS1_3genE10ELNS1_11target_archE1201ELNS1_3gpuE5ELNS1_3repE0EEENS1_30default_config_static_selectorELNS0_4arch9wavefront6targetE1EEEvSK_.num_agpr, 0
	.set _ZN7rocprim17ROCPRIM_400000_NS6detail17trampoline_kernelINS0_14default_configENS1_22reduce_config_selectorIxEEZNS1_11reduce_implILb1ES3_N6thrust23THRUST_200600_302600_NS6detail15normal_iteratorINS8_10device_ptrIxEEEEPxxNS8_4plusIxEEEE10hipError_tPvRmT1_T2_T3_mT4_P12ihipStream_tbEUlT_E0_NS1_11comp_targetILNS1_3genE10ELNS1_11target_archE1201ELNS1_3gpuE5ELNS1_3repE0EEENS1_30default_config_static_selectorELNS0_4arch9wavefront6targetE1EEEvSK_.numbered_sgpr, 0
	.set _ZN7rocprim17ROCPRIM_400000_NS6detail17trampoline_kernelINS0_14default_configENS1_22reduce_config_selectorIxEEZNS1_11reduce_implILb1ES3_N6thrust23THRUST_200600_302600_NS6detail15normal_iteratorINS8_10device_ptrIxEEEEPxxNS8_4plusIxEEEE10hipError_tPvRmT1_T2_T3_mT4_P12ihipStream_tbEUlT_E0_NS1_11comp_targetILNS1_3genE10ELNS1_11target_archE1201ELNS1_3gpuE5ELNS1_3repE0EEENS1_30default_config_static_selectorELNS0_4arch9wavefront6targetE1EEEvSK_.num_named_barrier, 0
	.set _ZN7rocprim17ROCPRIM_400000_NS6detail17trampoline_kernelINS0_14default_configENS1_22reduce_config_selectorIxEEZNS1_11reduce_implILb1ES3_N6thrust23THRUST_200600_302600_NS6detail15normal_iteratorINS8_10device_ptrIxEEEEPxxNS8_4plusIxEEEE10hipError_tPvRmT1_T2_T3_mT4_P12ihipStream_tbEUlT_E0_NS1_11comp_targetILNS1_3genE10ELNS1_11target_archE1201ELNS1_3gpuE5ELNS1_3repE0EEENS1_30default_config_static_selectorELNS0_4arch9wavefront6targetE1EEEvSK_.private_seg_size, 0
	.set _ZN7rocprim17ROCPRIM_400000_NS6detail17trampoline_kernelINS0_14default_configENS1_22reduce_config_selectorIxEEZNS1_11reduce_implILb1ES3_N6thrust23THRUST_200600_302600_NS6detail15normal_iteratorINS8_10device_ptrIxEEEEPxxNS8_4plusIxEEEE10hipError_tPvRmT1_T2_T3_mT4_P12ihipStream_tbEUlT_E0_NS1_11comp_targetILNS1_3genE10ELNS1_11target_archE1201ELNS1_3gpuE5ELNS1_3repE0EEENS1_30default_config_static_selectorELNS0_4arch9wavefront6targetE1EEEvSK_.uses_vcc, 0
	.set _ZN7rocprim17ROCPRIM_400000_NS6detail17trampoline_kernelINS0_14default_configENS1_22reduce_config_selectorIxEEZNS1_11reduce_implILb1ES3_N6thrust23THRUST_200600_302600_NS6detail15normal_iteratorINS8_10device_ptrIxEEEEPxxNS8_4plusIxEEEE10hipError_tPvRmT1_T2_T3_mT4_P12ihipStream_tbEUlT_E0_NS1_11comp_targetILNS1_3genE10ELNS1_11target_archE1201ELNS1_3gpuE5ELNS1_3repE0EEENS1_30default_config_static_selectorELNS0_4arch9wavefront6targetE1EEEvSK_.uses_flat_scratch, 0
	.set _ZN7rocprim17ROCPRIM_400000_NS6detail17trampoline_kernelINS0_14default_configENS1_22reduce_config_selectorIxEEZNS1_11reduce_implILb1ES3_N6thrust23THRUST_200600_302600_NS6detail15normal_iteratorINS8_10device_ptrIxEEEEPxxNS8_4plusIxEEEE10hipError_tPvRmT1_T2_T3_mT4_P12ihipStream_tbEUlT_E0_NS1_11comp_targetILNS1_3genE10ELNS1_11target_archE1201ELNS1_3gpuE5ELNS1_3repE0EEENS1_30default_config_static_selectorELNS0_4arch9wavefront6targetE1EEEvSK_.has_dyn_sized_stack, 0
	.set _ZN7rocprim17ROCPRIM_400000_NS6detail17trampoline_kernelINS0_14default_configENS1_22reduce_config_selectorIxEEZNS1_11reduce_implILb1ES3_N6thrust23THRUST_200600_302600_NS6detail15normal_iteratorINS8_10device_ptrIxEEEEPxxNS8_4plusIxEEEE10hipError_tPvRmT1_T2_T3_mT4_P12ihipStream_tbEUlT_E0_NS1_11comp_targetILNS1_3genE10ELNS1_11target_archE1201ELNS1_3gpuE5ELNS1_3repE0EEENS1_30default_config_static_selectorELNS0_4arch9wavefront6targetE1EEEvSK_.has_recursion, 0
	.set _ZN7rocprim17ROCPRIM_400000_NS6detail17trampoline_kernelINS0_14default_configENS1_22reduce_config_selectorIxEEZNS1_11reduce_implILb1ES3_N6thrust23THRUST_200600_302600_NS6detail15normal_iteratorINS8_10device_ptrIxEEEEPxxNS8_4plusIxEEEE10hipError_tPvRmT1_T2_T3_mT4_P12ihipStream_tbEUlT_E0_NS1_11comp_targetILNS1_3genE10ELNS1_11target_archE1201ELNS1_3gpuE5ELNS1_3repE0EEENS1_30default_config_static_selectorELNS0_4arch9wavefront6targetE1EEEvSK_.has_indirect_call, 0
	.section	.AMDGPU.csdata,"",@progbits
; Kernel info:
; codeLenInByte = 0
; TotalNumSgprs: 6
; NumVgprs: 0
; NumAgprs: 0
; TotalNumVgprs: 0
; ScratchSize: 0
; MemoryBound: 0
; FloatMode: 240
; IeeeMode: 1
; LDSByteSize: 0 bytes/workgroup (compile time only)
; SGPRBlocks: 0
; VGPRBlocks: 0
; NumSGPRsForWavesPerEU: 6
; NumVGPRsForWavesPerEU: 1
; AccumOffset: 4
; Occupancy: 8
; WaveLimiterHint : 0
; COMPUTE_PGM_RSRC2:SCRATCH_EN: 0
; COMPUTE_PGM_RSRC2:USER_SGPR: 2
; COMPUTE_PGM_RSRC2:TRAP_HANDLER: 0
; COMPUTE_PGM_RSRC2:TGID_X_EN: 1
; COMPUTE_PGM_RSRC2:TGID_Y_EN: 0
; COMPUTE_PGM_RSRC2:TGID_Z_EN: 0
; COMPUTE_PGM_RSRC2:TIDIG_COMP_CNT: 0
; COMPUTE_PGM_RSRC3_GFX90A:ACCUM_OFFSET: 0
; COMPUTE_PGM_RSRC3_GFX90A:TG_SPLIT: 0
	.section	.text._ZN7rocprim17ROCPRIM_400000_NS6detail17trampoline_kernelINS0_14default_configENS1_22reduce_config_selectorIxEEZNS1_11reduce_implILb1ES3_N6thrust23THRUST_200600_302600_NS6detail15normal_iteratorINS8_10device_ptrIxEEEEPxxNS8_4plusIxEEEE10hipError_tPvRmT1_T2_T3_mT4_P12ihipStream_tbEUlT_E0_NS1_11comp_targetILNS1_3genE10ELNS1_11target_archE1200ELNS1_3gpuE4ELNS1_3repE0EEENS1_30default_config_static_selectorELNS0_4arch9wavefront6targetE1EEEvSK_,"axG",@progbits,_ZN7rocprim17ROCPRIM_400000_NS6detail17trampoline_kernelINS0_14default_configENS1_22reduce_config_selectorIxEEZNS1_11reduce_implILb1ES3_N6thrust23THRUST_200600_302600_NS6detail15normal_iteratorINS8_10device_ptrIxEEEEPxxNS8_4plusIxEEEE10hipError_tPvRmT1_T2_T3_mT4_P12ihipStream_tbEUlT_E0_NS1_11comp_targetILNS1_3genE10ELNS1_11target_archE1200ELNS1_3gpuE4ELNS1_3repE0EEENS1_30default_config_static_selectorELNS0_4arch9wavefront6targetE1EEEvSK_,comdat
	.protected	_ZN7rocprim17ROCPRIM_400000_NS6detail17trampoline_kernelINS0_14default_configENS1_22reduce_config_selectorIxEEZNS1_11reduce_implILb1ES3_N6thrust23THRUST_200600_302600_NS6detail15normal_iteratorINS8_10device_ptrIxEEEEPxxNS8_4plusIxEEEE10hipError_tPvRmT1_T2_T3_mT4_P12ihipStream_tbEUlT_E0_NS1_11comp_targetILNS1_3genE10ELNS1_11target_archE1200ELNS1_3gpuE4ELNS1_3repE0EEENS1_30default_config_static_selectorELNS0_4arch9wavefront6targetE1EEEvSK_ ; -- Begin function _ZN7rocprim17ROCPRIM_400000_NS6detail17trampoline_kernelINS0_14default_configENS1_22reduce_config_selectorIxEEZNS1_11reduce_implILb1ES3_N6thrust23THRUST_200600_302600_NS6detail15normal_iteratorINS8_10device_ptrIxEEEEPxxNS8_4plusIxEEEE10hipError_tPvRmT1_T2_T3_mT4_P12ihipStream_tbEUlT_E0_NS1_11comp_targetILNS1_3genE10ELNS1_11target_archE1200ELNS1_3gpuE4ELNS1_3repE0EEENS1_30default_config_static_selectorELNS0_4arch9wavefront6targetE1EEEvSK_
	.globl	_ZN7rocprim17ROCPRIM_400000_NS6detail17trampoline_kernelINS0_14default_configENS1_22reduce_config_selectorIxEEZNS1_11reduce_implILb1ES3_N6thrust23THRUST_200600_302600_NS6detail15normal_iteratorINS8_10device_ptrIxEEEEPxxNS8_4plusIxEEEE10hipError_tPvRmT1_T2_T3_mT4_P12ihipStream_tbEUlT_E0_NS1_11comp_targetILNS1_3genE10ELNS1_11target_archE1200ELNS1_3gpuE4ELNS1_3repE0EEENS1_30default_config_static_selectorELNS0_4arch9wavefront6targetE1EEEvSK_
	.p2align	8
	.type	_ZN7rocprim17ROCPRIM_400000_NS6detail17trampoline_kernelINS0_14default_configENS1_22reduce_config_selectorIxEEZNS1_11reduce_implILb1ES3_N6thrust23THRUST_200600_302600_NS6detail15normal_iteratorINS8_10device_ptrIxEEEEPxxNS8_4plusIxEEEE10hipError_tPvRmT1_T2_T3_mT4_P12ihipStream_tbEUlT_E0_NS1_11comp_targetILNS1_3genE10ELNS1_11target_archE1200ELNS1_3gpuE4ELNS1_3repE0EEENS1_30default_config_static_selectorELNS0_4arch9wavefront6targetE1EEEvSK_,@function
_ZN7rocprim17ROCPRIM_400000_NS6detail17trampoline_kernelINS0_14default_configENS1_22reduce_config_selectorIxEEZNS1_11reduce_implILb1ES3_N6thrust23THRUST_200600_302600_NS6detail15normal_iteratorINS8_10device_ptrIxEEEEPxxNS8_4plusIxEEEE10hipError_tPvRmT1_T2_T3_mT4_P12ihipStream_tbEUlT_E0_NS1_11comp_targetILNS1_3genE10ELNS1_11target_archE1200ELNS1_3gpuE4ELNS1_3repE0EEENS1_30default_config_static_selectorELNS0_4arch9wavefront6targetE1EEEvSK_: ; @_ZN7rocprim17ROCPRIM_400000_NS6detail17trampoline_kernelINS0_14default_configENS1_22reduce_config_selectorIxEEZNS1_11reduce_implILb1ES3_N6thrust23THRUST_200600_302600_NS6detail15normal_iteratorINS8_10device_ptrIxEEEEPxxNS8_4plusIxEEEE10hipError_tPvRmT1_T2_T3_mT4_P12ihipStream_tbEUlT_E0_NS1_11comp_targetILNS1_3genE10ELNS1_11target_archE1200ELNS1_3gpuE4ELNS1_3repE0EEENS1_30default_config_static_selectorELNS0_4arch9wavefront6targetE1EEEvSK_
; %bb.0:
	.section	.rodata,"a",@progbits
	.p2align	6, 0x0
	.amdhsa_kernel _ZN7rocprim17ROCPRIM_400000_NS6detail17trampoline_kernelINS0_14default_configENS1_22reduce_config_selectorIxEEZNS1_11reduce_implILb1ES3_N6thrust23THRUST_200600_302600_NS6detail15normal_iteratorINS8_10device_ptrIxEEEEPxxNS8_4plusIxEEEE10hipError_tPvRmT1_T2_T3_mT4_P12ihipStream_tbEUlT_E0_NS1_11comp_targetILNS1_3genE10ELNS1_11target_archE1200ELNS1_3gpuE4ELNS1_3repE0EEENS1_30default_config_static_selectorELNS0_4arch9wavefront6targetE1EEEvSK_
		.amdhsa_group_segment_fixed_size 0
		.amdhsa_private_segment_fixed_size 0
		.amdhsa_kernarg_size 64
		.amdhsa_user_sgpr_count 2
		.amdhsa_user_sgpr_dispatch_ptr 0
		.amdhsa_user_sgpr_queue_ptr 0
		.amdhsa_user_sgpr_kernarg_segment_ptr 1
		.amdhsa_user_sgpr_dispatch_id 0
		.amdhsa_user_sgpr_kernarg_preload_length 0
		.amdhsa_user_sgpr_kernarg_preload_offset 0
		.amdhsa_user_sgpr_private_segment_size 0
		.amdhsa_uses_dynamic_stack 0
		.amdhsa_enable_private_segment 0
		.amdhsa_system_sgpr_workgroup_id_x 1
		.amdhsa_system_sgpr_workgroup_id_y 0
		.amdhsa_system_sgpr_workgroup_id_z 0
		.amdhsa_system_sgpr_workgroup_info 0
		.amdhsa_system_vgpr_workitem_id 0
		.amdhsa_next_free_vgpr 1
		.amdhsa_next_free_sgpr 0
		.amdhsa_accum_offset 4
		.amdhsa_reserve_vcc 0
		.amdhsa_float_round_mode_32 0
		.amdhsa_float_round_mode_16_64 0
		.amdhsa_float_denorm_mode_32 3
		.amdhsa_float_denorm_mode_16_64 3
		.amdhsa_dx10_clamp 1
		.amdhsa_ieee_mode 1
		.amdhsa_fp16_overflow 0
		.amdhsa_tg_split 0
		.amdhsa_exception_fp_ieee_invalid_op 0
		.amdhsa_exception_fp_denorm_src 0
		.amdhsa_exception_fp_ieee_div_zero 0
		.amdhsa_exception_fp_ieee_overflow 0
		.amdhsa_exception_fp_ieee_underflow 0
		.amdhsa_exception_fp_ieee_inexact 0
		.amdhsa_exception_int_div_zero 0
	.end_amdhsa_kernel
	.section	.text._ZN7rocprim17ROCPRIM_400000_NS6detail17trampoline_kernelINS0_14default_configENS1_22reduce_config_selectorIxEEZNS1_11reduce_implILb1ES3_N6thrust23THRUST_200600_302600_NS6detail15normal_iteratorINS8_10device_ptrIxEEEEPxxNS8_4plusIxEEEE10hipError_tPvRmT1_T2_T3_mT4_P12ihipStream_tbEUlT_E0_NS1_11comp_targetILNS1_3genE10ELNS1_11target_archE1200ELNS1_3gpuE4ELNS1_3repE0EEENS1_30default_config_static_selectorELNS0_4arch9wavefront6targetE1EEEvSK_,"axG",@progbits,_ZN7rocprim17ROCPRIM_400000_NS6detail17trampoline_kernelINS0_14default_configENS1_22reduce_config_selectorIxEEZNS1_11reduce_implILb1ES3_N6thrust23THRUST_200600_302600_NS6detail15normal_iteratorINS8_10device_ptrIxEEEEPxxNS8_4plusIxEEEE10hipError_tPvRmT1_T2_T3_mT4_P12ihipStream_tbEUlT_E0_NS1_11comp_targetILNS1_3genE10ELNS1_11target_archE1200ELNS1_3gpuE4ELNS1_3repE0EEENS1_30default_config_static_selectorELNS0_4arch9wavefront6targetE1EEEvSK_,comdat
.Lfunc_end211:
	.size	_ZN7rocprim17ROCPRIM_400000_NS6detail17trampoline_kernelINS0_14default_configENS1_22reduce_config_selectorIxEEZNS1_11reduce_implILb1ES3_N6thrust23THRUST_200600_302600_NS6detail15normal_iteratorINS8_10device_ptrIxEEEEPxxNS8_4plusIxEEEE10hipError_tPvRmT1_T2_T3_mT4_P12ihipStream_tbEUlT_E0_NS1_11comp_targetILNS1_3genE10ELNS1_11target_archE1200ELNS1_3gpuE4ELNS1_3repE0EEENS1_30default_config_static_selectorELNS0_4arch9wavefront6targetE1EEEvSK_, .Lfunc_end211-_ZN7rocprim17ROCPRIM_400000_NS6detail17trampoline_kernelINS0_14default_configENS1_22reduce_config_selectorIxEEZNS1_11reduce_implILb1ES3_N6thrust23THRUST_200600_302600_NS6detail15normal_iteratorINS8_10device_ptrIxEEEEPxxNS8_4plusIxEEEE10hipError_tPvRmT1_T2_T3_mT4_P12ihipStream_tbEUlT_E0_NS1_11comp_targetILNS1_3genE10ELNS1_11target_archE1200ELNS1_3gpuE4ELNS1_3repE0EEENS1_30default_config_static_selectorELNS0_4arch9wavefront6targetE1EEEvSK_
                                        ; -- End function
	.set _ZN7rocprim17ROCPRIM_400000_NS6detail17trampoline_kernelINS0_14default_configENS1_22reduce_config_selectorIxEEZNS1_11reduce_implILb1ES3_N6thrust23THRUST_200600_302600_NS6detail15normal_iteratorINS8_10device_ptrIxEEEEPxxNS8_4plusIxEEEE10hipError_tPvRmT1_T2_T3_mT4_P12ihipStream_tbEUlT_E0_NS1_11comp_targetILNS1_3genE10ELNS1_11target_archE1200ELNS1_3gpuE4ELNS1_3repE0EEENS1_30default_config_static_selectorELNS0_4arch9wavefront6targetE1EEEvSK_.num_vgpr, 0
	.set _ZN7rocprim17ROCPRIM_400000_NS6detail17trampoline_kernelINS0_14default_configENS1_22reduce_config_selectorIxEEZNS1_11reduce_implILb1ES3_N6thrust23THRUST_200600_302600_NS6detail15normal_iteratorINS8_10device_ptrIxEEEEPxxNS8_4plusIxEEEE10hipError_tPvRmT1_T2_T3_mT4_P12ihipStream_tbEUlT_E0_NS1_11comp_targetILNS1_3genE10ELNS1_11target_archE1200ELNS1_3gpuE4ELNS1_3repE0EEENS1_30default_config_static_selectorELNS0_4arch9wavefront6targetE1EEEvSK_.num_agpr, 0
	.set _ZN7rocprim17ROCPRIM_400000_NS6detail17trampoline_kernelINS0_14default_configENS1_22reduce_config_selectorIxEEZNS1_11reduce_implILb1ES3_N6thrust23THRUST_200600_302600_NS6detail15normal_iteratorINS8_10device_ptrIxEEEEPxxNS8_4plusIxEEEE10hipError_tPvRmT1_T2_T3_mT4_P12ihipStream_tbEUlT_E0_NS1_11comp_targetILNS1_3genE10ELNS1_11target_archE1200ELNS1_3gpuE4ELNS1_3repE0EEENS1_30default_config_static_selectorELNS0_4arch9wavefront6targetE1EEEvSK_.numbered_sgpr, 0
	.set _ZN7rocprim17ROCPRIM_400000_NS6detail17trampoline_kernelINS0_14default_configENS1_22reduce_config_selectorIxEEZNS1_11reduce_implILb1ES3_N6thrust23THRUST_200600_302600_NS6detail15normal_iteratorINS8_10device_ptrIxEEEEPxxNS8_4plusIxEEEE10hipError_tPvRmT1_T2_T3_mT4_P12ihipStream_tbEUlT_E0_NS1_11comp_targetILNS1_3genE10ELNS1_11target_archE1200ELNS1_3gpuE4ELNS1_3repE0EEENS1_30default_config_static_selectorELNS0_4arch9wavefront6targetE1EEEvSK_.num_named_barrier, 0
	.set _ZN7rocprim17ROCPRIM_400000_NS6detail17trampoline_kernelINS0_14default_configENS1_22reduce_config_selectorIxEEZNS1_11reduce_implILb1ES3_N6thrust23THRUST_200600_302600_NS6detail15normal_iteratorINS8_10device_ptrIxEEEEPxxNS8_4plusIxEEEE10hipError_tPvRmT1_T2_T3_mT4_P12ihipStream_tbEUlT_E0_NS1_11comp_targetILNS1_3genE10ELNS1_11target_archE1200ELNS1_3gpuE4ELNS1_3repE0EEENS1_30default_config_static_selectorELNS0_4arch9wavefront6targetE1EEEvSK_.private_seg_size, 0
	.set _ZN7rocprim17ROCPRIM_400000_NS6detail17trampoline_kernelINS0_14default_configENS1_22reduce_config_selectorIxEEZNS1_11reduce_implILb1ES3_N6thrust23THRUST_200600_302600_NS6detail15normal_iteratorINS8_10device_ptrIxEEEEPxxNS8_4plusIxEEEE10hipError_tPvRmT1_T2_T3_mT4_P12ihipStream_tbEUlT_E0_NS1_11comp_targetILNS1_3genE10ELNS1_11target_archE1200ELNS1_3gpuE4ELNS1_3repE0EEENS1_30default_config_static_selectorELNS0_4arch9wavefront6targetE1EEEvSK_.uses_vcc, 0
	.set _ZN7rocprim17ROCPRIM_400000_NS6detail17trampoline_kernelINS0_14default_configENS1_22reduce_config_selectorIxEEZNS1_11reduce_implILb1ES3_N6thrust23THRUST_200600_302600_NS6detail15normal_iteratorINS8_10device_ptrIxEEEEPxxNS8_4plusIxEEEE10hipError_tPvRmT1_T2_T3_mT4_P12ihipStream_tbEUlT_E0_NS1_11comp_targetILNS1_3genE10ELNS1_11target_archE1200ELNS1_3gpuE4ELNS1_3repE0EEENS1_30default_config_static_selectorELNS0_4arch9wavefront6targetE1EEEvSK_.uses_flat_scratch, 0
	.set _ZN7rocprim17ROCPRIM_400000_NS6detail17trampoline_kernelINS0_14default_configENS1_22reduce_config_selectorIxEEZNS1_11reduce_implILb1ES3_N6thrust23THRUST_200600_302600_NS6detail15normal_iteratorINS8_10device_ptrIxEEEEPxxNS8_4plusIxEEEE10hipError_tPvRmT1_T2_T3_mT4_P12ihipStream_tbEUlT_E0_NS1_11comp_targetILNS1_3genE10ELNS1_11target_archE1200ELNS1_3gpuE4ELNS1_3repE0EEENS1_30default_config_static_selectorELNS0_4arch9wavefront6targetE1EEEvSK_.has_dyn_sized_stack, 0
	.set _ZN7rocprim17ROCPRIM_400000_NS6detail17trampoline_kernelINS0_14default_configENS1_22reduce_config_selectorIxEEZNS1_11reduce_implILb1ES3_N6thrust23THRUST_200600_302600_NS6detail15normal_iteratorINS8_10device_ptrIxEEEEPxxNS8_4plusIxEEEE10hipError_tPvRmT1_T2_T3_mT4_P12ihipStream_tbEUlT_E0_NS1_11comp_targetILNS1_3genE10ELNS1_11target_archE1200ELNS1_3gpuE4ELNS1_3repE0EEENS1_30default_config_static_selectorELNS0_4arch9wavefront6targetE1EEEvSK_.has_recursion, 0
	.set _ZN7rocprim17ROCPRIM_400000_NS6detail17trampoline_kernelINS0_14default_configENS1_22reduce_config_selectorIxEEZNS1_11reduce_implILb1ES3_N6thrust23THRUST_200600_302600_NS6detail15normal_iteratorINS8_10device_ptrIxEEEEPxxNS8_4plusIxEEEE10hipError_tPvRmT1_T2_T3_mT4_P12ihipStream_tbEUlT_E0_NS1_11comp_targetILNS1_3genE10ELNS1_11target_archE1200ELNS1_3gpuE4ELNS1_3repE0EEENS1_30default_config_static_selectorELNS0_4arch9wavefront6targetE1EEEvSK_.has_indirect_call, 0
	.section	.AMDGPU.csdata,"",@progbits
; Kernel info:
; codeLenInByte = 0
; TotalNumSgprs: 6
; NumVgprs: 0
; NumAgprs: 0
; TotalNumVgprs: 0
; ScratchSize: 0
; MemoryBound: 0
; FloatMode: 240
; IeeeMode: 1
; LDSByteSize: 0 bytes/workgroup (compile time only)
; SGPRBlocks: 0
; VGPRBlocks: 0
; NumSGPRsForWavesPerEU: 6
; NumVGPRsForWavesPerEU: 1
; AccumOffset: 4
; Occupancy: 8
; WaveLimiterHint : 0
; COMPUTE_PGM_RSRC2:SCRATCH_EN: 0
; COMPUTE_PGM_RSRC2:USER_SGPR: 2
; COMPUTE_PGM_RSRC2:TRAP_HANDLER: 0
; COMPUTE_PGM_RSRC2:TGID_X_EN: 1
; COMPUTE_PGM_RSRC2:TGID_Y_EN: 0
; COMPUTE_PGM_RSRC2:TGID_Z_EN: 0
; COMPUTE_PGM_RSRC2:TIDIG_COMP_CNT: 0
; COMPUTE_PGM_RSRC3_GFX90A:ACCUM_OFFSET: 0
; COMPUTE_PGM_RSRC3_GFX90A:TG_SPLIT: 0
	.section	.text._ZN7rocprim17ROCPRIM_400000_NS6detail17trampoline_kernelINS0_14default_configENS1_22reduce_config_selectorIxEEZNS1_11reduce_implILb1ES3_N6thrust23THRUST_200600_302600_NS6detail15normal_iteratorINS8_10device_ptrIxEEEEPxxNS8_4plusIxEEEE10hipError_tPvRmT1_T2_T3_mT4_P12ihipStream_tbEUlT_E0_NS1_11comp_targetILNS1_3genE9ELNS1_11target_archE1100ELNS1_3gpuE3ELNS1_3repE0EEENS1_30default_config_static_selectorELNS0_4arch9wavefront6targetE1EEEvSK_,"axG",@progbits,_ZN7rocprim17ROCPRIM_400000_NS6detail17trampoline_kernelINS0_14default_configENS1_22reduce_config_selectorIxEEZNS1_11reduce_implILb1ES3_N6thrust23THRUST_200600_302600_NS6detail15normal_iteratorINS8_10device_ptrIxEEEEPxxNS8_4plusIxEEEE10hipError_tPvRmT1_T2_T3_mT4_P12ihipStream_tbEUlT_E0_NS1_11comp_targetILNS1_3genE9ELNS1_11target_archE1100ELNS1_3gpuE3ELNS1_3repE0EEENS1_30default_config_static_selectorELNS0_4arch9wavefront6targetE1EEEvSK_,comdat
	.protected	_ZN7rocprim17ROCPRIM_400000_NS6detail17trampoline_kernelINS0_14default_configENS1_22reduce_config_selectorIxEEZNS1_11reduce_implILb1ES3_N6thrust23THRUST_200600_302600_NS6detail15normal_iteratorINS8_10device_ptrIxEEEEPxxNS8_4plusIxEEEE10hipError_tPvRmT1_T2_T3_mT4_P12ihipStream_tbEUlT_E0_NS1_11comp_targetILNS1_3genE9ELNS1_11target_archE1100ELNS1_3gpuE3ELNS1_3repE0EEENS1_30default_config_static_selectorELNS0_4arch9wavefront6targetE1EEEvSK_ ; -- Begin function _ZN7rocprim17ROCPRIM_400000_NS6detail17trampoline_kernelINS0_14default_configENS1_22reduce_config_selectorIxEEZNS1_11reduce_implILb1ES3_N6thrust23THRUST_200600_302600_NS6detail15normal_iteratorINS8_10device_ptrIxEEEEPxxNS8_4plusIxEEEE10hipError_tPvRmT1_T2_T3_mT4_P12ihipStream_tbEUlT_E0_NS1_11comp_targetILNS1_3genE9ELNS1_11target_archE1100ELNS1_3gpuE3ELNS1_3repE0EEENS1_30default_config_static_selectorELNS0_4arch9wavefront6targetE1EEEvSK_
	.globl	_ZN7rocprim17ROCPRIM_400000_NS6detail17trampoline_kernelINS0_14default_configENS1_22reduce_config_selectorIxEEZNS1_11reduce_implILb1ES3_N6thrust23THRUST_200600_302600_NS6detail15normal_iteratorINS8_10device_ptrIxEEEEPxxNS8_4plusIxEEEE10hipError_tPvRmT1_T2_T3_mT4_P12ihipStream_tbEUlT_E0_NS1_11comp_targetILNS1_3genE9ELNS1_11target_archE1100ELNS1_3gpuE3ELNS1_3repE0EEENS1_30default_config_static_selectorELNS0_4arch9wavefront6targetE1EEEvSK_
	.p2align	8
	.type	_ZN7rocprim17ROCPRIM_400000_NS6detail17trampoline_kernelINS0_14default_configENS1_22reduce_config_selectorIxEEZNS1_11reduce_implILb1ES3_N6thrust23THRUST_200600_302600_NS6detail15normal_iteratorINS8_10device_ptrIxEEEEPxxNS8_4plusIxEEEE10hipError_tPvRmT1_T2_T3_mT4_P12ihipStream_tbEUlT_E0_NS1_11comp_targetILNS1_3genE9ELNS1_11target_archE1100ELNS1_3gpuE3ELNS1_3repE0EEENS1_30default_config_static_selectorELNS0_4arch9wavefront6targetE1EEEvSK_,@function
_ZN7rocprim17ROCPRIM_400000_NS6detail17trampoline_kernelINS0_14default_configENS1_22reduce_config_selectorIxEEZNS1_11reduce_implILb1ES3_N6thrust23THRUST_200600_302600_NS6detail15normal_iteratorINS8_10device_ptrIxEEEEPxxNS8_4plusIxEEEE10hipError_tPvRmT1_T2_T3_mT4_P12ihipStream_tbEUlT_E0_NS1_11comp_targetILNS1_3genE9ELNS1_11target_archE1100ELNS1_3gpuE3ELNS1_3repE0EEENS1_30default_config_static_selectorELNS0_4arch9wavefront6targetE1EEEvSK_: ; @_ZN7rocprim17ROCPRIM_400000_NS6detail17trampoline_kernelINS0_14default_configENS1_22reduce_config_selectorIxEEZNS1_11reduce_implILb1ES3_N6thrust23THRUST_200600_302600_NS6detail15normal_iteratorINS8_10device_ptrIxEEEEPxxNS8_4plusIxEEEE10hipError_tPvRmT1_T2_T3_mT4_P12ihipStream_tbEUlT_E0_NS1_11comp_targetILNS1_3genE9ELNS1_11target_archE1100ELNS1_3gpuE3ELNS1_3repE0EEENS1_30default_config_static_selectorELNS0_4arch9wavefront6targetE1EEEvSK_
; %bb.0:
	.section	.rodata,"a",@progbits
	.p2align	6, 0x0
	.amdhsa_kernel _ZN7rocprim17ROCPRIM_400000_NS6detail17trampoline_kernelINS0_14default_configENS1_22reduce_config_selectorIxEEZNS1_11reduce_implILb1ES3_N6thrust23THRUST_200600_302600_NS6detail15normal_iteratorINS8_10device_ptrIxEEEEPxxNS8_4plusIxEEEE10hipError_tPvRmT1_T2_T3_mT4_P12ihipStream_tbEUlT_E0_NS1_11comp_targetILNS1_3genE9ELNS1_11target_archE1100ELNS1_3gpuE3ELNS1_3repE0EEENS1_30default_config_static_selectorELNS0_4arch9wavefront6targetE1EEEvSK_
		.amdhsa_group_segment_fixed_size 0
		.amdhsa_private_segment_fixed_size 0
		.amdhsa_kernarg_size 64
		.amdhsa_user_sgpr_count 2
		.amdhsa_user_sgpr_dispatch_ptr 0
		.amdhsa_user_sgpr_queue_ptr 0
		.amdhsa_user_sgpr_kernarg_segment_ptr 1
		.amdhsa_user_sgpr_dispatch_id 0
		.amdhsa_user_sgpr_kernarg_preload_length 0
		.amdhsa_user_sgpr_kernarg_preload_offset 0
		.amdhsa_user_sgpr_private_segment_size 0
		.amdhsa_uses_dynamic_stack 0
		.amdhsa_enable_private_segment 0
		.amdhsa_system_sgpr_workgroup_id_x 1
		.amdhsa_system_sgpr_workgroup_id_y 0
		.amdhsa_system_sgpr_workgroup_id_z 0
		.amdhsa_system_sgpr_workgroup_info 0
		.amdhsa_system_vgpr_workitem_id 0
		.amdhsa_next_free_vgpr 1
		.amdhsa_next_free_sgpr 0
		.amdhsa_accum_offset 4
		.amdhsa_reserve_vcc 0
		.amdhsa_float_round_mode_32 0
		.amdhsa_float_round_mode_16_64 0
		.amdhsa_float_denorm_mode_32 3
		.amdhsa_float_denorm_mode_16_64 3
		.amdhsa_dx10_clamp 1
		.amdhsa_ieee_mode 1
		.amdhsa_fp16_overflow 0
		.amdhsa_tg_split 0
		.amdhsa_exception_fp_ieee_invalid_op 0
		.amdhsa_exception_fp_denorm_src 0
		.amdhsa_exception_fp_ieee_div_zero 0
		.amdhsa_exception_fp_ieee_overflow 0
		.amdhsa_exception_fp_ieee_underflow 0
		.amdhsa_exception_fp_ieee_inexact 0
		.amdhsa_exception_int_div_zero 0
	.end_amdhsa_kernel
	.section	.text._ZN7rocprim17ROCPRIM_400000_NS6detail17trampoline_kernelINS0_14default_configENS1_22reduce_config_selectorIxEEZNS1_11reduce_implILb1ES3_N6thrust23THRUST_200600_302600_NS6detail15normal_iteratorINS8_10device_ptrIxEEEEPxxNS8_4plusIxEEEE10hipError_tPvRmT1_T2_T3_mT4_P12ihipStream_tbEUlT_E0_NS1_11comp_targetILNS1_3genE9ELNS1_11target_archE1100ELNS1_3gpuE3ELNS1_3repE0EEENS1_30default_config_static_selectorELNS0_4arch9wavefront6targetE1EEEvSK_,"axG",@progbits,_ZN7rocprim17ROCPRIM_400000_NS6detail17trampoline_kernelINS0_14default_configENS1_22reduce_config_selectorIxEEZNS1_11reduce_implILb1ES3_N6thrust23THRUST_200600_302600_NS6detail15normal_iteratorINS8_10device_ptrIxEEEEPxxNS8_4plusIxEEEE10hipError_tPvRmT1_T2_T3_mT4_P12ihipStream_tbEUlT_E0_NS1_11comp_targetILNS1_3genE9ELNS1_11target_archE1100ELNS1_3gpuE3ELNS1_3repE0EEENS1_30default_config_static_selectorELNS0_4arch9wavefront6targetE1EEEvSK_,comdat
.Lfunc_end212:
	.size	_ZN7rocprim17ROCPRIM_400000_NS6detail17trampoline_kernelINS0_14default_configENS1_22reduce_config_selectorIxEEZNS1_11reduce_implILb1ES3_N6thrust23THRUST_200600_302600_NS6detail15normal_iteratorINS8_10device_ptrIxEEEEPxxNS8_4plusIxEEEE10hipError_tPvRmT1_T2_T3_mT4_P12ihipStream_tbEUlT_E0_NS1_11comp_targetILNS1_3genE9ELNS1_11target_archE1100ELNS1_3gpuE3ELNS1_3repE0EEENS1_30default_config_static_selectorELNS0_4arch9wavefront6targetE1EEEvSK_, .Lfunc_end212-_ZN7rocprim17ROCPRIM_400000_NS6detail17trampoline_kernelINS0_14default_configENS1_22reduce_config_selectorIxEEZNS1_11reduce_implILb1ES3_N6thrust23THRUST_200600_302600_NS6detail15normal_iteratorINS8_10device_ptrIxEEEEPxxNS8_4plusIxEEEE10hipError_tPvRmT1_T2_T3_mT4_P12ihipStream_tbEUlT_E0_NS1_11comp_targetILNS1_3genE9ELNS1_11target_archE1100ELNS1_3gpuE3ELNS1_3repE0EEENS1_30default_config_static_selectorELNS0_4arch9wavefront6targetE1EEEvSK_
                                        ; -- End function
	.set _ZN7rocprim17ROCPRIM_400000_NS6detail17trampoline_kernelINS0_14default_configENS1_22reduce_config_selectorIxEEZNS1_11reduce_implILb1ES3_N6thrust23THRUST_200600_302600_NS6detail15normal_iteratorINS8_10device_ptrIxEEEEPxxNS8_4plusIxEEEE10hipError_tPvRmT1_T2_T3_mT4_P12ihipStream_tbEUlT_E0_NS1_11comp_targetILNS1_3genE9ELNS1_11target_archE1100ELNS1_3gpuE3ELNS1_3repE0EEENS1_30default_config_static_selectorELNS0_4arch9wavefront6targetE1EEEvSK_.num_vgpr, 0
	.set _ZN7rocprim17ROCPRIM_400000_NS6detail17trampoline_kernelINS0_14default_configENS1_22reduce_config_selectorIxEEZNS1_11reduce_implILb1ES3_N6thrust23THRUST_200600_302600_NS6detail15normal_iteratorINS8_10device_ptrIxEEEEPxxNS8_4plusIxEEEE10hipError_tPvRmT1_T2_T3_mT4_P12ihipStream_tbEUlT_E0_NS1_11comp_targetILNS1_3genE9ELNS1_11target_archE1100ELNS1_3gpuE3ELNS1_3repE0EEENS1_30default_config_static_selectorELNS0_4arch9wavefront6targetE1EEEvSK_.num_agpr, 0
	.set _ZN7rocprim17ROCPRIM_400000_NS6detail17trampoline_kernelINS0_14default_configENS1_22reduce_config_selectorIxEEZNS1_11reduce_implILb1ES3_N6thrust23THRUST_200600_302600_NS6detail15normal_iteratorINS8_10device_ptrIxEEEEPxxNS8_4plusIxEEEE10hipError_tPvRmT1_T2_T3_mT4_P12ihipStream_tbEUlT_E0_NS1_11comp_targetILNS1_3genE9ELNS1_11target_archE1100ELNS1_3gpuE3ELNS1_3repE0EEENS1_30default_config_static_selectorELNS0_4arch9wavefront6targetE1EEEvSK_.numbered_sgpr, 0
	.set _ZN7rocprim17ROCPRIM_400000_NS6detail17trampoline_kernelINS0_14default_configENS1_22reduce_config_selectorIxEEZNS1_11reduce_implILb1ES3_N6thrust23THRUST_200600_302600_NS6detail15normal_iteratorINS8_10device_ptrIxEEEEPxxNS8_4plusIxEEEE10hipError_tPvRmT1_T2_T3_mT4_P12ihipStream_tbEUlT_E0_NS1_11comp_targetILNS1_3genE9ELNS1_11target_archE1100ELNS1_3gpuE3ELNS1_3repE0EEENS1_30default_config_static_selectorELNS0_4arch9wavefront6targetE1EEEvSK_.num_named_barrier, 0
	.set _ZN7rocprim17ROCPRIM_400000_NS6detail17trampoline_kernelINS0_14default_configENS1_22reduce_config_selectorIxEEZNS1_11reduce_implILb1ES3_N6thrust23THRUST_200600_302600_NS6detail15normal_iteratorINS8_10device_ptrIxEEEEPxxNS8_4plusIxEEEE10hipError_tPvRmT1_T2_T3_mT4_P12ihipStream_tbEUlT_E0_NS1_11comp_targetILNS1_3genE9ELNS1_11target_archE1100ELNS1_3gpuE3ELNS1_3repE0EEENS1_30default_config_static_selectorELNS0_4arch9wavefront6targetE1EEEvSK_.private_seg_size, 0
	.set _ZN7rocprim17ROCPRIM_400000_NS6detail17trampoline_kernelINS0_14default_configENS1_22reduce_config_selectorIxEEZNS1_11reduce_implILb1ES3_N6thrust23THRUST_200600_302600_NS6detail15normal_iteratorINS8_10device_ptrIxEEEEPxxNS8_4plusIxEEEE10hipError_tPvRmT1_T2_T3_mT4_P12ihipStream_tbEUlT_E0_NS1_11comp_targetILNS1_3genE9ELNS1_11target_archE1100ELNS1_3gpuE3ELNS1_3repE0EEENS1_30default_config_static_selectorELNS0_4arch9wavefront6targetE1EEEvSK_.uses_vcc, 0
	.set _ZN7rocprim17ROCPRIM_400000_NS6detail17trampoline_kernelINS0_14default_configENS1_22reduce_config_selectorIxEEZNS1_11reduce_implILb1ES3_N6thrust23THRUST_200600_302600_NS6detail15normal_iteratorINS8_10device_ptrIxEEEEPxxNS8_4plusIxEEEE10hipError_tPvRmT1_T2_T3_mT4_P12ihipStream_tbEUlT_E0_NS1_11comp_targetILNS1_3genE9ELNS1_11target_archE1100ELNS1_3gpuE3ELNS1_3repE0EEENS1_30default_config_static_selectorELNS0_4arch9wavefront6targetE1EEEvSK_.uses_flat_scratch, 0
	.set _ZN7rocprim17ROCPRIM_400000_NS6detail17trampoline_kernelINS0_14default_configENS1_22reduce_config_selectorIxEEZNS1_11reduce_implILb1ES3_N6thrust23THRUST_200600_302600_NS6detail15normal_iteratorINS8_10device_ptrIxEEEEPxxNS8_4plusIxEEEE10hipError_tPvRmT1_T2_T3_mT4_P12ihipStream_tbEUlT_E0_NS1_11comp_targetILNS1_3genE9ELNS1_11target_archE1100ELNS1_3gpuE3ELNS1_3repE0EEENS1_30default_config_static_selectorELNS0_4arch9wavefront6targetE1EEEvSK_.has_dyn_sized_stack, 0
	.set _ZN7rocprim17ROCPRIM_400000_NS6detail17trampoline_kernelINS0_14default_configENS1_22reduce_config_selectorIxEEZNS1_11reduce_implILb1ES3_N6thrust23THRUST_200600_302600_NS6detail15normal_iteratorINS8_10device_ptrIxEEEEPxxNS8_4plusIxEEEE10hipError_tPvRmT1_T2_T3_mT4_P12ihipStream_tbEUlT_E0_NS1_11comp_targetILNS1_3genE9ELNS1_11target_archE1100ELNS1_3gpuE3ELNS1_3repE0EEENS1_30default_config_static_selectorELNS0_4arch9wavefront6targetE1EEEvSK_.has_recursion, 0
	.set _ZN7rocprim17ROCPRIM_400000_NS6detail17trampoline_kernelINS0_14default_configENS1_22reduce_config_selectorIxEEZNS1_11reduce_implILb1ES3_N6thrust23THRUST_200600_302600_NS6detail15normal_iteratorINS8_10device_ptrIxEEEEPxxNS8_4plusIxEEEE10hipError_tPvRmT1_T2_T3_mT4_P12ihipStream_tbEUlT_E0_NS1_11comp_targetILNS1_3genE9ELNS1_11target_archE1100ELNS1_3gpuE3ELNS1_3repE0EEENS1_30default_config_static_selectorELNS0_4arch9wavefront6targetE1EEEvSK_.has_indirect_call, 0
	.section	.AMDGPU.csdata,"",@progbits
; Kernel info:
; codeLenInByte = 0
; TotalNumSgprs: 6
; NumVgprs: 0
; NumAgprs: 0
; TotalNumVgprs: 0
; ScratchSize: 0
; MemoryBound: 0
; FloatMode: 240
; IeeeMode: 1
; LDSByteSize: 0 bytes/workgroup (compile time only)
; SGPRBlocks: 0
; VGPRBlocks: 0
; NumSGPRsForWavesPerEU: 6
; NumVGPRsForWavesPerEU: 1
; AccumOffset: 4
; Occupancy: 8
; WaveLimiterHint : 0
; COMPUTE_PGM_RSRC2:SCRATCH_EN: 0
; COMPUTE_PGM_RSRC2:USER_SGPR: 2
; COMPUTE_PGM_RSRC2:TRAP_HANDLER: 0
; COMPUTE_PGM_RSRC2:TGID_X_EN: 1
; COMPUTE_PGM_RSRC2:TGID_Y_EN: 0
; COMPUTE_PGM_RSRC2:TGID_Z_EN: 0
; COMPUTE_PGM_RSRC2:TIDIG_COMP_CNT: 0
; COMPUTE_PGM_RSRC3_GFX90A:ACCUM_OFFSET: 0
; COMPUTE_PGM_RSRC3_GFX90A:TG_SPLIT: 0
	.section	.text._ZN7rocprim17ROCPRIM_400000_NS6detail17trampoline_kernelINS0_14default_configENS1_22reduce_config_selectorIxEEZNS1_11reduce_implILb1ES3_N6thrust23THRUST_200600_302600_NS6detail15normal_iteratorINS8_10device_ptrIxEEEEPxxNS8_4plusIxEEEE10hipError_tPvRmT1_T2_T3_mT4_P12ihipStream_tbEUlT_E0_NS1_11comp_targetILNS1_3genE8ELNS1_11target_archE1030ELNS1_3gpuE2ELNS1_3repE0EEENS1_30default_config_static_selectorELNS0_4arch9wavefront6targetE1EEEvSK_,"axG",@progbits,_ZN7rocprim17ROCPRIM_400000_NS6detail17trampoline_kernelINS0_14default_configENS1_22reduce_config_selectorIxEEZNS1_11reduce_implILb1ES3_N6thrust23THRUST_200600_302600_NS6detail15normal_iteratorINS8_10device_ptrIxEEEEPxxNS8_4plusIxEEEE10hipError_tPvRmT1_T2_T3_mT4_P12ihipStream_tbEUlT_E0_NS1_11comp_targetILNS1_3genE8ELNS1_11target_archE1030ELNS1_3gpuE2ELNS1_3repE0EEENS1_30default_config_static_selectorELNS0_4arch9wavefront6targetE1EEEvSK_,comdat
	.protected	_ZN7rocprim17ROCPRIM_400000_NS6detail17trampoline_kernelINS0_14default_configENS1_22reduce_config_selectorIxEEZNS1_11reduce_implILb1ES3_N6thrust23THRUST_200600_302600_NS6detail15normal_iteratorINS8_10device_ptrIxEEEEPxxNS8_4plusIxEEEE10hipError_tPvRmT1_T2_T3_mT4_P12ihipStream_tbEUlT_E0_NS1_11comp_targetILNS1_3genE8ELNS1_11target_archE1030ELNS1_3gpuE2ELNS1_3repE0EEENS1_30default_config_static_selectorELNS0_4arch9wavefront6targetE1EEEvSK_ ; -- Begin function _ZN7rocprim17ROCPRIM_400000_NS6detail17trampoline_kernelINS0_14default_configENS1_22reduce_config_selectorIxEEZNS1_11reduce_implILb1ES3_N6thrust23THRUST_200600_302600_NS6detail15normal_iteratorINS8_10device_ptrIxEEEEPxxNS8_4plusIxEEEE10hipError_tPvRmT1_T2_T3_mT4_P12ihipStream_tbEUlT_E0_NS1_11comp_targetILNS1_3genE8ELNS1_11target_archE1030ELNS1_3gpuE2ELNS1_3repE0EEENS1_30default_config_static_selectorELNS0_4arch9wavefront6targetE1EEEvSK_
	.globl	_ZN7rocprim17ROCPRIM_400000_NS6detail17trampoline_kernelINS0_14default_configENS1_22reduce_config_selectorIxEEZNS1_11reduce_implILb1ES3_N6thrust23THRUST_200600_302600_NS6detail15normal_iteratorINS8_10device_ptrIxEEEEPxxNS8_4plusIxEEEE10hipError_tPvRmT1_T2_T3_mT4_P12ihipStream_tbEUlT_E0_NS1_11comp_targetILNS1_3genE8ELNS1_11target_archE1030ELNS1_3gpuE2ELNS1_3repE0EEENS1_30default_config_static_selectorELNS0_4arch9wavefront6targetE1EEEvSK_
	.p2align	8
	.type	_ZN7rocprim17ROCPRIM_400000_NS6detail17trampoline_kernelINS0_14default_configENS1_22reduce_config_selectorIxEEZNS1_11reduce_implILb1ES3_N6thrust23THRUST_200600_302600_NS6detail15normal_iteratorINS8_10device_ptrIxEEEEPxxNS8_4plusIxEEEE10hipError_tPvRmT1_T2_T3_mT4_P12ihipStream_tbEUlT_E0_NS1_11comp_targetILNS1_3genE8ELNS1_11target_archE1030ELNS1_3gpuE2ELNS1_3repE0EEENS1_30default_config_static_selectorELNS0_4arch9wavefront6targetE1EEEvSK_,@function
_ZN7rocprim17ROCPRIM_400000_NS6detail17trampoline_kernelINS0_14default_configENS1_22reduce_config_selectorIxEEZNS1_11reduce_implILb1ES3_N6thrust23THRUST_200600_302600_NS6detail15normal_iteratorINS8_10device_ptrIxEEEEPxxNS8_4plusIxEEEE10hipError_tPvRmT1_T2_T3_mT4_P12ihipStream_tbEUlT_E0_NS1_11comp_targetILNS1_3genE8ELNS1_11target_archE1030ELNS1_3gpuE2ELNS1_3repE0EEENS1_30default_config_static_selectorELNS0_4arch9wavefront6targetE1EEEvSK_: ; @_ZN7rocprim17ROCPRIM_400000_NS6detail17trampoline_kernelINS0_14default_configENS1_22reduce_config_selectorIxEEZNS1_11reduce_implILb1ES3_N6thrust23THRUST_200600_302600_NS6detail15normal_iteratorINS8_10device_ptrIxEEEEPxxNS8_4plusIxEEEE10hipError_tPvRmT1_T2_T3_mT4_P12ihipStream_tbEUlT_E0_NS1_11comp_targetILNS1_3genE8ELNS1_11target_archE1030ELNS1_3gpuE2ELNS1_3repE0EEENS1_30default_config_static_selectorELNS0_4arch9wavefront6targetE1EEEvSK_
; %bb.0:
	.section	.rodata,"a",@progbits
	.p2align	6, 0x0
	.amdhsa_kernel _ZN7rocprim17ROCPRIM_400000_NS6detail17trampoline_kernelINS0_14default_configENS1_22reduce_config_selectorIxEEZNS1_11reduce_implILb1ES3_N6thrust23THRUST_200600_302600_NS6detail15normal_iteratorINS8_10device_ptrIxEEEEPxxNS8_4plusIxEEEE10hipError_tPvRmT1_T2_T3_mT4_P12ihipStream_tbEUlT_E0_NS1_11comp_targetILNS1_3genE8ELNS1_11target_archE1030ELNS1_3gpuE2ELNS1_3repE0EEENS1_30default_config_static_selectorELNS0_4arch9wavefront6targetE1EEEvSK_
		.amdhsa_group_segment_fixed_size 0
		.amdhsa_private_segment_fixed_size 0
		.amdhsa_kernarg_size 64
		.amdhsa_user_sgpr_count 2
		.amdhsa_user_sgpr_dispatch_ptr 0
		.amdhsa_user_sgpr_queue_ptr 0
		.amdhsa_user_sgpr_kernarg_segment_ptr 1
		.amdhsa_user_sgpr_dispatch_id 0
		.amdhsa_user_sgpr_kernarg_preload_length 0
		.amdhsa_user_sgpr_kernarg_preload_offset 0
		.amdhsa_user_sgpr_private_segment_size 0
		.amdhsa_uses_dynamic_stack 0
		.amdhsa_enable_private_segment 0
		.amdhsa_system_sgpr_workgroup_id_x 1
		.amdhsa_system_sgpr_workgroup_id_y 0
		.amdhsa_system_sgpr_workgroup_id_z 0
		.amdhsa_system_sgpr_workgroup_info 0
		.amdhsa_system_vgpr_workitem_id 0
		.amdhsa_next_free_vgpr 1
		.amdhsa_next_free_sgpr 0
		.amdhsa_accum_offset 4
		.amdhsa_reserve_vcc 0
		.amdhsa_float_round_mode_32 0
		.amdhsa_float_round_mode_16_64 0
		.amdhsa_float_denorm_mode_32 3
		.amdhsa_float_denorm_mode_16_64 3
		.amdhsa_dx10_clamp 1
		.amdhsa_ieee_mode 1
		.amdhsa_fp16_overflow 0
		.amdhsa_tg_split 0
		.amdhsa_exception_fp_ieee_invalid_op 0
		.amdhsa_exception_fp_denorm_src 0
		.amdhsa_exception_fp_ieee_div_zero 0
		.amdhsa_exception_fp_ieee_overflow 0
		.amdhsa_exception_fp_ieee_underflow 0
		.amdhsa_exception_fp_ieee_inexact 0
		.amdhsa_exception_int_div_zero 0
	.end_amdhsa_kernel
	.section	.text._ZN7rocprim17ROCPRIM_400000_NS6detail17trampoline_kernelINS0_14default_configENS1_22reduce_config_selectorIxEEZNS1_11reduce_implILb1ES3_N6thrust23THRUST_200600_302600_NS6detail15normal_iteratorINS8_10device_ptrIxEEEEPxxNS8_4plusIxEEEE10hipError_tPvRmT1_T2_T3_mT4_P12ihipStream_tbEUlT_E0_NS1_11comp_targetILNS1_3genE8ELNS1_11target_archE1030ELNS1_3gpuE2ELNS1_3repE0EEENS1_30default_config_static_selectorELNS0_4arch9wavefront6targetE1EEEvSK_,"axG",@progbits,_ZN7rocprim17ROCPRIM_400000_NS6detail17trampoline_kernelINS0_14default_configENS1_22reduce_config_selectorIxEEZNS1_11reduce_implILb1ES3_N6thrust23THRUST_200600_302600_NS6detail15normal_iteratorINS8_10device_ptrIxEEEEPxxNS8_4plusIxEEEE10hipError_tPvRmT1_T2_T3_mT4_P12ihipStream_tbEUlT_E0_NS1_11comp_targetILNS1_3genE8ELNS1_11target_archE1030ELNS1_3gpuE2ELNS1_3repE0EEENS1_30default_config_static_selectorELNS0_4arch9wavefront6targetE1EEEvSK_,comdat
.Lfunc_end213:
	.size	_ZN7rocprim17ROCPRIM_400000_NS6detail17trampoline_kernelINS0_14default_configENS1_22reduce_config_selectorIxEEZNS1_11reduce_implILb1ES3_N6thrust23THRUST_200600_302600_NS6detail15normal_iteratorINS8_10device_ptrIxEEEEPxxNS8_4plusIxEEEE10hipError_tPvRmT1_T2_T3_mT4_P12ihipStream_tbEUlT_E0_NS1_11comp_targetILNS1_3genE8ELNS1_11target_archE1030ELNS1_3gpuE2ELNS1_3repE0EEENS1_30default_config_static_selectorELNS0_4arch9wavefront6targetE1EEEvSK_, .Lfunc_end213-_ZN7rocprim17ROCPRIM_400000_NS6detail17trampoline_kernelINS0_14default_configENS1_22reduce_config_selectorIxEEZNS1_11reduce_implILb1ES3_N6thrust23THRUST_200600_302600_NS6detail15normal_iteratorINS8_10device_ptrIxEEEEPxxNS8_4plusIxEEEE10hipError_tPvRmT1_T2_T3_mT4_P12ihipStream_tbEUlT_E0_NS1_11comp_targetILNS1_3genE8ELNS1_11target_archE1030ELNS1_3gpuE2ELNS1_3repE0EEENS1_30default_config_static_selectorELNS0_4arch9wavefront6targetE1EEEvSK_
                                        ; -- End function
	.set _ZN7rocprim17ROCPRIM_400000_NS6detail17trampoline_kernelINS0_14default_configENS1_22reduce_config_selectorIxEEZNS1_11reduce_implILb1ES3_N6thrust23THRUST_200600_302600_NS6detail15normal_iteratorINS8_10device_ptrIxEEEEPxxNS8_4plusIxEEEE10hipError_tPvRmT1_T2_T3_mT4_P12ihipStream_tbEUlT_E0_NS1_11comp_targetILNS1_3genE8ELNS1_11target_archE1030ELNS1_3gpuE2ELNS1_3repE0EEENS1_30default_config_static_selectorELNS0_4arch9wavefront6targetE1EEEvSK_.num_vgpr, 0
	.set _ZN7rocprim17ROCPRIM_400000_NS6detail17trampoline_kernelINS0_14default_configENS1_22reduce_config_selectorIxEEZNS1_11reduce_implILb1ES3_N6thrust23THRUST_200600_302600_NS6detail15normal_iteratorINS8_10device_ptrIxEEEEPxxNS8_4plusIxEEEE10hipError_tPvRmT1_T2_T3_mT4_P12ihipStream_tbEUlT_E0_NS1_11comp_targetILNS1_3genE8ELNS1_11target_archE1030ELNS1_3gpuE2ELNS1_3repE0EEENS1_30default_config_static_selectorELNS0_4arch9wavefront6targetE1EEEvSK_.num_agpr, 0
	.set _ZN7rocprim17ROCPRIM_400000_NS6detail17trampoline_kernelINS0_14default_configENS1_22reduce_config_selectorIxEEZNS1_11reduce_implILb1ES3_N6thrust23THRUST_200600_302600_NS6detail15normal_iteratorINS8_10device_ptrIxEEEEPxxNS8_4plusIxEEEE10hipError_tPvRmT1_T2_T3_mT4_P12ihipStream_tbEUlT_E0_NS1_11comp_targetILNS1_3genE8ELNS1_11target_archE1030ELNS1_3gpuE2ELNS1_3repE0EEENS1_30default_config_static_selectorELNS0_4arch9wavefront6targetE1EEEvSK_.numbered_sgpr, 0
	.set _ZN7rocprim17ROCPRIM_400000_NS6detail17trampoline_kernelINS0_14default_configENS1_22reduce_config_selectorIxEEZNS1_11reduce_implILb1ES3_N6thrust23THRUST_200600_302600_NS6detail15normal_iteratorINS8_10device_ptrIxEEEEPxxNS8_4plusIxEEEE10hipError_tPvRmT1_T2_T3_mT4_P12ihipStream_tbEUlT_E0_NS1_11comp_targetILNS1_3genE8ELNS1_11target_archE1030ELNS1_3gpuE2ELNS1_3repE0EEENS1_30default_config_static_selectorELNS0_4arch9wavefront6targetE1EEEvSK_.num_named_barrier, 0
	.set _ZN7rocprim17ROCPRIM_400000_NS6detail17trampoline_kernelINS0_14default_configENS1_22reduce_config_selectorIxEEZNS1_11reduce_implILb1ES3_N6thrust23THRUST_200600_302600_NS6detail15normal_iteratorINS8_10device_ptrIxEEEEPxxNS8_4plusIxEEEE10hipError_tPvRmT1_T2_T3_mT4_P12ihipStream_tbEUlT_E0_NS1_11comp_targetILNS1_3genE8ELNS1_11target_archE1030ELNS1_3gpuE2ELNS1_3repE0EEENS1_30default_config_static_selectorELNS0_4arch9wavefront6targetE1EEEvSK_.private_seg_size, 0
	.set _ZN7rocprim17ROCPRIM_400000_NS6detail17trampoline_kernelINS0_14default_configENS1_22reduce_config_selectorIxEEZNS1_11reduce_implILb1ES3_N6thrust23THRUST_200600_302600_NS6detail15normal_iteratorINS8_10device_ptrIxEEEEPxxNS8_4plusIxEEEE10hipError_tPvRmT1_T2_T3_mT4_P12ihipStream_tbEUlT_E0_NS1_11comp_targetILNS1_3genE8ELNS1_11target_archE1030ELNS1_3gpuE2ELNS1_3repE0EEENS1_30default_config_static_selectorELNS0_4arch9wavefront6targetE1EEEvSK_.uses_vcc, 0
	.set _ZN7rocprim17ROCPRIM_400000_NS6detail17trampoline_kernelINS0_14default_configENS1_22reduce_config_selectorIxEEZNS1_11reduce_implILb1ES3_N6thrust23THRUST_200600_302600_NS6detail15normal_iteratorINS8_10device_ptrIxEEEEPxxNS8_4plusIxEEEE10hipError_tPvRmT1_T2_T3_mT4_P12ihipStream_tbEUlT_E0_NS1_11comp_targetILNS1_3genE8ELNS1_11target_archE1030ELNS1_3gpuE2ELNS1_3repE0EEENS1_30default_config_static_selectorELNS0_4arch9wavefront6targetE1EEEvSK_.uses_flat_scratch, 0
	.set _ZN7rocprim17ROCPRIM_400000_NS6detail17trampoline_kernelINS0_14default_configENS1_22reduce_config_selectorIxEEZNS1_11reduce_implILb1ES3_N6thrust23THRUST_200600_302600_NS6detail15normal_iteratorINS8_10device_ptrIxEEEEPxxNS8_4plusIxEEEE10hipError_tPvRmT1_T2_T3_mT4_P12ihipStream_tbEUlT_E0_NS1_11comp_targetILNS1_3genE8ELNS1_11target_archE1030ELNS1_3gpuE2ELNS1_3repE0EEENS1_30default_config_static_selectorELNS0_4arch9wavefront6targetE1EEEvSK_.has_dyn_sized_stack, 0
	.set _ZN7rocprim17ROCPRIM_400000_NS6detail17trampoline_kernelINS0_14default_configENS1_22reduce_config_selectorIxEEZNS1_11reduce_implILb1ES3_N6thrust23THRUST_200600_302600_NS6detail15normal_iteratorINS8_10device_ptrIxEEEEPxxNS8_4plusIxEEEE10hipError_tPvRmT1_T2_T3_mT4_P12ihipStream_tbEUlT_E0_NS1_11comp_targetILNS1_3genE8ELNS1_11target_archE1030ELNS1_3gpuE2ELNS1_3repE0EEENS1_30default_config_static_selectorELNS0_4arch9wavefront6targetE1EEEvSK_.has_recursion, 0
	.set _ZN7rocprim17ROCPRIM_400000_NS6detail17trampoline_kernelINS0_14default_configENS1_22reduce_config_selectorIxEEZNS1_11reduce_implILb1ES3_N6thrust23THRUST_200600_302600_NS6detail15normal_iteratorINS8_10device_ptrIxEEEEPxxNS8_4plusIxEEEE10hipError_tPvRmT1_T2_T3_mT4_P12ihipStream_tbEUlT_E0_NS1_11comp_targetILNS1_3genE8ELNS1_11target_archE1030ELNS1_3gpuE2ELNS1_3repE0EEENS1_30default_config_static_selectorELNS0_4arch9wavefront6targetE1EEEvSK_.has_indirect_call, 0
	.section	.AMDGPU.csdata,"",@progbits
; Kernel info:
; codeLenInByte = 0
; TotalNumSgprs: 6
; NumVgprs: 0
; NumAgprs: 0
; TotalNumVgprs: 0
; ScratchSize: 0
; MemoryBound: 0
; FloatMode: 240
; IeeeMode: 1
; LDSByteSize: 0 bytes/workgroup (compile time only)
; SGPRBlocks: 0
; VGPRBlocks: 0
; NumSGPRsForWavesPerEU: 6
; NumVGPRsForWavesPerEU: 1
; AccumOffset: 4
; Occupancy: 8
; WaveLimiterHint : 0
; COMPUTE_PGM_RSRC2:SCRATCH_EN: 0
; COMPUTE_PGM_RSRC2:USER_SGPR: 2
; COMPUTE_PGM_RSRC2:TRAP_HANDLER: 0
; COMPUTE_PGM_RSRC2:TGID_X_EN: 1
; COMPUTE_PGM_RSRC2:TGID_Y_EN: 0
; COMPUTE_PGM_RSRC2:TGID_Z_EN: 0
; COMPUTE_PGM_RSRC2:TIDIG_COMP_CNT: 0
; COMPUTE_PGM_RSRC3_GFX90A:ACCUM_OFFSET: 0
; COMPUTE_PGM_RSRC3_GFX90A:TG_SPLIT: 0
	.section	.text._ZN7rocprim17ROCPRIM_400000_NS6detail17trampoline_kernelINS0_14default_configENS1_22reduce_config_selectorIxEEZNS1_11reduce_implILb1ES3_N6thrust23THRUST_200600_302600_NS6detail15normal_iteratorINS8_10device_ptrIxEEEEPxxNS8_4plusIxEEEE10hipError_tPvRmT1_T2_T3_mT4_P12ihipStream_tbEUlT_E1_NS1_11comp_targetILNS1_3genE0ELNS1_11target_archE4294967295ELNS1_3gpuE0ELNS1_3repE0EEENS1_30default_config_static_selectorELNS0_4arch9wavefront6targetE1EEEvSK_,"axG",@progbits,_ZN7rocprim17ROCPRIM_400000_NS6detail17trampoline_kernelINS0_14default_configENS1_22reduce_config_selectorIxEEZNS1_11reduce_implILb1ES3_N6thrust23THRUST_200600_302600_NS6detail15normal_iteratorINS8_10device_ptrIxEEEEPxxNS8_4plusIxEEEE10hipError_tPvRmT1_T2_T3_mT4_P12ihipStream_tbEUlT_E1_NS1_11comp_targetILNS1_3genE0ELNS1_11target_archE4294967295ELNS1_3gpuE0ELNS1_3repE0EEENS1_30default_config_static_selectorELNS0_4arch9wavefront6targetE1EEEvSK_,comdat
	.protected	_ZN7rocprim17ROCPRIM_400000_NS6detail17trampoline_kernelINS0_14default_configENS1_22reduce_config_selectorIxEEZNS1_11reduce_implILb1ES3_N6thrust23THRUST_200600_302600_NS6detail15normal_iteratorINS8_10device_ptrIxEEEEPxxNS8_4plusIxEEEE10hipError_tPvRmT1_T2_T3_mT4_P12ihipStream_tbEUlT_E1_NS1_11comp_targetILNS1_3genE0ELNS1_11target_archE4294967295ELNS1_3gpuE0ELNS1_3repE0EEENS1_30default_config_static_selectorELNS0_4arch9wavefront6targetE1EEEvSK_ ; -- Begin function _ZN7rocprim17ROCPRIM_400000_NS6detail17trampoline_kernelINS0_14default_configENS1_22reduce_config_selectorIxEEZNS1_11reduce_implILb1ES3_N6thrust23THRUST_200600_302600_NS6detail15normal_iteratorINS8_10device_ptrIxEEEEPxxNS8_4plusIxEEEE10hipError_tPvRmT1_T2_T3_mT4_P12ihipStream_tbEUlT_E1_NS1_11comp_targetILNS1_3genE0ELNS1_11target_archE4294967295ELNS1_3gpuE0ELNS1_3repE0EEENS1_30default_config_static_selectorELNS0_4arch9wavefront6targetE1EEEvSK_
	.globl	_ZN7rocprim17ROCPRIM_400000_NS6detail17trampoline_kernelINS0_14default_configENS1_22reduce_config_selectorIxEEZNS1_11reduce_implILb1ES3_N6thrust23THRUST_200600_302600_NS6detail15normal_iteratorINS8_10device_ptrIxEEEEPxxNS8_4plusIxEEEE10hipError_tPvRmT1_T2_T3_mT4_P12ihipStream_tbEUlT_E1_NS1_11comp_targetILNS1_3genE0ELNS1_11target_archE4294967295ELNS1_3gpuE0ELNS1_3repE0EEENS1_30default_config_static_selectorELNS0_4arch9wavefront6targetE1EEEvSK_
	.p2align	8
	.type	_ZN7rocprim17ROCPRIM_400000_NS6detail17trampoline_kernelINS0_14default_configENS1_22reduce_config_selectorIxEEZNS1_11reduce_implILb1ES3_N6thrust23THRUST_200600_302600_NS6detail15normal_iteratorINS8_10device_ptrIxEEEEPxxNS8_4plusIxEEEE10hipError_tPvRmT1_T2_T3_mT4_P12ihipStream_tbEUlT_E1_NS1_11comp_targetILNS1_3genE0ELNS1_11target_archE4294967295ELNS1_3gpuE0ELNS1_3repE0EEENS1_30default_config_static_selectorELNS0_4arch9wavefront6targetE1EEEvSK_,@function
_ZN7rocprim17ROCPRIM_400000_NS6detail17trampoline_kernelINS0_14default_configENS1_22reduce_config_selectorIxEEZNS1_11reduce_implILb1ES3_N6thrust23THRUST_200600_302600_NS6detail15normal_iteratorINS8_10device_ptrIxEEEEPxxNS8_4plusIxEEEE10hipError_tPvRmT1_T2_T3_mT4_P12ihipStream_tbEUlT_E1_NS1_11comp_targetILNS1_3genE0ELNS1_11target_archE4294967295ELNS1_3gpuE0ELNS1_3repE0EEENS1_30default_config_static_selectorELNS0_4arch9wavefront6targetE1EEEvSK_: ; @_ZN7rocprim17ROCPRIM_400000_NS6detail17trampoline_kernelINS0_14default_configENS1_22reduce_config_selectorIxEEZNS1_11reduce_implILb1ES3_N6thrust23THRUST_200600_302600_NS6detail15normal_iteratorINS8_10device_ptrIxEEEEPxxNS8_4plusIxEEEE10hipError_tPvRmT1_T2_T3_mT4_P12ihipStream_tbEUlT_E1_NS1_11comp_targetILNS1_3genE0ELNS1_11target_archE4294967295ELNS1_3gpuE0ELNS1_3repE0EEENS1_30default_config_static_selectorELNS0_4arch9wavefront6targetE1EEEvSK_
; %bb.0:
	s_load_dword s33, s[0:1], 0x4
	s_load_dwordx8 s[36:43], s[0:1], 0x8
	s_waitcnt lgkmcnt(0)
	s_cmp_lt_i32 s33, 4
	s_cbranch_scc1 .LBB214_10
; %bb.1:
	s_cmp_gt_i32 s33, 7
	s_cbranch_scc0 .LBB214_11
; %bb.2:
	s_cmp_gt_i32 s33, 15
	s_cbranch_scc0 .LBB214_12
; %bb.3:
	s_mov_b64 s[30:31], 0
	s_cmp_eq_u32 s33, 16
	s_mov_b64 s[0:1], 0
                                        ; implicit-def: $vgpr2_vgpr3
                                        ; implicit-def: $vgpr4_vgpr5
	s_cbranch_scc0 .LBB214_13
; %bb.4:
	s_mov_b32 s3, 0
	s_lshl_b32 s0, s2, 12
	s_mov_b32 s1, s3
	s_lshr_b64 s[4:5], s[38:39], 12
	s_lshl_b64 s[6:7], s[0:1], 3
	s_add_u32 s34, s36, s6
	s_addc_u32 s35, s37, s7
	s_cmp_lg_u64 s[4:5], s[2:3]
	s_cbranch_scc0 .LBB214_21
; %bb.5:
	v_lshlrev_b32_e32 v2, 3, v0
	v_mov_b32_e32 v3, 0
	v_lshl_add_u64 v[4:5], s[34:35], 0, v[2:3]
	global_load_dwordx2 v[6:7], v2, s[34:35]
	global_load_dwordx2 v[8:9], v2, s[34:35] offset:2048
	v_add_co_u32_e32 v10, vcc, 0x1000, v4
	v_mov_b32_e32 v38, v3
	s_nop 0
	v_addc_co_u32_e32 v11, vcc, 0, v5, vcc
	v_add_co_u32_e32 v12, vcc, 0x2000, v4
	v_mov_b32_e32 v40, v3
	s_nop 0
	v_addc_co_u32_e32 v13, vcc, 0, v5, vcc
	global_load_dwordx2 v[14:15], v[10:11], off
	global_load_dwordx2 v[16:17], v[10:11], off offset:2048
	global_load_dwordx2 v[18:19], v[12:13], off
	global_load_dwordx2 v[20:21], v[12:13], off offset:2048
	v_add_co_u32_e32 v10, vcc, 0x3000, v4
	v_mov_b32_e32 v42, v3
	s_nop 0
	v_addc_co_u32_e32 v11, vcc, 0, v5, vcc
	v_add_co_u32_e32 v12, vcc, 0x4000, v4
	v_mov_b32_e32 v44, v3
	s_nop 0
	v_addc_co_u32_e32 v13, vcc, 0, v5, vcc
	global_load_dwordx2 v[22:23], v[10:11], off
	global_load_dwordx2 v[24:25], v[10:11], off offset:2048
	global_load_dwordx2 v[26:27], v[12:13], off
	global_load_dwordx2 v[28:29], v[12:13], off offset:2048
	v_add_co_u32_e32 v10, vcc, 0x5000, v4
	v_mbcnt_lo_u32_b32 v1, -1, 0
	s_nop 0
	v_addc_co_u32_e32 v11, vcc, 0, v5, vcc
	v_add_co_u32_e32 v12, vcc, 0x6000, v4
	v_mov_b32_e32 v46, v3
	s_nop 0
	v_addc_co_u32_e32 v13, vcc, 0, v5, vcc
	global_load_dwordx2 v[30:31], v[10:11], off
	global_load_dwordx2 v[32:33], v[10:11], off offset:2048
	global_load_dwordx2 v[34:35], v[12:13], off
	global_load_dwordx2 v[36:37], v[12:13], off offset:2048
	v_add_co_u32_e32 v4, vcc, 0x7000, v4
	v_mbcnt_hi_u32_b32 v1, -1, v1
	s_nop 0
	v_addc_co_u32_e32 v5, vcc, 0, v5, vcc
	global_load_dwordx2 v[10:11], v[4:5], off
	global_load_dwordx2 v[12:13], v[4:5], off offset:2048
	v_lshlrev_b32_e32 v4, 2, v1
	v_or_b32_e32 v5, 0xfc, v4
	v_cmp_eq_u32_e32 vcc, 0, v1
	s_waitcnt vmcnt(14)
	v_lshl_add_u64 v[6:7], v[8:9], 0, v[6:7]
	s_waitcnt vmcnt(13)
	v_lshl_add_u64 v[6:7], v[6:7], 0, v[14:15]
	;; [unrolled: 2-line block ×15, first 2 shown]
	s_nop 1
	v_mov_b32_dpp v2, v6 quad_perm:[1,0,3,2] row_mask:0xf bank_mask:0xf bound_ctrl:1
	v_mov_b32_dpp v39, v7 quad_perm:[1,0,3,2] row_mask:0xf bank_mask:0xf bound_ctrl:1
	v_lshl_add_u64 v[6:7], v[6:7], 0, v[2:3]
	v_lshl_add_u64 v[8:9], v[38:39], 0, v[6:7]
	s_nop 0
	v_mov_b32_dpp v2, v6 quad_perm:[2,3,0,1] row_mask:0xf bank_mask:0xf bound_ctrl:1
	v_mov_b32_dpp v41, v9 quad_perm:[2,3,0,1] row_mask:0xf bank_mask:0xf bound_ctrl:1
	v_lshl_add_u64 v[6:7], v[8:9], 0, v[2:3]
	v_lshl_add_u64 v[8:9], v[6:7], 0, v[40:41]
	s_nop 0
	v_mov_b32_dpp v2, v6 row_ror:4 row_mask:0xf bank_mask:0xf bound_ctrl:1
	v_mov_b32_dpp v43, v9 row_ror:4 row_mask:0xf bank_mask:0xf bound_ctrl:1
	v_lshl_add_u64 v[6:7], v[8:9], 0, v[2:3]
	v_lshl_add_u64 v[8:9], v[6:7], 0, v[42:43]
	s_nop 0
	v_mov_b32_dpp v2, v6 row_ror:8 row_mask:0xf bank_mask:0xf bound_ctrl:1
	v_mov_b32_dpp v45, v9 row_ror:8 row_mask:0xf bank_mask:0xf bound_ctrl:1
	v_lshl_add_u64 v[6:7], v[8:9], 0, v[2:3]
	v_lshl_add_u64 v[8:9], v[6:7], 0, v[44:45]
	s_nop 0
	v_mov_b32_dpp v2, v6 row_bcast:15 row_mask:0xf bank_mask:0xf bound_ctrl:1
	v_mov_b32_dpp v47, v9 row_bcast:15 row_mask:0xf bank_mask:0xf bound_ctrl:1
	v_lshl_add_u64 v[6:7], v[8:9], 0, v[2:3]
	v_lshl_add_u64 v[8:9], v[6:7], 0, v[46:47]
	s_nop 0
	v_mov_b32_dpp v2, v6 row_bcast:31 row_mask:0xf bank_mask:0xf bound_ctrl:1
	v_lshl_add_u64 v[2:3], v[8:9], 0, v[2:3]
	ds_bpermute_b32 v2, v5, v2
	s_nop 0
	v_add_u32_dpp v3, v9, v3 row_bcast:31 row_mask:0xf bank_mask:0xf bound_ctrl:1
	ds_bpermute_b32 v3, v5, v3
	s_and_saveexec_b64 s[4:5], vcc
	s_cbranch_execz .LBB214_7
; %bb.6:
	v_lshrrev_b32_e32 v5, 3, v0
	v_and_b32_e32 v5, 24, v5
	s_waitcnt lgkmcnt(0)
	ds_write_b64 v5, v[2:3]
.LBB214_7:
	s_or_b64 exec, exec, s[4:5]
	v_cmp_gt_u32_e32 vcc, 64, v0
	s_waitcnt lgkmcnt(0)
	s_barrier
	s_and_saveexec_b64 s[4:5], vcc
	s_cbranch_execz .LBB214_9
; %bb.8:
	v_and_b32_e32 v5, 3, v1
	v_lshlrev_b32_e32 v2, 3, v5
	ds_read_b64 v[2:3], v2
	v_cmp_ne_u32_e32 vcc, 3, v5
	v_mov_b32_e32 v8, 0
	v_mov_b32_e32 v7, v8
	v_addc_co_u32_e32 v1, vcc, 0, v1, vcc
	v_lshlrev_b32_e32 v1, 2, v1
	s_waitcnt lgkmcnt(0)
	ds_bpermute_b32 v6, v1, v2
	ds_bpermute_b32 v9, v1, v3
	v_or_b32_e32 v1, 8, v4
	s_waitcnt lgkmcnt(1)
	v_lshl_add_u64 v[2:3], v[2:3], 0, v[6:7]
	s_waitcnt lgkmcnt(0)
	v_lshl_add_u64 v[4:5], v[8:9], 0, v[2:3]
	ds_bpermute_b32 v2, v1, v2
	ds_bpermute_b32 v9, v1, v5
	v_mov_b32_e32 v3, v8
	s_waitcnt lgkmcnt(1)
	v_lshl_add_u64 v[2:3], v[4:5], 0, v[2:3]
	s_waitcnt lgkmcnt(0)
	v_lshl_add_u64 v[2:3], v[2:3], 0, v[8:9]
.LBB214_9:
	s_or_b64 exec, exec, s[4:5]
	s_mov_b64 s[4:5], 0
	s_branch .LBB214_22
.LBB214_10:
	s_mov_b64 s[0:1], 0
                                        ; implicit-def: $vgpr2_vgpr3
                                        ; implicit-def: $vgpr4_vgpr5
	s_cbranch_execnz .LBB214_121
	s_branch .LBB214_166
.LBB214_11:
	s_mov_b64 s[0:1], 0
                                        ; implicit-def: $vgpr2_vgpr3
                                        ; implicit-def: $vgpr4_vgpr5
	s_cbranch_execnz .LBB214_94
	s_branch .LBB214_120
.LBB214_12:
	s_mov_b64 s[30:31], -1
	s_mov_b64 s[0:1], 0
                                        ; implicit-def: $vgpr2_vgpr3
                                        ; implicit-def: $vgpr4_vgpr5
.LBB214_13:
	s_and_b64 vcc, exec, s[30:31]
	s_cbranch_vccz .LBB214_93
.LBB214_14:
	s_cmp_eq_u32 s33, 8
                                        ; implicit-def: $vgpr2_vgpr3
                                        ; implicit-def: $vgpr4_vgpr5
	s_cbranch_scc0 .LBB214_93
; %bb.15:
	s_mov_b32 s3, 0
	s_lshl_b32 s0, s2, 11
	s_mov_b32 s1, s3
	s_lshr_b64 s[4:5], s[38:39], 11
	s_lshl_b64 s[6:7], s[0:1], 3
	s_add_u32 s14, s36, s6
	s_addc_u32 s15, s37, s7
	s_cmp_lg_u64 s[4:5], s[2:3]
	s_cbranch_scc0 .LBB214_65
; %bb.16:
	v_lshlrev_b32_e32 v2, 3, v0
	v_mov_b32_e32 v3, 0
	v_lshl_add_u64 v[4:5], s[14:15], 0, v[2:3]
	s_waitcnt lgkmcnt(0)
	global_load_dwordx2 v[6:7], v2, s[14:15]
	global_load_dwordx2 v[8:9], v2, s[14:15] offset:2048
	v_add_co_u32_e32 v10, vcc, 0x1000, v4
	v_mov_b32_e32 v22, v3
	s_nop 0
	v_addc_co_u32_e32 v11, vcc, 0, v5, vcc
	v_add_co_u32_e32 v12, vcc, 0x2000, v4
	v_mov_b32_e32 v24, v3
	s_nop 0
	v_addc_co_u32_e32 v13, vcc, 0, v5, vcc
	global_load_dwordx2 v[14:15], v[10:11], off
	global_load_dwordx2 v[16:17], v[10:11], off offset:2048
	global_load_dwordx2 v[18:19], v[12:13], off
	global_load_dwordx2 v[20:21], v[12:13], off offset:2048
	v_add_co_u32_e32 v4, vcc, 0x3000, v4
	v_mov_b32_e32 v26, v3
	s_nop 0
	v_addc_co_u32_e32 v5, vcc, 0, v5, vcc
	global_load_dwordx2 v[10:11], v[4:5], off
	global_load_dwordx2 v[12:13], v[4:5], off offset:2048
	v_mov_b32_e32 v28, v3
	v_mbcnt_lo_u32_b32 v1, -1, 0
	v_mov_b32_e32 v30, v3
	v_mbcnt_hi_u32_b32 v1, -1, v1
	v_lshlrev_b32_e32 v4, 2, v1
	v_or_b32_e32 v5, 0xfc, v4
	v_cmp_eq_u32_e32 vcc, 0, v1
	s_waitcnt vmcnt(6)
	v_lshl_add_u64 v[6:7], v[8:9], 0, v[6:7]
	s_waitcnt vmcnt(5)
	v_lshl_add_u64 v[6:7], v[6:7], 0, v[14:15]
	;; [unrolled: 2-line block ×7, first 2 shown]
	s_nop 1
	v_mov_b32_dpp v2, v6 quad_perm:[1,0,3,2] row_mask:0xf bank_mask:0xf bound_ctrl:1
	v_mov_b32_dpp v23, v7 quad_perm:[1,0,3,2] row_mask:0xf bank_mask:0xf bound_ctrl:1
	v_lshl_add_u64 v[6:7], v[6:7], 0, v[2:3]
	v_lshl_add_u64 v[8:9], v[22:23], 0, v[6:7]
	s_nop 0
	v_mov_b32_dpp v2, v6 quad_perm:[2,3,0,1] row_mask:0xf bank_mask:0xf bound_ctrl:1
	v_mov_b32_dpp v25, v9 quad_perm:[2,3,0,1] row_mask:0xf bank_mask:0xf bound_ctrl:1
	v_lshl_add_u64 v[6:7], v[8:9], 0, v[2:3]
	v_lshl_add_u64 v[8:9], v[6:7], 0, v[24:25]
	s_nop 0
	v_mov_b32_dpp v2, v6 row_ror:4 row_mask:0xf bank_mask:0xf bound_ctrl:1
	v_mov_b32_dpp v27, v9 row_ror:4 row_mask:0xf bank_mask:0xf bound_ctrl:1
	v_lshl_add_u64 v[6:7], v[8:9], 0, v[2:3]
	v_lshl_add_u64 v[8:9], v[6:7], 0, v[26:27]
	s_nop 0
	v_mov_b32_dpp v2, v6 row_ror:8 row_mask:0xf bank_mask:0xf bound_ctrl:1
	v_mov_b32_dpp v29, v9 row_ror:8 row_mask:0xf bank_mask:0xf bound_ctrl:1
	v_lshl_add_u64 v[6:7], v[8:9], 0, v[2:3]
	v_lshl_add_u64 v[8:9], v[6:7], 0, v[28:29]
	s_nop 0
	v_mov_b32_dpp v2, v6 row_bcast:15 row_mask:0xf bank_mask:0xf bound_ctrl:1
	v_mov_b32_dpp v31, v9 row_bcast:15 row_mask:0xf bank_mask:0xf bound_ctrl:1
	v_lshl_add_u64 v[6:7], v[8:9], 0, v[2:3]
	v_lshl_add_u64 v[8:9], v[6:7], 0, v[30:31]
	s_nop 0
	v_mov_b32_dpp v2, v6 row_bcast:31 row_mask:0xf bank_mask:0xf bound_ctrl:1
	v_lshl_add_u64 v[2:3], v[8:9], 0, v[2:3]
	ds_bpermute_b32 v2, v5, v2
	s_nop 0
	v_add_u32_dpp v3, v9, v3 row_bcast:31 row_mask:0xf bank_mask:0xf bound_ctrl:1
	ds_bpermute_b32 v3, v5, v3
	s_and_saveexec_b64 s[4:5], vcc
	s_cbranch_execz .LBB214_18
; %bb.17:
	v_lshrrev_b32_e32 v5, 3, v0
	v_and_b32_e32 v5, 24, v5
	s_waitcnt lgkmcnt(0)
	ds_write_b64 v5, v[2:3] offset:128
.LBB214_18:
	s_or_b64 exec, exec, s[4:5]
	v_cmp_gt_u32_e32 vcc, 64, v0
	s_waitcnt lgkmcnt(0)
	s_barrier
	s_and_saveexec_b64 s[4:5], vcc
	s_cbranch_execz .LBB214_20
; %bb.19:
	v_and_b32_e32 v5, 3, v1
	v_lshlrev_b32_e32 v2, 3, v5
	ds_read_b64 v[2:3], v2 offset:128
	v_cmp_ne_u32_e32 vcc, 3, v5
	v_mov_b32_e32 v8, 0
	v_mov_b32_e32 v7, v8
	v_addc_co_u32_e32 v1, vcc, 0, v1, vcc
	v_lshlrev_b32_e32 v1, 2, v1
	s_waitcnt lgkmcnt(0)
	ds_bpermute_b32 v6, v1, v2
	ds_bpermute_b32 v9, v1, v3
	v_or_b32_e32 v1, 8, v4
	s_waitcnt lgkmcnt(1)
	v_lshl_add_u64 v[2:3], v[2:3], 0, v[6:7]
	s_waitcnt lgkmcnt(0)
	v_lshl_add_u64 v[4:5], v[8:9], 0, v[2:3]
	ds_bpermute_b32 v2, v1, v2
	ds_bpermute_b32 v9, v1, v5
	v_mov_b32_e32 v3, v8
	s_waitcnt lgkmcnt(1)
	v_lshl_add_u64 v[2:3], v[4:5], 0, v[2:3]
	s_waitcnt lgkmcnt(0)
	v_lshl_add_u64 v[2:3], v[2:3], 0, v[8:9]
.LBB214_20:
	s_or_b64 exec, exec, s[4:5]
	s_mov_b64 s[4:5], 0
	s_branch .LBB214_66
.LBB214_21:
	s_mov_b64 s[4:5], -1
                                        ; implicit-def: $vgpr2_vgpr3
.LBB214_22:
	s_and_b64 vcc, exec, s[4:5]
	s_cbranch_vccz .LBB214_64
; %bb.23:
	s_sub_i32 s46, s38, s0
	v_mov_b32_e32 v2, 0
	v_cmp_gt_u32_e32 vcc, s46, v0
	v_mov_b32_e32 v3, v2
	v_mov_b32_e32 v4, v2
	v_mov_b32_e32 v5, v2
	v_mov_b32_e32 v6, v2
	v_mov_b32_e32 v7, v2
	v_mov_b32_e32 v8, v2
	v_mov_b32_e32 v9, v2
	v_mov_b32_e32 v10, v2
	v_mov_b32_e32 v11, v2
	v_mov_b32_e32 v12, v2
	v_mov_b32_e32 v13, v2
	v_mov_b32_e32 v14, v2
	v_mov_b32_e32 v15, v2
	v_mov_b32_e32 v16, v2
	v_mov_b32_e32 v17, v2
	v_mov_b32_e32 v18, v2
	v_mov_b32_e32 v19, v2
	v_mov_b32_e32 v20, v2
	v_mov_b32_e32 v21, v2
	v_mov_b32_e32 v22, v2
	v_mov_b32_e32 v23, v2
	v_mov_b32_e32 v24, v2
	v_mov_b32_e32 v25, v2
	v_mov_b32_e32 v26, v2
	v_mov_b32_e32 v27, v2
	v_mov_b32_e32 v28, v2
	v_mov_b32_e32 v29, v2
	v_mov_b32_e32 v30, v2
	v_mov_b32_e32 v31, v2
	v_mov_b32_e32 v32, v2
	v_mov_b32_e32 v33, v2
	s_and_saveexec_b64 s[0:1], vcc
	s_cbranch_execz .LBB214_25
; %bb.24:
	v_lshlrev_b32_e32 v1, 3, v0
	global_load_dwordx2 v[4:5], v1, s[34:35]
	v_mov_b32_e32 v6, v2
	v_mov_b32_e32 v7, v2
	;; [unrolled: 1-line block ×30, first 2 shown]
	s_waitcnt vmcnt(0)
	v_mov_b64_e32 v[2:3], v[4:5]
	v_mov_b64_e32 v[4:5], v[6:7]
	v_mov_b64_e32 v[6:7], v[8:9]
	v_mov_b64_e32 v[8:9], v[10:11]
	v_mov_b64_e32 v[10:11], v[12:13]
	v_mov_b64_e32 v[12:13], v[14:15]
	v_mov_b64_e32 v[14:15], v[16:17]
	v_mov_b64_e32 v[16:17], v[18:19]
	v_mov_b64_e32 v[18:19], v[20:21]
	v_mov_b64_e32 v[20:21], v[22:23]
	v_mov_b64_e32 v[22:23], v[24:25]
	v_mov_b64_e32 v[24:25], v[26:27]
	v_mov_b64_e32 v[26:27], v[28:29]
	v_mov_b64_e32 v[28:29], v[30:31]
	v_mov_b64_e32 v[30:31], v[32:33]
	v_mov_b64_e32 v[32:33], v[34:35]
.LBB214_25:
	s_or_b64 exec, exec, s[0:1]
	v_or_b32_e32 v1, 0x100, v0
	v_cmp_gt_u32_e32 vcc, s46, v1
	s_and_saveexec_b64 s[0:1], vcc
	s_cbranch_execz .LBB214_27
; %bb.26:
	v_lshlrev_b32_e32 v1, 3, v0
	global_load_dwordx2 v[4:5], v1, s[34:35] offset:2048
.LBB214_27:
	s_or_b64 exec, exec, s[0:1]
	v_or_b32_e32 v1, 0x200, v0
	v_cmp_gt_u32_e64 s[0:1], s46, v1
	s_and_saveexec_b64 s[4:5], s[0:1]
	s_cbranch_execz .LBB214_29
; %bb.28:
	v_lshlrev_b32_e32 v1, 3, v1
	global_load_dwordx2 v[6:7], v1, s[34:35]
.LBB214_29:
	s_or_b64 exec, exec, s[4:5]
	v_or_b32_e32 v1, 0x300, v0
	v_cmp_gt_u32_e64 s[4:5], s46, v1
	s_and_saveexec_b64 s[6:7], s[4:5]
	s_cbranch_execz .LBB214_31
; %bb.30:
	v_lshlrev_b32_e32 v1, 3, v1
	global_load_dwordx2 v[8:9], v1, s[34:35]
.LBB214_31:
	;; [unrolled: 9-line block ×14, first 2 shown]
	s_or_b64 exec, exec, s[44:45]
	s_waitcnt vmcnt(0)
	v_cndmask_b32_e32 v5, 0, v5, vcc
	v_cndmask_b32_e32 v4, 0, v4, vcc
	v_lshl_add_u64 v[2:3], v[4:5], 0, v[2:3]
	v_cndmask_b32_e64 v5, 0, v7, s[0:1]
	v_cndmask_b32_e64 v4, 0, v6, s[0:1]
	v_lshl_add_u64 v[2:3], v[2:3], 0, v[4:5]
	v_cndmask_b32_e64 v5, 0, v9, s[4:5]
	v_cndmask_b32_e64 v4, 0, v8, s[4:5]
	;; [unrolled: 3-line block ×12, first 2 shown]
	v_mbcnt_lo_u32_b32 v1, -1, 0
	v_lshl_add_u64 v[2:3], v[2:3], 0, v[4:5]
	v_cndmask_b32_e64 v5, 0, v31, s[26:27]
	v_cndmask_b32_e64 v4, 0, v30, s[26:27]
	v_mbcnt_hi_u32_b32 v1, -1, v1
	v_lshl_add_u64 v[2:3], v[2:3], 0, v[4:5]
	v_cndmask_b32_e64 v5, 0, v33, s[28:29]
	v_cndmask_b32_e64 v4, 0, v32, s[28:29]
	v_and_b32_e32 v9, 63, v1
	v_lshl_add_u64 v[2:3], v[2:3], 0, v[4:5]
	s_min_u32 s6, s46, 0x100
	v_and_b32_e32 v4, 0xc0, v0
	v_cmp_ne_u32_e32 vcc, 63, v9
	v_sub_u32_e64 v8, s6, v4 clamp
	v_mov_b32_e32 v6, 0
	v_addc_co_u32_e32 v4, vcc, 0, v1, vcc
	v_lshlrev_b32_e32 v5, 2, v4
	ds_bpermute_b32 v4, v5, v2
	ds_bpermute_b32 v7, v5, v3
	v_add_u32_e32 v10, 1, v9
	v_mov_b32_e32 v5, v6
	v_cmp_lt_u32_e64 s[0:1], v10, v8
	s_waitcnt lgkmcnt(1)
	v_lshl_add_u64 v[4:5], v[2:3], 0, v[4:5]
	v_cmp_gt_u32_e32 vcc, 62, v9
	s_waitcnt lgkmcnt(0)
	v_lshl_add_u64 v[6:7], v[4:5], 0, v[6:7]
	v_cndmask_b32_e64 v12, v2, v4, s[0:1]
	v_cndmask_b32_e64 v4, 0, 2, vcc
	v_cndmask_b32_e64 v5, v3, v7, s[0:1]
	v_add_lshl_u32 v4, v4, v1, 2
	ds_bpermute_b32 v10, v4, v12
	ds_bpermute_b32 v11, v4, v5
	v_cndmask_b32_e64 v4, v2, v6, s[0:1]
	v_add_u32_e32 v13, 2, v9
	v_cmp_lt_u32_e32 vcc, v13, v8
	v_cmp_gt_u32_e64 s[4:5], 60, v9
	s_waitcnt lgkmcnt(0)
	v_lshl_add_u64 v[6:7], v[10:11], 0, v[4:5]
	v_cndmask_b32_e32 v5, v5, v7, vcc
	v_cndmask_b32_e64 v7, 0, 4, s[4:5]
	v_cndmask_b32_e32 v12, v12, v6, vcc
	v_add_lshl_u32 v7, v7, v1, 2
	ds_bpermute_b32 v10, v7, v12
	ds_bpermute_b32 v11, v7, v5
	v_cndmask_b32_e32 v4, v4, v6, vcc
	v_add_u32_e32 v13, 4, v9
	v_cmp_lt_u32_e32 vcc, v13, v8
	v_cmp_gt_u32_e64 s[4:5], 56, v9
	s_waitcnt lgkmcnt(0)
	v_lshl_add_u64 v[6:7], v[10:11], 0, v[4:5]
	v_cndmask_b32_e32 v5, v5, v7, vcc
	v_cndmask_b32_e64 v7, 0, 8, s[4:5]
	v_cndmask_b32_e32 v12, v12, v6, vcc
	v_add_lshl_u32 v7, v7, v1, 2
	ds_bpermute_b32 v10, v7, v12
	ds_bpermute_b32 v11, v7, v5
	v_cndmask_b32_e32 v4, v4, v6, vcc
	;; [unrolled: 12-line block ×3, first 2 shown]
	v_add_u32_e32 v13, 16, v9
	v_cmp_lt_u32_e32 vcc, v13, v8
	s_waitcnt lgkmcnt(0)
	v_lshl_add_u64 v[6:7], v[10:11], 0, v[4:5]
	v_lshlrev_b32_e32 v10, 2, v1
	v_cndmask_b32_e32 v13, v5, v7, vcc
	v_cndmask_b32_e32 v11, v12, v6, vcc
	v_or_b32_e32 v12, 0x80, v10
	ds_bpermute_b32 v11, v12, v11
	ds_bpermute_b32 v12, v12, v13
	s_and_saveexec_b64 s[4:5], s[0:1]
	s_cbranch_execz .LBB214_57
; %bb.56:
	v_add_u32_e32 v9, 32, v9
	v_cndmask_b32_e32 v3, v5, v7, vcc
	v_cndmask_b32_e32 v2, v4, v6, vcc
	v_cmp_lt_u32_e32 vcc, v9, v8
	s_waitcnt lgkmcnt(0)
	s_nop 0
	v_cndmask_b32_e32 v5, 0, v12, vcc
	v_cndmask_b32_e32 v4, 0, v11, vcc
	v_lshl_add_u64 v[2:3], v[2:3], 0, v[4:5]
.LBB214_57:
	s_or_b64 exec, exec, s[4:5]
	v_cmp_eq_u32_e32 vcc, 0, v1
	s_and_saveexec_b64 s[0:1], vcc
; %bb.58:
	v_lshrrev_b32_e32 v4, 3, v0
	v_and_b32_e32 v4, 24, v4
	ds_write_b64 v4, v[2:3] offset:160
; %bb.59:
	s_or_b64 exec, exec, s[0:1]
	v_cmp_gt_u32_e32 vcc, 4, v0
	s_waitcnt lgkmcnt(0)
	s_barrier
	s_and_saveexec_b64 s[0:1], vcc
	s_cbranch_execz .LBB214_63
; %bb.60:
	v_lshlrev_b32_e32 v2, 3, v1
	ds_read_b64 v[2:3], v2 offset:160
	v_and_b32_e32 v6, 3, v1
	v_cmp_ne_u32_e32 vcc, 3, v6
	v_mov_b32_e32 v8, 0
	s_add_i32 s6, s6, 63
	v_addc_co_u32_e32 v1, vcc, 0, v1, vcc
	v_lshlrev_b32_e32 v1, 2, v1
	s_waitcnt lgkmcnt(0)
	ds_bpermute_b32 v4, v1, v2
	ds_bpermute_b32 v9, v1, v3
	v_mov_b32_e32 v5, v8
	s_lshr_b32 s6, s6, 6
	v_add_u32_e32 v1, 1, v6
	s_waitcnt lgkmcnt(1)
	v_lshl_add_u64 v[12:13], v[2:3], 0, v[4:5]
	s_waitcnt lgkmcnt(0)
	v_lshl_add_u64 v[4:5], v[8:9], 0, v[12:13]
	v_cmp_gt_u32_e32 vcc, s6, v1
	v_or_b32_e32 v8, 8, v10
	s_nop 0
	v_cndmask_b32_e32 v7, v3, v5, vcc
	v_cndmask_b32_e32 v1, v2, v12, vcc
	ds_bpermute_b32 v1, v8, v1
	ds_bpermute_b32 v7, v8, v7
	s_and_saveexec_b64 s[4:5], vcc
	s_cbranch_execz .LBB214_62
; %bb.61:
	v_add_u32_e32 v2, 2, v6
	v_cmp_gt_u32_e32 vcc, s6, v2
	s_waitcnt lgkmcnt(0)
	s_nop 0
	v_cndmask_b32_e32 v3, 0, v7, vcc
	v_cndmask_b32_e32 v2, 0, v1, vcc
	v_lshl_add_u64 v[2:3], v[2:3], 0, v[4:5]
.LBB214_62:
	s_or_b64 exec, exec, s[4:5]
.LBB214_63:
	s_or_b64 exec, exec, s[0:1]
.LBB214_64:
	v_cmp_eq_u32_e64 s[0:1], 0, v0
	v_mov_b64_e32 v[4:5], s[2:3]
	s_and_b64 vcc, exec, s[30:31]
	s_cbranch_vccnz .LBB214_14
	s_branch .LBB214_93
.LBB214_65:
	s_mov_b64 s[4:5], -1
                                        ; implicit-def: $vgpr2_vgpr3
.LBB214_66:
	s_and_b64 vcc, exec, s[4:5]
	s_cbranch_vccz .LBB214_92
; %bb.67:
	s_sub_i32 s18, s38, s0
	v_mov_b32_e32 v2, 0
	v_cmp_gt_u32_e32 vcc, s18, v0
	v_mov_b32_e32 v3, v2
	v_mov_b32_e32 v4, v2
	;; [unrolled: 1-line block ×4, first 2 shown]
	s_waitcnt lgkmcnt(0)
	v_mov_b32_e32 v7, v2
	v_mov_b32_e32 v8, v2
	;; [unrolled: 1-line block ×11, first 2 shown]
	s_and_saveexec_b64 s[0:1], vcc
	s_cbranch_execz .LBB214_69
; %bb.68:
	v_lshlrev_b32_e32 v1, 3, v0
	global_load_dwordx2 v[4:5], v1, s[14:15]
	v_mov_b32_e32 v6, v2
	v_mov_b32_e32 v7, v2
	;; [unrolled: 1-line block ×14, first 2 shown]
	s_waitcnt vmcnt(0)
	v_mov_b64_e32 v[2:3], v[4:5]
	v_mov_b64_e32 v[4:5], v[6:7]
	;; [unrolled: 1-line block ×8, first 2 shown]
.LBB214_69:
	s_or_b64 exec, exec, s[0:1]
	v_or_b32_e32 v1, 0x100, v0
	v_cmp_gt_u32_e32 vcc, s18, v1
	s_and_saveexec_b64 s[0:1], vcc
	s_cbranch_execz .LBB214_71
; %bb.70:
	v_lshlrev_b32_e32 v1, 3, v0
	global_load_dwordx2 v[4:5], v1, s[14:15] offset:2048
.LBB214_71:
	s_or_b64 exec, exec, s[0:1]
	v_or_b32_e32 v1, 0x200, v0
	v_cmp_gt_u32_e64 s[0:1], s18, v1
	s_and_saveexec_b64 s[4:5], s[0:1]
	s_cbranch_execz .LBB214_73
; %bb.72:
	v_lshlrev_b32_e32 v1, 3, v1
	global_load_dwordx2 v[6:7], v1, s[14:15]
.LBB214_73:
	s_or_b64 exec, exec, s[4:5]
	v_or_b32_e32 v1, 0x300, v0
	v_cmp_gt_u32_e64 s[4:5], s18, v1
	s_and_saveexec_b64 s[6:7], s[4:5]
	s_cbranch_execz .LBB214_75
; %bb.74:
	v_lshlrev_b32_e32 v1, 3, v1
	global_load_dwordx2 v[8:9], v1, s[14:15]
.LBB214_75:
	;; [unrolled: 9-line block ×6, first 2 shown]
	s_or_b64 exec, exec, s[16:17]
	s_waitcnt vmcnt(0)
	v_cndmask_b32_e32 v5, 0, v5, vcc
	v_cndmask_b32_e32 v4, 0, v4, vcc
	v_lshl_add_u64 v[2:3], v[4:5], 0, v[2:3]
	v_cndmask_b32_e64 v5, 0, v7, s[0:1]
	v_cndmask_b32_e64 v4, 0, v6, s[0:1]
	v_lshl_add_u64 v[2:3], v[2:3], 0, v[4:5]
	v_cndmask_b32_e64 v5, 0, v9, s[4:5]
	v_cndmask_b32_e64 v4, 0, v8, s[4:5]
	;; [unrolled: 3-line block ×4, first 2 shown]
	v_mbcnt_lo_u32_b32 v1, -1, 0
	v_lshl_add_u64 v[2:3], v[2:3], 0, v[4:5]
	v_cndmask_b32_e64 v5, 0, v15, s[10:11]
	v_cndmask_b32_e64 v4, 0, v14, s[10:11]
	v_mbcnt_hi_u32_b32 v1, -1, v1
	v_lshl_add_u64 v[2:3], v[2:3], 0, v[4:5]
	v_cndmask_b32_e64 v5, 0, v17, s[12:13]
	v_cndmask_b32_e64 v4, 0, v16, s[12:13]
	v_and_b32_e32 v9, 63, v1
	v_lshl_add_u64 v[2:3], v[2:3], 0, v[4:5]
	s_min_u32 s6, s18, 0x100
	v_and_b32_e32 v4, 0xc0, v0
	v_cmp_ne_u32_e32 vcc, 63, v9
	v_sub_u32_e64 v8, s6, v4 clamp
	v_mov_b32_e32 v6, 0
	v_addc_co_u32_e32 v4, vcc, 0, v1, vcc
	v_lshlrev_b32_e32 v5, 2, v4
	ds_bpermute_b32 v4, v5, v2
	ds_bpermute_b32 v7, v5, v3
	v_add_u32_e32 v10, 1, v9
	v_mov_b32_e32 v5, v6
	v_cmp_lt_u32_e64 s[0:1], v10, v8
	s_waitcnt lgkmcnt(1)
	v_lshl_add_u64 v[4:5], v[2:3], 0, v[4:5]
	v_cmp_gt_u32_e32 vcc, 62, v9
	s_waitcnt lgkmcnt(0)
	v_lshl_add_u64 v[6:7], v[4:5], 0, v[6:7]
	v_cndmask_b32_e64 v12, v2, v4, s[0:1]
	v_cndmask_b32_e64 v4, 0, 2, vcc
	v_cndmask_b32_e64 v5, v3, v7, s[0:1]
	v_add_lshl_u32 v4, v4, v1, 2
	ds_bpermute_b32 v10, v4, v12
	ds_bpermute_b32 v11, v4, v5
	v_cndmask_b32_e64 v4, v2, v6, s[0:1]
	v_add_u32_e32 v13, 2, v9
	v_cmp_lt_u32_e32 vcc, v13, v8
	v_cmp_gt_u32_e64 s[4:5], 60, v9
	s_waitcnt lgkmcnt(0)
	v_lshl_add_u64 v[6:7], v[10:11], 0, v[4:5]
	v_cndmask_b32_e32 v5, v5, v7, vcc
	v_cndmask_b32_e64 v7, 0, 4, s[4:5]
	v_cndmask_b32_e32 v12, v12, v6, vcc
	v_add_lshl_u32 v7, v7, v1, 2
	ds_bpermute_b32 v10, v7, v12
	ds_bpermute_b32 v11, v7, v5
	v_cndmask_b32_e32 v4, v4, v6, vcc
	v_add_u32_e32 v13, 4, v9
	v_cmp_lt_u32_e32 vcc, v13, v8
	v_cmp_gt_u32_e64 s[4:5], 56, v9
	s_waitcnt lgkmcnt(0)
	v_lshl_add_u64 v[6:7], v[10:11], 0, v[4:5]
	v_cndmask_b32_e32 v5, v5, v7, vcc
	v_cndmask_b32_e64 v7, 0, 8, s[4:5]
	v_cndmask_b32_e32 v12, v12, v6, vcc
	v_add_lshl_u32 v7, v7, v1, 2
	ds_bpermute_b32 v10, v7, v12
	ds_bpermute_b32 v11, v7, v5
	v_cndmask_b32_e32 v4, v4, v6, vcc
	;; [unrolled: 12-line block ×3, first 2 shown]
	v_add_u32_e32 v13, 16, v9
	v_cmp_lt_u32_e32 vcc, v13, v8
	s_waitcnt lgkmcnt(0)
	v_lshl_add_u64 v[6:7], v[10:11], 0, v[4:5]
	v_lshlrev_b32_e32 v10, 2, v1
	v_cndmask_b32_e32 v13, v5, v7, vcc
	v_cndmask_b32_e32 v11, v12, v6, vcc
	v_or_b32_e32 v12, 0x80, v10
	ds_bpermute_b32 v11, v12, v11
	ds_bpermute_b32 v12, v12, v13
	s_and_saveexec_b64 s[4:5], s[0:1]
	s_cbranch_execz .LBB214_85
; %bb.84:
	v_add_u32_e32 v9, 32, v9
	v_cndmask_b32_e32 v3, v5, v7, vcc
	v_cndmask_b32_e32 v2, v4, v6, vcc
	v_cmp_lt_u32_e32 vcc, v9, v8
	s_waitcnt lgkmcnt(0)
	s_nop 0
	v_cndmask_b32_e32 v5, 0, v12, vcc
	v_cndmask_b32_e32 v4, 0, v11, vcc
	v_lshl_add_u64 v[2:3], v[2:3], 0, v[4:5]
.LBB214_85:
	s_or_b64 exec, exec, s[4:5]
	v_cmp_eq_u32_e32 vcc, 0, v1
	s_and_saveexec_b64 s[0:1], vcc
; %bb.86:
	v_lshrrev_b32_e32 v4, 3, v0
	v_and_b32_e32 v4, 24, v4
	ds_write_b64 v4, v[2:3] offset:160
; %bb.87:
	s_or_b64 exec, exec, s[0:1]
	v_cmp_gt_u32_e32 vcc, 4, v0
	s_waitcnt lgkmcnt(0)
	s_barrier
	s_and_saveexec_b64 s[0:1], vcc
	s_cbranch_execz .LBB214_91
; %bb.88:
	v_lshlrev_b32_e32 v2, 3, v1
	ds_read_b64 v[2:3], v2 offset:160
	v_and_b32_e32 v6, 3, v1
	v_cmp_ne_u32_e32 vcc, 3, v6
	v_mov_b32_e32 v8, 0
	s_add_i32 s6, s6, 63
	v_addc_co_u32_e32 v1, vcc, 0, v1, vcc
	v_lshlrev_b32_e32 v1, 2, v1
	s_waitcnt lgkmcnt(0)
	ds_bpermute_b32 v4, v1, v2
	ds_bpermute_b32 v9, v1, v3
	v_mov_b32_e32 v5, v8
	s_lshr_b32 s6, s6, 6
	v_add_u32_e32 v1, 1, v6
	s_waitcnt lgkmcnt(1)
	v_lshl_add_u64 v[12:13], v[2:3], 0, v[4:5]
	s_waitcnt lgkmcnt(0)
	v_lshl_add_u64 v[4:5], v[8:9], 0, v[12:13]
	v_cmp_gt_u32_e32 vcc, s6, v1
	v_or_b32_e32 v8, 8, v10
	s_nop 0
	v_cndmask_b32_e32 v7, v3, v5, vcc
	v_cndmask_b32_e32 v1, v2, v12, vcc
	ds_bpermute_b32 v1, v8, v1
	ds_bpermute_b32 v7, v8, v7
	s_and_saveexec_b64 s[4:5], vcc
	s_cbranch_execz .LBB214_90
; %bb.89:
	v_add_u32_e32 v2, 2, v6
	v_cmp_gt_u32_e32 vcc, s6, v2
	s_waitcnt lgkmcnt(0)
	s_nop 0
	v_cndmask_b32_e32 v3, 0, v7, vcc
	v_cndmask_b32_e32 v2, 0, v1, vcc
	v_lshl_add_u64 v[2:3], v[2:3], 0, v[4:5]
.LBB214_90:
	s_or_b64 exec, exec, s[4:5]
.LBB214_91:
	s_or_b64 exec, exec, s[0:1]
.LBB214_92:
	v_cmp_eq_u32_e64 s[0:1], 0, v0
	v_mov_b64_e32 v[4:5], s[2:3]
.LBB214_93:
	s_branch .LBB214_120
.LBB214_94:
	s_cmp_eq_u32 s33, 4
                                        ; implicit-def: $vgpr2_vgpr3
                                        ; implicit-def: $vgpr4_vgpr5
	s_cbranch_scc0 .LBB214_120
; %bb.95:
	s_mov_b32 s3, 0
	s_lshl_b32 s0, s2, 10
	s_mov_b32 s1, s3
	s_lshr_b64 s[4:5], s[38:39], 10
	s_lshl_b64 s[6:7], s[0:1], 3
	s_add_u32 s6, s36, s6
	s_addc_u32 s7, s37, s7
	s_cmp_lg_u64 s[4:5], s[2:3]
	s_cbranch_scc0 .LBB214_101
; %bb.96:
	v_lshlrev_b32_e32 v2, 3, v0
	v_mov_b32_e32 v3, 0
	v_lshl_add_u64 v[4:5], s[6:7], 0, v[2:3]
	v_add_co_u32_e32 v4, vcc, 0x1000, v4
	v_mov_b32_e32 v14, v3
	s_nop 0
	v_addc_co_u32_e32 v5, vcc, 0, v5, vcc
	s_waitcnt lgkmcnt(0)
	global_load_dwordx2 v[6:7], v2, s[6:7]
	global_load_dwordx2 v[8:9], v2, s[6:7] offset:2048
	global_load_dwordx2 v[10:11], v[4:5], off
	global_load_dwordx2 v[12:13], v[4:5], off offset:2048
	v_mov_b32_e32 v16, v3
	v_mov_b32_e32 v18, v3
	;; [unrolled: 1-line block ×3, first 2 shown]
	v_mbcnt_lo_u32_b32 v1, -1, 0
	v_mov_b32_e32 v22, v3
	v_mbcnt_hi_u32_b32 v1, -1, v1
	v_lshlrev_b32_e32 v4, 2, v1
	v_or_b32_e32 v5, 0xfc, v4
	v_cmp_eq_u32_e32 vcc, 0, v1
	s_waitcnt vmcnt(2)
	v_lshl_add_u64 v[6:7], v[8:9], 0, v[6:7]
	s_waitcnt vmcnt(1)
	v_lshl_add_u64 v[6:7], v[6:7], 0, v[10:11]
	;; [unrolled: 2-line block ×3, first 2 shown]
	s_nop 1
	v_mov_b32_dpp v2, v6 quad_perm:[1,0,3,2] row_mask:0xf bank_mask:0xf bound_ctrl:1
	v_mov_b32_dpp v15, v7 quad_perm:[1,0,3,2] row_mask:0xf bank_mask:0xf bound_ctrl:1
	v_lshl_add_u64 v[6:7], v[6:7], 0, v[2:3]
	v_lshl_add_u64 v[8:9], v[14:15], 0, v[6:7]
	s_nop 0
	v_mov_b32_dpp v2, v6 quad_perm:[2,3,0,1] row_mask:0xf bank_mask:0xf bound_ctrl:1
	v_mov_b32_dpp v17, v9 quad_perm:[2,3,0,1] row_mask:0xf bank_mask:0xf bound_ctrl:1
	v_lshl_add_u64 v[6:7], v[8:9], 0, v[2:3]
	v_lshl_add_u64 v[8:9], v[6:7], 0, v[16:17]
	s_nop 0
	v_mov_b32_dpp v2, v6 row_ror:4 row_mask:0xf bank_mask:0xf bound_ctrl:1
	v_mov_b32_dpp v19, v9 row_ror:4 row_mask:0xf bank_mask:0xf bound_ctrl:1
	v_lshl_add_u64 v[6:7], v[8:9], 0, v[2:3]
	v_lshl_add_u64 v[8:9], v[6:7], 0, v[18:19]
	s_nop 0
	v_mov_b32_dpp v2, v6 row_ror:8 row_mask:0xf bank_mask:0xf bound_ctrl:1
	v_mov_b32_dpp v21, v9 row_ror:8 row_mask:0xf bank_mask:0xf bound_ctrl:1
	v_lshl_add_u64 v[6:7], v[8:9], 0, v[2:3]
	v_lshl_add_u64 v[8:9], v[6:7], 0, v[20:21]
	s_nop 0
	v_mov_b32_dpp v2, v6 row_bcast:15 row_mask:0xf bank_mask:0xf bound_ctrl:1
	v_mov_b32_dpp v23, v9 row_bcast:15 row_mask:0xf bank_mask:0xf bound_ctrl:1
	v_lshl_add_u64 v[6:7], v[8:9], 0, v[2:3]
	v_lshl_add_u64 v[8:9], v[6:7], 0, v[22:23]
	s_nop 0
	v_mov_b32_dpp v2, v6 row_bcast:31 row_mask:0xf bank_mask:0xf bound_ctrl:1
	v_lshl_add_u64 v[2:3], v[8:9], 0, v[2:3]
	ds_bpermute_b32 v2, v5, v2
	s_nop 0
	v_add_u32_dpp v3, v9, v3 row_bcast:31 row_mask:0xf bank_mask:0xf bound_ctrl:1
	ds_bpermute_b32 v3, v5, v3
	s_and_saveexec_b64 s[4:5], vcc
	s_cbranch_execz .LBB214_98
; %bb.97:
	v_lshrrev_b32_e32 v5, 3, v0
	v_and_b32_e32 v5, 24, v5
	s_waitcnt lgkmcnt(0)
	ds_write_b64 v5, v[2:3] offset:96
.LBB214_98:
	s_or_b64 exec, exec, s[4:5]
	v_cmp_gt_u32_e32 vcc, 64, v0
	s_waitcnt lgkmcnt(0)
	s_barrier
	s_and_saveexec_b64 s[4:5], vcc
	s_cbranch_execz .LBB214_100
; %bb.99:
	v_and_b32_e32 v5, 3, v1
	v_lshlrev_b32_e32 v2, 3, v5
	ds_read_b64 v[2:3], v2 offset:96
	v_cmp_ne_u32_e32 vcc, 3, v5
	v_mov_b32_e32 v8, 0
	v_mov_b32_e32 v7, v8
	v_addc_co_u32_e32 v1, vcc, 0, v1, vcc
	v_lshlrev_b32_e32 v1, 2, v1
	s_waitcnt lgkmcnt(0)
	ds_bpermute_b32 v6, v1, v2
	ds_bpermute_b32 v9, v1, v3
	v_or_b32_e32 v1, 8, v4
	s_waitcnt lgkmcnt(1)
	v_lshl_add_u64 v[2:3], v[2:3], 0, v[6:7]
	s_waitcnt lgkmcnt(0)
	v_lshl_add_u64 v[4:5], v[8:9], 0, v[2:3]
	ds_bpermute_b32 v2, v1, v2
	ds_bpermute_b32 v9, v1, v5
	v_mov_b32_e32 v3, v8
	s_waitcnt lgkmcnt(1)
	v_lshl_add_u64 v[2:3], v[4:5], 0, v[2:3]
	s_waitcnt lgkmcnt(0)
	v_lshl_add_u64 v[2:3], v[2:3], 0, v[8:9]
.LBB214_100:
	s_or_b64 exec, exec, s[4:5]
	s_branch .LBB214_119
.LBB214_101:
                                        ; implicit-def: $vgpr2_vgpr3
	s_cbranch_execz .LBB214_119
; %bb.102:
	s_sub_i32 s10, s38, s0
	v_mov_b32_e32 v2, 0
	v_cmp_gt_u32_e32 vcc, s10, v0
	v_mov_b32_e32 v3, v2
	v_mov_b32_e32 v4, v2
	;; [unrolled: 1-line block ×4, first 2 shown]
	s_waitcnt lgkmcnt(0)
	v_mov_b32_e32 v7, v2
	v_mov_b32_e32 v8, v2
	;; [unrolled: 1-line block ×3, first 2 shown]
	s_and_saveexec_b64 s[0:1], vcc
	s_cbranch_execz .LBB214_104
; %bb.103:
	v_lshlrev_b32_e32 v1, 3, v0
	global_load_dwordx2 v[4:5], v1, s[6:7]
	v_mov_b32_e32 v6, v2
	v_mov_b32_e32 v7, v2
	;; [unrolled: 1-line block ×6, first 2 shown]
	s_waitcnt vmcnt(0)
	v_mov_b64_e32 v[2:3], v[4:5]
	v_mov_b64_e32 v[4:5], v[6:7]
	;; [unrolled: 1-line block ×4, first 2 shown]
.LBB214_104:
	s_or_b64 exec, exec, s[0:1]
	v_or_b32_e32 v1, 0x100, v0
	v_cmp_gt_u32_e32 vcc, s10, v1
	s_and_saveexec_b64 s[0:1], vcc
	s_cbranch_execz .LBB214_106
; %bb.105:
	v_lshlrev_b32_e32 v1, 3, v0
	global_load_dwordx2 v[4:5], v1, s[6:7] offset:2048
.LBB214_106:
	s_or_b64 exec, exec, s[0:1]
	v_or_b32_e32 v1, 0x200, v0
	v_cmp_gt_u32_e64 s[0:1], s10, v1
	s_and_saveexec_b64 s[4:5], s[0:1]
	s_cbranch_execz .LBB214_108
; %bb.107:
	v_lshlrev_b32_e32 v1, 3, v1
	global_load_dwordx2 v[6:7], v1, s[6:7]
.LBB214_108:
	s_or_b64 exec, exec, s[4:5]
	v_or_b32_e32 v1, 0x300, v0
	v_cmp_gt_u32_e64 s[4:5], s10, v1
	s_and_saveexec_b64 s[8:9], s[4:5]
	s_cbranch_execz .LBB214_110
; %bb.109:
	v_lshlrev_b32_e32 v1, 3, v1
	global_load_dwordx2 v[8:9], v1, s[6:7]
.LBB214_110:
	s_or_b64 exec, exec, s[8:9]
	s_waitcnt vmcnt(0)
	v_cndmask_b32_e32 v5, 0, v5, vcc
	v_cndmask_b32_e32 v4, 0, v4, vcc
	v_mbcnt_lo_u32_b32 v1, -1, 0
	v_lshl_add_u64 v[2:3], v[4:5], 0, v[2:3]
	v_cndmask_b32_e64 v5, 0, v7, s[0:1]
	v_cndmask_b32_e64 v4, 0, v6, s[0:1]
	v_mbcnt_hi_u32_b32 v1, -1, v1
	v_lshl_add_u64 v[2:3], v[2:3], 0, v[4:5]
	v_cndmask_b32_e64 v5, 0, v9, s[4:5]
	v_cndmask_b32_e64 v4, 0, v8, s[4:5]
	v_and_b32_e32 v9, 63, v1
	v_lshl_add_u64 v[2:3], v[2:3], 0, v[4:5]
	s_min_u32 s6, s10, 0x100
	v_and_b32_e32 v4, 0xc0, v0
	v_cmp_ne_u32_e32 vcc, 63, v9
	v_sub_u32_e64 v8, s6, v4 clamp
	v_mov_b32_e32 v6, 0
	v_addc_co_u32_e32 v4, vcc, 0, v1, vcc
	v_lshlrev_b32_e32 v5, 2, v4
	ds_bpermute_b32 v4, v5, v2
	ds_bpermute_b32 v7, v5, v3
	v_add_u32_e32 v10, 1, v9
	v_mov_b32_e32 v5, v6
	v_cmp_lt_u32_e64 s[0:1], v10, v8
	s_waitcnt lgkmcnt(1)
	v_lshl_add_u64 v[4:5], v[2:3], 0, v[4:5]
	v_cmp_gt_u32_e32 vcc, 62, v9
	s_waitcnt lgkmcnt(0)
	v_lshl_add_u64 v[6:7], v[6:7], 0, v[4:5]
	v_cndmask_b32_e64 v12, v2, v4, s[0:1]
	v_cndmask_b32_e64 v4, 0, 2, vcc
	v_cndmask_b32_e64 v5, v3, v7, s[0:1]
	v_add_lshl_u32 v4, v4, v1, 2
	ds_bpermute_b32 v10, v4, v12
	ds_bpermute_b32 v11, v4, v5
	v_cndmask_b32_e64 v4, v2, v6, s[0:1]
	v_add_u32_e32 v13, 2, v9
	v_cmp_lt_u32_e32 vcc, v13, v8
	v_cmp_gt_u32_e64 s[4:5], 60, v9
	s_waitcnt lgkmcnt(0)
	v_lshl_add_u64 v[6:7], v[10:11], 0, v[4:5]
	v_cndmask_b32_e32 v5, v5, v7, vcc
	v_cndmask_b32_e64 v7, 0, 4, s[4:5]
	v_cndmask_b32_e32 v12, v12, v6, vcc
	v_add_lshl_u32 v7, v7, v1, 2
	ds_bpermute_b32 v10, v7, v12
	ds_bpermute_b32 v11, v7, v5
	v_cndmask_b32_e32 v4, v4, v6, vcc
	v_add_u32_e32 v13, 4, v9
	v_cmp_lt_u32_e32 vcc, v13, v8
	v_cmp_gt_u32_e64 s[4:5], 56, v9
	s_waitcnt lgkmcnt(0)
	v_lshl_add_u64 v[6:7], v[10:11], 0, v[4:5]
	v_cndmask_b32_e32 v5, v5, v7, vcc
	v_cndmask_b32_e64 v7, 0, 8, s[4:5]
	v_cndmask_b32_e32 v12, v12, v6, vcc
	v_add_lshl_u32 v7, v7, v1, 2
	ds_bpermute_b32 v10, v7, v12
	ds_bpermute_b32 v11, v7, v5
	v_cndmask_b32_e32 v4, v4, v6, vcc
	;; [unrolled: 12-line block ×3, first 2 shown]
	v_add_u32_e32 v13, 16, v9
	v_cmp_lt_u32_e32 vcc, v13, v8
	s_waitcnt lgkmcnt(0)
	v_lshl_add_u64 v[6:7], v[10:11], 0, v[4:5]
	v_lshlrev_b32_e32 v10, 2, v1
	v_cndmask_b32_e32 v13, v5, v7, vcc
	v_cndmask_b32_e32 v11, v12, v6, vcc
	v_or_b32_e32 v12, 0x80, v10
	ds_bpermute_b32 v11, v12, v11
	ds_bpermute_b32 v12, v12, v13
	s_and_saveexec_b64 s[4:5], s[0:1]
	s_cbranch_execz .LBB214_112
; %bb.111:
	v_add_u32_e32 v9, 32, v9
	v_cndmask_b32_e32 v3, v5, v7, vcc
	v_cndmask_b32_e32 v2, v4, v6, vcc
	v_cmp_lt_u32_e32 vcc, v9, v8
	s_waitcnt lgkmcnt(0)
	s_nop 0
	v_cndmask_b32_e32 v5, 0, v12, vcc
	v_cndmask_b32_e32 v4, 0, v11, vcc
	v_lshl_add_u64 v[2:3], v[4:5], 0, v[2:3]
.LBB214_112:
	s_or_b64 exec, exec, s[4:5]
	v_cmp_eq_u32_e32 vcc, 0, v1
	s_and_saveexec_b64 s[0:1], vcc
; %bb.113:
	v_lshrrev_b32_e32 v4, 3, v0
	v_and_b32_e32 v4, 24, v4
	ds_write_b64 v4, v[2:3] offset:160
; %bb.114:
	s_or_b64 exec, exec, s[0:1]
	v_cmp_gt_u32_e32 vcc, 4, v0
	s_waitcnt lgkmcnt(0)
	s_barrier
	s_and_saveexec_b64 s[0:1], vcc
	s_cbranch_execz .LBB214_118
; %bb.115:
	v_lshlrev_b32_e32 v2, 3, v1
	ds_read_b64 v[2:3], v2 offset:160
	v_and_b32_e32 v6, 3, v1
	v_cmp_ne_u32_e32 vcc, 3, v6
	v_mov_b32_e32 v8, 0
	s_add_i32 s6, s6, 63
	v_addc_co_u32_e32 v1, vcc, 0, v1, vcc
	v_lshlrev_b32_e32 v1, 2, v1
	s_waitcnt lgkmcnt(0)
	ds_bpermute_b32 v4, v1, v2
	ds_bpermute_b32 v9, v1, v3
	v_mov_b32_e32 v5, v8
	s_lshr_b32 s6, s6, 6
	v_add_u32_e32 v1, 1, v6
	s_waitcnt lgkmcnt(1)
	v_lshl_add_u64 v[12:13], v[2:3], 0, v[4:5]
	s_waitcnt lgkmcnt(0)
	v_lshl_add_u64 v[4:5], v[8:9], 0, v[12:13]
	v_cmp_gt_u32_e32 vcc, s6, v1
	v_or_b32_e32 v8, 8, v10
	s_nop 0
	v_cndmask_b32_e32 v7, v3, v5, vcc
	v_cndmask_b32_e32 v1, v2, v12, vcc
	ds_bpermute_b32 v1, v8, v1
	ds_bpermute_b32 v7, v8, v7
	s_and_saveexec_b64 s[4:5], vcc
	s_cbranch_execz .LBB214_117
; %bb.116:
	v_add_u32_e32 v2, 2, v6
	v_cmp_gt_u32_e32 vcc, s6, v2
	s_waitcnt lgkmcnt(0)
	s_nop 0
	v_cndmask_b32_e32 v3, 0, v7, vcc
	v_cndmask_b32_e32 v2, 0, v1, vcc
	v_lshl_add_u64 v[2:3], v[2:3], 0, v[4:5]
.LBB214_117:
	s_or_b64 exec, exec, s[4:5]
.LBB214_118:
	s_or_b64 exec, exec, s[0:1]
.LBB214_119:
	v_cmp_eq_u32_e64 s[0:1], 0, v0
	v_mov_b64_e32 v[4:5], s[2:3]
.LBB214_120:
	s_branch .LBB214_166
.LBB214_121:
	s_cmp_gt_i32 s33, 1
	s_cbranch_scc0 .LBB214_129
; %bb.122:
	s_cmp_eq_u32 s33, 2
                                        ; implicit-def: $vgpr2_vgpr3
                                        ; implicit-def: $vgpr4_vgpr5
	s_cbranch_scc0 .LBB214_130
; %bb.123:
	s_mov_b32 s3, 0
	s_lshl_b32 s4, s2, 9
	s_mov_b32 s5, s3
	s_lshr_b64 s[6:7], s[38:39], 9
	s_lshl_b64 s[0:1], s[4:5], 3
	s_add_u32 s0, s36, s0
	s_addc_u32 s1, s37, s1
	s_cmp_lg_u64 s[6:7], s[2:3]
	s_cbranch_scc0 .LBB214_131
; %bb.124:
	s_waitcnt lgkmcnt(1)
	v_lshlrev_b32_e32 v1, 3, v0
	global_load_dwordx2 v[2:3], v1, s[0:1]
	s_waitcnt lgkmcnt(0)
	global_load_dwordx2 v[6:7], v1, s[0:1] offset:2048
	v_mov_b32_e32 v8, 0
	v_mov_b32_e32 v11, v8
	;; [unrolled: 1-line block ×6, first 2 shown]
	v_mbcnt_lo_u32_b32 v1, -1, 0
	v_mbcnt_hi_u32_b32 v1, -1, v1
	v_mov_b32_e32 v21, v8
	v_lshlrev_b32_e32 v4, 2, v1
	v_or_b32_e32 v5, 0xfc, v4
	v_cmp_eq_u32_e32 vcc, 0, v1
	s_waitcnt vmcnt(0)
	v_lshl_add_u64 v[2:3], v[6:7], 0, v[2:3]
	s_nop 1
	v_mov_b32_dpp v10, v2 quad_perm:[1,0,3,2] row_mask:0xf bank_mask:0xf bound_ctrl:1
	v_mov_b32_dpp v9, v3 quad_perm:[1,0,3,2] row_mask:0xf bank_mask:0xf bound_ctrl:1
	v_lshl_add_u64 v[2:3], v[2:3], 0, v[10:11]
	v_lshl_add_u64 v[6:7], v[8:9], 0, v[2:3]
	s_nop 0
	v_mov_b32_dpp v12, v2 quad_perm:[2,3,0,1] row_mask:0xf bank_mask:0xf bound_ctrl:1
	v_mov_b32_dpp v9, v7 quad_perm:[2,3,0,1] row_mask:0xf bank_mask:0xf bound_ctrl:1
	v_lshl_add_u64 v[2:3], v[6:7], 0, v[12:13]
	v_lshl_add_u64 v[6:7], v[2:3], 0, v[8:9]
	s_nop 0
	v_mov_b32_dpp v14, v2 row_ror:4 row_mask:0xf bank_mask:0xf bound_ctrl:1
	v_mov_b32_dpp v9, v7 row_ror:4 row_mask:0xf bank_mask:0xf bound_ctrl:1
	v_lshl_add_u64 v[2:3], v[6:7], 0, v[14:15]
	v_lshl_add_u64 v[6:7], v[2:3], 0, v[8:9]
	s_nop 0
	v_mov_b32_dpp v16, v2 row_ror:8 row_mask:0xf bank_mask:0xf bound_ctrl:1
	v_mov_b32_dpp v9, v7 row_ror:8 row_mask:0xf bank_mask:0xf bound_ctrl:1
	v_lshl_add_u64 v[2:3], v[6:7], 0, v[16:17]
	v_lshl_add_u64 v[6:7], v[2:3], 0, v[8:9]
	s_nop 0
	v_mov_b32_dpp v18, v2 row_bcast:15 row_mask:0xf bank_mask:0xf bound_ctrl:1
	v_mov_b32_dpp v9, v7 row_bcast:15 row_mask:0xf bank_mask:0xf bound_ctrl:1
	v_lshl_add_u64 v[2:3], v[6:7], 0, v[18:19]
	v_lshl_add_u64 v[6:7], v[2:3], 0, v[8:9]
	s_nop 0
	v_mov_b32_dpp v20, v2 row_bcast:31 row_mask:0xf bank_mask:0xf bound_ctrl:1
	v_lshl_add_u64 v[2:3], v[6:7], 0, v[20:21]
	ds_bpermute_b32 v2, v5, v2
	s_nop 0
	v_add_u32_dpp v3, v7, v3 row_bcast:31 row_mask:0xf bank_mask:0xf bound_ctrl:1
	ds_bpermute_b32 v3, v5, v3
	s_and_saveexec_b64 s[6:7], vcc
	s_cbranch_execz .LBB214_126
; %bb.125:
	v_lshrrev_b32_e32 v5, 3, v0
	v_and_b32_e32 v5, 24, v5
	s_waitcnt lgkmcnt(0)
	ds_write_b64 v5, v[2:3] offset:64
.LBB214_126:
	s_or_b64 exec, exec, s[6:7]
	v_cmp_gt_u32_e32 vcc, 64, v0
	s_waitcnt lgkmcnt(0)
	s_barrier
	s_and_saveexec_b64 s[6:7], vcc
	s_cbranch_execz .LBB214_128
; %bb.127:
	v_and_b32_e32 v5, 3, v1
	v_lshlrev_b32_e32 v2, 3, v5
	ds_read_b64 v[2:3], v2 offset:64
	v_cmp_ne_u32_e32 vcc, 3, v5
	v_mov_b32_e32 v8, 0
	v_mov_b32_e32 v7, v8
	v_addc_co_u32_e32 v1, vcc, 0, v1, vcc
	v_lshlrev_b32_e32 v1, 2, v1
	s_waitcnt lgkmcnt(0)
	ds_bpermute_b32 v6, v1, v2
	ds_bpermute_b32 v9, v1, v3
	v_or_b32_e32 v1, 8, v4
	s_waitcnt lgkmcnt(1)
	v_lshl_add_u64 v[2:3], v[2:3], 0, v[6:7]
	s_waitcnt lgkmcnt(0)
	v_lshl_add_u64 v[4:5], v[8:9], 0, v[2:3]
	ds_bpermute_b32 v2, v1, v2
	ds_bpermute_b32 v9, v1, v5
	v_mov_b32_e32 v3, v8
	s_waitcnt lgkmcnt(1)
	v_lshl_add_u64 v[2:3], v[4:5], 0, v[2:3]
	s_waitcnt lgkmcnt(0)
	v_lshl_add_u64 v[2:3], v[2:3], 0, v[8:9]
.LBB214_128:
	s_or_b64 exec, exec, s[6:7]
	s_branch .LBB214_145
.LBB214_129:
                                        ; implicit-def: $vgpr2_vgpr3
                                        ; implicit-def: $vgpr4_vgpr5
	s_cbranch_execnz .LBB214_146
	s_branch .LBB214_166
.LBB214_130:
	s_branch .LBB214_166
.LBB214_131:
                                        ; implicit-def: $vgpr2_vgpr3
	s_cbranch_execz .LBB214_145
; %bb.132:
	s_sub_i32 s6, s38, s4
	v_mov_b32_e32 v2, 0
	v_cmp_gt_u32_e32 vcc, s6, v0
	v_mov_b32_e32 v3, v2
	v_mov_b32_e32 v4, v2
	;; [unrolled: 1-line block ×3, first 2 shown]
	s_and_saveexec_b64 s[4:5], vcc
	s_cbranch_execz .LBB214_134
; %bb.133:
	s_waitcnt lgkmcnt(1)
	v_lshlrev_b32_e32 v1, 3, v0
	global_load_dwordx2 v[4:5], v1, s[0:1]
	v_mov_b32_e32 v6, v2
	s_waitcnt lgkmcnt(0)
	v_mov_b32_e32 v7, v2
	s_waitcnt vmcnt(0)
	v_mov_b64_e32 v[2:3], v[4:5]
	v_mov_b64_e32 v[4:5], v[6:7]
.LBB214_134:
	s_or_b64 exec, exec, s[4:5]
	s_waitcnt lgkmcnt(1)
	v_or_b32_e32 v1, 0x100, v0
	v_cmp_gt_u32_e32 vcc, s6, v1
	s_and_saveexec_b64 s[4:5], vcc
	s_cbranch_execz .LBB214_136
; %bb.135:
	v_lshlrev_b32_e32 v1, 3, v0
	global_load_dwordx2 v[4:5], v1, s[0:1] offset:2048
.LBB214_136:
	s_or_b64 exec, exec, s[4:5]
	v_mbcnt_lo_u32_b32 v1, -1, 0
	v_mbcnt_hi_u32_b32 v1, -1, v1
	s_waitcnt vmcnt(0)
	v_cndmask_b32_e32 v5, 0, v5, vcc
	v_cndmask_b32_e32 v4, 0, v4, vcc
	v_and_b32_e32 v9, 63, v1
	v_lshl_add_u64 v[2:3], v[4:5], 0, v[2:3]
	s_min_u32 s6, s6, 0x100
	v_and_b32_e32 v4, 0xc0, v0
	v_cmp_ne_u32_e32 vcc, 63, v9
	v_sub_u32_e64 v8, s6, v4 clamp
	v_mov_b32_e32 v6, 0
	v_addc_co_u32_e32 v4, vcc, 0, v1, vcc
	v_lshlrev_b32_e32 v5, 2, v4
	ds_bpermute_b32 v4, v5, v2
	s_waitcnt lgkmcnt(1)
	ds_bpermute_b32 v7, v5, v3
	v_add_u32_e32 v10, 1, v9
	v_mov_b32_e32 v5, v6
	v_cmp_lt_u32_e64 s[0:1], v10, v8
	s_waitcnt lgkmcnt(1)
	v_lshl_add_u64 v[4:5], v[2:3], 0, v[4:5]
	v_cmp_gt_u32_e32 vcc, 62, v9
	s_waitcnt lgkmcnt(0)
	v_lshl_add_u64 v[6:7], v[6:7], 0, v[4:5]
	v_cndmask_b32_e64 v12, v2, v4, s[0:1]
	v_cndmask_b32_e64 v4, 0, 2, vcc
	v_cndmask_b32_e64 v5, v3, v7, s[0:1]
	v_add_lshl_u32 v4, v4, v1, 2
	ds_bpermute_b32 v10, v4, v12
	ds_bpermute_b32 v11, v4, v5
	v_cndmask_b32_e64 v4, v2, v6, s[0:1]
	v_add_u32_e32 v13, 2, v9
	v_cmp_lt_u32_e32 vcc, v13, v8
	v_cmp_gt_u32_e64 s[4:5], 60, v9
	s_waitcnt lgkmcnt(0)
	v_lshl_add_u64 v[6:7], v[10:11], 0, v[4:5]
	v_cndmask_b32_e32 v5, v5, v7, vcc
	v_cndmask_b32_e64 v7, 0, 4, s[4:5]
	v_cndmask_b32_e32 v12, v12, v6, vcc
	v_add_lshl_u32 v7, v7, v1, 2
	ds_bpermute_b32 v10, v7, v12
	ds_bpermute_b32 v11, v7, v5
	v_cndmask_b32_e32 v4, v4, v6, vcc
	v_add_u32_e32 v13, 4, v9
	v_cmp_lt_u32_e32 vcc, v13, v8
	v_cmp_gt_u32_e64 s[4:5], 56, v9
	s_waitcnt lgkmcnt(0)
	v_lshl_add_u64 v[6:7], v[10:11], 0, v[4:5]
	v_cndmask_b32_e32 v5, v5, v7, vcc
	v_cndmask_b32_e64 v7, 0, 8, s[4:5]
	v_cndmask_b32_e32 v12, v12, v6, vcc
	v_add_lshl_u32 v7, v7, v1, 2
	ds_bpermute_b32 v10, v7, v12
	ds_bpermute_b32 v11, v7, v5
	v_cndmask_b32_e32 v4, v4, v6, vcc
	;; [unrolled: 12-line block ×3, first 2 shown]
	v_add_u32_e32 v13, 16, v9
	v_cmp_lt_u32_e32 vcc, v13, v8
	s_waitcnt lgkmcnt(0)
	v_lshl_add_u64 v[6:7], v[10:11], 0, v[4:5]
	v_lshlrev_b32_e32 v10, 2, v1
	v_cndmask_b32_e32 v13, v5, v7, vcc
	v_cndmask_b32_e32 v11, v12, v6, vcc
	v_or_b32_e32 v12, 0x80, v10
	ds_bpermute_b32 v11, v12, v11
	ds_bpermute_b32 v12, v12, v13
	s_and_saveexec_b64 s[4:5], s[0:1]
	s_cbranch_execz .LBB214_138
; %bb.137:
	v_add_u32_e32 v9, 32, v9
	v_cndmask_b32_e32 v3, v5, v7, vcc
	v_cndmask_b32_e32 v2, v4, v6, vcc
	v_cmp_lt_u32_e32 vcc, v9, v8
	s_waitcnt lgkmcnt(0)
	s_nop 0
	v_cndmask_b32_e32 v5, 0, v12, vcc
	v_cndmask_b32_e32 v4, 0, v11, vcc
	v_lshl_add_u64 v[2:3], v[4:5], 0, v[2:3]
.LBB214_138:
	s_or_b64 exec, exec, s[4:5]
	v_cmp_eq_u32_e32 vcc, 0, v1
	s_and_saveexec_b64 s[0:1], vcc
; %bb.139:
	v_lshrrev_b32_e32 v4, 3, v0
	v_and_b32_e32 v4, 24, v4
	ds_write_b64 v4, v[2:3] offset:160
; %bb.140:
	s_or_b64 exec, exec, s[0:1]
	v_cmp_gt_u32_e32 vcc, 4, v0
	s_waitcnt lgkmcnt(0)
	s_barrier
	s_and_saveexec_b64 s[0:1], vcc
	s_cbranch_execz .LBB214_144
; %bb.141:
	v_lshlrev_b32_e32 v2, 3, v1
	ds_read_b64 v[2:3], v2 offset:160
	v_and_b32_e32 v6, 3, v1
	v_cmp_ne_u32_e32 vcc, 3, v6
	v_mov_b32_e32 v8, 0
	s_add_i32 s6, s6, 63
	v_addc_co_u32_e32 v1, vcc, 0, v1, vcc
	v_lshlrev_b32_e32 v1, 2, v1
	s_waitcnt lgkmcnt(0)
	ds_bpermute_b32 v4, v1, v2
	ds_bpermute_b32 v9, v1, v3
	v_mov_b32_e32 v5, v8
	s_lshr_b32 s6, s6, 6
	v_add_u32_e32 v1, 1, v6
	s_waitcnt lgkmcnt(1)
	v_lshl_add_u64 v[12:13], v[2:3], 0, v[4:5]
	s_waitcnt lgkmcnt(0)
	v_lshl_add_u64 v[4:5], v[8:9], 0, v[12:13]
	v_cmp_gt_u32_e32 vcc, s6, v1
	v_or_b32_e32 v8, 8, v10
	s_nop 0
	v_cndmask_b32_e32 v7, v3, v5, vcc
	v_cndmask_b32_e32 v1, v2, v12, vcc
	ds_bpermute_b32 v1, v8, v1
	ds_bpermute_b32 v7, v8, v7
	s_and_saveexec_b64 s[4:5], vcc
	s_cbranch_execz .LBB214_143
; %bb.142:
	v_add_u32_e32 v2, 2, v6
	v_cmp_gt_u32_e32 vcc, s6, v2
	s_waitcnt lgkmcnt(0)
	s_nop 0
	v_cndmask_b32_e32 v3, 0, v7, vcc
	v_cndmask_b32_e32 v2, 0, v1, vcc
	v_lshl_add_u64 v[2:3], v[2:3], 0, v[4:5]
.LBB214_143:
	s_or_b64 exec, exec, s[4:5]
.LBB214_144:
	s_or_b64 exec, exec, s[0:1]
.LBB214_145:
	v_cmp_eq_u32_e64 s[0:1], 0, v0
	v_mov_b64_e32 v[4:5], s[2:3]
	s_branch .LBB214_166
.LBB214_146:
	s_cmp_eq_u32 s33, 1
                                        ; implicit-def: $vgpr2_vgpr3
                                        ; implicit-def: $vgpr4_vgpr5
	s_cbranch_scc0 .LBB214_166
; %bb.147:
	s_mov_b32 s1, 0
	s_lshl_b32 s0, s2, 8
	s_mov_b32 s3, s1
	s_lshr_b64 s[4:5], s[38:39], 8
	s_cmp_lg_u64 s[4:5], s[2:3]
	s_waitcnt lgkmcnt(1)
	v_mbcnt_lo_u32_b32 v1, -1, 0
	s_cbranch_scc0 .LBB214_153
; %bb.148:
	s_lshl_b64 s[4:5], s[0:1], 3
	s_add_u32 s4, s36, s4
	s_addc_u32 s5, s37, s5
	v_lshlrev_b32_e32 v2, 3, v0
	global_load_dwordx2 v[2:3], v2, s[4:5]
	v_mov_b32_e32 v6, 0
	v_mov_b32_e32 v9, v6
	;; [unrolled: 1-line block ×6, first 2 shown]
	v_mbcnt_hi_u32_b32 v4, -1, v1
	v_mov_b32_e32 v19, v6
	v_lshlrev_b32_e32 v5, 2, v4
	v_or_b32_e32 v20, 0xfc, v5
	v_cmp_eq_u32_e32 vcc, 0, v4
	s_waitcnt vmcnt(0)
	v_mov_b32_dpp v8, v2 quad_perm:[1,0,3,2] row_mask:0xf bank_mask:0xf bound_ctrl:1
	s_waitcnt lgkmcnt(0)
	v_mov_b32_dpp v7, v3 quad_perm:[1,0,3,2] row_mask:0xf bank_mask:0xf bound_ctrl:1
	v_lshl_add_u64 v[2:3], v[2:3], 0, v[8:9]
	v_lshl_add_u64 v[8:9], v[6:7], 0, v[2:3]
	s_nop 0
	v_mov_b32_dpp v10, v2 quad_perm:[2,3,0,1] row_mask:0xf bank_mask:0xf bound_ctrl:1
	v_mov_b32_dpp v7, v9 quad_perm:[2,3,0,1] row_mask:0xf bank_mask:0xf bound_ctrl:1
	v_lshl_add_u64 v[2:3], v[8:9], 0, v[10:11]
	v_lshl_add_u64 v[8:9], v[2:3], 0, v[6:7]
	s_nop 0
	v_mov_b32_dpp v12, v2 row_ror:4 row_mask:0xf bank_mask:0xf bound_ctrl:1
	v_mov_b32_dpp v7, v9 row_ror:4 row_mask:0xf bank_mask:0xf bound_ctrl:1
	v_lshl_add_u64 v[2:3], v[8:9], 0, v[12:13]
	v_lshl_add_u64 v[8:9], v[2:3], 0, v[6:7]
	s_nop 0
	v_mov_b32_dpp v14, v2 row_ror:8 row_mask:0xf bank_mask:0xf bound_ctrl:1
	v_mov_b32_dpp v7, v9 row_ror:8 row_mask:0xf bank_mask:0xf bound_ctrl:1
	v_lshl_add_u64 v[2:3], v[8:9], 0, v[14:15]
	v_lshl_add_u64 v[8:9], v[2:3], 0, v[6:7]
	s_nop 0
	v_mov_b32_dpp v16, v2 row_bcast:15 row_mask:0xf bank_mask:0xf bound_ctrl:1
	v_mov_b32_dpp v7, v9 row_bcast:15 row_mask:0xf bank_mask:0xf bound_ctrl:1
	v_lshl_add_u64 v[2:3], v[8:9], 0, v[16:17]
	v_lshl_add_u64 v[6:7], v[2:3], 0, v[6:7]
	s_nop 0
	v_mov_b32_dpp v18, v2 row_bcast:31 row_mask:0xf bank_mask:0xf bound_ctrl:1
	v_lshl_add_u64 v[2:3], v[6:7], 0, v[18:19]
	ds_bpermute_b32 v2, v20, v2
	s_nop 0
	v_add_u32_dpp v3, v7, v3 row_bcast:31 row_mask:0xf bank_mask:0xf bound_ctrl:1
	ds_bpermute_b32 v3, v20, v3
	s_and_saveexec_b64 s[4:5], vcc
	s_cbranch_execz .LBB214_150
; %bb.149:
	v_lshrrev_b32_e32 v6, 3, v0
	v_and_b32_e32 v6, 24, v6
	s_waitcnt lgkmcnt(0)
	ds_write_b64 v6, v[2:3] offset:32
.LBB214_150:
	s_or_b64 exec, exec, s[4:5]
	v_cmp_gt_u32_e32 vcc, 64, v0
	s_waitcnt lgkmcnt(0)
	s_barrier
	s_and_saveexec_b64 s[4:5], vcc
	s_cbranch_execz .LBB214_152
; %bb.151:
	v_and_b32_e32 v6, 3, v4
	v_lshlrev_b32_e32 v2, 3, v6
	ds_read_b64 v[2:3], v2 offset:32
	v_cmp_ne_u32_e32 vcc, 3, v6
	v_or_b32_e32 v8, 8, v5
	s_nop 0
	v_addc_co_u32_e32 v4, vcc, 0, v4, vcc
	v_lshlrev_b32_e32 v6, 2, v4
	s_waitcnt lgkmcnt(0)
	ds_bpermute_b32 v4, v6, v2
	ds_bpermute_b32 v7, v6, v3
	v_mov_b32_e32 v6, 0
	v_mov_b32_e32 v5, v6
	s_waitcnt lgkmcnt(1)
	v_lshl_add_u64 v[2:3], v[2:3], 0, v[4:5]
	s_waitcnt lgkmcnt(0)
	v_lshl_add_u64 v[4:5], v[6:7], 0, v[2:3]
	ds_bpermute_b32 v2, v8, v2
	ds_bpermute_b32 v7, v8, v5
	v_mov_b32_e32 v3, v6
	s_waitcnt lgkmcnt(1)
	v_lshl_add_u64 v[2:3], v[4:5], 0, v[2:3]
	s_waitcnt lgkmcnt(0)
	v_lshl_add_u64 v[2:3], v[2:3], 0, v[6:7]
.LBB214_152:
	s_or_b64 exec, exec, s[4:5]
	s_branch .LBB214_165
.LBB214_153:
                                        ; implicit-def: $vgpr2_vgpr3
	s_cbranch_execz .LBB214_165
; %bb.154:
	s_sub_i32 s6, s38, s0
	v_cmp_gt_u32_e32 vcc, s6, v0
                                        ; implicit-def: $vgpr2_vgpr3
	s_and_saveexec_b64 s[4:5], vcc
	s_cbranch_execz .LBB214_156
; %bb.155:
	s_lshl_b64 s[0:1], s[0:1], 3
	s_add_u32 s0, s36, s0
	s_addc_u32 s1, s37, s1
	v_lshlrev_b32_e32 v2, 3, v0
	global_load_dwordx2 v[2:3], v2, s[0:1]
.LBB214_156:
	s_or_b64 exec, exec, s[4:5]
	v_mbcnt_hi_u32_b32 v1, -1, v1
	v_and_b32_e32 v9, 63, v1
	s_min_u32 s6, s6, 0x100
	v_and_b32_e32 v4, 0xc0, v0
	v_cmp_ne_u32_e32 vcc, 63, v9
	v_sub_u32_e64 v8, s6, v4 clamp
	v_mov_b32_e32 v6, 0
	v_addc_co_u32_e32 v4, vcc, 0, v1, vcc
	v_lshlrev_b32_e32 v5, 2, v4
	s_waitcnt vmcnt(0)
	ds_bpermute_b32 v4, v5, v2
	s_waitcnt lgkmcnt(1)
	ds_bpermute_b32 v7, v5, v3
	v_add_u32_e32 v10, 1, v9
	v_mov_b32_e32 v5, v6
	v_cmp_lt_u32_e64 s[0:1], v10, v8
	s_waitcnt lgkmcnt(1)
	v_lshl_add_u64 v[4:5], v[2:3], 0, v[4:5]
	v_cmp_gt_u32_e32 vcc, 62, v9
	s_waitcnt lgkmcnt(0)
	v_lshl_add_u64 v[6:7], v[6:7], 0, v[4:5]
	v_cndmask_b32_e64 v12, v2, v4, s[0:1]
	v_cndmask_b32_e64 v4, 0, 2, vcc
	v_cndmask_b32_e64 v5, v3, v7, s[0:1]
	v_add_lshl_u32 v4, v4, v1, 2
	ds_bpermute_b32 v10, v4, v12
	ds_bpermute_b32 v11, v4, v5
	v_cndmask_b32_e64 v4, v2, v6, s[0:1]
	v_add_u32_e32 v13, 2, v9
	v_cmp_lt_u32_e32 vcc, v13, v8
	v_cmp_gt_u32_e64 s[4:5], 60, v9
	s_waitcnt lgkmcnt(0)
	v_lshl_add_u64 v[6:7], v[10:11], 0, v[4:5]
	v_cndmask_b32_e32 v5, v5, v7, vcc
	v_cndmask_b32_e64 v7, 0, 4, s[4:5]
	v_cndmask_b32_e32 v12, v12, v6, vcc
	v_add_lshl_u32 v7, v7, v1, 2
	ds_bpermute_b32 v10, v7, v12
	ds_bpermute_b32 v11, v7, v5
	v_cndmask_b32_e32 v4, v4, v6, vcc
	v_add_u32_e32 v13, 4, v9
	v_cmp_lt_u32_e32 vcc, v13, v8
	v_cmp_gt_u32_e64 s[4:5], 56, v9
	s_waitcnt lgkmcnt(0)
	v_lshl_add_u64 v[6:7], v[10:11], 0, v[4:5]
	v_cndmask_b32_e32 v5, v5, v7, vcc
	v_cndmask_b32_e64 v7, 0, 8, s[4:5]
	v_cndmask_b32_e32 v12, v12, v6, vcc
	v_add_lshl_u32 v7, v7, v1, 2
	ds_bpermute_b32 v10, v7, v12
	ds_bpermute_b32 v11, v7, v5
	v_cndmask_b32_e32 v4, v4, v6, vcc
	;; [unrolled: 12-line block ×3, first 2 shown]
	v_add_u32_e32 v13, 16, v9
	v_cmp_lt_u32_e32 vcc, v13, v8
	s_waitcnt lgkmcnt(0)
	v_lshl_add_u64 v[6:7], v[10:11], 0, v[4:5]
	v_lshlrev_b32_e32 v10, 2, v1
	v_cndmask_b32_e32 v13, v5, v7, vcc
	v_cndmask_b32_e32 v11, v12, v6, vcc
	v_or_b32_e32 v12, 0x80, v10
	ds_bpermute_b32 v11, v12, v11
	ds_bpermute_b32 v12, v12, v13
	s_and_saveexec_b64 s[4:5], s[0:1]
	s_cbranch_execz .LBB214_158
; %bb.157:
	v_add_u32_e32 v9, 32, v9
	v_cndmask_b32_e32 v3, v5, v7, vcc
	v_cndmask_b32_e32 v2, v4, v6, vcc
	v_cmp_lt_u32_e32 vcc, v9, v8
	s_waitcnt lgkmcnt(0)
	s_nop 0
	v_cndmask_b32_e32 v5, 0, v12, vcc
	v_cndmask_b32_e32 v4, 0, v11, vcc
	v_lshl_add_u64 v[2:3], v[4:5], 0, v[2:3]
.LBB214_158:
	s_or_b64 exec, exec, s[4:5]
	v_cmp_eq_u32_e32 vcc, 0, v1
	s_and_saveexec_b64 s[0:1], vcc
; %bb.159:
	v_lshrrev_b32_e32 v4, 3, v0
	v_and_b32_e32 v4, 24, v4
	ds_write_b64 v4, v[2:3] offset:160
; %bb.160:
	s_or_b64 exec, exec, s[0:1]
	v_cmp_gt_u32_e32 vcc, 4, v0
	s_waitcnt lgkmcnt(0)
	s_barrier
	s_and_saveexec_b64 s[0:1], vcc
	s_cbranch_execz .LBB214_164
; %bb.161:
	v_lshlrev_b32_e32 v2, 3, v1
	ds_read_b64 v[2:3], v2 offset:160
	v_and_b32_e32 v6, 3, v1
	v_cmp_ne_u32_e32 vcc, 3, v6
	v_mov_b32_e32 v8, 0
	s_add_i32 s6, s6, 63
	v_addc_co_u32_e32 v1, vcc, 0, v1, vcc
	v_lshlrev_b32_e32 v1, 2, v1
	s_waitcnt lgkmcnt(0)
	ds_bpermute_b32 v4, v1, v2
	ds_bpermute_b32 v9, v1, v3
	v_mov_b32_e32 v5, v8
	s_lshr_b32 s6, s6, 6
	v_add_u32_e32 v1, 1, v6
	s_waitcnt lgkmcnt(1)
	v_lshl_add_u64 v[12:13], v[2:3], 0, v[4:5]
	s_waitcnt lgkmcnt(0)
	v_lshl_add_u64 v[4:5], v[8:9], 0, v[12:13]
	v_cmp_gt_u32_e32 vcc, s6, v1
	v_or_b32_e32 v8, 8, v10
	s_nop 0
	v_cndmask_b32_e32 v7, v3, v5, vcc
	v_cndmask_b32_e32 v1, v2, v12, vcc
	ds_bpermute_b32 v1, v8, v1
	ds_bpermute_b32 v7, v8, v7
	s_and_saveexec_b64 s[4:5], vcc
	s_cbranch_execz .LBB214_163
; %bb.162:
	v_add_u32_e32 v2, 2, v6
	v_cmp_gt_u32_e32 vcc, s6, v2
	s_waitcnt lgkmcnt(0)
	s_nop 0
	v_cndmask_b32_e32 v3, 0, v7, vcc
	v_cndmask_b32_e32 v2, 0, v1, vcc
	v_lshl_add_u64 v[2:3], v[2:3], 0, v[4:5]
.LBB214_163:
	s_or_b64 exec, exec, s[4:5]
.LBB214_164:
	s_or_b64 exec, exec, s[0:1]
.LBB214_165:
	v_cmp_eq_u32_e64 s[0:1], 0, v0
	v_mov_b64_e32 v[4:5], s[2:3]
.LBB214_166:
	s_and_saveexec_b64 s[2:3], s[0:1]
	s_cbranch_execz .LBB214_168
; %bb.167:
	s_cmp_lg_u64 s[38:39], 0
	s_cselect_b64 vcc, -1, 0
	s_waitcnt lgkmcnt(1)
	v_lshlrev_b64 v[0:1], 3, v[4:5]
	v_cndmask_b32_e32 v3, 0, v3, vcc
	v_cndmask_b32_e32 v2, 0, v2, vcc
	v_lshl_add_u64 v[0:1], s[40:41], 0, v[0:1]
	v_lshl_add_u64 v[2:3], v[2:3], 0, s[42:43]
	global_store_dwordx2 v[0:1], v[2:3], off
.LBB214_168:
	s_endpgm
	.section	.rodata,"a",@progbits
	.p2align	6, 0x0
	.amdhsa_kernel _ZN7rocprim17ROCPRIM_400000_NS6detail17trampoline_kernelINS0_14default_configENS1_22reduce_config_selectorIxEEZNS1_11reduce_implILb1ES3_N6thrust23THRUST_200600_302600_NS6detail15normal_iteratorINS8_10device_ptrIxEEEEPxxNS8_4plusIxEEEE10hipError_tPvRmT1_T2_T3_mT4_P12ihipStream_tbEUlT_E1_NS1_11comp_targetILNS1_3genE0ELNS1_11target_archE4294967295ELNS1_3gpuE0ELNS1_3repE0EEENS1_30default_config_static_selectorELNS0_4arch9wavefront6targetE1EEEvSK_
		.amdhsa_group_segment_fixed_size 192
		.amdhsa_private_segment_fixed_size 0
		.amdhsa_kernarg_size 48
		.amdhsa_user_sgpr_count 2
		.amdhsa_user_sgpr_dispatch_ptr 0
		.amdhsa_user_sgpr_queue_ptr 0
		.amdhsa_user_sgpr_kernarg_segment_ptr 1
		.amdhsa_user_sgpr_dispatch_id 0
		.amdhsa_user_sgpr_kernarg_preload_length 0
		.amdhsa_user_sgpr_kernarg_preload_offset 0
		.amdhsa_user_sgpr_private_segment_size 0
		.amdhsa_uses_dynamic_stack 0
		.amdhsa_enable_private_segment 0
		.amdhsa_system_sgpr_workgroup_id_x 1
		.amdhsa_system_sgpr_workgroup_id_y 0
		.amdhsa_system_sgpr_workgroup_id_z 0
		.amdhsa_system_sgpr_workgroup_info 0
		.amdhsa_system_vgpr_workitem_id 0
		.amdhsa_next_free_vgpr 48
		.amdhsa_next_free_sgpr 47
		.amdhsa_accum_offset 48
		.amdhsa_reserve_vcc 1
		.amdhsa_float_round_mode_32 0
		.amdhsa_float_round_mode_16_64 0
		.amdhsa_float_denorm_mode_32 3
		.amdhsa_float_denorm_mode_16_64 3
		.amdhsa_dx10_clamp 1
		.amdhsa_ieee_mode 1
		.amdhsa_fp16_overflow 0
		.amdhsa_tg_split 0
		.amdhsa_exception_fp_ieee_invalid_op 0
		.amdhsa_exception_fp_denorm_src 0
		.amdhsa_exception_fp_ieee_div_zero 0
		.amdhsa_exception_fp_ieee_overflow 0
		.amdhsa_exception_fp_ieee_underflow 0
		.amdhsa_exception_fp_ieee_inexact 0
		.amdhsa_exception_int_div_zero 0
	.end_amdhsa_kernel
	.section	.text._ZN7rocprim17ROCPRIM_400000_NS6detail17trampoline_kernelINS0_14default_configENS1_22reduce_config_selectorIxEEZNS1_11reduce_implILb1ES3_N6thrust23THRUST_200600_302600_NS6detail15normal_iteratorINS8_10device_ptrIxEEEEPxxNS8_4plusIxEEEE10hipError_tPvRmT1_T2_T3_mT4_P12ihipStream_tbEUlT_E1_NS1_11comp_targetILNS1_3genE0ELNS1_11target_archE4294967295ELNS1_3gpuE0ELNS1_3repE0EEENS1_30default_config_static_selectorELNS0_4arch9wavefront6targetE1EEEvSK_,"axG",@progbits,_ZN7rocprim17ROCPRIM_400000_NS6detail17trampoline_kernelINS0_14default_configENS1_22reduce_config_selectorIxEEZNS1_11reduce_implILb1ES3_N6thrust23THRUST_200600_302600_NS6detail15normal_iteratorINS8_10device_ptrIxEEEEPxxNS8_4plusIxEEEE10hipError_tPvRmT1_T2_T3_mT4_P12ihipStream_tbEUlT_E1_NS1_11comp_targetILNS1_3genE0ELNS1_11target_archE4294967295ELNS1_3gpuE0ELNS1_3repE0EEENS1_30default_config_static_selectorELNS0_4arch9wavefront6targetE1EEEvSK_,comdat
.Lfunc_end214:
	.size	_ZN7rocprim17ROCPRIM_400000_NS6detail17trampoline_kernelINS0_14default_configENS1_22reduce_config_selectorIxEEZNS1_11reduce_implILb1ES3_N6thrust23THRUST_200600_302600_NS6detail15normal_iteratorINS8_10device_ptrIxEEEEPxxNS8_4plusIxEEEE10hipError_tPvRmT1_T2_T3_mT4_P12ihipStream_tbEUlT_E1_NS1_11comp_targetILNS1_3genE0ELNS1_11target_archE4294967295ELNS1_3gpuE0ELNS1_3repE0EEENS1_30default_config_static_selectorELNS0_4arch9wavefront6targetE1EEEvSK_, .Lfunc_end214-_ZN7rocprim17ROCPRIM_400000_NS6detail17trampoline_kernelINS0_14default_configENS1_22reduce_config_selectorIxEEZNS1_11reduce_implILb1ES3_N6thrust23THRUST_200600_302600_NS6detail15normal_iteratorINS8_10device_ptrIxEEEEPxxNS8_4plusIxEEEE10hipError_tPvRmT1_T2_T3_mT4_P12ihipStream_tbEUlT_E1_NS1_11comp_targetILNS1_3genE0ELNS1_11target_archE4294967295ELNS1_3gpuE0ELNS1_3repE0EEENS1_30default_config_static_selectorELNS0_4arch9wavefront6targetE1EEEvSK_
                                        ; -- End function
	.set _ZN7rocprim17ROCPRIM_400000_NS6detail17trampoline_kernelINS0_14default_configENS1_22reduce_config_selectorIxEEZNS1_11reduce_implILb1ES3_N6thrust23THRUST_200600_302600_NS6detail15normal_iteratorINS8_10device_ptrIxEEEEPxxNS8_4plusIxEEEE10hipError_tPvRmT1_T2_T3_mT4_P12ihipStream_tbEUlT_E1_NS1_11comp_targetILNS1_3genE0ELNS1_11target_archE4294967295ELNS1_3gpuE0ELNS1_3repE0EEENS1_30default_config_static_selectorELNS0_4arch9wavefront6targetE1EEEvSK_.num_vgpr, 48
	.set _ZN7rocprim17ROCPRIM_400000_NS6detail17trampoline_kernelINS0_14default_configENS1_22reduce_config_selectorIxEEZNS1_11reduce_implILb1ES3_N6thrust23THRUST_200600_302600_NS6detail15normal_iteratorINS8_10device_ptrIxEEEEPxxNS8_4plusIxEEEE10hipError_tPvRmT1_T2_T3_mT4_P12ihipStream_tbEUlT_E1_NS1_11comp_targetILNS1_3genE0ELNS1_11target_archE4294967295ELNS1_3gpuE0ELNS1_3repE0EEENS1_30default_config_static_selectorELNS0_4arch9wavefront6targetE1EEEvSK_.num_agpr, 0
	.set _ZN7rocprim17ROCPRIM_400000_NS6detail17trampoline_kernelINS0_14default_configENS1_22reduce_config_selectorIxEEZNS1_11reduce_implILb1ES3_N6thrust23THRUST_200600_302600_NS6detail15normal_iteratorINS8_10device_ptrIxEEEEPxxNS8_4plusIxEEEE10hipError_tPvRmT1_T2_T3_mT4_P12ihipStream_tbEUlT_E1_NS1_11comp_targetILNS1_3genE0ELNS1_11target_archE4294967295ELNS1_3gpuE0ELNS1_3repE0EEENS1_30default_config_static_selectorELNS0_4arch9wavefront6targetE1EEEvSK_.numbered_sgpr, 47
	.set _ZN7rocprim17ROCPRIM_400000_NS6detail17trampoline_kernelINS0_14default_configENS1_22reduce_config_selectorIxEEZNS1_11reduce_implILb1ES3_N6thrust23THRUST_200600_302600_NS6detail15normal_iteratorINS8_10device_ptrIxEEEEPxxNS8_4plusIxEEEE10hipError_tPvRmT1_T2_T3_mT4_P12ihipStream_tbEUlT_E1_NS1_11comp_targetILNS1_3genE0ELNS1_11target_archE4294967295ELNS1_3gpuE0ELNS1_3repE0EEENS1_30default_config_static_selectorELNS0_4arch9wavefront6targetE1EEEvSK_.num_named_barrier, 0
	.set _ZN7rocprim17ROCPRIM_400000_NS6detail17trampoline_kernelINS0_14default_configENS1_22reduce_config_selectorIxEEZNS1_11reduce_implILb1ES3_N6thrust23THRUST_200600_302600_NS6detail15normal_iteratorINS8_10device_ptrIxEEEEPxxNS8_4plusIxEEEE10hipError_tPvRmT1_T2_T3_mT4_P12ihipStream_tbEUlT_E1_NS1_11comp_targetILNS1_3genE0ELNS1_11target_archE4294967295ELNS1_3gpuE0ELNS1_3repE0EEENS1_30default_config_static_selectorELNS0_4arch9wavefront6targetE1EEEvSK_.private_seg_size, 0
	.set _ZN7rocprim17ROCPRIM_400000_NS6detail17trampoline_kernelINS0_14default_configENS1_22reduce_config_selectorIxEEZNS1_11reduce_implILb1ES3_N6thrust23THRUST_200600_302600_NS6detail15normal_iteratorINS8_10device_ptrIxEEEEPxxNS8_4plusIxEEEE10hipError_tPvRmT1_T2_T3_mT4_P12ihipStream_tbEUlT_E1_NS1_11comp_targetILNS1_3genE0ELNS1_11target_archE4294967295ELNS1_3gpuE0ELNS1_3repE0EEENS1_30default_config_static_selectorELNS0_4arch9wavefront6targetE1EEEvSK_.uses_vcc, 1
	.set _ZN7rocprim17ROCPRIM_400000_NS6detail17trampoline_kernelINS0_14default_configENS1_22reduce_config_selectorIxEEZNS1_11reduce_implILb1ES3_N6thrust23THRUST_200600_302600_NS6detail15normal_iteratorINS8_10device_ptrIxEEEEPxxNS8_4plusIxEEEE10hipError_tPvRmT1_T2_T3_mT4_P12ihipStream_tbEUlT_E1_NS1_11comp_targetILNS1_3genE0ELNS1_11target_archE4294967295ELNS1_3gpuE0ELNS1_3repE0EEENS1_30default_config_static_selectorELNS0_4arch9wavefront6targetE1EEEvSK_.uses_flat_scratch, 0
	.set _ZN7rocprim17ROCPRIM_400000_NS6detail17trampoline_kernelINS0_14default_configENS1_22reduce_config_selectorIxEEZNS1_11reduce_implILb1ES3_N6thrust23THRUST_200600_302600_NS6detail15normal_iteratorINS8_10device_ptrIxEEEEPxxNS8_4plusIxEEEE10hipError_tPvRmT1_T2_T3_mT4_P12ihipStream_tbEUlT_E1_NS1_11comp_targetILNS1_3genE0ELNS1_11target_archE4294967295ELNS1_3gpuE0ELNS1_3repE0EEENS1_30default_config_static_selectorELNS0_4arch9wavefront6targetE1EEEvSK_.has_dyn_sized_stack, 0
	.set _ZN7rocprim17ROCPRIM_400000_NS6detail17trampoline_kernelINS0_14default_configENS1_22reduce_config_selectorIxEEZNS1_11reduce_implILb1ES3_N6thrust23THRUST_200600_302600_NS6detail15normal_iteratorINS8_10device_ptrIxEEEEPxxNS8_4plusIxEEEE10hipError_tPvRmT1_T2_T3_mT4_P12ihipStream_tbEUlT_E1_NS1_11comp_targetILNS1_3genE0ELNS1_11target_archE4294967295ELNS1_3gpuE0ELNS1_3repE0EEENS1_30default_config_static_selectorELNS0_4arch9wavefront6targetE1EEEvSK_.has_recursion, 0
	.set _ZN7rocprim17ROCPRIM_400000_NS6detail17trampoline_kernelINS0_14default_configENS1_22reduce_config_selectorIxEEZNS1_11reduce_implILb1ES3_N6thrust23THRUST_200600_302600_NS6detail15normal_iteratorINS8_10device_ptrIxEEEEPxxNS8_4plusIxEEEE10hipError_tPvRmT1_T2_T3_mT4_P12ihipStream_tbEUlT_E1_NS1_11comp_targetILNS1_3genE0ELNS1_11target_archE4294967295ELNS1_3gpuE0ELNS1_3repE0EEENS1_30default_config_static_selectorELNS0_4arch9wavefront6targetE1EEEvSK_.has_indirect_call, 0
	.section	.AMDGPU.csdata,"",@progbits
; Kernel info:
; codeLenInByte = 9732
; TotalNumSgprs: 53
; NumVgprs: 48
; NumAgprs: 0
; TotalNumVgprs: 48
; ScratchSize: 0
; MemoryBound: 0
; FloatMode: 240
; IeeeMode: 1
; LDSByteSize: 192 bytes/workgroup (compile time only)
; SGPRBlocks: 6
; VGPRBlocks: 5
; NumSGPRsForWavesPerEU: 53
; NumVGPRsForWavesPerEU: 48
; AccumOffset: 48
; Occupancy: 8
; WaveLimiterHint : 1
; COMPUTE_PGM_RSRC2:SCRATCH_EN: 0
; COMPUTE_PGM_RSRC2:USER_SGPR: 2
; COMPUTE_PGM_RSRC2:TRAP_HANDLER: 0
; COMPUTE_PGM_RSRC2:TGID_X_EN: 1
; COMPUTE_PGM_RSRC2:TGID_Y_EN: 0
; COMPUTE_PGM_RSRC2:TGID_Z_EN: 0
; COMPUTE_PGM_RSRC2:TIDIG_COMP_CNT: 0
; COMPUTE_PGM_RSRC3_GFX90A:ACCUM_OFFSET: 11
; COMPUTE_PGM_RSRC3_GFX90A:TG_SPLIT: 0
	.section	.text._ZN7rocprim17ROCPRIM_400000_NS6detail17trampoline_kernelINS0_14default_configENS1_22reduce_config_selectorIxEEZNS1_11reduce_implILb1ES3_N6thrust23THRUST_200600_302600_NS6detail15normal_iteratorINS8_10device_ptrIxEEEEPxxNS8_4plusIxEEEE10hipError_tPvRmT1_T2_T3_mT4_P12ihipStream_tbEUlT_E1_NS1_11comp_targetILNS1_3genE5ELNS1_11target_archE942ELNS1_3gpuE9ELNS1_3repE0EEENS1_30default_config_static_selectorELNS0_4arch9wavefront6targetE1EEEvSK_,"axG",@progbits,_ZN7rocprim17ROCPRIM_400000_NS6detail17trampoline_kernelINS0_14default_configENS1_22reduce_config_selectorIxEEZNS1_11reduce_implILb1ES3_N6thrust23THRUST_200600_302600_NS6detail15normal_iteratorINS8_10device_ptrIxEEEEPxxNS8_4plusIxEEEE10hipError_tPvRmT1_T2_T3_mT4_P12ihipStream_tbEUlT_E1_NS1_11comp_targetILNS1_3genE5ELNS1_11target_archE942ELNS1_3gpuE9ELNS1_3repE0EEENS1_30default_config_static_selectorELNS0_4arch9wavefront6targetE1EEEvSK_,comdat
	.protected	_ZN7rocprim17ROCPRIM_400000_NS6detail17trampoline_kernelINS0_14default_configENS1_22reduce_config_selectorIxEEZNS1_11reduce_implILb1ES3_N6thrust23THRUST_200600_302600_NS6detail15normal_iteratorINS8_10device_ptrIxEEEEPxxNS8_4plusIxEEEE10hipError_tPvRmT1_T2_T3_mT4_P12ihipStream_tbEUlT_E1_NS1_11comp_targetILNS1_3genE5ELNS1_11target_archE942ELNS1_3gpuE9ELNS1_3repE0EEENS1_30default_config_static_selectorELNS0_4arch9wavefront6targetE1EEEvSK_ ; -- Begin function _ZN7rocprim17ROCPRIM_400000_NS6detail17trampoline_kernelINS0_14default_configENS1_22reduce_config_selectorIxEEZNS1_11reduce_implILb1ES3_N6thrust23THRUST_200600_302600_NS6detail15normal_iteratorINS8_10device_ptrIxEEEEPxxNS8_4plusIxEEEE10hipError_tPvRmT1_T2_T3_mT4_P12ihipStream_tbEUlT_E1_NS1_11comp_targetILNS1_3genE5ELNS1_11target_archE942ELNS1_3gpuE9ELNS1_3repE0EEENS1_30default_config_static_selectorELNS0_4arch9wavefront6targetE1EEEvSK_
	.globl	_ZN7rocprim17ROCPRIM_400000_NS6detail17trampoline_kernelINS0_14default_configENS1_22reduce_config_selectorIxEEZNS1_11reduce_implILb1ES3_N6thrust23THRUST_200600_302600_NS6detail15normal_iteratorINS8_10device_ptrIxEEEEPxxNS8_4plusIxEEEE10hipError_tPvRmT1_T2_T3_mT4_P12ihipStream_tbEUlT_E1_NS1_11comp_targetILNS1_3genE5ELNS1_11target_archE942ELNS1_3gpuE9ELNS1_3repE0EEENS1_30default_config_static_selectorELNS0_4arch9wavefront6targetE1EEEvSK_
	.p2align	8
	.type	_ZN7rocprim17ROCPRIM_400000_NS6detail17trampoline_kernelINS0_14default_configENS1_22reduce_config_selectorIxEEZNS1_11reduce_implILb1ES3_N6thrust23THRUST_200600_302600_NS6detail15normal_iteratorINS8_10device_ptrIxEEEEPxxNS8_4plusIxEEEE10hipError_tPvRmT1_T2_T3_mT4_P12ihipStream_tbEUlT_E1_NS1_11comp_targetILNS1_3genE5ELNS1_11target_archE942ELNS1_3gpuE9ELNS1_3repE0EEENS1_30default_config_static_selectorELNS0_4arch9wavefront6targetE1EEEvSK_,@function
_ZN7rocprim17ROCPRIM_400000_NS6detail17trampoline_kernelINS0_14default_configENS1_22reduce_config_selectorIxEEZNS1_11reduce_implILb1ES3_N6thrust23THRUST_200600_302600_NS6detail15normal_iteratorINS8_10device_ptrIxEEEEPxxNS8_4plusIxEEEE10hipError_tPvRmT1_T2_T3_mT4_P12ihipStream_tbEUlT_E1_NS1_11comp_targetILNS1_3genE5ELNS1_11target_archE942ELNS1_3gpuE9ELNS1_3repE0EEENS1_30default_config_static_selectorELNS0_4arch9wavefront6targetE1EEEvSK_: ; @_ZN7rocprim17ROCPRIM_400000_NS6detail17trampoline_kernelINS0_14default_configENS1_22reduce_config_selectorIxEEZNS1_11reduce_implILb1ES3_N6thrust23THRUST_200600_302600_NS6detail15normal_iteratorINS8_10device_ptrIxEEEEPxxNS8_4plusIxEEEE10hipError_tPvRmT1_T2_T3_mT4_P12ihipStream_tbEUlT_E1_NS1_11comp_targetILNS1_3genE5ELNS1_11target_archE942ELNS1_3gpuE9ELNS1_3repE0EEENS1_30default_config_static_selectorELNS0_4arch9wavefront6targetE1EEEvSK_
; %bb.0:
	.section	.rodata,"a",@progbits
	.p2align	6, 0x0
	.amdhsa_kernel _ZN7rocprim17ROCPRIM_400000_NS6detail17trampoline_kernelINS0_14default_configENS1_22reduce_config_selectorIxEEZNS1_11reduce_implILb1ES3_N6thrust23THRUST_200600_302600_NS6detail15normal_iteratorINS8_10device_ptrIxEEEEPxxNS8_4plusIxEEEE10hipError_tPvRmT1_T2_T3_mT4_P12ihipStream_tbEUlT_E1_NS1_11comp_targetILNS1_3genE5ELNS1_11target_archE942ELNS1_3gpuE9ELNS1_3repE0EEENS1_30default_config_static_selectorELNS0_4arch9wavefront6targetE1EEEvSK_
		.amdhsa_group_segment_fixed_size 0
		.amdhsa_private_segment_fixed_size 0
		.amdhsa_kernarg_size 48
		.amdhsa_user_sgpr_count 2
		.amdhsa_user_sgpr_dispatch_ptr 0
		.amdhsa_user_sgpr_queue_ptr 0
		.amdhsa_user_sgpr_kernarg_segment_ptr 1
		.amdhsa_user_sgpr_dispatch_id 0
		.amdhsa_user_sgpr_kernarg_preload_length 0
		.amdhsa_user_sgpr_kernarg_preload_offset 0
		.amdhsa_user_sgpr_private_segment_size 0
		.amdhsa_uses_dynamic_stack 0
		.amdhsa_enable_private_segment 0
		.amdhsa_system_sgpr_workgroup_id_x 1
		.amdhsa_system_sgpr_workgroup_id_y 0
		.amdhsa_system_sgpr_workgroup_id_z 0
		.amdhsa_system_sgpr_workgroup_info 0
		.amdhsa_system_vgpr_workitem_id 0
		.amdhsa_next_free_vgpr 1
		.amdhsa_next_free_sgpr 0
		.amdhsa_accum_offset 4
		.amdhsa_reserve_vcc 0
		.amdhsa_float_round_mode_32 0
		.amdhsa_float_round_mode_16_64 0
		.amdhsa_float_denorm_mode_32 3
		.amdhsa_float_denorm_mode_16_64 3
		.amdhsa_dx10_clamp 1
		.amdhsa_ieee_mode 1
		.amdhsa_fp16_overflow 0
		.amdhsa_tg_split 0
		.amdhsa_exception_fp_ieee_invalid_op 0
		.amdhsa_exception_fp_denorm_src 0
		.amdhsa_exception_fp_ieee_div_zero 0
		.amdhsa_exception_fp_ieee_overflow 0
		.amdhsa_exception_fp_ieee_underflow 0
		.amdhsa_exception_fp_ieee_inexact 0
		.amdhsa_exception_int_div_zero 0
	.end_amdhsa_kernel
	.section	.text._ZN7rocprim17ROCPRIM_400000_NS6detail17trampoline_kernelINS0_14default_configENS1_22reduce_config_selectorIxEEZNS1_11reduce_implILb1ES3_N6thrust23THRUST_200600_302600_NS6detail15normal_iteratorINS8_10device_ptrIxEEEEPxxNS8_4plusIxEEEE10hipError_tPvRmT1_T2_T3_mT4_P12ihipStream_tbEUlT_E1_NS1_11comp_targetILNS1_3genE5ELNS1_11target_archE942ELNS1_3gpuE9ELNS1_3repE0EEENS1_30default_config_static_selectorELNS0_4arch9wavefront6targetE1EEEvSK_,"axG",@progbits,_ZN7rocprim17ROCPRIM_400000_NS6detail17trampoline_kernelINS0_14default_configENS1_22reduce_config_selectorIxEEZNS1_11reduce_implILb1ES3_N6thrust23THRUST_200600_302600_NS6detail15normal_iteratorINS8_10device_ptrIxEEEEPxxNS8_4plusIxEEEE10hipError_tPvRmT1_T2_T3_mT4_P12ihipStream_tbEUlT_E1_NS1_11comp_targetILNS1_3genE5ELNS1_11target_archE942ELNS1_3gpuE9ELNS1_3repE0EEENS1_30default_config_static_selectorELNS0_4arch9wavefront6targetE1EEEvSK_,comdat
.Lfunc_end215:
	.size	_ZN7rocprim17ROCPRIM_400000_NS6detail17trampoline_kernelINS0_14default_configENS1_22reduce_config_selectorIxEEZNS1_11reduce_implILb1ES3_N6thrust23THRUST_200600_302600_NS6detail15normal_iteratorINS8_10device_ptrIxEEEEPxxNS8_4plusIxEEEE10hipError_tPvRmT1_T2_T3_mT4_P12ihipStream_tbEUlT_E1_NS1_11comp_targetILNS1_3genE5ELNS1_11target_archE942ELNS1_3gpuE9ELNS1_3repE0EEENS1_30default_config_static_selectorELNS0_4arch9wavefront6targetE1EEEvSK_, .Lfunc_end215-_ZN7rocprim17ROCPRIM_400000_NS6detail17trampoline_kernelINS0_14default_configENS1_22reduce_config_selectorIxEEZNS1_11reduce_implILb1ES3_N6thrust23THRUST_200600_302600_NS6detail15normal_iteratorINS8_10device_ptrIxEEEEPxxNS8_4plusIxEEEE10hipError_tPvRmT1_T2_T3_mT4_P12ihipStream_tbEUlT_E1_NS1_11comp_targetILNS1_3genE5ELNS1_11target_archE942ELNS1_3gpuE9ELNS1_3repE0EEENS1_30default_config_static_selectorELNS0_4arch9wavefront6targetE1EEEvSK_
                                        ; -- End function
	.set _ZN7rocprim17ROCPRIM_400000_NS6detail17trampoline_kernelINS0_14default_configENS1_22reduce_config_selectorIxEEZNS1_11reduce_implILb1ES3_N6thrust23THRUST_200600_302600_NS6detail15normal_iteratorINS8_10device_ptrIxEEEEPxxNS8_4plusIxEEEE10hipError_tPvRmT1_T2_T3_mT4_P12ihipStream_tbEUlT_E1_NS1_11comp_targetILNS1_3genE5ELNS1_11target_archE942ELNS1_3gpuE9ELNS1_3repE0EEENS1_30default_config_static_selectorELNS0_4arch9wavefront6targetE1EEEvSK_.num_vgpr, 0
	.set _ZN7rocprim17ROCPRIM_400000_NS6detail17trampoline_kernelINS0_14default_configENS1_22reduce_config_selectorIxEEZNS1_11reduce_implILb1ES3_N6thrust23THRUST_200600_302600_NS6detail15normal_iteratorINS8_10device_ptrIxEEEEPxxNS8_4plusIxEEEE10hipError_tPvRmT1_T2_T3_mT4_P12ihipStream_tbEUlT_E1_NS1_11comp_targetILNS1_3genE5ELNS1_11target_archE942ELNS1_3gpuE9ELNS1_3repE0EEENS1_30default_config_static_selectorELNS0_4arch9wavefront6targetE1EEEvSK_.num_agpr, 0
	.set _ZN7rocprim17ROCPRIM_400000_NS6detail17trampoline_kernelINS0_14default_configENS1_22reduce_config_selectorIxEEZNS1_11reduce_implILb1ES3_N6thrust23THRUST_200600_302600_NS6detail15normal_iteratorINS8_10device_ptrIxEEEEPxxNS8_4plusIxEEEE10hipError_tPvRmT1_T2_T3_mT4_P12ihipStream_tbEUlT_E1_NS1_11comp_targetILNS1_3genE5ELNS1_11target_archE942ELNS1_3gpuE9ELNS1_3repE0EEENS1_30default_config_static_selectorELNS0_4arch9wavefront6targetE1EEEvSK_.numbered_sgpr, 0
	.set _ZN7rocprim17ROCPRIM_400000_NS6detail17trampoline_kernelINS0_14default_configENS1_22reduce_config_selectorIxEEZNS1_11reduce_implILb1ES3_N6thrust23THRUST_200600_302600_NS6detail15normal_iteratorINS8_10device_ptrIxEEEEPxxNS8_4plusIxEEEE10hipError_tPvRmT1_T2_T3_mT4_P12ihipStream_tbEUlT_E1_NS1_11comp_targetILNS1_3genE5ELNS1_11target_archE942ELNS1_3gpuE9ELNS1_3repE0EEENS1_30default_config_static_selectorELNS0_4arch9wavefront6targetE1EEEvSK_.num_named_barrier, 0
	.set _ZN7rocprim17ROCPRIM_400000_NS6detail17trampoline_kernelINS0_14default_configENS1_22reduce_config_selectorIxEEZNS1_11reduce_implILb1ES3_N6thrust23THRUST_200600_302600_NS6detail15normal_iteratorINS8_10device_ptrIxEEEEPxxNS8_4plusIxEEEE10hipError_tPvRmT1_T2_T3_mT4_P12ihipStream_tbEUlT_E1_NS1_11comp_targetILNS1_3genE5ELNS1_11target_archE942ELNS1_3gpuE9ELNS1_3repE0EEENS1_30default_config_static_selectorELNS0_4arch9wavefront6targetE1EEEvSK_.private_seg_size, 0
	.set _ZN7rocprim17ROCPRIM_400000_NS6detail17trampoline_kernelINS0_14default_configENS1_22reduce_config_selectorIxEEZNS1_11reduce_implILb1ES3_N6thrust23THRUST_200600_302600_NS6detail15normal_iteratorINS8_10device_ptrIxEEEEPxxNS8_4plusIxEEEE10hipError_tPvRmT1_T2_T3_mT4_P12ihipStream_tbEUlT_E1_NS1_11comp_targetILNS1_3genE5ELNS1_11target_archE942ELNS1_3gpuE9ELNS1_3repE0EEENS1_30default_config_static_selectorELNS0_4arch9wavefront6targetE1EEEvSK_.uses_vcc, 0
	.set _ZN7rocprim17ROCPRIM_400000_NS6detail17trampoline_kernelINS0_14default_configENS1_22reduce_config_selectorIxEEZNS1_11reduce_implILb1ES3_N6thrust23THRUST_200600_302600_NS6detail15normal_iteratorINS8_10device_ptrIxEEEEPxxNS8_4plusIxEEEE10hipError_tPvRmT1_T2_T3_mT4_P12ihipStream_tbEUlT_E1_NS1_11comp_targetILNS1_3genE5ELNS1_11target_archE942ELNS1_3gpuE9ELNS1_3repE0EEENS1_30default_config_static_selectorELNS0_4arch9wavefront6targetE1EEEvSK_.uses_flat_scratch, 0
	.set _ZN7rocprim17ROCPRIM_400000_NS6detail17trampoline_kernelINS0_14default_configENS1_22reduce_config_selectorIxEEZNS1_11reduce_implILb1ES3_N6thrust23THRUST_200600_302600_NS6detail15normal_iteratorINS8_10device_ptrIxEEEEPxxNS8_4plusIxEEEE10hipError_tPvRmT1_T2_T3_mT4_P12ihipStream_tbEUlT_E1_NS1_11comp_targetILNS1_3genE5ELNS1_11target_archE942ELNS1_3gpuE9ELNS1_3repE0EEENS1_30default_config_static_selectorELNS0_4arch9wavefront6targetE1EEEvSK_.has_dyn_sized_stack, 0
	.set _ZN7rocprim17ROCPRIM_400000_NS6detail17trampoline_kernelINS0_14default_configENS1_22reduce_config_selectorIxEEZNS1_11reduce_implILb1ES3_N6thrust23THRUST_200600_302600_NS6detail15normal_iteratorINS8_10device_ptrIxEEEEPxxNS8_4plusIxEEEE10hipError_tPvRmT1_T2_T3_mT4_P12ihipStream_tbEUlT_E1_NS1_11comp_targetILNS1_3genE5ELNS1_11target_archE942ELNS1_3gpuE9ELNS1_3repE0EEENS1_30default_config_static_selectorELNS0_4arch9wavefront6targetE1EEEvSK_.has_recursion, 0
	.set _ZN7rocprim17ROCPRIM_400000_NS6detail17trampoline_kernelINS0_14default_configENS1_22reduce_config_selectorIxEEZNS1_11reduce_implILb1ES3_N6thrust23THRUST_200600_302600_NS6detail15normal_iteratorINS8_10device_ptrIxEEEEPxxNS8_4plusIxEEEE10hipError_tPvRmT1_T2_T3_mT4_P12ihipStream_tbEUlT_E1_NS1_11comp_targetILNS1_3genE5ELNS1_11target_archE942ELNS1_3gpuE9ELNS1_3repE0EEENS1_30default_config_static_selectorELNS0_4arch9wavefront6targetE1EEEvSK_.has_indirect_call, 0
	.section	.AMDGPU.csdata,"",@progbits
; Kernel info:
; codeLenInByte = 0
; TotalNumSgprs: 6
; NumVgprs: 0
; NumAgprs: 0
; TotalNumVgprs: 0
; ScratchSize: 0
; MemoryBound: 0
; FloatMode: 240
; IeeeMode: 1
; LDSByteSize: 0 bytes/workgroup (compile time only)
; SGPRBlocks: 0
; VGPRBlocks: 0
; NumSGPRsForWavesPerEU: 6
; NumVGPRsForWavesPerEU: 1
; AccumOffset: 4
; Occupancy: 8
; WaveLimiterHint : 0
; COMPUTE_PGM_RSRC2:SCRATCH_EN: 0
; COMPUTE_PGM_RSRC2:USER_SGPR: 2
; COMPUTE_PGM_RSRC2:TRAP_HANDLER: 0
; COMPUTE_PGM_RSRC2:TGID_X_EN: 1
; COMPUTE_PGM_RSRC2:TGID_Y_EN: 0
; COMPUTE_PGM_RSRC2:TGID_Z_EN: 0
; COMPUTE_PGM_RSRC2:TIDIG_COMP_CNT: 0
; COMPUTE_PGM_RSRC3_GFX90A:ACCUM_OFFSET: 0
; COMPUTE_PGM_RSRC3_GFX90A:TG_SPLIT: 0
	.section	.text._ZN7rocprim17ROCPRIM_400000_NS6detail17trampoline_kernelINS0_14default_configENS1_22reduce_config_selectorIxEEZNS1_11reduce_implILb1ES3_N6thrust23THRUST_200600_302600_NS6detail15normal_iteratorINS8_10device_ptrIxEEEEPxxNS8_4plusIxEEEE10hipError_tPvRmT1_T2_T3_mT4_P12ihipStream_tbEUlT_E1_NS1_11comp_targetILNS1_3genE4ELNS1_11target_archE910ELNS1_3gpuE8ELNS1_3repE0EEENS1_30default_config_static_selectorELNS0_4arch9wavefront6targetE1EEEvSK_,"axG",@progbits,_ZN7rocprim17ROCPRIM_400000_NS6detail17trampoline_kernelINS0_14default_configENS1_22reduce_config_selectorIxEEZNS1_11reduce_implILb1ES3_N6thrust23THRUST_200600_302600_NS6detail15normal_iteratorINS8_10device_ptrIxEEEEPxxNS8_4plusIxEEEE10hipError_tPvRmT1_T2_T3_mT4_P12ihipStream_tbEUlT_E1_NS1_11comp_targetILNS1_3genE4ELNS1_11target_archE910ELNS1_3gpuE8ELNS1_3repE0EEENS1_30default_config_static_selectorELNS0_4arch9wavefront6targetE1EEEvSK_,comdat
	.protected	_ZN7rocprim17ROCPRIM_400000_NS6detail17trampoline_kernelINS0_14default_configENS1_22reduce_config_selectorIxEEZNS1_11reduce_implILb1ES3_N6thrust23THRUST_200600_302600_NS6detail15normal_iteratorINS8_10device_ptrIxEEEEPxxNS8_4plusIxEEEE10hipError_tPvRmT1_T2_T3_mT4_P12ihipStream_tbEUlT_E1_NS1_11comp_targetILNS1_3genE4ELNS1_11target_archE910ELNS1_3gpuE8ELNS1_3repE0EEENS1_30default_config_static_selectorELNS0_4arch9wavefront6targetE1EEEvSK_ ; -- Begin function _ZN7rocprim17ROCPRIM_400000_NS6detail17trampoline_kernelINS0_14default_configENS1_22reduce_config_selectorIxEEZNS1_11reduce_implILb1ES3_N6thrust23THRUST_200600_302600_NS6detail15normal_iteratorINS8_10device_ptrIxEEEEPxxNS8_4plusIxEEEE10hipError_tPvRmT1_T2_T3_mT4_P12ihipStream_tbEUlT_E1_NS1_11comp_targetILNS1_3genE4ELNS1_11target_archE910ELNS1_3gpuE8ELNS1_3repE0EEENS1_30default_config_static_selectorELNS0_4arch9wavefront6targetE1EEEvSK_
	.globl	_ZN7rocprim17ROCPRIM_400000_NS6detail17trampoline_kernelINS0_14default_configENS1_22reduce_config_selectorIxEEZNS1_11reduce_implILb1ES3_N6thrust23THRUST_200600_302600_NS6detail15normal_iteratorINS8_10device_ptrIxEEEEPxxNS8_4plusIxEEEE10hipError_tPvRmT1_T2_T3_mT4_P12ihipStream_tbEUlT_E1_NS1_11comp_targetILNS1_3genE4ELNS1_11target_archE910ELNS1_3gpuE8ELNS1_3repE0EEENS1_30default_config_static_selectorELNS0_4arch9wavefront6targetE1EEEvSK_
	.p2align	8
	.type	_ZN7rocprim17ROCPRIM_400000_NS6detail17trampoline_kernelINS0_14default_configENS1_22reduce_config_selectorIxEEZNS1_11reduce_implILb1ES3_N6thrust23THRUST_200600_302600_NS6detail15normal_iteratorINS8_10device_ptrIxEEEEPxxNS8_4plusIxEEEE10hipError_tPvRmT1_T2_T3_mT4_P12ihipStream_tbEUlT_E1_NS1_11comp_targetILNS1_3genE4ELNS1_11target_archE910ELNS1_3gpuE8ELNS1_3repE0EEENS1_30default_config_static_selectorELNS0_4arch9wavefront6targetE1EEEvSK_,@function
_ZN7rocprim17ROCPRIM_400000_NS6detail17trampoline_kernelINS0_14default_configENS1_22reduce_config_selectorIxEEZNS1_11reduce_implILb1ES3_N6thrust23THRUST_200600_302600_NS6detail15normal_iteratorINS8_10device_ptrIxEEEEPxxNS8_4plusIxEEEE10hipError_tPvRmT1_T2_T3_mT4_P12ihipStream_tbEUlT_E1_NS1_11comp_targetILNS1_3genE4ELNS1_11target_archE910ELNS1_3gpuE8ELNS1_3repE0EEENS1_30default_config_static_selectorELNS0_4arch9wavefront6targetE1EEEvSK_: ; @_ZN7rocprim17ROCPRIM_400000_NS6detail17trampoline_kernelINS0_14default_configENS1_22reduce_config_selectorIxEEZNS1_11reduce_implILb1ES3_N6thrust23THRUST_200600_302600_NS6detail15normal_iteratorINS8_10device_ptrIxEEEEPxxNS8_4plusIxEEEE10hipError_tPvRmT1_T2_T3_mT4_P12ihipStream_tbEUlT_E1_NS1_11comp_targetILNS1_3genE4ELNS1_11target_archE910ELNS1_3gpuE8ELNS1_3repE0EEENS1_30default_config_static_selectorELNS0_4arch9wavefront6targetE1EEEvSK_
; %bb.0:
	.section	.rodata,"a",@progbits
	.p2align	6, 0x0
	.amdhsa_kernel _ZN7rocprim17ROCPRIM_400000_NS6detail17trampoline_kernelINS0_14default_configENS1_22reduce_config_selectorIxEEZNS1_11reduce_implILb1ES3_N6thrust23THRUST_200600_302600_NS6detail15normal_iteratorINS8_10device_ptrIxEEEEPxxNS8_4plusIxEEEE10hipError_tPvRmT1_T2_T3_mT4_P12ihipStream_tbEUlT_E1_NS1_11comp_targetILNS1_3genE4ELNS1_11target_archE910ELNS1_3gpuE8ELNS1_3repE0EEENS1_30default_config_static_selectorELNS0_4arch9wavefront6targetE1EEEvSK_
		.amdhsa_group_segment_fixed_size 0
		.amdhsa_private_segment_fixed_size 0
		.amdhsa_kernarg_size 48
		.amdhsa_user_sgpr_count 2
		.amdhsa_user_sgpr_dispatch_ptr 0
		.amdhsa_user_sgpr_queue_ptr 0
		.amdhsa_user_sgpr_kernarg_segment_ptr 1
		.amdhsa_user_sgpr_dispatch_id 0
		.amdhsa_user_sgpr_kernarg_preload_length 0
		.amdhsa_user_sgpr_kernarg_preload_offset 0
		.amdhsa_user_sgpr_private_segment_size 0
		.amdhsa_uses_dynamic_stack 0
		.amdhsa_enable_private_segment 0
		.amdhsa_system_sgpr_workgroup_id_x 1
		.amdhsa_system_sgpr_workgroup_id_y 0
		.amdhsa_system_sgpr_workgroup_id_z 0
		.amdhsa_system_sgpr_workgroup_info 0
		.amdhsa_system_vgpr_workitem_id 0
		.amdhsa_next_free_vgpr 1
		.amdhsa_next_free_sgpr 0
		.amdhsa_accum_offset 4
		.amdhsa_reserve_vcc 0
		.amdhsa_float_round_mode_32 0
		.amdhsa_float_round_mode_16_64 0
		.amdhsa_float_denorm_mode_32 3
		.amdhsa_float_denorm_mode_16_64 3
		.amdhsa_dx10_clamp 1
		.amdhsa_ieee_mode 1
		.amdhsa_fp16_overflow 0
		.amdhsa_tg_split 0
		.amdhsa_exception_fp_ieee_invalid_op 0
		.amdhsa_exception_fp_denorm_src 0
		.amdhsa_exception_fp_ieee_div_zero 0
		.amdhsa_exception_fp_ieee_overflow 0
		.amdhsa_exception_fp_ieee_underflow 0
		.amdhsa_exception_fp_ieee_inexact 0
		.amdhsa_exception_int_div_zero 0
	.end_amdhsa_kernel
	.section	.text._ZN7rocprim17ROCPRIM_400000_NS6detail17trampoline_kernelINS0_14default_configENS1_22reduce_config_selectorIxEEZNS1_11reduce_implILb1ES3_N6thrust23THRUST_200600_302600_NS6detail15normal_iteratorINS8_10device_ptrIxEEEEPxxNS8_4plusIxEEEE10hipError_tPvRmT1_T2_T3_mT4_P12ihipStream_tbEUlT_E1_NS1_11comp_targetILNS1_3genE4ELNS1_11target_archE910ELNS1_3gpuE8ELNS1_3repE0EEENS1_30default_config_static_selectorELNS0_4arch9wavefront6targetE1EEEvSK_,"axG",@progbits,_ZN7rocprim17ROCPRIM_400000_NS6detail17trampoline_kernelINS0_14default_configENS1_22reduce_config_selectorIxEEZNS1_11reduce_implILb1ES3_N6thrust23THRUST_200600_302600_NS6detail15normal_iteratorINS8_10device_ptrIxEEEEPxxNS8_4plusIxEEEE10hipError_tPvRmT1_T2_T3_mT4_P12ihipStream_tbEUlT_E1_NS1_11comp_targetILNS1_3genE4ELNS1_11target_archE910ELNS1_3gpuE8ELNS1_3repE0EEENS1_30default_config_static_selectorELNS0_4arch9wavefront6targetE1EEEvSK_,comdat
.Lfunc_end216:
	.size	_ZN7rocprim17ROCPRIM_400000_NS6detail17trampoline_kernelINS0_14default_configENS1_22reduce_config_selectorIxEEZNS1_11reduce_implILb1ES3_N6thrust23THRUST_200600_302600_NS6detail15normal_iteratorINS8_10device_ptrIxEEEEPxxNS8_4plusIxEEEE10hipError_tPvRmT1_T2_T3_mT4_P12ihipStream_tbEUlT_E1_NS1_11comp_targetILNS1_3genE4ELNS1_11target_archE910ELNS1_3gpuE8ELNS1_3repE0EEENS1_30default_config_static_selectorELNS0_4arch9wavefront6targetE1EEEvSK_, .Lfunc_end216-_ZN7rocprim17ROCPRIM_400000_NS6detail17trampoline_kernelINS0_14default_configENS1_22reduce_config_selectorIxEEZNS1_11reduce_implILb1ES3_N6thrust23THRUST_200600_302600_NS6detail15normal_iteratorINS8_10device_ptrIxEEEEPxxNS8_4plusIxEEEE10hipError_tPvRmT1_T2_T3_mT4_P12ihipStream_tbEUlT_E1_NS1_11comp_targetILNS1_3genE4ELNS1_11target_archE910ELNS1_3gpuE8ELNS1_3repE0EEENS1_30default_config_static_selectorELNS0_4arch9wavefront6targetE1EEEvSK_
                                        ; -- End function
	.set _ZN7rocprim17ROCPRIM_400000_NS6detail17trampoline_kernelINS0_14default_configENS1_22reduce_config_selectorIxEEZNS1_11reduce_implILb1ES3_N6thrust23THRUST_200600_302600_NS6detail15normal_iteratorINS8_10device_ptrIxEEEEPxxNS8_4plusIxEEEE10hipError_tPvRmT1_T2_T3_mT4_P12ihipStream_tbEUlT_E1_NS1_11comp_targetILNS1_3genE4ELNS1_11target_archE910ELNS1_3gpuE8ELNS1_3repE0EEENS1_30default_config_static_selectorELNS0_4arch9wavefront6targetE1EEEvSK_.num_vgpr, 0
	.set _ZN7rocprim17ROCPRIM_400000_NS6detail17trampoline_kernelINS0_14default_configENS1_22reduce_config_selectorIxEEZNS1_11reduce_implILb1ES3_N6thrust23THRUST_200600_302600_NS6detail15normal_iteratorINS8_10device_ptrIxEEEEPxxNS8_4plusIxEEEE10hipError_tPvRmT1_T2_T3_mT4_P12ihipStream_tbEUlT_E1_NS1_11comp_targetILNS1_3genE4ELNS1_11target_archE910ELNS1_3gpuE8ELNS1_3repE0EEENS1_30default_config_static_selectorELNS0_4arch9wavefront6targetE1EEEvSK_.num_agpr, 0
	.set _ZN7rocprim17ROCPRIM_400000_NS6detail17trampoline_kernelINS0_14default_configENS1_22reduce_config_selectorIxEEZNS1_11reduce_implILb1ES3_N6thrust23THRUST_200600_302600_NS6detail15normal_iteratorINS8_10device_ptrIxEEEEPxxNS8_4plusIxEEEE10hipError_tPvRmT1_T2_T3_mT4_P12ihipStream_tbEUlT_E1_NS1_11comp_targetILNS1_3genE4ELNS1_11target_archE910ELNS1_3gpuE8ELNS1_3repE0EEENS1_30default_config_static_selectorELNS0_4arch9wavefront6targetE1EEEvSK_.numbered_sgpr, 0
	.set _ZN7rocprim17ROCPRIM_400000_NS6detail17trampoline_kernelINS0_14default_configENS1_22reduce_config_selectorIxEEZNS1_11reduce_implILb1ES3_N6thrust23THRUST_200600_302600_NS6detail15normal_iteratorINS8_10device_ptrIxEEEEPxxNS8_4plusIxEEEE10hipError_tPvRmT1_T2_T3_mT4_P12ihipStream_tbEUlT_E1_NS1_11comp_targetILNS1_3genE4ELNS1_11target_archE910ELNS1_3gpuE8ELNS1_3repE0EEENS1_30default_config_static_selectorELNS0_4arch9wavefront6targetE1EEEvSK_.num_named_barrier, 0
	.set _ZN7rocprim17ROCPRIM_400000_NS6detail17trampoline_kernelINS0_14default_configENS1_22reduce_config_selectorIxEEZNS1_11reduce_implILb1ES3_N6thrust23THRUST_200600_302600_NS6detail15normal_iteratorINS8_10device_ptrIxEEEEPxxNS8_4plusIxEEEE10hipError_tPvRmT1_T2_T3_mT4_P12ihipStream_tbEUlT_E1_NS1_11comp_targetILNS1_3genE4ELNS1_11target_archE910ELNS1_3gpuE8ELNS1_3repE0EEENS1_30default_config_static_selectorELNS0_4arch9wavefront6targetE1EEEvSK_.private_seg_size, 0
	.set _ZN7rocprim17ROCPRIM_400000_NS6detail17trampoline_kernelINS0_14default_configENS1_22reduce_config_selectorIxEEZNS1_11reduce_implILb1ES3_N6thrust23THRUST_200600_302600_NS6detail15normal_iteratorINS8_10device_ptrIxEEEEPxxNS8_4plusIxEEEE10hipError_tPvRmT1_T2_T3_mT4_P12ihipStream_tbEUlT_E1_NS1_11comp_targetILNS1_3genE4ELNS1_11target_archE910ELNS1_3gpuE8ELNS1_3repE0EEENS1_30default_config_static_selectorELNS0_4arch9wavefront6targetE1EEEvSK_.uses_vcc, 0
	.set _ZN7rocprim17ROCPRIM_400000_NS6detail17trampoline_kernelINS0_14default_configENS1_22reduce_config_selectorIxEEZNS1_11reduce_implILb1ES3_N6thrust23THRUST_200600_302600_NS6detail15normal_iteratorINS8_10device_ptrIxEEEEPxxNS8_4plusIxEEEE10hipError_tPvRmT1_T2_T3_mT4_P12ihipStream_tbEUlT_E1_NS1_11comp_targetILNS1_3genE4ELNS1_11target_archE910ELNS1_3gpuE8ELNS1_3repE0EEENS1_30default_config_static_selectorELNS0_4arch9wavefront6targetE1EEEvSK_.uses_flat_scratch, 0
	.set _ZN7rocprim17ROCPRIM_400000_NS6detail17trampoline_kernelINS0_14default_configENS1_22reduce_config_selectorIxEEZNS1_11reduce_implILb1ES3_N6thrust23THRUST_200600_302600_NS6detail15normal_iteratorINS8_10device_ptrIxEEEEPxxNS8_4plusIxEEEE10hipError_tPvRmT1_T2_T3_mT4_P12ihipStream_tbEUlT_E1_NS1_11comp_targetILNS1_3genE4ELNS1_11target_archE910ELNS1_3gpuE8ELNS1_3repE0EEENS1_30default_config_static_selectorELNS0_4arch9wavefront6targetE1EEEvSK_.has_dyn_sized_stack, 0
	.set _ZN7rocprim17ROCPRIM_400000_NS6detail17trampoline_kernelINS0_14default_configENS1_22reduce_config_selectorIxEEZNS1_11reduce_implILb1ES3_N6thrust23THRUST_200600_302600_NS6detail15normal_iteratorINS8_10device_ptrIxEEEEPxxNS8_4plusIxEEEE10hipError_tPvRmT1_T2_T3_mT4_P12ihipStream_tbEUlT_E1_NS1_11comp_targetILNS1_3genE4ELNS1_11target_archE910ELNS1_3gpuE8ELNS1_3repE0EEENS1_30default_config_static_selectorELNS0_4arch9wavefront6targetE1EEEvSK_.has_recursion, 0
	.set _ZN7rocprim17ROCPRIM_400000_NS6detail17trampoline_kernelINS0_14default_configENS1_22reduce_config_selectorIxEEZNS1_11reduce_implILb1ES3_N6thrust23THRUST_200600_302600_NS6detail15normal_iteratorINS8_10device_ptrIxEEEEPxxNS8_4plusIxEEEE10hipError_tPvRmT1_T2_T3_mT4_P12ihipStream_tbEUlT_E1_NS1_11comp_targetILNS1_3genE4ELNS1_11target_archE910ELNS1_3gpuE8ELNS1_3repE0EEENS1_30default_config_static_selectorELNS0_4arch9wavefront6targetE1EEEvSK_.has_indirect_call, 0
	.section	.AMDGPU.csdata,"",@progbits
; Kernel info:
; codeLenInByte = 0
; TotalNumSgprs: 6
; NumVgprs: 0
; NumAgprs: 0
; TotalNumVgprs: 0
; ScratchSize: 0
; MemoryBound: 0
; FloatMode: 240
; IeeeMode: 1
; LDSByteSize: 0 bytes/workgroup (compile time only)
; SGPRBlocks: 0
; VGPRBlocks: 0
; NumSGPRsForWavesPerEU: 6
; NumVGPRsForWavesPerEU: 1
; AccumOffset: 4
; Occupancy: 8
; WaveLimiterHint : 0
; COMPUTE_PGM_RSRC2:SCRATCH_EN: 0
; COMPUTE_PGM_RSRC2:USER_SGPR: 2
; COMPUTE_PGM_RSRC2:TRAP_HANDLER: 0
; COMPUTE_PGM_RSRC2:TGID_X_EN: 1
; COMPUTE_PGM_RSRC2:TGID_Y_EN: 0
; COMPUTE_PGM_RSRC2:TGID_Z_EN: 0
; COMPUTE_PGM_RSRC2:TIDIG_COMP_CNT: 0
; COMPUTE_PGM_RSRC3_GFX90A:ACCUM_OFFSET: 0
; COMPUTE_PGM_RSRC3_GFX90A:TG_SPLIT: 0
	.section	.text._ZN7rocprim17ROCPRIM_400000_NS6detail17trampoline_kernelINS0_14default_configENS1_22reduce_config_selectorIxEEZNS1_11reduce_implILb1ES3_N6thrust23THRUST_200600_302600_NS6detail15normal_iteratorINS8_10device_ptrIxEEEEPxxNS8_4plusIxEEEE10hipError_tPvRmT1_T2_T3_mT4_P12ihipStream_tbEUlT_E1_NS1_11comp_targetILNS1_3genE3ELNS1_11target_archE908ELNS1_3gpuE7ELNS1_3repE0EEENS1_30default_config_static_selectorELNS0_4arch9wavefront6targetE1EEEvSK_,"axG",@progbits,_ZN7rocprim17ROCPRIM_400000_NS6detail17trampoline_kernelINS0_14default_configENS1_22reduce_config_selectorIxEEZNS1_11reduce_implILb1ES3_N6thrust23THRUST_200600_302600_NS6detail15normal_iteratorINS8_10device_ptrIxEEEEPxxNS8_4plusIxEEEE10hipError_tPvRmT1_T2_T3_mT4_P12ihipStream_tbEUlT_E1_NS1_11comp_targetILNS1_3genE3ELNS1_11target_archE908ELNS1_3gpuE7ELNS1_3repE0EEENS1_30default_config_static_selectorELNS0_4arch9wavefront6targetE1EEEvSK_,comdat
	.protected	_ZN7rocprim17ROCPRIM_400000_NS6detail17trampoline_kernelINS0_14default_configENS1_22reduce_config_selectorIxEEZNS1_11reduce_implILb1ES3_N6thrust23THRUST_200600_302600_NS6detail15normal_iteratorINS8_10device_ptrIxEEEEPxxNS8_4plusIxEEEE10hipError_tPvRmT1_T2_T3_mT4_P12ihipStream_tbEUlT_E1_NS1_11comp_targetILNS1_3genE3ELNS1_11target_archE908ELNS1_3gpuE7ELNS1_3repE0EEENS1_30default_config_static_selectorELNS0_4arch9wavefront6targetE1EEEvSK_ ; -- Begin function _ZN7rocprim17ROCPRIM_400000_NS6detail17trampoline_kernelINS0_14default_configENS1_22reduce_config_selectorIxEEZNS1_11reduce_implILb1ES3_N6thrust23THRUST_200600_302600_NS6detail15normal_iteratorINS8_10device_ptrIxEEEEPxxNS8_4plusIxEEEE10hipError_tPvRmT1_T2_T3_mT4_P12ihipStream_tbEUlT_E1_NS1_11comp_targetILNS1_3genE3ELNS1_11target_archE908ELNS1_3gpuE7ELNS1_3repE0EEENS1_30default_config_static_selectorELNS0_4arch9wavefront6targetE1EEEvSK_
	.globl	_ZN7rocprim17ROCPRIM_400000_NS6detail17trampoline_kernelINS0_14default_configENS1_22reduce_config_selectorIxEEZNS1_11reduce_implILb1ES3_N6thrust23THRUST_200600_302600_NS6detail15normal_iteratorINS8_10device_ptrIxEEEEPxxNS8_4plusIxEEEE10hipError_tPvRmT1_T2_T3_mT4_P12ihipStream_tbEUlT_E1_NS1_11comp_targetILNS1_3genE3ELNS1_11target_archE908ELNS1_3gpuE7ELNS1_3repE0EEENS1_30default_config_static_selectorELNS0_4arch9wavefront6targetE1EEEvSK_
	.p2align	8
	.type	_ZN7rocprim17ROCPRIM_400000_NS6detail17trampoline_kernelINS0_14default_configENS1_22reduce_config_selectorIxEEZNS1_11reduce_implILb1ES3_N6thrust23THRUST_200600_302600_NS6detail15normal_iteratorINS8_10device_ptrIxEEEEPxxNS8_4plusIxEEEE10hipError_tPvRmT1_T2_T3_mT4_P12ihipStream_tbEUlT_E1_NS1_11comp_targetILNS1_3genE3ELNS1_11target_archE908ELNS1_3gpuE7ELNS1_3repE0EEENS1_30default_config_static_selectorELNS0_4arch9wavefront6targetE1EEEvSK_,@function
_ZN7rocprim17ROCPRIM_400000_NS6detail17trampoline_kernelINS0_14default_configENS1_22reduce_config_selectorIxEEZNS1_11reduce_implILb1ES3_N6thrust23THRUST_200600_302600_NS6detail15normal_iteratorINS8_10device_ptrIxEEEEPxxNS8_4plusIxEEEE10hipError_tPvRmT1_T2_T3_mT4_P12ihipStream_tbEUlT_E1_NS1_11comp_targetILNS1_3genE3ELNS1_11target_archE908ELNS1_3gpuE7ELNS1_3repE0EEENS1_30default_config_static_selectorELNS0_4arch9wavefront6targetE1EEEvSK_: ; @_ZN7rocprim17ROCPRIM_400000_NS6detail17trampoline_kernelINS0_14default_configENS1_22reduce_config_selectorIxEEZNS1_11reduce_implILb1ES3_N6thrust23THRUST_200600_302600_NS6detail15normal_iteratorINS8_10device_ptrIxEEEEPxxNS8_4plusIxEEEE10hipError_tPvRmT1_T2_T3_mT4_P12ihipStream_tbEUlT_E1_NS1_11comp_targetILNS1_3genE3ELNS1_11target_archE908ELNS1_3gpuE7ELNS1_3repE0EEENS1_30default_config_static_selectorELNS0_4arch9wavefront6targetE1EEEvSK_
; %bb.0:
	.section	.rodata,"a",@progbits
	.p2align	6, 0x0
	.amdhsa_kernel _ZN7rocprim17ROCPRIM_400000_NS6detail17trampoline_kernelINS0_14default_configENS1_22reduce_config_selectorIxEEZNS1_11reduce_implILb1ES3_N6thrust23THRUST_200600_302600_NS6detail15normal_iteratorINS8_10device_ptrIxEEEEPxxNS8_4plusIxEEEE10hipError_tPvRmT1_T2_T3_mT4_P12ihipStream_tbEUlT_E1_NS1_11comp_targetILNS1_3genE3ELNS1_11target_archE908ELNS1_3gpuE7ELNS1_3repE0EEENS1_30default_config_static_selectorELNS0_4arch9wavefront6targetE1EEEvSK_
		.amdhsa_group_segment_fixed_size 0
		.amdhsa_private_segment_fixed_size 0
		.amdhsa_kernarg_size 48
		.amdhsa_user_sgpr_count 2
		.amdhsa_user_sgpr_dispatch_ptr 0
		.amdhsa_user_sgpr_queue_ptr 0
		.amdhsa_user_sgpr_kernarg_segment_ptr 1
		.amdhsa_user_sgpr_dispatch_id 0
		.amdhsa_user_sgpr_kernarg_preload_length 0
		.amdhsa_user_sgpr_kernarg_preload_offset 0
		.amdhsa_user_sgpr_private_segment_size 0
		.amdhsa_uses_dynamic_stack 0
		.amdhsa_enable_private_segment 0
		.amdhsa_system_sgpr_workgroup_id_x 1
		.amdhsa_system_sgpr_workgroup_id_y 0
		.amdhsa_system_sgpr_workgroup_id_z 0
		.amdhsa_system_sgpr_workgroup_info 0
		.amdhsa_system_vgpr_workitem_id 0
		.amdhsa_next_free_vgpr 1
		.amdhsa_next_free_sgpr 0
		.amdhsa_accum_offset 4
		.amdhsa_reserve_vcc 0
		.amdhsa_float_round_mode_32 0
		.amdhsa_float_round_mode_16_64 0
		.amdhsa_float_denorm_mode_32 3
		.amdhsa_float_denorm_mode_16_64 3
		.amdhsa_dx10_clamp 1
		.amdhsa_ieee_mode 1
		.amdhsa_fp16_overflow 0
		.amdhsa_tg_split 0
		.amdhsa_exception_fp_ieee_invalid_op 0
		.amdhsa_exception_fp_denorm_src 0
		.amdhsa_exception_fp_ieee_div_zero 0
		.amdhsa_exception_fp_ieee_overflow 0
		.amdhsa_exception_fp_ieee_underflow 0
		.amdhsa_exception_fp_ieee_inexact 0
		.amdhsa_exception_int_div_zero 0
	.end_amdhsa_kernel
	.section	.text._ZN7rocprim17ROCPRIM_400000_NS6detail17trampoline_kernelINS0_14default_configENS1_22reduce_config_selectorIxEEZNS1_11reduce_implILb1ES3_N6thrust23THRUST_200600_302600_NS6detail15normal_iteratorINS8_10device_ptrIxEEEEPxxNS8_4plusIxEEEE10hipError_tPvRmT1_T2_T3_mT4_P12ihipStream_tbEUlT_E1_NS1_11comp_targetILNS1_3genE3ELNS1_11target_archE908ELNS1_3gpuE7ELNS1_3repE0EEENS1_30default_config_static_selectorELNS0_4arch9wavefront6targetE1EEEvSK_,"axG",@progbits,_ZN7rocprim17ROCPRIM_400000_NS6detail17trampoline_kernelINS0_14default_configENS1_22reduce_config_selectorIxEEZNS1_11reduce_implILb1ES3_N6thrust23THRUST_200600_302600_NS6detail15normal_iteratorINS8_10device_ptrIxEEEEPxxNS8_4plusIxEEEE10hipError_tPvRmT1_T2_T3_mT4_P12ihipStream_tbEUlT_E1_NS1_11comp_targetILNS1_3genE3ELNS1_11target_archE908ELNS1_3gpuE7ELNS1_3repE0EEENS1_30default_config_static_selectorELNS0_4arch9wavefront6targetE1EEEvSK_,comdat
.Lfunc_end217:
	.size	_ZN7rocprim17ROCPRIM_400000_NS6detail17trampoline_kernelINS0_14default_configENS1_22reduce_config_selectorIxEEZNS1_11reduce_implILb1ES3_N6thrust23THRUST_200600_302600_NS6detail15normal_iteratorINS8_10device_ptrIxEEEEPxxNS8_4plusIxEEEE10hipError_tPvRmT1_T2_T3_mT4_P12ihipStream_tbEUlT_E1_NS1_11comp_targetILNS1_3genE3ELNS1_11target_archE908ELNS1_3gpuE7ELNS1_3repE0EEENS1_30default_config_static_selectorELNS0_4arch9wavefront6targetE1EEEvSK_, .Lfunc_end217-_ZN7rocprim17ROCPRIM_400000_NS6detail17trampoline_kernelINS0_14default_configENS1_22reduce_config_selectorIxEEZNS1_11reduce_implILb1ES3_N6thrust23THRUST_200600_302600_NS6detail15normal_iteratorINS8_10device_ptrIxEEEEPxxNS8_4plusIxEEEE10hipError_tPvRmT1_T2_T3_mT4_P12ihipStream_tbEUlT_E1_NS1_11comp_targetILNS1_3genE3ELNS1_11target_archE908ELNS1_3gpuE7ELNS1_3repE0EEENS1_30default_config_static_selectorELNS0_4arch9wavefront6targetE1EEEvSK_
                                        ; -- End function
	.set _ZN7rocprim17ROCPRIM_400000_NS6detail17trampoline_kernelINS0_14default_configENS1_22reduce_config_selectorIxEEZNS1_11reduce_implILb1ES3_N6thrust23THRUST_200600_302600_NS6detail15normal_iteratorINS8_10device_ptrIxEEEEPxxNS8_4plusIxEEEE10hipError_tPvRmT1_T2_T3_mT4_P12ihipStream_tbEUlT_E1_NS1_11comp_targetILNS1_3genE3ELNS1_11target_archE908ELNS1_3gpuE7ELNS1_3repE0EEENS1_30default_config_static_selectorELNS0_4arch9wavefront6targetE1EEEvSK_.num_vgpr, 0
	.set _ZN7rocprim17ROCPRIM_400000_NS6detail17trampoline_kernelINS0_14default_configENS1_22reduce_config_selectorIxEEZNS1_11reduce_implILb1ES3_N6thrust23THRUST_200600_302600_NS6detail15normal_iteratorINS8_10device_ptrIxEEEEPxxNS8_4plusIxEEEE10hipError_tPvRmT1_T2_T3_mT4_P12ihipStream_tbEUlT_E1_NS1_11comp_targetILNS1_3genE3ELNS1_11target_archE908ELNS1_3gpuE7ELNS1_3repE0EEENS1_30default_config_static_selectorELNS0_4arch9wavefront6targetE1EEEvSK_.num_agpr, 0
	.set _ZN7rocprim17ROCPRIM_400000_NS6detail17trampoline_kernelINS0_14default_configENS1_22reduce_config_selectorIxEEZNS1_11reduce_implILb1ES3_N6thrust23THRUST_200600_302600_NS6detail15normal_iteratorINS8_10device_ptrIxEEEEPxxNS8_4plusIxEEEE10hipError_tPvRmT1_T2_T3_mT4_P12ihipStream_tbEUlT_E1_NS1_11comp_targetILNS1_3genE3ELNS1_11target_archE908ELNS1_3gpuE7ELNS1_3repE0EEENS1_30default_config_static_selectorELNS0_4arch9wavefront6targetE1EEEvSK_.numbered_sgpr, 0
	.set _ZN7rocprim17ROCPRIM_400000_NS6detail17trampoline_kernelINS0_14default_configENS1_22reduce_config_selectorIxEEZNS1_11reduce_implILb1ES3_N6thrust23THRUST_200600_302600_NS6detail15normal_iteratorINS8_10device_ptrIxEEEEPxxNS8_4plusIxEEEE10hipError_tPvRmT1_T2_T3_mT4_P12ihipStream_tbEUlT_E1_NS1_11comp_targetILNS1_3genE3ELNS1_11target_archE908ELNS1_3gpuE7ELNS1_3repE0EEENS1_30default_config_static_selectorELNS0_4arch9wavefront6targetE1EEEvSK_.num_named_barrier, 0
	.set _ZN7rocprim17ROCPRIM_400000_NS6detail17trampoline_kernelINS0_14default_configENS1_22reduce_config_selectorIxEEZNS1_11reduce_implILb1ES3_N6thrust23THRUST_200600_302600_NS6detail15normal_iteratorINS8_10device_ptrIxEEEEPxxNS8_4plusIxEEEE10hipError_tPvRmT1_T2_T3_mT4_P12ihipStream_tbEUlT_E1_NS1_11comp_targetILNS1_3genE3ELNS1_11target_archE908ELNS1_3gpuE7ELNS1_3repE0EEENS1_30default_config_static_selectorELNS0_4arch9wavefront6targetE1EEEvSK_.private_seg_size, 0
	.set _ZN7rocprim17ROCPRIM_400000_NS6detail17trampoline_kernelINS0_14default_configENS1_22reduce_config_selectorIxEEZNS1_11reduce_implILb1ES3_N6thrust23THRUST_200600_302600_NS6detail15normal_iteratorINS8_10device_ptrIxEEEEPxxNS8_4plusIxEEEE10hipError_tPvRmT1_T2_T3_mT4_P12ihipStream_tbEUlT_E1_NS1_11comp_targetILNS1_3genE3ELNS1_11target_archE908ELNS1_3gpuE7ELNS1_3repE0EEENS1_30default_config_static_selectorELNS0_4arch9wavefront6targetE1EEEvSK_.uses_vcc, 0
	.set _ZN7rocprim17ROCPRIM_400000_NS6detail17trampoline_kernelINS0_14default_configENS1_22reduce_config_selectorIxEEZNS1_11reduce_implILb1ES3_N6thrust23THRUST_200600_302600_NS6detail15normal_iteratorINS8_10device_ptrIxEEEEPxxNS8_4plusIxEEEE10hipError_tPvRmT1_T2_T3_mT4_P12ihipStream_tbEUlT_E1_NS1_11comp_targetILNS1_3genE3ELNS1_11target_archE908ELNS1_3gpuE7ELNS1_3repE0EEENS1_30default_config_static_selectorELNS0_4arch9wavefront6targetE1EEEvSK_.uses_flat_scratch, 0
	.set _ZN7rocprim17ROCPRIM_400000_NS6detail17trampoline_kernelINS0_14default_configENS1_22reduce_config_selectorIxEEZNS1_11reduce_implILb1ES3_N6thrust23THRUST_200600_302600_NS6detail15normal_iteratorINS8_10device_ptrIxEEEEPxxNS8_4plusIxEEEE10hipError_tPvRmT1_T2_T3_mT4_P12ihipStream_tbEUlT_E1_NS1_11comp_targetILNS1_3genE3ELNS1_11target_archE908ELNS1_3gpuE7ELNS1_3repE0EEENS1_30default_config_static_selectorELNS0_4arch9wavefront6targetE1EEEvSK_.has_dyn_sized_stack, 0
	.set _ZN7rocprim17ROCPRIM_400000_NS6detail17trampoline_kernelINS0_14default_configENS1_22reduce_config_selectorIxEEZNS1_11reduce_implILb1ES3_N6thrust23THRUST_200600_302600_NS6detail15normal_iteratorINS8_10device_ptrIxEEEEPxxNS8_4plusIxEEEE10hipError_tPvRmT1_T2_T3_mT4_P12ihipStream_tbEUlT_E1_NS1_11comp_targetILNS1_3genE3ELNS1_11target_archE908ELNS1_3gpuE7ELNS1_3repE0EEENS1_30default_config_static_selectorELNS0_4arch9wavefront6targetE1EEEvSK_.has_recursion, 0
	.set _ZN7rocprim17ROCPRIM_400000_NS6detail17trampoline_kernelINS0_14default_configENS1_22reduce_config_selectorIxEEZNS1_11reduce_implILb1ES3_N6thrust23THRUST_200600_302600_NS6detail15normal_iteratorINS8_10device_ptrIxEEEEPxxNS8_4plusIxEEEE10hipError_tPvRmT1_T2_T3_mT4_P12ihipStream_tbEUlT_E1_NS1_11comp_targetILNS1_3genE3ELNS1_11target_archE908ELNS1_3gpuE7ELNS1_3repE0EEENS1_30default_config_static_selectorELNS0_4arch9wavefront6targetE1EEEvSK_.has_indirect_call, 0
	.section	.AMDGPU.csdata,"",@progbits
; Kernel info:
; codeLenInByte = 0
; TotalNumSgprs: 6
; NumVgprs: 0
; NumAgprs: 0
; TotalNumVgprs: 0
; ScratchSize: 0
; MemoryBound: 0
; FloatMode: 240
; IeeeMode: 1
; LDSByteSize: 0 bytes/workgroup (compile time only)
; SGPRBlocks: 0
; VGPRBlocks: 0
; NumSGPRsForWavesPerEU: 6
; NumVGPRsForWavesPerEU: 1
; AccumOffset: 4
; Occupancy: 8
; WaveLimiterHint : 0
; COMPUTE_PGM_RSRC2:SCRATCH_EN: 0
; COMPUTE_PGM_RSRC2:USER_SGPR: 2
; COMPUTE_PGM_RSRC2:TRAP_HANDLER: 0
; COMPUTE_PGM_RSRC2:TGID_X_EN: 1
; COMPUTE_PGM_RSRC2:TGID_Y_EN: 0
; COMPUTE_PGM_RSRC2:TGID_Z_EN: 0
; COMPUTE_PGM_RSRC2:TIDIG_COMP_CNT: 0
; COMPUTE_PGM_RSRC3_GFX90A:ACCUM_OFFSET: 0
; COMPUTE_PGM_RSRC3_GFX90A:TG_SPLIT: 0
	.section	.text._ZN7rocprim17ROCPRIM_400000_NS6detail17trampoline_kernelINS0_14default_configENS1_22reduce_config_selectorIxEEZNS1_11reduce_implILb1ES3_N6thrust23THRUST_200600_302600_NS6detail15normal_iteratorINS8_10device_ptrIxEEEEPxxNS8_4plusIxEEEE10hipError_tPvRmT1_T2_T3_mT4_P12ihipStream_tbEUlT_E1_NS1_11comp_targetILNS1_3genE2ELNS1_11target_archE906ELNS1_3gpuE6ELNS1_3repE0EEENS1_30default_config_static_selectorELNS0_4arch9wavefront6targetE1EEEvSK_,"axG",@progbits,_ZN7rocprim17ROCPRIM_400000_NS6detail17trampoline_kernelINS0_14default_configENS1_22reduce_config_selectorIxEEZNS1_11reduce_implILb1ES3_N6thrust23THRUST_200600_302600_NS6detail15normal_iteratorINS8_10device_ptrIxEEEEPxxNS8_4plusIxEEEE10hipError_tPvRmT1_T2_T3_mT4_P12ihipStream_tbEUlT_E1_NS1_11comp_targetILNS1_3genE2ELNS1_11target_archE906ELNS1_3gpuE6ELNS1_3repE0EEENS1_30default_config_static_selectorELNS0_4arch9wavefront6targetE1EEEvSK_,comdat
	.protected	_ZN7rocprim17ROCPRIM_400000_NS6detail17trampoline_kernelINS0_14default_configENS1_22reduce_config_selectorIxEEZNS1_11reduce_implILb1ES3_N6thrust23THRUST_200600_302600_NS6detail15normal_iteratorINS8_10device_ptrIxEEEEPxxNS8_4plusIxEEEE10hipError_tPvRmT1_T2_T3_mT4_P12ihipStream_tbEUlT_E1_NS1_11comp_targetILNS1_3genE2ELNS1_11target_archE906ELNS1_3gpuE6ELNS1_3repE0EEENS1_30default_config_static_selectorELNS0_4arch9wavefront6targetE1EEEvSK_ ; -- Begin function _ZN7rocprim17ROCPRIM_400000_NS6detail17trampoline_kernelINS0_14default_configENS1_22reduce_config_selectorIxEEZNS1_11reduce_implILb1ES3_N6thrust23THRUST_200600_302600_NS6detail15normal_iteratorINS8_10device_ptrIxEEEEPxxNS8_4plusIxEEEE10hipError_tPvRmT1_T2_T3_mT4_P12ihipStream_tbEUlT_E1_NS1_11comp_targetILNS1_3genE2ELNS1_11target_archE906ELNS1_3gpuE6ELNS1_3repE0EEENS1_30default_config_static_selectorELNS0_4arch9wavefront6targetE1EEEvSK_
	.globl	_ZN7rocprim17ROCPRIM_400000_NS6detail17trampoline_kernelINS0_14default_configENS1_22reduce_config_selectorIxEEZNS1_11reduce_implILb1ES3_N6thrust23THRUST_200600_302600_NS6detail15normal_iteratorINS8_10device_ptrIxEEEEPxxNS8_4plusIxEEEE10hipError_tPvRmT1_T2_T3_mT4_P12ihipStream_tbEUlT_E1_NS1_11comp_targetILNS1_3genE2ELNS1_11target_archE906ELNS1_3gpuE6ELNS1_3repE0EEENS1_30default_config_static_selectorELNS0_4arch9wavefront6targetE1EEEvSK_
	.p2align	8
	.type	_ZN7rocprim17ROCPRIM_400000_NS6detail17trampoline_kernelINS0_14default_configENS1_22reduce_config_selectorIxEEZNS1_11reduce_implILb1ES3_N6thrust23THRUST_200600_302600_NS6detail15normal_iteratorINS8_10device_ptrIxEEEEPxxNS8_4plusIxEEEE10hipError_tPvRmT1_T2_T3_mT4_P12ihipStream_tbEUlT_E1_NS1_11comp_targetILNS1_3genE2ELNS1_11target_archE906ELNS1_3gpuE6ELNS1_3repE0EEENS1_30default_config_static_selectorELNS0_4arch9wavefront6targetE1EEEvSK_,@function
_ZN7rocprim17ROCPRIM_400000_NS6detail17trampoline_kernelINS0_14default_configENS1_22reduce_config_selectorIxEEZNS1_11reduce_implILb1ES3_N6thrust23THRUST_200600_302600_NS6detail15normal_iteratorINS8_10device_ptrIxEEEEPxxNS8_4plusIxEEEE10hipError_tPvRmT1_T2_T3_mT4_P12ihipStream_tbEUlT_E1_NS1_11comp_targetILNS1_3genE2ELNS1_11target_archE906ELNS1_3gpuE6ELNS1_3repE0EEENS1_30default_config_static_selectorELNS0_4arch9wavefront6targetE1EEEvSK_: ; @_ZN7rocprim17ROCPRIM_400000_NS6detail17trampoline_kernelINS0_14default_configENS1_22reduce_config_selectorIxEEZNS1_11reduce_implILb1ES3_N6thrust23THRUST_200600_302600_NS6detail15normal_iteratorINS8_10device_ptrIxEEEEPxxNS8_4plusIxEEEE10hipError_tPvRmT1_T2_T3_mT4_P12ihipStream_tbEUlT_E1_NS1_11comp_targetILNS1_3genE2ELNS1_11target_archE906ELNS1_3gpuE6ELNS1_3repE0EEENS1_30default_config_static_selectorELNS0_4arch9wavefront6targetE1EEEvSK_
; %bb.0:
	.section	.rodata,"a",@progbits
	.p2align	6, 0x0
	.amdhsa_kernel _ZN7rocprim17ROCPRIM_400000_NS6detail17trampoline_kernelINS0_14default_configENS1_22reduce_config_selectorIxEEZNS1_11reduce_implILb1ES3_N6thrust23THRUST_200600_302600_NS6detail15normal_iteratorINS8_10device_ptrIxEEEEPxxNS8_4plusIxEEEE10hipError_tPvRmT1_T2_T3_mT4_P12ihipStream_tbEUlT_E1_NS1_11comp_targetILNS1_3genE2ELNS1_11target_archE906ELNS1_3gpuE6ELNS1_3repE0EEENS1_30default_config_static_selectorELNS0_4arch9wavefront6targetE1EEEvSK_
		.amdhsa_group_segment_fixed_size 0
		.amdhsa_private_segment_fixed_size 0
		.amdhsa_kernarg_size 48
		.amdhsa_user_sgpr_count 2
		.amdhsa_user_sgpr_dispatch_ptr 0
		.amdhsa_user_sgpr_queue_ptr 0
		.amdhsa_user_sgpr_kernarg_segment_ptr 1
		.amdhsa_user_sgpr_dispatch_id 0
		.amdhsa_user_sgpr_kernarg_preload_length 0
		.amdhsa_user_sgpr_kernarg_preload_offset 0
		.amdhsa_user_sgpr_private_segment_size 0
		.amdhsa_uses_dynamic_stack 0
		.amdhsa_enable_private_segment 0
		.amdhsa_system_sgpr_workgroup_id_x 1
		.amdhsa_system_sgpr_workgroup_id_y 0
		.amdhsa_system_sgpr_workgroup_id_z 0
		.amdhsa_system_sgpr_workgroup_info 0
		.amdhsa_system_vgpr_workitem_id 0
		.amdhsa_next_free_vgpr 1
		.amdhsa_next_free_sgpr 0
		.amdhsa_accum_offset 4
		.amdhsa_reserve_vcc 0
		.amdhsa_float_round_mode_32 0
		.amdhsa_float_round_mode_16_64 0
		.amdhsa_float_denorm_mode_32 3
		.amdhsa_float_denorm_mode_16_64 3
		.amdhsa_dx10_clamp 1
		.amdhsa_ieee_mode 1
		.amdhsa_fp16_overflow 0
		.amdhsa_tg_split 0
		.amdhsa_exception_fp_ieee_invalid_op 0
		.amdhsa_exception_fp_denorm_src 0
		.amdhsa_exception_fp_ieee_div_zero 0
		.amdhsa_exception_fp_ieee_overflow 0
		.amdhsa_exception_fp_ieee_underflow 0
		.amdhsa_exception_fp_ieee_inexact 0
		.amdhsa_exception_int_div_zero 0
	.end_amdhsa_kernel
	.section	.text._ZN7rocprim17ROCPRIM_400000_NS6detail17trampoline_kernelINS0_14default_configENS1_22reduce_config_selectorIxEEZNS1_11reduce_implILb1ES3_N6thrust23THRUST_200600_302600_NS6detail15normal_iteratorINS8_10device_ptrIxEEEEPxxNS8_4plusIxEEEE10hipError_tPvRmT1_T2_T3_mT4_P12ihipStream_tbEUlT_E1_NS1_11comp_targetILNS1_3genE2ELNS1_11target_archE906ELNS1_3gpuE6ELNS1_3repE0EEENS1_30default_config_static_selectorELNS0_4arch9wavefront6targetE1EEEvSK_,"axG",@progbits,_ZN7rocprim17ROCPRIM_400000_NS6detail17trampoline_kernelINS0_14default_configENS1_22reduce_config_selectorIxEEZNS1_11reduce_implILb1ES3_N6thrust23THRUST_200600_302600_NS6detail15normal_iteratorINS8_10device_ptrIxEEEEPxxNS8_4plusIxEEEE10hipError_tPvRmT1_T2_T3_mT4_P12ihipStream_tbEUlT_E1_NS1_11comp_targetILNS1_3genE2ELNS1_11target_archE906ELNS1_3gpuE6ELNS1_3repE0EEENS1_30default_config_static_selectorELNS0_4arch9wavefront6targetE1EEEvSK_,comdat
.Lfunc_end218:
	.size	_ZN7rocprim17ROCPRIM_400000_NS6detail17trampoline_kernelINS0_14default_configENS1_22reduce_config_selectorIxEEZNS1_11reduce_implILb1ES3_N6thrust23THRUST_200600_302600_NS6detail15normal_iteratorINS8_10device_ptrIxEEEEPxxNS8_4plusIxEEEE10hipError_tPvRmT1_T2_T3_mT4_P12ihipStream_tbEUlT_E1_NS1_11comp_targetILNS1_3genE2ELNS1_11target_archE906ELNS1_3gpuE6ELNS1_3repE0EEENS1_30default_config_static_selectorELNS0_4arch9wavefront6targetE1EEEvSK_, .Lfunc_end218-_ZN7rocprim17ROCPRIM_400000_NS6detail17trampoline_kernelINS0_14default_configENS1_22reduce_config_selectorIxEEZNS1_11reduce_implILb1ES3_N6thrust23THRUST_200600_302600_NS6detail15normal_iteratorINS8_10device_ptrIxEEEEPxxNS8_4plusIxEEEE10hipError_tPvRmT1_T2_T3_mT4_P12ihipStream_tbEUlT_E1_NS1_11comp_targetILNS1_3genE2ELNS1_11target_archE906ELNS1_3gpuE6ELNS1_3repE0EEENS1_30default_config_static_selectorELNS0_4arch9wavefront6targetE1EEEvSK_
                                        ; -- End function
	.set _ZN7rocprim17ROCPRIM_400000_NS6detail17trampoline_kernelINS0_14default_configENS1_22reduce_config_selectorIxEEZNS1_11reduce_implILb1ES3_N6thrust23THRUST_200600_302600_NS6detail15normal_iteratorINS8_10device_ptrIxEEEEPxxNS8_4plusIxEEEE10hipError_tPvRmT1_T2_T3_mT4_P12ihipStream_tbEUlT_E1_NS1_11comp_targetILNS1_3genE2ELNS1_11target_archE906ELNS1_3gpuE6ELNS1_3repE0EEENS1_30default_config_static_selectorELNS0_4arch9wavefront6targetE1EEEvSK_.num_vgpr, 0
	.set _ZN7rocprim17ROCPRIM_400000_NS6detail17trampoline_kernelINS0_14default_configENS1_22reduce_config_selectorIxEEZNS1_11reduce_implILb1ES3_N6thrust23THRUST_200600_302600_NS6detail15normal_iteratorINS8_10device_ptrIxEEEEPxxNS8_4plusIxEEEE10hipError_tPvRmT1_T2_T3_mT4_P12ihipStream_tbEUlT_E1_NS1_11comp_targetILNS1_3genE2ELNS1_11target_archE906ELNS1_3gpuE6ELNS1_3repE0EEENS1_30default_config_static_selectorELNS0_4arch9wavefront6targetE1EEEvSK_.num_agpr, 0
	.set _ZN7rocprim17ROCPRIM_400000_NS6detail17trampoline_kernelINS0_14default_configENS1_22reduce_config_selectorIxEEZNS1_11reduce_implILb1ES3_N6thrust23THRUST_200600_302600_NS6detail15normal_iteratorINS8_10device_ptrIxEEEEPxxNS8_4plusIxEEEE10hipError_tPvRmT1_T2_T3_mT4_P12ihipStream_tbEUlT_E1_NS1_11comp_targetILNS1_3genE2ELNS1_11target_archE906ELNS1_3gpuE6ELNS1_3repE0EEENS1_30default_config_static_selectorELNS0_4arch9wavefront6targetE1EEEvSK_.numbered_sgpr, 0
	.set _ZN7rocprim17ROCPRIM_400000_NS6detail17trampoline_kernelINS0_14default_configENS1_22reduce_config_selectorIxEEZNS1_11reduce_implILb1ES3_N6thrust23THRUST_200600_302600_NS6detail15normal_iteratorINS8_10device_ptrIxEEEEPxxNS8_4plusIxEEEE10hipError_tPvRmT1_T2_T3_mT4_P12ihipStream_tbEUlT_E1_NS1_11comp_targetILNS1_3genE2ELNS1_11target_archE906ELNS1_3gpuE6ELNS1_3repE0EEENS1_30default_config_static_selectorELNS0_4arch9wavefront6targetE1EEEvSK_.num_named_barrier, 0
	.set _ZN7rocprim17ROCPRIM_400000_NS6detail17trampoline_kernelINS0_14default_configENS1_22reduce_config_selectorIxEEZNS1_11reduce_implILb1ES3_N6thrust23THRUST_200600_302600_NS6detail15normal_iteratorINS8_10device_ptrIxEEEEPxxNS8_4plusIxEEEE10hipError_tPvRmT1_T2_T3_mT4_P12ihipStream_tbEUlT_E1_NS1_11comp_targetILNS1_3genE2ELNS1_11target_archE906ELNS1_3gpuE6ELNS1_3repE0EEENS1_30default_config_static_selectorELNS0_4arch9wavefront6targetE1EEEvSK_.private_seg_size, 0
	.set _ZN7rocprim17ROCPRIM_400000_NS6detail17trampoline_kernelINS0_14default_configENS1_22reduce_config_selectorIxEEZNS1_11reduce_implILb1ES3_N6thrust23THRUST_200600_302600_NS6detail15normal_iteratorINS8_10device_ptrIxEEEEPxxNS8_4plusIxEEEE10hipError_tPvRmT1_T2_T3_mT4_P12ihipStream_tbEUlT_E1_NS1_11comp_targetILNS1_3genE2ELNS1_11target_archE906ELNS1_3gpuE6ELNS1_3repE0EEENS1_30default_config_static_selectorELNS0_4arch9wavefront6targetE1EEEvSK_.uses_vcc, 0
	.set _ZN7rocprim17ROCPRIM_400000_NS6detail17trampoline_kernelINS0_14default_configENS1_22reduce_config_selectorIxEEZNS1_11reduce_implILb1ES3_N6thrust23THRUST_200600_302600_NS6detail15normal_iteratorINS8_10device_ptrIxEEEEPxxNS8_4plusIxEEEE10hipError_tPvRmT1_T2_T3_mT4_P12ihipStream_tbEUlT_E1_NS1_11comp_targetILNS1_3genE2ELNS1_11target_archE906ELNS1_3gpuE6ELNS1_3repE0EEENS1_30default_config_static_selectorELNS0_4arch9wavefront6targetE1EEEvSK_.uses_flat_scratch, 0
	.set _ZN7rocprim17ROCPRIM_400000_NS6detail17trampoline_kernelINS0_14default_configENS1_22reduce_config_selectorIxEEZNS1_11reduce_implILb1ES3_N6thrust23THRUST_200600_302600_NS6detail15normal_iteratorINS8_10device_ptrIxEEEEPxxNS8_4plusIxEEEE10hipError_tPvRmT1_T2_T3_mT4_P12ihipStream_tbEUlT_E1_NS1_11comp_targetILNS1_3genE2ELNS1_11target_archE906ELNS1_3gpuE6ELNS1_3repE0EEENS1_30default_config_static_selectorELNS0_4arch9wavefront6targetE1EEEvSK_.has_dyn_sized_stack, 0
	.set _ZN7rocprim17ROCPRIM_400000_NS6detail17trampoline_kernelINS0_14default_configENS1_22reduce_config_selectorIxEEZNS1_11reduce_implILb1ES3_N6thrust23THRUST_200600_302600_NS6detail15normal_iteratorINS8_10device_ptrIxEEEEPxxNS8_4plusIxEEEE10hipError_tPvRmT1_T2_T3_mT4_P12ihipStream_tbEUlT_E1_NS1_11comp_targetILNS1_3genE2ELNS1_11target_archE906ELNS1_3gpuE6ELNS1_3repE0EEENS1_30default_config_static_selectorELNS0_4arch9wavefront6targetE1EEEvSK_.has_recursion, 0
	.set _ZN7rocprim17ROCPRIM_400000_NS6detail17trampoline_kernelINS0_14default_configENS1_22reduce_config_selectorIxEEZNS1_11reduce_implILb1ES3_N6thrust23THRUST_200600_302600_NS6detail15normal_iteratorINS8_10device_ptrIxEEEEPxxNS8_4plusIxEEEE10hipError_tPvRmT1_T2_T3_mT4_P12ihipStream_tbEUlT_E1_NS1_11comp_targetILNS1_3genE2ELNS1_11target_archE906ELNS1_3gpuE6ELNS1_3repE0EEENS1_30default_config_static_selectorELNS0_4arch9wavefront6targetE1EEEvSK_.has_indirect_call, 0
	.section	.AMDGPU.csdata,"",@progbits
; Kernel info:
; codeLenInByte = 0
; TotalNumSgprs: 6
; NumVgprs: 0
; NumAgprs: 0
; TotalNumVgprs: 0
; ScratchSize: 0
; MemoryBound: 0
; FloatMode: 240
; IeeeMode: 1
; LDSByteSize: 0 bytes/workgroup (compile time only)
; SGPRBlocks: 0
; VGPRBlocks: 0
; NumSGPRsForWavesPerEU: 6
; NumVGPRsForWavesPerEU: 1
; AccumOffset: 4
; Occupancy: 8
; WaveLimiterHint : 0
; COMPUTE_PGM_RSRC2:SCRATCH_EN: 0
; COMPUTE_PGM_RSRC2:USER_SGPR: 2
; COMPUTE_PGM_RSRC2:TRAP_HANDLER: 0
; COMPUTE_PGM_RSRC2:TGID_X_EN: 1
; COMPUTE_PGM_RSRC2:TGID_Y_EN: 0
; COMPUTE_PGM_RSRC2:TGID_Z_EN: 0
; COMPUTE_PGM_RSRC2:TIDIG_COMP_CNT: 0
; COMPUTE_PGM_RSRC3_GFX90A:ACCUM_OFFSET: 0
; COMPUTE_PGM_RSRC3_GFX90A:TG_SPLIT: 0
	.section	.text._ZN7rocprim17ROCPRIM_400000_NS6detail17trampoline_kernelINS0_14default_configENS1_22reduce_config_selectorIxEEZNS1_11reduce_implILb1ES3_N6thrust23THRUST_200600_302600_NS6detail15normal_iteratorINS8_10device_ptrIxEEEEPxxNS8_4plusIxEEEE10hipError_tPvRmT1_T2_T3_mT4_P12ihipStream_tbEUlT_E1_NS1_11comp_targetILNS1_3genE10ELNS1_11target_archE1201ELNS1_3gpuE5ELNS1_3repE0EEENS1_30default_config_static_selectorELNS0_4arch9wavefront6targetE1EEEvSK_,"axG",@progbits,_ZN7rocprim17ROCPRIM_400000_NS6detail17trampoline_kernelINS0_14default_configENS1_22reduce_config_selectorIxEEZNS1_11reduce_implILb1ES3_N6thrust23THRUST_200600_302600_NS6detail15normal_iteratorINS8_10device_ptrIxEEEEPxxNS8_4plusIxEEEE10hipError_tPvRmT1_T2_T3_mT4_P12ihipStream_tbEUlT_E1_NS1_11comp_targetILNS1_3genE10ELNS1_11target_archE1201ELNS1_3gpuE5ELNS1_3repE0EEENS1_30default_config_static_selectorELNS0_4arch9wavefront6targetE1EEEvSK_,comdat
	.protected	_ZN7rocprim17ROCPRIM_400000_NS6detail17trampoline_kernelINS0_14default_configENS1_22reduce_config_selectorIxEEZNS1_11reduce_implILb1ES3_N6thrust23THRUST_200600_302600_NS6detail15normal_iteratorINS8_10device_ptrIxEEEEPxxNS8_4plusIxEEEE10hipError_tPvRmT1_T2_T3_mT4_P12ihipStream_tbEUlT_E1_NS1_11comp_targetILNS1_3genE10ELNS1_11target_archE1201ELNS1_3gpuE5ELNS1_3repE0EEENS1_30default_config_static_selectorELNS0_4arch9wavefront6targetE1EEEvSK_ ; -- Begin function _ZN7rocprim17ROCPRIM_400000_NS6detail17trampoline_kernelINS0_14default_configENS1_22reduce_config_selectorIxEEZNS1_11reduce_implILb1ES3_N6thrust23THRUST_200600_302600_NS6detail15normal_iteratorINS8_10device_ptrIxEEEEPxxNS8_4plusIxEEEE10hipError_tPvRmT1_T2_T3_mT4_P12ihipStream_tbEUlT_E1_NS1_11comp_targetILNS1_3genE10ELNS1_11target_archE1201ELNS1_3gpuE5ELNS1_3repE0EEENS1_30default_config_static_selectorELNS0_4arch9wavefront6targetE1EEEvSK_
	.globl	_ZN7rocprim17ROCPRIM_400000_NS6detail17trampoline_kernelINS0_14default_configENS1_22reduce_config_selectorIxEEZNS1_11reduce_implILb1ES3_N6thrust23THRUST_200600_302600_NS6detail15normal_iteratorINS8_10device_ptrIxEEEEPxxNS8_4plusIxEEEE10hipError_tPvRmT1_T2_T3_mT4_P12ihipStream_tbEUlT_E1_NS1_11comp_targetILNS1_3genE10ELNS1_11target_archE1201ELNS1_3gpuE5ELNS1_3repE0EEENS1_30default_config_static_selectorELNS0_4arch9wavefront6targetE1EEEvSK_
	.p2align	8
	.type	_ZN7rocprim17ROCPRIM_400000_NS6detail17trampoline_kernelINS0_14default_configENS1_22reduce_config_selectorIxEEZNS1_11reduce_implILb1ES3_N6thrust23THRUST_200600_302600_NS6detail15normal_iteratorINS8_10device_ptrIxEEEEPxxNS8_4plusIxEEEE10hipError_tPvRmT1_T2_T3_mT4_P12ihipStream_tbEUlT_E1_NS1_11comp_targetILNS1_3genE10ELNS1_11target_archE1201ELNS1_3gpuE5ELNS1_3repE0EEENS1_30default_config_static_selectorELNS0_4arch9wavefront6targetE1EEEvSK_,@function
_ZN7rocprim17ROCPRIM_400000_NS6detail17trampoline_kernelINS0_14default_configENS1_22reduce_config_selectorIxEEZNS1_11reduce_implILb1ES3_N6thrust23THRUST_200600_302600_NS6detail15normal_iteratorINS8_10device_ptrIxEEEEPxxNS8_4plusIxEEEE10hipError_tPvRmT1_T2_T3_mT4_P12ihipStream_tbEUlT_E1_NS1_11comp_targetILNS1_3genE10ELNS1_11target_archE1201ELNS1_3gpuE5ELNS1_3repE0EEENS1_30default_config_static_selectorELNS0_4arch9wavefront6targetE1EEEvSK_: ; @_ZN7rocprim17ROCPRIM_400000_NS6detail17trampoline_kernelINS0_14default_configENS1_22reduce_config_selectorIxEEZNS1_11reduce_implILb1ES3_N6thrust23THRUST_200600_302600_NS6detail15normal_iteratorINS8_10device_ptrIxEEEEPxxNS8_4plusIxEEEE10hipError_tPvRmT1_T2_T3_mT4_P12ihipStream_tbEUlT_E1_NS1_11comp_targetILNS1_3genE10ELNS1_11target_archE1201ELNS1_3gpuE5ELNS1_3repE0EEENS1_30default_config_static_selectorELNS0_4arch9wavefront6targetE1EEEvSK_
; %bb.0:
	.section	.rodata,"a",@progbits
	.p2align	6, 0x0
	.amdhsa_kernel _ZN7rocprim17ROCPRIM_400000_NS6detail17trampoline_kernelINS0_14default_configENS1_22reduce_config_selectorIxEEZNS1_11reduce_implILb1ES3_N6thrust23THRUST_200600_302600_NS6detail15normal_iteratorINS8_10device_ptrIxEEEEPxxNS8_4plusIxEEEE10hipError_tPvRmT1_T2_T3_mT4_P12ihipStream_tbEUlT_E1_NS1_11comp_targetILNS1_3genE10ELNS1_11target_archE1201ELNS1_3gpuE5ELNS1_3repE0EEENS1_30default_config_static_selectorELNS0_4arch9wavefront6targetE1EEEvSK_
		.amdhsa_group_segment_fixed_size 0
		.amdhsa_private_segment_fixed_size 0
		.amdhsa_kernarg_size 48
		.amdhsa_user_sgpr_count 2
		.amdhsa_user_sgpr_dispatch_ptr 0
		.amdhsa_user_sgpr_queue_ptr 0
		.amdhsa_user_sgpr_kernarg_segment_ptr 1
		.amdhsa_user_sgpr_dispatch_id 0
		.amdhsa_user_sgpr_kernarg_preload_length 0
		.amdhsa_user_sgpr_kernarg_preload_offset 0
		.amdhsa_user_sgpr_private_segment_size 0
		.amdhsa_uses_dynamic_stack 0
		.amdhsa_enable_private_segment 0
		.amdhsa_system_sgpr_workgroup_id_x 1
		.amdhsa_system_sgpr_workgroup_id_y 0
		.amdhsa_system_sgpr_workgroup_id_z 0
		.amdhsa_system_sgpr_workgroup_info 0
		.amdhsa_system_vgpr_workitem_id 0
		.amdhsa_next_free_vgpr 1
		.amdhsa_next_free_sgpr 0
		.amdhsa_accum_offset 4
		.amdhsa_reserve_vcc 0
		.amdhsa_float_round_mode_32 0
		.amdhsa_float_round_mode_16_64 0
		.amdhsa_float_denorm_mode_32 3
		.amdhsa_float_denorm_mode_16_64 3
		.amdhsa_dx10_clamp 1
		.amdhsa_ieee_mode 1
		.amdhsa_fp16_overflow 0
		.amdhsa_tg_split 0
		.amdhsa_exception_fp_ieee_invalid_op 0
		.amdhsa_exception_fp_denorm_src 0
		.amdhsa_exception_fp_ieee_div_zero 0
		.amdhsa_exception_fp_ieee_overflow 0
		.amdhsa_exception_fp_ieee_underflow 0
		.amdhsa_exception_fp_ieee_inexact 0
		.amdhsa_exception_int_div_zero 0
	.end_amdhsa_kernel
	.section	.text._ZN7rocprim17ROCPRIM_400000_NS6detail17trampoline_kernelINS0_14default_configENS1_22reduce_config_selectorIxEEZNS1_11reduce_implILb1ES3_N6thrust23THRUST_200600_302600_NS6detail15normal_iteratorINS8_10device_ptrIxEEEEPxxNS8_4plusIxEEEE10hipError_tPvRmT1_T2_T3_mT4_P12ihipStream_tbEUlT_E1_NS1_11comp_targetILNS1_3genE10ELNS1_11target_archE1201ELNS1_3gpuE5ELNS1_3repE0EEENS1_30default_config_static_selectorELNS0_4arch9wavefront6targetE1EEEvSK_,"axG",@progbits,_ZN7rocprim17ROCPRIM_400000_NS6detail17trampoline_kernelINS0_14default_configENS1_22reduce_config_selectorIxEEZNS1_11reduce_implILb1ES3_N6thrust23THRUST_200600_302600_NS6detail15normal_iteratorINS8_10device_ptrIxEEEEPxxNS8_4plusIxEEEE10hipError_tPvRmT1_T2_T3_mT4_P12ihipStream_tbEUlT_E1_NS1_11comp_targetILNS1_3genE10ELNS1_11target_archE1201ELNS1_3gpuE5ELNS1_3repE0EEENS1_30default_config_static_selectorELNS0_4arch9wavefront6targetE1EEEvSK_,comdat
.Lfunc_end219:
	.size	_ZN7rocprim17ROCPRIM_400000_NS6detail17trampoline_kernelINS0_14default_configENS1_22reduce_config_selectorIxEEZNS1_11reduce_implILb1ES3_N6thrust23THRUST_200600_302600_NS6detail15normal_iteratorINS8_10device_ptrIxEEEEPxxNS8_4plusIxEEEE10hipError_tPvRmT1_T2_T3_mT4_P12ihipStream_tbEUlT_E1_NS1_11comp_targetILNS1_3genE10ELNS1_11target_archE1201ELNS1_3gpuE5ELNS1_3repE0EEENS1_30default_config_static_selectorELNS0_4arch9wavefront6targetE1EEEvSK_, .Lfunc_end219-_ZN7rocprim17ROCPRIM_400000_NS6detail17trampoline_kernelINS0_14default_configENS1_22reduce_config_selectorIxEEZNS1_11reduce_implILb1ES3_N6thrust23THRUST_200600_302600_NS6detail15normal_iteratorINS8_10device_ptrIxEEEEPxxNS8_4plusIxEEEE10hipError_tPvRmT1_T2_T3_mT4_P12ihipStream_tbEUlT_E1_NS1_11comp_targetILNS1_3genE10ELNS1_11target_archE1201ELNS1_3gpuE5ELNS1_3repE0EEENS1_30default_config_static_selectorELNS0_4arch9wavefront6targetE1EEEvSK_
                                        ; -- End function
	.set _ZN7rocprim17ROCPRIM_400000_NS6detail17trampoline_kernelINS0_14default_configENS1_22reduce_config_selectorIxEEZNS1_11reduce_implILb1ES3_N6thrust23THRUST_200600_302600_NS6detail15normal_iteratorINS8_10device_ptrIxEEEEPxxNS8_4plusIxEEEE10hipError_tPvRmT1_T2_T3_mT4_P12ihipStream_tbEUlT_E1_NS1_11comp_targetILNS1_3genE10ELNS1_11target_archE1201ELNS1_3gpuE5ELNS1_3repE0EEENS1_30default_config_static_selectorELNS0_4arch9wavefront6targetE1EEEvSK_.num_vgpr, 0
	.set _ZN7rocprim17ROCPRIM_400000_NS6detail17trampoline_kernelINS0_14default_configENS1_22reduce_config_selectorIxEEZNS1_11reduce_implILb1ES3_N6thrust23THRUST_200600_302600_NS6detail15normal_iteratorINS8_10device_ptrIxEEEEPxxNS8_4plusIxEEEE10hipError_tPvRmT1_T2_T3_mT4_P12ihipStream_tbEUlT_E1_NS1_11comp_targetILNS1_3genE10ELNS1_11target_archE1201ELNS1_3gpuE5ELNS1_3repE0EEENS1_30default_config_static_selectorELNS0_4arch9wavefront6targetE1EEEvSK_.num_agpr, 0
	.set _ZN7rocprim17ROCPRIM_400000_NS6detail17trampoline_kernelINS0_14default_configENS1_22reduce_config_selectorIxEEZNS1_11reduce_implILb1ES3_N6thrust23THRUST_200600_302600_NS6detail15normal_iteratorINS8_10device_ptrIxEEEEPxxNS8_4plusIxEEEE10hipError_tPvRmT1_T2_T3_mT4_P12ihipStream_tbEUlT_E1_NS1_11comp_targetILNS1_3genE10ELNS1_11target_archE1201ELNS1_3gpuE5ELNS1_3repE0EEENS1_30default_config_static_selectorELNS0_4arch9wavefront6targetE1EEEvSK_.numbered_sgpr, 0
	.set _ZN7rocprim17ROCPRIM_400000_NS6detail17trampoline_kernelINS0_14default_configENS1_22reduce_config_selectorIxEEZNS1_11reduce_implILb1ES3_N6thrust23THRUST_200600_302600_NS6detail15normal_iteratorINS8_10device_ptrIxEEEEPxxNS8_4plusIxEEEE10hipError_tPvRmT1_T2_T3_mT4_P12ihipStream_tbEUlT_E1_NS1_11comp_targetILNS1_3genE10ELNS1_11target_archE1201ELNS1_3gpuE5ELNS1_3repE0EEENS1_30default_config_static_selectorELNS0_4arch9wavefront6targetE1EEEvSK_.num_named_barrier, 0
	.set _ZN7rocprim17ROCPRIM_400000_NS6detail17trampoline_kernelINS0_14default_configENS1_22reduce_config_selectorIxEEZNS1_11reduce_implILb1ES3_N6thrust23THRUST_200600_302600_NS6detail15normal_iteratorINS8_10device_ptrIxEEEEPxxNS8_4plusIxEEEE10hipError_tPvRmT1_T2_T3_mT4_P12ihipStream_tbEUlT_E1_NS1_11comp_targetILNS1_3genE10ELNS1_11target_archE1201ELNS1_3gpuE5ELNS1_3repE0EEENS1_30default_config_static_selectorELNS0_4arch9wavefront6targetE1EEEvSK_.private_seg_size, 0
	.set _ZN7rocprim17ROCPRIM_400000_NS6detail17trampoline_kernelINS0_14default_configENS1_22reduce_config_selectorIxEEZNS1_11reduce_implILb1ES3_N6thrust23THRUST_200600_302600_NS6detail15normal_iteratorINS8_10device_ptrIxEEEEPxxNS8_4plusIxEEEE10hipError_tPvRmT1_T2_T3_mT4_P12ihipStream_tbEUlT_E1_NS1_11comp_targetILNS1_3genE10ELNS1_11target_archE1201ELNS1_3gpuE5ELNS1_3repE0EEENS1_30default_config_static_selectorELNS0_4arch9wavefront6targetE1EEEvSK_.uses_vcc, 0
	.set _ZN7rocprim17ROCPRIM_400000_NS6detail17trampoline_kernelINS0_14default_configENS1_22reduce_config_selectorIxEEZNS1_11reduce_implILb1ES3_N6thrust23THRUST_200600_302600_NS6detail15normal_iteratorINS8_10device_ptrIxEEEEPxxNS8_4plusIxEEEE10hipError_tPvRmT1_T2_T3_mT4_P12ihipStream_tbEUlT_E1_NS1_11comp_targetILNS1_3genE10ELNS1_11target_archE1201ELNS1_3gpuE5ELNS1_3repE0EEENS1_30default_config_static_selectorELNS0_4arch9wavefront6targetE1EEEvSK_.uses_flat_scratch, 0
	.set _ZN7rocprim17ROCPRIM_400000_NS6detail17trampoline_kernelINS0_14default_configENS1_22reduce_config_selectorIxEEZNS1_11reduce_implILb1ES3_N6thrust23THRUST_200600_302600_NS6detail15normal_iteratorINS8_10device_ptrIxEEEEPxxNS8_4plusIxEEEE10hipError_tPvRmT1_T2_T3_mT4_P12ihipStream_tbEUlT_E1_NS1_11comp_targetILNS1_3genE10ELNS1_11target_archE1201ELNS1_3gpuE5ELNS1_3repE0EEENS1_30default_config_static_selectorELNS0_4arch9wavefront6targetE1EEEvSK_.has_dyn_sized_stack, 0
	.set _ZN7rocprim17ROCPRIM_400000_NS6detail17trampoline_kernelINS0_14default_configENS1_22reduce_config_selectorIxEEZNS1_11reduce_implILb1ES3_N6thrust23THRUST_200600_302600_NS6detail15normal_iteratorINS8_10device_ptrIxEEEEPxxNS8_4plusIxEEEE10hipError_tPvRmT1_T2_T3_mT4_P12ihipStream_tbEUlT_E1_NS1_11comp_targetILNS1_3genE10ELNS1_11target_archE1201ELNS1_3gpuE5ELNS1_3repE0EEENS1_30default_config_static_selectorELNS0_4arch9wavefront6targetE1EEEvSK_.has_recursion, 0
	.set _ZN7rocprim17ROCPRIM_400000_NS6detail17trampoline_kernelINS0_14default_configENS1_22reduce_config_selectorIxEEZNS1_11reduce_implILb1ES3_N6thrust23THRUST_200600_302600_NS6detail15normal_iteratorINS8_10device_ptrIxEEEEPxxNS8_4plusIxEEEE10hipError_tPvRmT1_T2_T3_mT4_P12ihipStream_tbEUlT_E1_NS1_11comp_targetILNS1_3genE10ELNS1_11target_archE1201ELNS1_3gpuE5ELNS1_3repE0EEENS1_30default_config_static_selectorELNS0_4arch9wavefront6targetE1EEEvSK_.has_indirect_call, 0
	.section	.AMDGPU.csdata,"",@progbits
; Kernel info:
; codeLenInByte = 0
; TotalNumSgprs: 6
; NumVgprs: 0
; NumAgprs: 0
; TotalNumVgprs: 0
; ScratchSize: 0
; MemoryBound: 0
; FloatMode: 240
; IeeeMode: 1
; LDSByteSize: 0 bytes/workgroup (compile time only)
; SGPRBlocks: 0
; VGPRBlocks: 0
; NumSGPRsForWavesPerEU: 6
; NumVGPRsForWavesPerEU: 1
; AccumOffset: 4
; Occupancy: 8
; WaveLimiterHint : 0
; COMPUTE_PGM_RSRC2:SCRATCH_EN: 0
; COMPUTE_PGM_RSRC2:USER_SGPR: 2
; COMPUTE_PGM_RSRC2:TRAP_HANDLER: 0
; COMPUTE_PGM_RSRC2:TGID_X_EN: 1
; COMPUTE_PGM_RSRC2:TGID_Y_EN: 0
; COMPUTE_PGM_RSRC2:TGID_Z_EN: 0
; COMPUTE_PGM_RSRC2:TIDIG_COMP_CNT: 0
; COMPUTE_PGM_RSRC3_GFX90A:ACCUM_OFFSET: 0
; COMPUTE_PGM_RSRC3_GFX90A:TG_SPLIT: 0
	.section	.text._ZN7rocprim17ROCPRIM_400000_NS6detail17trampoline_kernelINS0_14default_configENS1_22reduce_config_selectorIxEEZNS1_11reduce_implILb1ES3_N6thrust23THRUST_200600_302600_NS6detail15normal_iteratorINS8_10device_ptrIxEEEEPxxNS8_4plusIxEEEE10hipError_tPvRmT1_T2_T3_mT4_P12ihipStream_tbEUlT_E1_NS1_11comp_targetILNS1_3genE10ELNS1_11target_archE1200ELNS1_3gpuE4ELNS1_3repE0EEENS1_30default_config_static_selectorELNS0_4arch9wavefront6targetE1EEEvSK_,"axG",@progbits,_ZN7rocprim17ROCPRIM_400000_NS6detail17trampoline_kernelINS0_14default_configENS1_22reduce_config_selectorIxEEZNS1_11reduce_implILb1ES3_N6thrust23THRUST_200600_302600_NS6detail15normal_iteratorINS8_10device_ptrIxEEEEPxxNS8_4plusIxEEEE10hipError_tPvRmT1_T2_T3_mT4_P12ihipStream_tbEUlT_E1_NS1_11comp_targetILNS1_3genE10ELNS1_11target_archE1200ELNS1_3gpuE4ELNS1_3repE0EEENS1_30default_config_static_selectorELNS0_4arch9wavefront6targetE1EEEvSK_,comdat
	.protected	_ZN7rocprim17ROCPRIM_400000_NS6detail17trampoline_kernelINS0_14default_configENS1_22reduce_config_selectorIxEEZNS1_11reduce_implILb1ES3_N6thrust23THRUST_200600_302600_NS6detail15normal_iteratorINS8_10device_ptrIxEEEEPxxNS8_4plusIxEEEE10hipError_tPvRmT1_T2_T3_mT4_P12ihipStream_tbEUlT_E1_NS1_11comp_targetILNS1_3genE10ELNS1_11target_archE1200ELNS1_3gpuE4ELNS1_3repE0EEENS1_30default_config_static_selectorELNS0_4arch9wavefront6targetE1EEEvSK_ ; -- Begin function _ZN7rocprim17ROCPRIM_400000_NS6detail17trampoline_kernelINS0_14default_configENS1_22reduce_config_selectorIxEEZNS1_11reduce_implILb1ES3_N6thrust23THRUST_200600_302600_NS6detail15normal_iteratorINS8_10device_ptrIxEEEEPxxNS8_4plusIxEEEE10hipError_tPvRmT1_T2_T3_mT4_P12ihipStream_tbEUlT_E1_NS1_11comp_targetILNS1_3genE10ELNS1_11target_archE1200ELNS1_3gpuE4ELNS1_3repE0EEENS1_30default_config_static_selectorELNS0_4arch9wavefront6targetE1EEEvSK_
	.globl	_ZN7rocprim17ROCPRIM_400000_NS6detail17trampoline_kernelINS0_14default_configENS1_22reduce_config_selectorIxEEZNS1_11reduce_implILb1ES3_N6thrust23THRUST_200600_302600_NS6detail15normal_iteratorINS8_10device_ptrIxEEEEPxxNS8_4plusIxEEEE10hipError_tPvRmT1_T2_T3_mT4_P12ihipStream_tbEUlT_E1_NS1_11comp_targetILNS1_3genE10ELNS1_11target_archE1200ELNS1_3gpuE4ELNS1_3repE0EEENS1_30default_config_static_selectorELNS0_4arch9wavefront6targetE1EEEvSK_
	.p2align	8
	.type	_ZN7rocprim17ROCPRIM_400000_NS6detail17trampoline_kernelINS0_14default_configENS1_22reduce_config_selectorIxEEZNS1_11reduce_implILb1ES3_N6thrust23THRUST_200600_302600_NS6detail15normal_iteratorINS8_10device_ptrIxEEEEPxxNS8_4plusIxEEEE10hipError_tPvRmT1_T2_T3_mT4_P12ihipStream_tbEUlT_E1_NS1_11comp_targetILNS1_3genE10ELNS1_11target_archE1200ELNS1_3gpuE4ELNS1_3repE0EEENS1_30default_config_static_selectorELNS0_4arch9wavefront6targetE1EEEvSK_,@function
_ZN7rocprim17ROCPRIM_400000_NS6detail17trampoline_kernelINS0_14default_configENS1_22reduce_config_selectorIxEEZNS1_11reduce_implILb1ES3_N6thrust23THRUST_200600_302600_NS6detail15normal_iteratorINS8_10device_ptrIxEEEEPxxNS8_4plusIxEEEE10hipError_tPvRmT1_T2_T3_mT4_P12ihipStream_tbEUlT_E1_NS1_11comp_targetILNS1_3genE10ELNS1_11target_archE1200ELNS1_3gpuE4ELNS1_3repE0EEENS1_30default_config_static_selectorELNS0_4arch9wavefront6targetE1EEEvSK_: ; @_ZN7rocprim17ROCPRIM_400000_NS6detail17trampoline_kernelINS0_14default_configENS1_22reduce_config_selectorIxEEZNS1_11reduce_implILb1ES3_N6thrust23THRUST_200600_302600_NS6detail15normal_iteratorINS8_10device_ptrIxEEEEPxxNS8_4plusIxEEEE10hipError_tPvRmT1_T2_T3_mT4_P12ihipStream_tbEUlT_E1_NS1_11comp_targetILNS1_3genE10ELNS1_11target_archE1200ELNS1_3gpuE4ELNS1_3repE0EEENS1_30default_config_static_selectorELNS0_4arch9wavefront6targetE1EEEvSK_
; %bb.0:
	.section	.rodata,"a",@progbits
	.p2align	6, 0x0
	.amdhsa_kernel _ZN7rocprim17ROCPRIM_400000_NS6detail17trampoline_kernelINS0_14default_configENS1_22reduce_config_selectorIxEEZNS1_11reduce_implILb1ES3_N6thrust23THRUST_200600_302600_NS6detail15normal_iteratorINS8_10device_ptrIxEEEEPxxNS8_4plusIxEEEE10hipError_tPvRmT1_T2_T3_mT4_P12ihipStream_tbEUlT_E1_NS1_11comp_targetILNS1_3genE10ELNS1_11target_archE1200ELNS1_3gpuE4ELNS1_3repE0EEENS1_30default_config_static_selectorELNS0_4arch9wavefront6targetE1EEEvSK_
		.amdhsa_group_segment_fixed_size 0
		.amdhsa_private_segment_fixed_size 0
		.amdhsa_kernarg_size 48
		.amdhsa_user_sgpr_count 2
		.amdhsa_user_sgpr_dispatch_ptr 0
		.amdhsa_user_sgpr_queue_ptr 0
		.amdhsa_user_sgpr_kernarg_segment_ptr 1
		.amdhsa_user_sgpr_dispatch_id 0
		.amdhsa_user_sgpr_kernarg_preload_length 0
		.amdhsa_user_sgpr_kernarg_preload_offset 0
		.amdhsa_user_sgpr_private_segment_size 0
		.amdhsa_uses_dynamic_stack 0
		.amdhsa_enable_private_segment 0
		.amdhsa_system_sgpr_workgroup_id_x 1
		.amdhsa_system_sgpr_workgroup_id_y 0
		.amdhsa_system_sgpr_workgroup_id_z 0
		.amdhsa_system_sgpr_workgroup_info 0
		.amdhsa_system_vgpr_workitem_id 0
		.amdhsa_next_free_vgpr 1
		.amdhsa_next_free_sgpr 0
		.amdhsa_accum_offset 4
		.amdhsa_reserve_vcc 0
		.amdhsa_float_round_mode_32 0
		.amdhsa_float_round_mode_16_64 0
		.amdhsa_float_denorm_mode_32 3
		.amdhsa_float_denorm_mode_16_64 3
		.amdhsa_dx10_clamp 1
		.amdhsa_ieee_mode 1
		.amdhsa_fp16_overflow 0
		.amdhsa_tg_split 0
		.amdhsa_exception_fp_ieee_invalid_op 0
		.amdhsa_exception_fp_denorm_src 0
		.amdhsa_exception_fp_ieee_div_zero 0
		.amdhsa_exception_fp_ieee_overflow 0
		.amdhsa_exception_fp_ieee_underflow 0
		.amdhsa_exception_fp_ieee_inexact 0
		.amdhsa_exception_int_div_zero 0
	.end_amdhsa_kernel
	.section	.text._ZN7rocprim17ROCPRIM_400000_NS6detail17trampoline_kernelINS0_14default_configENS1_22reduce_config_selectorIxEEZNS1_11reduce_implILb1ES3_N6thrust23THRUST_200600_302600_NS6detail15normal_iteratorINS8_10device_ptrIxEEEEPxxNS8_4plusIxEEEE10hipError_tPvRmT1_T2_T3_mT4_P12ihipStream_tbEUlT_E1_NS1_11comp_targetILNS1_3genE10ELNS1_11target_archE1200ELNS1_3gpuE4ELNS1_3repE0EEENS1_30default_config_static_selectorELNS0_4arch9wavefront6targetE1EEEvSK_,"axG",@progbits,_ZN7rocprim17ROCPRIM_400000_NS6detail17trampoline_kernelINS0_14default_configENS1_22reduce_config_selectorIxEEZNS1_11reduce_implILb1ES3_N6thrust23THRUST_200600_302600_NS6detail15normal_iteratorINS8_10device_ptrIxEEEEPxxNS8_4plusIxEEEE10hipError_tPvRmT1_T2_T3_mT4_P12ihipStream_tbEUlT_E1_NS1_11comp_targetILNS1_3genE10ELNS1_11target_archE1200ELNS1_3gpuE4ELNS1_3repE0EEENS1_30default_config_static_selectorELNS0_4arch9wavefront6targetE1EEEvSK_,comdat
.Lfunc_end220:
	.size	_ZN7rocprim17ROCPRIM_400000_NS6detail17trampoline_kernelINS0_14default_configENS1_22reduce_config_selectorIxEEZNS1_11reduce_implILb1ES3_N6thrust23THRUST_200600_302600_NS6detail15normal_iteratorINS8_10device_ptrIxEEEEPxxNS8_4plusIxEEEE10hipError_tPvRmT1_T2_T3_mT4_P12ihipStream_tbEUlT_E1_NS1_11comp_targetILNS1_3genE10ELNS1_11target_archE1200ELNS1_3gpuE4ELNS1_3repE0EEENS1_30default_config_static_selectorELNS0_4arch9wavefront6targetE1EEEvSK_, .Lfunc_end220-_ZN7rocprim17ROCPRIM_400000_NS6detail17trampoline_kernelINS0_14default_configENS1_22reduce_config_selectorIxEEZNS1_11reduce_implILb1ES3_N6thrust23THRUST_200600_302600_NS6detail15normal_iteratorINS8_10device_ptrIxEEEEPxxNS8_4plusIxEEEE10hipError_tPvRmT1_T2_T3_mT4_P12ihipStream_tbEUlT_E1_NS1_11comp_targetILNS1_3genE10ELNS1_11target_archE1200ELNS1_3gpuE4ELNS1_3repE0EEENS1_30default_config_static_selectorELNS0_4arch9wavefront6targetE1EEEvSK_
                                        ; -- End function
	.set _ZN7rocprim17ROCPRIM_400000_NS6detail17trampoline_kernelINS0_14default_configENS1_22reduce_config_selectorIxEEZNS1_11reduce_implILb1ES3_N6thrust23THRUST_200600_302600_NS6detail15normal_iteratorINS8_10device_ptrIxEEEEPxxNS8_4plusIxEEEE10hipError_tPvRmT1_T2_T3_mT4_P12ihipStream_tbEUlT_E1_NS1_11comp_targetILNS1_3genE10ELNS1_11target_archE1200ELNS1_3gpuE4ELNS1_3repE0EEENS1_30default_config_static_selectorELNS0_4arch9wavefront6targetE1EEEvSK_.num_vgpr, 0
	.set _ZN7rocprim17ROCPRIM_400000_NS6detail17trampoline_kernelINS0_14default_configENS1_22reduce_config_selectorIxEEZNS1_11reduce_implILb1ES3_N6thrust23THRUST_200600_302600_NS6detail15normal_iteratorINS8_10device_ptrIxEEEEPxxNS8_4plusIxEEEE10hipError_tPvRmT1_T2_T3_mT4_P12ihipStream_tbEUlT_E1_NS1_11comp_targetILNS1_3genE10ELNS1_11target_archE1200ELNS1_3gpuE4ELNS1_3repE0EEENS1_30default_config_static_selectorELNS0_4arch9wavefront6targetE1EEEvSK_.num_agpr, 0
	.set _ZN7rocprim17ROCPRIM_400000_NS6detail17trampoline_kernelINS0_14default_configENS1_22reduce_config_selectorIxEEZNS1_11reduce_implILb1ES3_N6thrust23THRUST_200600_302600_NS6detail15normal_iteratorINS8_10device_ptrIxEEEEPxxNS8_4plusIxEEEE10hipError_tPvRmT1_T2_T3_mT4_P12ihipStream_tbEUlT_E1_NS1_11comp_targetILNS1_3genE10ELNS1_11target_archE1200ELNS1_3gpuE4ELNS1_3repE0EEENS1_30default_config_static_selectorELNS0_4arch9wavefront6targetE1EEEvSK_.numbered_sgpr, 0
	.set _ZN7rocprim17ROCPRIM_400000_NS6detail17trampoline_kernelINS0_14default_configENS1_22reduce_config_selectorIxEEZNS1_11reduce_implILb1ES3_N6thrust23THRUST_200600_302600_NS6detail15normal_iteratorINS8_10device_ptrIxEEEEPxxNS8_4plusIxEEEE10hipError_tPvRmT1_T2_T3_mT4_P12ihipStream_tbEUlT_E1_NS1_11comp_targetILNS1_3genE10ELNS1_11target_archE1200ELNS1_3gpuE4ELNS1_3repE0EEENS1_30default_config_static_selectorELNS0_4arch9wavefront6targetE1EEEvSK_.num_named_barrier, 0
	.set _ZN7rocprim17ROCPRIM_400000_NS6detail17trampoline_kernelINS0_14default_configENS1_22reduce_config_selectorIxEEZNS1_11reduce_implILb1ES3_N6thrust23THRUST_200600_302600_NS6detail15normal_iteratorINS8_10device_ptrIxEEEEPxxNS8_4plusIxEEEE10hipError_tPvRmT1_T2_T3_mT4_P12ihipStream_tbEUlT_E1_NS1_11comp_targetILNS1_3genE10ELNS1_11target_archE1200ELNS1_3gpuE4ELNS1_3repE0EEENS1_30default_config_static_selectorELNS0_4arch9wavefront6targetE1EEEvSK_.private_seg_size, 0
	.set _ZN7rocprim17ROCPRIM_400000_NS6detail17trampoline_kernelINS0_14default_configENS1_22reduce_config_selectorIxEEZNS1_11reduce_implILb1ES3_N6thrust23THRUST_200600_302600_NS6detail15normal_iteratorINS8_10device_ptrIxEEEEPxxNS8_4plusIxEEEE10hipError_tPvRmT1_T2_T3_mT4_P12ihipStream_tbEUlT_E1_NS1_11comp_targetILNS1_3genE10ELNS1_11target_archE1200ELNS1_3gpuE4ELNS1_3repE0EEENS1_30default_config_static_selectorELNS0_4arch9wavefront6targetE1EEEvSK_.uses_vcc, 0
	.set _ZN7rocprim17ROCPRIM_400000_NS6detail17trampoline_kernelINS0_14default_configENS1_22reduce_config_selectorIxEEZNS1_11reduce_implILb1ES3_N6thrust23THRUST_200600_302600_NS6detail15normal_iteratorINS8_10device_ptrIxEEEEPxxNS8_4plusIxEEEE10hipError_tPvRmT1_T2_T3_mT4_P12ihipStream_tbEUlT_E1_NS1_11comp_targetILNS1_3genE10ELNS1_11target_archE1200ELNS1_3gpuE4ELNS1_3repE0EEENS1_30default_config_static_selectorELNS0_4arch9wavefront6targetE1EEEvSK_.uses_flat_scratch, 0
	.set _ZN7rocprim17ROCPRIM_400000_NS6detail17trampoline_kernelINS0_14default_configENS1_22reduce_config_selectorIxEEZNS1_11reduce_implILb1ES3_N6thrust23THRUST_200600_302600_NS6detail15normal_iteratorINS8_10device_ptrIxEEEEPxxNS8_4plusIxEEEE10hipError_tPvRmT1_T2_T3_mT4_P12ihipStream_tbEUlT_E1_NS1_11comp_targetILNS1_3genE10ELNS1_11target_archE1200ELNS1_3gpuE4ELNS1_3repE0EEENS1_30default_config_static_selectorELNS0_4arch9wavefront6targetE1EEEvSK_.has_dyn_sized_stack, 0
	.set _ZN7rocprim17ROCPRIM_400000_NS6detail17trampoline_kernelINS0_14default_configENS1_22reduce_config_selectorIxEEZNS1_11reduce_implILb1ES3_N6thrust23THRUST_200600_302600_NS6detail15normal_iteratorINS8_10device_ptrIxEEEEPxxNS8_4plusIxEEEE10hipError_tPvRmT1_T2_T3_mT4_P12ihipStream_tbEUlT_E1_NS1_11comp_targetILNS1_3genE10ELNS1_11target_archE1200ELNS1_3gpuE4ELNS1_3repE0EEENS1_30default_config_static_selectorELNS0_4arch9wavefront6targetE1EEEvSK_.has_recursion, 0
	.set _ZN7rocprim17ROCPRIM_400000_NS6detail17trampoline_kernelINS0_14default_configENS1_22reduce_config_selectorIxEEZNS1_11reduce_implILb1ES3_N6thrust23THRUST_200600_302600_NS6detail15normal_iteratorINS8_10device_ptrIxEEEEPxxNS8_4plusIxEEEE10hipError_tPvRmT1_T2_T3_mT4_P12ihipStream_tbEUlT_E1_NS1_11comp_targetILNS1_3genE10ELNS1_11target_archE1200ELNS1_3gpuE4ELNS1_3repE0EEENS1_30default_config_static_selectorELNS0_4arch9wavefront6targetE1EEEvSK_.has_indirect_call, 0
	.section	.AMDGPU.csdata,"",@progbits
; Kernel info:
; codeLenInByte = 0
; TotalNumSgprs: 6
; NumVgprs: 0
; NumAgprs: 0
; TotalNumVgprs: 0
; ScratchSize: 0
; MemoryBound: 0
; FloatMode: 240
; IeeeMode: 1
; LDSByteSize: 0 bytes/workgroup (compile time only)
; SGPRBlocks: 0
; VGPRBlocks: 0
; NumSGPRsForWavesPerEU: 6
; NumVGPRsForWavesPerEU: 1
; AccumOffset: 4
; Occupancy: 8
; WaveLimiterHint : 0
; COMPUTE_PGM_RSRC2:SCRATCH_EN: 0
; COMPUTE_PGM_RSRC2:USER_SGPR: 2
; COMPUTE_PGM_RSRC2:TRAP_HANDLER: 0
; COMPUTE_PGM_RSRC2:TGID_X_EN: 1
; COMPUTE_PGM_RSRC2:TGID_Y_EN: 0
; COMPUTE_PGM_RSRC2:TGID_Z_EN: 0
; COMPUTE_PGM_RSRC2:TIDIG_COMP_CNT: 0
; COMPUTE_PGM_RSRC3_GFX90A:ACCUM_OFFSET: 0
; COMPUTE_PGM_RSRC3_GFX90A:TG_SPLIT: 0
	.section	.text._ZN7rocprim17ROCPRIM_400000_NS6detail17trampoline_kernelINS0_14default_configENS1_22reduce_config_selectorIxEEZNS1_11reduce_implILb1ES3_N6thrust23THRUST_200600_302600_NS6detail15normal_iteratorINS8_10device_ptrIxEEEEPxxNS8_4plusIxEEEE10hipError_tPvRmT1_T2_T3_mT4_P12ihipStream_tbEUlT_E1_NS1_11comp_targetILNS1_3genE9ELNS1_11target_archE1100ELNS1_3gpuE3ELNS1_3repE0EEENS1_30default_config_static_selectorELNS0_4arch9wavefront6targetE1EEEvSK_,"axG",@progbits,_ZN7rocprim17ROCPRIM_400000_NS6detail17trampoline_kernelINS0_14default_configENS1_22reduce_config_selectorIxEEZNS1_11reduce_implILb1ES3_N6thrust23THRUST_200600_302600_NS6detail15normal_iteratorINS8_10device_ptrIxEEEEPxxNS8_4plusIxEEEE10hipError_tPvRmT1_T2_T3_mT4_P12ihipStream_tbEUlT_E1_NS1_11comp_targetILNS1_3genE9ELNS1_11target_archE1100ELNS1_3gpuE3ELNS1_3repE0EEENS1_30default_config_static_selectorELNS0_4arch9wavefront6targetE1EEEvSK_,comdat
	.protected	_ZN7rocprim17ROCPRIM_400000_NS6detail17trampoline_kernelINS0_14default_configENS1_22reduce_config_selectorIxEEZNS1_11reduce_implILb1ES3_N6thrust23THRUST_200600_302600_NS6detail15normal_iteratorINS8_10device_ptrIxEEEEPxxNS8_4plusIxEEEE10hipError_tPvRmT1_T2_T3_mT4_P12ihipStream_tbEUlT_E1_NS1_11comp_targetILNS1_3genE9ELNS1_11target_archE1100ELNS1_3gpuE3ELNS1_3repE0EEENS1_30default_config_static_selectorELNS0_4arch9wavefront6targetE1EEEvSK_ ; -- Begin function _ZN7rocprim17ROCPRIM_400000_NS6detail17trampoline_kernelINS0_14default_configENS1_22reduce_config_selectorIxEEZNS1_11reduce_implILb1ES3_N6thrust23THRUST_200600_302600_NS6detail15normal_iteratorINS8_10device_ptrIxEEEEPxxNS8_4plusIxEEEE10hipError_tPvRmT1_T2_T3_mT4_P12ihipStream_tbEUlT_E1_NS1_11comp_targetILNS1_3genE9ELNS1_11target_archE1100ELNS1_3gpuE3ELNS1_3repE0EEENS1_30default_config_static_selectorELNS0_4arch9wavefront6targetE1EEEvSK_
	.globl	_ZN7rocprim17ROCPRIM_400000_NS6detail17trampoline_kernelINS0_14default_configENS1_22reduce_config_selectorIxEEZNS1_11reduce_implILb1ES3_N6thrust23THRUST_200600_302600_NS6detail15normal_iteratorINS8_10device_ptrIxEEEEPxxNS8_4plusIxEEEE10hipError_tPvRmT1_T2_T3_mT4_P12ihipStream_tbEUlT_E1_NS1_11comp_targetILNS1_3genE9ELNS1_11target_archE1100ELNS1_3gpuE3ELNS1_3repE0EEENS1_30default_config_static_selectorELNS0_4arch9wavefront6targetE1EEEvSK_
	.p2align	8
	.type	_ZN7rocprim17ROCPRIM_400000_NS6detail17trampoline_kernelINS0_14default_configENS1_22reduce_config_selectorIxEEZNS1_11reduce_implILb1ES3_N6thrust23THRUST_200600_302600_NS6detail15normal_iteratorINS8_10device_ptrIxEEEEPxxNS8_4plusIxEEEE10hipError_tPvRmT1_T2_T3_mT4_P12ihipStream_tbEUlT_E1_NS1_11comp_targetILNS1_3genE9ELNS1_11target_archE1100ELNS1_3gpuE3ELNS1_3repE0EEENS1_30default_config_static_selectorELNS0_4arch9wavefront6targetE1EEEvSK_,@function
_ZN7rocprim17ROCPRIM_400000_NS6detail17trampoline_kernelINS0_14default_configENS1_22reduce_config_selectorIxEEZNS1_11reduce_implILb1ES3_N6thrust23THRUST_200600_302600_NS6detail15normal_iteratorINS8_10device_ptrIxEEEEPxxNS8_4plusIxEEEE10hipError_tPvRmT1_T2_T3_mT4_P12ihipStream_tbEUlT_E1_NS1_11comp_targetILNS1_3genE9ELNS1_11target_archE1100ELNS1_3gpuE3ELNS1_3repE0EEENS1_30default_config_static_selectorELNS0_4arch9wavefront6targetE1EEEvSK_: ; @_ZN7rocprim17ROCPRIM_400000_NS6detail17trampoline_kernelINS0_14default_configENS1_22reduce_config_selectorIxEEZNS1_11reduce_implILb1ES3_N6thrust23THRUST_200600_302600_NS6detail15normal_iteratorINS8_10device_ptrIxEEEEPxxNS8_4plusIxEEEE10hipError_tPvRmT1_T2_T3_mT4_P12ihipStream_tbEUlT_E1_NS1_11comp_targetILNS1_3genE9ELNS1_11target_archE1100ELNS1_3gpuE3ELNS1_3repE0EEENS1_30default_config_static_selectorELNS0_4arch9wavefront6targetE1EEEvSK_
; %bb.0:
	.section	.rodata,"a",@progbits
	.p2align	6, 0x0
	.amdhsa_kernel _ZN7rocprim17ROCPRIM_400000_NS6detail17trampoline_kernelINS0_14default_configENS1_22reduce_config_selectorIxEEZNS1_11reduce_implILb1ES3_N6thrust23THRUST_200600_302600_NS6detail15normal_iteratorINS8_10device_ptrIxEEEEPxxNS8_4plusIxEEEE10hipError_tPvRmT1_T2_T3_mT4_P12ihipStream_tbEUlT_E1_NS1_11comp_targetILNS1_3genE9ELNS1_11target_archE1100ELNS1_3gpuE3ELNS1_3repE0EEENS1_30default_config_static_selectorELNS0_4arch9wavefront6targetE1EEEvSK_
		.amdhsa_group_segment_fixed_size 0
		.amdhsa_private_segment_fixed_size 0
		.amdhsa_kernarg_size 48
		.amdhsa_user_sgpr_count 2
		.amdhsa_user_sgpr_dispatch_ptr 0
		.amdhsa_user_sgpr_queue_ptr 0
		.amdhsa_user_sgpr_kernarg_segment_ptr 1
		.amdhsa_user_sgpr_dispatch_id 0
		.amdhsa_user_sgpr_kernarg_preload_length 0
		.amdhsa_user_sgpr_kernarg_preload_offset 0
		.amdhsa_user_sgpr_private_segment_size 0
		.amdhsa_uses_dynamic_stack 0
		.amdhsa_enable_private_segment 0
		.amdhsa_system_sgpr_workgroup_id_x 1
		.amdhsa_system_sgpr_workgroup_id_y 0
		.amdhsa_system_sgpr_workgroup_id_z 0
		.amdhsa_system_sgpr_workgroup_info 0
		.amdhsa_system_vgpr_workitem_id 0
		.amdhsa_next_free_vgpr 1
		.amdhsa_next_free_sgpr 0
		.amdhsa_accum_offset 4
		.amdhsa_reserve_vcc 0
		.amdhsa_float_round_mode_32 0
		.amdhsa_float_round_mode_16_64 0
		.amdhsa_float_denorm_mode_32 3
		.amdhsa_float_denorm_mode_16_64 3
		.amdhsa_dx10_clamp 1
		.amdhsa_ieee_mode 1
		.amdhsa_fp16_overflow 0
		.amdhsa_tg_split 0
		.amdhsa_exception_fp_ieee_invalid_op 0
		.amdhsa_exception_fp_denorm_src 0
		.amdhsa_exception_fp_ieee_div_zero 0
		.amdhsa_exception_fp_ieee_overflow 0
		.amdhsa_exception_fp_ieee_underflow 0
		.amdhsa_exception_fp_ieee_inexact 0
		.amdhsa_exception_int_div_zero 0
	.end_amdhsa_kernel
	.section	.text._ZN7rocprim17ROCPRIM_400000_NS6detail17trampoline_kernelINS0_14default_configENS1_22reduce_config_selectorIxEEZNS1_11reduce_implILb1ES3_N6thrust23THRUST_200600_302600_NS6detail15normal_iteratorINS8_10device_ptrIxEEEEPxxNS8_4plusIxEEEE10hipError_tPvRmT1_T2_T3_mT4_P12ihipStream_tbEUlT_E1_NS1_11comp_targetILNS1_3genE9ELNS1_11target_archE1100ELNS1_3gpuE3ELNS1_3repE0EEENS1_30default_config_static_selectorELNS0_4arch9wavefront6targetE1EEEvSK_,"axG",@progbits,_ZN7rocprim17ROCPRIM_400000_NS6detail17trampoline_kernelINS0_14default_configENS1_22reduce_config_selectorIxEEZNS1_11reduce_implILb1ES3_N6thrust23THRUST_200600_302600_NS6detail15normal_iteratorINS8_10device_ptrIxEEEEPxxNS8_4plusIxEEEE10hipError_tPvRmT1_T2_T3_mT4_P12ihipStream_tbEUlT_E1_NS1_11comp_targetILNS1_3genE9ELNS1_11target_archE1100ELNS1_3gpuE3ELNS1_3repE0EEENS1_30default_config_static_selectorELNS0_4arch9wavefront6targetE1EEEvSK_,comdat
.Lfunc_end221:
	.size	_ZN7rocprim17ROCPRIM_400000_NS6detail17trampoline_kernelINS0_14default_configENS1_22reduce_config_selectorIxEEZNS1_11reduce_implILb1ES3_N6thrust23THRUST_200600_302600_NS6detail15normal_iteratorINS8_10device_ptrIxEEEEPxxNS8_4plusIxEEEE10hipError_tPvRmT1_T2_T3_mT4_P12ihipStream_tbEUlT_E1_NS1_11comp_targetILNS1_3genE9ELNS1_11target_archE1100ELNS1_3gpuE3ELNS1_3repE0EEENS1_30default_config_static_selectorELNS0_4arch9wavefront6targetE1EEEvSK_, .Lfunc_end221-_ZN7rocprim17ROCPRIM_400000_NS6detail17trampoline_kernelINS0_14default_configENS1_22reduce_config_selectorIxEEZNS1_11reduce_implILb1ES3_N6thrust23THRUST_200600_302600_NS6detail15normal_iteratorINS8_10device_ptrIxEEEEPxxNS8_4plusIxEEEE10hipError_tPvRmT1_T2_T3_mT4_P12ihipStream_tbEUlT_E1_NS1_11comp_targetILNS1_3genE9ELNS1_11target_archE1100ELNS1_3gpuE3ELNS1_3repE0EEENS1_30default_config_static_selectorELNS0_4arch9wavefront6targetE1EEEvSK_
                                        ; -- End function
	.set _ZN7rocprim17ROCPRIM_400000_NS6detail17trampoline_kernelINS0_14default_configENS1_22reduce_config_selectorIxEEZNS1_11reduce_implILb1ES3_N6thrust23THRUST_200600_302600_NS6detail15normal_iteratorINS8_10device_ptrIxEEEEPxxNS8_4plusIxEEEE10hipError_tPvRmT1_T2_T3_mT4_P12ihipStream_tbEUlT_E1_NS1_11comp_targetILNS1_3genE9ELNS1_11target_archE1100ELNS1_3gpuE3ELNS1_3repE0EEENS1_30default_config_static_selectorELNS0_4arch9wavefront6targetE1EEEvSK_.num_vgpr, 0
	.set _ZN7rocprim17ROCPRIM_400000_NS6detail17trampoline_kernelINS0_14default_configENS1_22reduce_config_selectorIxEEZNS1_11reduce_implILb1ES3_N6thrust23THRUST_200600_302600_NS6detail15normal_iteratorINS8_10device_ptrIxEEEEPxxNS8_4plusIxEEEE10hipError_tPvRmT1_T2_T3_mT4_P12ihipStream_tbEUlT_E1_NS1_11comp_targetILNS1_3genE9ELNS1_11target_archE1100ELNS1_3gpuE3ELNS1_3repE0EEENS1_30default_config_static_selectorELNS0_4arch9wavefront6targetE1EEEvSK_.num_agpr, 0
	.set _ZN7rocprim17ROCPRIM_400000_NS6detail17trampoline_kernelINS0_14default_configENS1_22reduce_config_selectorIxEEZNS1_11reduce_implILb1ES3_N6thrust23THRUST_200600_302600_NS6detail15normal_iteratorINS8_10device_ptrIxEEEEPxxNS8_4plusIxEEEE10hipError_tPvRmT1_T2_T3_mT4_P12ihipStream_tbEUlT_E1_NS1_11comp_targetILNS1_3genE9ELNS1_11target_archE1100ELNS1_3gpuE3ELNS1_3repE0EEENS1_30default_config_static_selectorELNS0_4arch9wavefront6targetE1EEEvSK_.numbered_sgpr, 0
	.set _ZN7rocprim17ROCPRIM_400000_NS6detail17trampoline_kernelINS0_14default_configENS1_22reduce_config_selectorIxEEZNS1_11reduce_implILb1ES3_N6thrust23THRUST_200600_302600_NS6detail15normal_iteratorINS8_10device_ptrIxEEEEPxxNS8_4plusIxEEEE10hipError_tPvRmT1_T2_T3_mT4_P12ihipStream_tbEUlT_E1_NS1_11comp_targetILNS1_3genE9ELNS1_11target_archE1100ELNS1_3gpuE3ELNS1_3repE0EEENS1_30default_config_static_selectorELNS0_4arch9wavefront6targetE1EEEvSK_.num_named_barrier, 0
	.set _ZN7rocprim17ROCPRIM_400000_NS6detail17trampoline_kernelINS0_14default_configENS1_22reduce_config_selectorIxEEZNS1_11reduce_implILb1ES3_N6thrust23THRUST_200600_302600_NS6detail15normal_iteratorINS8_10device_ptrIxEEEEPxxNS8_4plusIxEEEE10hipError_tPvRmT1_T2_T3_mT4_P12ihipStream_tbEUlT_E1_NS1_11comp_targetILNS1_3genE9ELNS1_11target_archE1100ELNS1_3gpuE3ELNS1_3repE0EEENS1_30default_config_static_selectorELNS0_4arch9wavefront6targetE1EEEvSK_.private_seg_size, 0
	.set _ZN7rocprim17ROCPRIM_400000_NS6detail17trampoline_kernelINS0_14default_configENS1_22reduce_config_selectorIxEEZNS1_11reduce_implILb1ES3_N6thrust23THRUST_200600_302600_NS6detail15normal_iteratorINS8_10device_ptrIxEEEEPxxNS8_4plusIxEEEE10hipError_tPvRmT1_T2_T3_mT4_P12ihipStream_tbEUlT_E1_NS1_11comp_targetILNS1_3genE9ELNS1_11target_archE1100ELNS1_3gpuE3ELNS1_3repE0EEENS1_30default_config_static_selectorELNS0_4arch9wavefront6targetE1EEEvSK_.uses_vcc, 0
	.set _ZN7rocprim17ROCPRIM_400000_NS6detail17trampoline_kernelINS0_14default_configENS1_22reduce_config_selectorIxEEZNS1_11reduce_implILb1ES3_N6thrust23THRUST_200600_302600_NS6detail15normal_iteratorINS8_10device_ptrIxEEEEPxxNS8_4plusIxEEEE10hipError_tPvRmT1_T2_T3_mT4_P12ihipStream_tbEUlT_E1_NS1_11comp_targetILNS1_3genE9ELNS1_11target_archE1100ELNS1_3gpuE3ELNS1_3repE0EEENS1_30default_config_static_selectorELNS0_4arch9wavefront6targetE1EEEvSK_.uses_flat_scratch, 0
	.set _ZN7rocprim17ROCPRIM_400000_NS6detail17trampoline_kernelINS0_14default_configENS1_22reduce_config_selectorIxEEZNS1_11reduce_implILb1ES3_N6thrust23THRUST_200600_302600_NS6detail15normal_iteratorINS8_10device_ptrIxEEEEPxxNS8_4plusIxEEEE10hipError_tPvRmT1_T2_T3_mT4_P12ihipStream_tbEUlT_E1_NS1_11comp_targetILNS1_3genE9ELNS1_11target_archE1100ELNS1_3gpuE3ELNS1_3repE0EEENS1_30default_config_static_selectorELNS0_4arch9wavefront6targetE1EEEvSK_.has_dyn_sized_stack, 0
	.set _ZN7rocprim17ROCPRIM_400000_NS6detail17trampoline_kernelINS0_14default_configENS1_22reduce_config_selectorIxEEZNS1_11reduce_implILb1ES3_N6thrust23THRUST_200600_302600_NS6detail15normal_iteratorINS8_10device_ptrIxEEEEPxxNS8_4plusIxEEEE10hipError_tPvRmT1_T2_T3_mT4_P12ihipStream_tbEUlT_E1_NS1_11comp_targetILNS1_3genE9ELNS1_11target_archE1100ELNS1_3gpuE3ELNS1_3repE0EEENS1_30default_config_static_selectorELNS0_4arch9wavefront6targetE1EEEvSK_.has_recursion, 0
	.set _ZN7rocprim17ROCPRIM_400000_NS6detail17trampoline_kernelINS0_14default_configENS1_22reduce_config_selectorIxEEZNS1_11reduce_implILb1ES3_N6thrust23THRUST_200600_302600_NS6detail15normal_iteratorINS8_10device_ptrIxEEEEPxxNS8_4plusIxEEEE10hipError_tPvRmT1_T2_T3_mT4_P12ihipStream_tbEUlT_E1_NS1_11comp_targetILNS1_3genE9ELNS1_11target_archE1100ELNS1_3gpuE3ELNS1_3repE0EEENS1_30default_config_static_selectorELNS0_4arch9wavefront6targetE1EEEvSK_.has_indirect_call, 0
	.section	.AMDGPU.csdata,"",@progbits
; Kernel info:
; codeLenInByte = 0
; TotalNumSgprs: 6
; NumVgprs: 0
; NumAgprs: 0
; TotalNumVgprs: 0
; ScratchSize: 0
; MemoryBound: 0
; FloatMode: 240
; IeeeMode: 1
; LDSByteSize: 0 bytes/workgroup (compile time only)
; SGPRBlocks: 0
; VGPRBlocks: 0
; NumSGPRsForWavesPerEU: 6
; NumVGPRsForWavesPerEU: 1
; AccumOffset: 4
; Occupancy: 8
; WaveLimiterHint : 0
; COMPUTE_PGM_RSRC2:SCRATCH_EN: 0
; COMPUTE_PGM_RSRC2:USER_SGPR: 2
; COMPUTE_PGM_RSRC2:TRAP_HANDLER: 0
; COMPUTE_PGM_RSRC2:TGID_X_EN: 1
; COMPUTE_PGM_RSRC2:TGID_Y_EN: 0
; COMPUTE_PGM_RSRC2:TGID_Z_EN: 0
; COMPUTE_PGM_RSRC2:TIDIG_COMP_CNT: 0
; COMPUTE_PGM_RSRC3_GFX90A:ACCUM_OFFSET: 0
; COMPUTE_PGM_RSRC3_GFX90A:TG_SPLIT: 0
	.section	.text._ZN7rocprim17ROCPRIM_400000_NS6detail17trampoline_kernelINS0_14default_configENS1_22reduce_config_selectorIxEEZNS1_11reduce_implILb1ES3_N6thrust23THRUST_200600_302600_NS6detail15normal_iteratorINS8_10device_ptrIxEEEEPxxNS8_4plusIxEEEE10hipError_tPvRmT1_T2_T3_mT4_P12ihipStream_tbEUlT_E1_NS1_11comp_targetILNS1_3genE8ELNS1_11target_archE1030ELNS1_3gpuE2ELNS1_3repE0EEENS1_30default_config_static_selectorELNS0_4arch9wavefront6targetE1EEEvSK_,"axG",@progbits,_ZN7rocprim17ROCPRIM_400000_NS6detail17trampoline_kernelINS0_14default_configENS1_22reduce_config_selectorIxEEZNS1_11reduce_implILb1ES3_N6thrust23THRUST_200600_302600_NS6detail15normal_iteratorINS8_10device_ptrIxEEEEPxxNS8_4plusIxEEEE10hipError_tPvRmT1_T2_T3_mT4_P12ihipStream_tbEUlT_E1_NS1_11comp_targetILNS1_3genE8ELNS1_11target_archE1030ELNS1_3gpuE2ELNS1_3repE0EEENS1_30default_config_static_selectorELNS0_4arch9wavefront6targetE1EEEvSK_,comdat
	.protected	_ZN7rocprim17ROCPRIM_400000_NS6detail17trampoline_kernelINS0_14default_configENS1_22reduce_config_selectorIxEEZNS1_11reduce_implILb1ES3_N6thrust23THRUST_200600_302600_NS6detail15normal_iteratorINS8_10device_ptrIxEEEEPxxNS8_4plusIxEEEE10hipError_tPvRmT1_T2_T3_mT4_P12ihipStream_tbEUlT_E1_NS1_11comp_targetILNS1_3genE8ELNS1_11target_archE1030ELNS1_3gpuE2ELNS1_3repE0EEENS1_30default_config_static_selectorELNS0_4arch9wavefront6targetE1EEEvSK_ ; -- Begin function _ZN7rocprim17ROCPRIM_400000_NS6detail17trampoline_kernelINS0_14default_configENS1_22reduce_config_selectorIxEEZNS1_11reduce_implILb1ES3_N6thrust23THRUST_200600_302600_NS6detail15normal_iteratorINS8_10device_ptrIxEEEEPxxNS8_4plusIxEEEE10hipError_tPvRmT1_T2_T3_mT4_P12ihipStream_tbEUlT_E1_NS1_11comp_targetILNS1_3genE8ELNS1_11target_archE1030ELNS1_3gpuE2ELNS1_3repE0EEENS1_30default_config_static_selectorELNS0_4arch9wavefront6targetE1EEEvSK_
	.globl	_ZN7rocprim17ROCPRIM_400000_NS6detail17trampoline_kernelINS0_14default_configENS1_22reduce_config_selectorIxEEZNS1_11reduce_implILb1ES3_N6thrust23THRUST_200600_302600_NS6detail15normal_iteratorINS8_10device_ptrIxEEEEPxxNS8_4plusIxEEEE10hipError_tPvRmT1_T2_T3_mT4_P12ihipStream_tbEUlT_E1_NS1_11comp_targetILNS1_3genE8ELNS1_11target_archE1030ELNS1_3gpuE2ELNS1_3repE0EEENS1_30default_config_static_selectorELNS0_4arch9wavefront6targetE1EEEvSK_
	.p2align	8
	.type	_ZN7rocprim17ROCPRIM_400000_NS6detail17trampoline_kernelINS0_14default_configENS1_22reduce_config_selectorIxEEZNS1_11reduce_implILb1ES3_N6thrust23THRUST_200600_302600_NS6detail15normal_iteratorINS8_10device_ptrIxEEEEPxxNS8_4plusIxEEEE10hipError_tPvRmT1_T2_T3_mT4_P12ihipStream_tbEUlT_E1_NS1_11comp_targetILNS1_3genE8ELNS1_11target_archE1030ELNS1_3gpuE2ELNS1_3repE0EEENS1_30default_config_static_selectorELNS0_4arch9wavefront6targetE1EEEvSK_,@function
_ZN7rocprim17ROCPRIM_400000_NS6detail17trampoline_kernelINS0_14default_configENS1_22reduce_config_selectorIxEEZNS1_11reduce_implILb1ES3_N6thrust23THRUST_200600_302600_NS6detail15normal_iteratorINS8_10device_ptrIxEEEEPxxNS8_4plusIxEEEE10hipError_tPvRmT1_T2_T3_mT4_P12ihipStream_tbEUlT_E1_NS1_11comp_targetILNS1_3genE8ELNS1_11target_archE1030ELNS1_3gpuE2ELNS1_3repE0EEENS1_30default_config_static_selectorELNS0_4arch9wavefront6targetE1EEEvSK_: ; @_ZN7rocprim17ROCPRIM_400000_NS6detail17trampoline_kernelINS0_14default_configENS1_22reduce_config_selectorIxEEZNS1_11reduce_implILb1ES3_N6thrust23THRUST_200600_302600_NS6detail15normal_iteratorINS8_10device_ptrIxEEEEPxxNS8_4plusIxEEEE10hipError_tPvRmT1_T2_T3_mT4_P12ihipStream_tbEUlT_E1_NS1_11comp_targetILNS1_3genE8ELNS1_11target_archE1030ELNS1_3gpuE2ELNS1_3repE0EEENS1_30default_config_static_selectorELNS0_4arch9wavefront6targetE1EEEvSK_
; %bb.0:
	.section	.rodata,"a",@progbits
	.p2align	6, 0x0
	.amdhsa_kernel _ZN7rocprim17ROCPRIM_400000_NS6detail17trampoline_kernelINS0_14default_configENS1_22reduce_config_selectorIxEEZNS1_11reduce_implILb1ES3_N6thrust23THRUST_200600_302600_NS6detail15normal_iteratorINS8_10device_ptrIxEEEEPxxNS8_4plusIxEEEE10hipError_tPvRmT1_T2_T3_mT4_P12ihipStream_tbEUlT_E1_NS1_11comp_targetILNS1_3genE8ELNS1_11target_archE1030ELNS1_3gpuE2ELNS1_3repE0EEENS1_30default_config_static_selectorELNS0_4arch9wavefront6targetE1EEEvSK_
		.amdhsa_group_segment_fixed_size 0
		.amdhsa_private_segment_fixed_size 0
		.amdhsa_kernarg_size 48
		.amdhsa_user_sgpr_count 2
		.amdhsa_user_sgpr_dispatch_ptr 0
		.amdhsa_user_sgpr_queue_ptr 0
		.amdhsa_user_sgpr_kernarg_segment_ptr 1
		.amdhsa_user_sgpr_dispatch_id 0
		.amdhsa_user_sgpr_kernarg_preload_length 0
		.amdhsa_user_sgpr_kernarg_preload_offset 0
		.amdhsa_user_sgpr_private_segment_size 0
		.amdhsa_uses_dynamic_stack 0
		.amdhsa_enable_private_segment 0
		.amdhsa_system_sgpr_workgroup_id_x 1
		.amdhsa_system_sgpr_workgroup_id_y 0
		.amdhsa_system_sgpr_workgroup_id_z 0
		.amdhsa_system_sgpr_workgroup_info 0
		.amdhsa_system_vgpr_workitem_id 0
		.amdhsa_next_free_vgpr 1
		.amdhsa_next_free_sgpr 0
		.amdhsa_accum_offset 4
		.amdhsa_reserve_vcc 0
		.amdhsa_float_round_mode_32 0
		.amdhsa_float_round_mode_16_64 0
		.amdhsa_float_denorm_mode_32 3
		.amdhsa_float_denorm_mode_16_64 3
		.amdhsa_dx10_clamp 1
		.amdhsa_ieee_mode 1
		.amdhsa_fp16_overflow 0
		.amdhsa_tg_split 0
		.amdhsa_exception_fp_ieee_invalid_op 0
		.amdhsa_exception_fp_denorm_src 0
		.amdhsa_exception_fp_ieee_div_zero 0
		.amdhsa_exception_fp_ieee_overflow 0
		.amdhsa_exception_fp_ieee_underflow 0
		.amdhsa_exception_fp_ieee_inexact 0
		.amdhsa_exception_int_div_zero 0
	.end_amdhsa_kernel
	.section	.text._ZN7rocprim17ROCPRIM_400000_NS6detail17trampoline_kernelINS0_14default_configENS1_22reduce_config_selectorIxEEZNS1_11reduce_implILb1ES3_N6thrust23THRUST_200600_302600_NS6detail15normal_iteratorINS8_10device_ptrIxEEEEPxxNS8_4plusIxEEEE10hipError_tPvRmT1_T2_T3_mT4_P12ihipStream_tbEUlT_E1_NS1_11comp_targetILNS1_3genE8ELNS1_11target_archE1030ELNS1_3gpuE2ELNS1_3repE0EEENS1_30default_config_static_selectorELNS0_4arch9wavefront6targetE1EEEvSK_,"axG",@progbits,_ZN7rocprim17ROCPRIM_400000_NS6detail17trampoline_kernelINS0_14default_configENS1_22reduce_config_selectorIxEEZNS1_11reduce_implILb1ES3_N6thrust23THRUST_200600_302600_NS6detail15normal_iteratorINS8_10device_ptrIxEEEEPxxNS8_4plusIxEEEE10hipError_tPvRmT1_T2_T3_mT4_P12ihipStream_tbEUlT_E1_NS1_11comp_targetILNS1_3genE8ELNS1_11target_archE1030ELNS1_3gpuE2ELNS1_3repE0EEENS1_30default_config_static_selectorELNS0_4arch9wavefront6targetE1EEEvSK_,comdat
.Lfunc_end222:
	.size	_ZN7rocprim17ROCPRIM_400000_NS6detail17trampoline_kernelINS0_14default_configENS1_22reduce_config_selectorIxEEZNS1_11reduce_implILb1ES3_N6thrust23THRUST_200600_302600_NS6detail15normal_iteratorINS8_10device_ptrIxEEEEPxxNS8_4plusIxEEEE10hipError_tPvRmT1_T2_T3_mT4_P12ihipStream_tbEUlT_E1_NS1_11comp_targetILNS1_3genE8ELNS1_11target_archE1030ELNS1_3gpuE2ELNS1_3repE0EEENS1_30default_config_static_selectorELNS0_4arch9wavefront6targetE1EEEvSK_, .Lfunc_end222-_ZN7rocprim17ROCPRIM_400000_NS6detail17trampoline_kernelINS0_14default_configENS1_22reduce_config_selectorIxEEZNS1_11reduce_implILb1ES3_N6thrust23THRUST_200600_302600_NS6detail15normal_iteratorINS8_10device_ptrIxEEEEPxxNS8_4plusIxEEEE10hipError_tPvRmT1_T2_T3_mT4_P12ihipStream_tbEUlT_E1_NS1_11comp_targetILNS1_3genE8ELNS1_11target_archE1030ELNS1_3gpuE2ELNS1_3repE0EEENS1_30default_config_static_selectorELNS0_4arch9wavefront6targetE1EEEvSK_
                                        ; -- End function
	.set _ZN7rocprim17ROCPRIM_400000_NS6detail17trampoline_kernelINS0_14default_configENS1_22reduce_config_selectorIxEEZNS1_11reduce_implILb1ES3_N6thrust23THRUST_200600_302600_NS6detail15normal_iteratorINS8_10device_ptrIxEEEEPxxNS8_4plusIxEEEE10hipError_tPvRmT1_T2_T3_mT4_P12ihipStream_tbEUlT_E1_NS1_11comp_targetILNS1_3genE8ELNS1_11target_archE1030ELNS1_3gpuE2ELNS1_3repE0EEENS1_30default_config_static_selectorELNS0_4arch9wavefront6targetE1EEEvSK_.num_vgpr, 0
	.set _ZN7rocprim17ROCPRIM_400000_NS6detail17trampoline_kernelINS0_14default_configENS1_22reduce_config_selectorIxEEZNS1_11reduce_implILb1ES3_N6thrust23THRUST_200600_302600_NS6detail15normal_iteratorINS8_10device_ptrIxEEEEPxxNS8_4plusIxEEEE10hipError_tPvRmT1_T2_T3_mT4_P12ihipStream_tbEUlT_E1_NS1_11comp_targetILNS1_3genE8ELNS1_11target_archE1030ELNS1_3gpuE2ELNS1_3repE0EEENS1_30default_config_static_selectorELNS0_4arch9wavefront6targetE1EEEvSK_.num_agpr, 0
	.set _ZN7rocprim17ROCPRIM_400000_NS6detail17trampoline_kernelINS0_14default_configENS1_22reduce_config_selectorIxEEZNS1_11reduce_implILb1ES3_N6thrust23THRUST_200600_302600_NS6detail15normal_iteratorINS8_10device_ptrIxEEEEPxxNS8_4plusIxEEEE10hipError_tPvRmT1_T2_T3_mT4_P12ihipStream_tbEUlT_E1_NS1_11comp_targetILNS1_3genE8ELNS1_11target_archE1030ELNS1_3gpuE2ELNS1_3repE0EEENS1_30default_config_static_selectorELNS0_4arch9wavefront6targetE1EEEvSK_.numbered_sgpr, 0
	.set _ZN7rocprim17ROCPRIM_400000_NS6detail17trampoline_kernelINS0_14default_configENS1_22reduce_config_selectorIxEEZNS1_11reduce_implILb1ES3_N6thrust23THRUST_200600_302600_NS6detail15normal_iteratorINS8_10device_ptrIxEEEEPxxNS8_4plusIxEEEE10hipError_tPvRmT1_T2_T3_mT4_P12ihipStream_tbEUlT_E1_NS1_11comp_targetILNS1_3genE8ELNS1_11target_archE1030ELNS1_3gpuE2ELNS1_3repE0EEENS1_30default_config_static_selectorELNS0_4arch9wavefront6targetE1EEEvSK_.num_named_barrier, 0
	.set _ZN7rocprim17ROCPRIM_400000_NS6detail17trampoline_kernelINS0_14default_configENS1_22reduce_config_selectorIxEEZNS1_11reduce_implILb1ES3_N6thrust23THRUST_200600_302600_NS6detail15normal_iteratorINS8_10device_ptrIxEEEEPxxNS8_4plusIxEEEE10hipError_tPvRmT1_T2_T3_mT4_P12ihipStream_tbEUlT_E1_NS1_11comp_targetILNS1_3genE8ELNS1_11target_archE1030ELNS1_3gpuE2ELNS1_3repE0EEENS1_30default_config_static_selectorELNS0_4arch9wavefront6targetE1EEEvSK_.private_seg_size, 0
	.set _ZN7rocprim17ROCPRIM_400000_NS6detail17trampoline_kernelINS0_14default_configENS1_22reduce_config_selectorIxEEZNS1_11reduce_implILb1ES3_N6thrust23THRUST_200600_302600_NS6detail15normal_iteratorINS8_10device_ptrIxEEEEPxxNS8_4plusIxEEEE10hipError_tPvRmT1_T2_T3_mT4_P12ihipStream_tbEUlT_E1_NS1_11comp_targetILNS1_3genE8ELNS1_11target_archE1030ELNS1_3gpuE2ELNS1_3repE0EEENS1_30default_config_static_selectorELNS0_4arch9wavefront6targetE1EEEvSK_.uses_vcc, 0
	.set _ZN7rocprim17ROCPRIM_400000_NS6detail17trampoline_kernelINS0_14default_configENS1_22reduce_config_selectorIxEEZNS1_11reduce_implILb1ES3_N6thrust23THRUST_200600_302600_NS6detail15normal_iteratorINS8_10device_ptrIxEEEEPxxNS8_4plusIxEEEE10hipError_tPvRmT1_T2_T3_mT4_P12ihipStream_tbEUlT_E1_NS1_11comp_targetILNS1_3genE8ELNS1_11target_archE1030ELNS1_3gpuE2ELNS1_3repE0EEENS1_30default_config_static_selectorELNS0_4arch9wavefront6targetE1EEEvSK_.uses_flat_scratch, 0
	.set _ZN7rocprim17ROCPRIM_400000_NS6detail17trampoline_kernelINS0_14default_configENS1_22reduce_config_selectorIxEEZNS1_11reduce_implILb1ES3_N6thrust23THRUST_200600_302600_NS6detail15normal_iteratorINS8_10device_ptrIxEEEEPxxNS8_4plusIxEEEE10hipError_tPvRmT1_T2_T3_mT4_P12ihipStream_tbEUlT_E1_NS1_11comp_targetILNS1_3genE8ELNS1_11target_archE1030ELNS1_3gpuE2ELNS1_3repE0EEENS1_30default_config_static_selectorELNS0_4arch9wavefront6targetE1EEEvSK_.has_dyn_sized_stack, 0
	.set _ZN7rocprim17ROCPRIM_400000_NS6detail17trampoline_kernelINS0_14default_configENS1_22reduce_config_selectorIxEEZNS1_11reduce_implILb1ES3_N6thrust23THRUST_200600_302600_NS6detail15normal_iteratorINS8_10device_ptrIxEEEEPxxNS8_4plusIxEEEE10hipError_tPvRmT1_T2_T3_mT4_P12ihipStream_tbEUlT_E1_NS1_11comp_targetILNS1_3genE8ELNS1_11target_archE1030ELNS1_3gpuE2ELNS1_3repE0EEENS1_30default_config_static_selectorELNS0_4arch9wavefront6targetE1EEEvSK_.has_recursion, 0
	.set _ZN7rocprim17ROCPRIM_400000_NS6detail17trampoline_kernelINS0_14default_configENS1_22reduce_config_selectorIxEEZNS1_11reduce_implILb1ES3_N6thrust23THRUST_200600_302600_NS6detail15normal_iteratorINS8_10device_ptrIxEEEEPxxNS8_4plusIxEEEE10hipError_tPvRmT1_T2_T3_mT4_P12ihipStream_tbEUlT_E1_NS1_11comp_targetILNS1_3genE8ELNS1_11target_archE1030ELNS1_3gpuE2ELNS1_3repE0EEENS1_30default_config_static_selectorELNS0_4arch9wavefront6targetE1EEEvSK_.has_indirect_call, 0
	.section	.AMDGPU.csdata,"",@progbits
; Kernel info:
; codeLenInByte = 0
; TotalNumSgprs: 6
; NumVgprs: 0
; NumAgprs: 0
; TotalNumVgprs: 0
; ScratchSize: 0
; MemoryBound: 0
; FloatMode: 240
; IeeeMode: 1
; LDSByteSize: 0 bytes/workgroup (compile time only)
; SGPRBlocks: 0
; VGPRBlocks: 0
; NumSGPRsForWavesPerEU: 6
; NumVGPRsForWavesPerEU: 1
; AccumOffset: 4
; Occupancy: 8
; WaveLimiterHint : 0
; COMPUTE_PGM_RSRC2:SCRATCH_EN: 0
; COMPUTE_PGM_RSRC2:USER_SGPR: 2
; COMPUTE_PGM_RSRC2:TRAP_HANDLER: 0
; COMPUTE_PGM_RSRC2:TGID_X_EN: 1
; COMPUTE_PGM_RSRC2:TGID_Y_EN: 0
; COMPUTE_PGM_RSRC2:TGID_Z_EN: 0
; COMPUTE_PGM_RSRC2:TIDIG_COMP_CNT: 0
; COMPUTE_PGM_RSRC3_GFX90A:ACCUM_OFFSET: 0
; COMPUTE_PGM_RSRC3_GFX90A:TG_SPLIT: 0
	.section	.text._ZN6thrust23THRUST_200600_302600_NS11hip_rocprim14__parallel_for6kernelILj256ENS1_20__uninitialized_fill7functorINS0_10device_ptrIiEEiEEmLj1EEEvT0_T1_SA_,"axG",@progbits,_ZN6thrust23THRUST_200600_302600_NS11hip_rocprim14__parallel_for6kernelILj256ENS1_20__uninitialized_fill7functorINS0_10device_ptrIiEEiEEmLj1EEEvT0_T1_SA_,comdat
	.protected	_ZN6thrust23THRUST_200600_302600_NS11hip_rocprim14__parallel_for6kernelILj256ENS1_20__uninitialized_fill7functorINS0_10device_ptrIiEEiEEmLj1EEEvT0_T1_SA_ ; -- Begin function _ZN6thrust23THRUST_200600_302600_NS11hip_rocprim14__parallel_for6kernelILj256ENS1_20__uninitialized_fill7functorINS0_10device_ptrIiEEiEEmLj1EEEvT0_T1_SA_
	.globl	_ZN6thrust23THRUST_200600_302600_NS11hip_rocprim14__parallel_for6kernelILj256ENS1_20__uninitialized_fill7functorINS0_10device_ptrIiEEiEEmLj1EEEvT0_T1_SA_
	.p2align	8
	.type	_ZN6thrust23THRUST_200600_302600_NS11hip_rocprim14__parallel_for6kernelILj256ENS1_20__uninitialized_fill7functorINS0_10device_ptrIiEEiEEmLj1EEEvT0_T1_SA_,@function
_ZN6thrust23THRUST_200600_302600_NS11hip_rocprim14__parallel_for6kernelILj256ENS1_20__uninitialized_fill7functorINS0_10device_ptrIiEEiEEmLj1EEEvT0_T1_SA_: ; @_ZN6thrust23THRUST_200600_302600_NS11hip_rocprim14__parallel_for6kernelILj256ENS1_20__uninitialized_fill7functorINS0_10device_ptrIiEEiEEmLj1EEEvT0_T1_SA_
; %bb.0:
	s_load_dwordx4 s[12:15], s[0:1], 0x10
	s_load_dwordx2 s[4:5], s[0:1], 0x0
	s_load_dword s8, s[0:1], 0x8
	s_lshl_b32 s0, s2, 8
	v_mov_b64_e32 v[2:3], 0xff
	s_waitcnt lgkmcnt(0)
	s_add_u32 s0, s14, s0
	s_addc_u32 s1, s15, 0
	s_sub_u32 s2, s12, s0
	s_subb_u32 s3, s13, s1
	v_cmp_gt_u64_e32 vcc, s[2:3], v[2:3]
	s_mov_b64 s[6:7], -1
	s_cbranch_vccz .LBB223_3
; %bb.1:
	s_andn2_b64 vcc, exec, s[6:7]
	s_cbranch_vccz .LBB223_6
.LBB223_2:
	s_endpgm
.LBB223_3:
	v_cmp_gt_u32_e32 vcc, s2, v0
	s_and_saveexec_b64 s[2:3], vcc
	s_cbranch_execz .LBB223_5
; %bb.4:
	s_lshl_b64 s[6:7], s[0:1], 2
	s_add_u32 s6, s4, s6
	s_addc_u32 s7, s5, s7
	v_lshlrev_b32_e32 v2, 2, v0
	v_mov_b32_e32 v3, 0
	v_lshl_add_u64 v[2:3], s[6:7], 0, v[2:3]
	v_mov_b32_e32 v1, s8
	flat_store_dword v[2:3], v1
.LBB223_5:
	s_or_b64 exec, exec, s[2:3]
	s_cbranch_execnz .LBB223_2
.LBB223_6:
	s_lshl_b64 s[0:1], s[0:1], 2
	s_add_u32 s0, s4, s0
	s_addc_u32 s1, s5, s1
	v_lshlrev_b32_e32 v0, 2, v0
	v_mov_b32_e32 v1, 0
	v_lshl_add_u64 v[0:1], s[0:1], 0, v[0:1]
	v_mov_b32_e32 v2, s8
	flat_store_dword v[0:1], v2
	s_endpgm
	.section	.rodata,"a",@progbits
	.p2align	6, 0x0
	.amdhsa_kernel _ZN6thrust23THRUST_200600_302600_NS11hip_rocprim14__parallel_for6kernelILj256ENS1_20__uninitialized_fill7functorINS0_10device_ptrIiEEiEEmLj1EEEvT0_T1_SA_
		.amdhsa_group_segment_fixed_size 0
		.amdhsa_private_segment_fixed_size 0
		.amdhsa_kernarg_size 32
		.amdhsa_user_sgpr_count 2
		.amdhsa_user_sgpr_dispatch_ptr 0
		.amdhsa_user_sgpr_queue_ptr 0
		.amdhsa_user_sgpr_kernarg_segment_ptr 1
		.amdhsa_user_sgpr_dispatch_id 0
		.amdhsa_user_sgpr_kernarg_preload_length 0
		.amdhsa_user_sgpr_kernarg_preload_offset 0
		.amdhsa_user_sgpr_private_segment_size 0
		.amdhsa_uses_dynamic_stack 0
		.amdhsa_enable_private_segment 0
		.amdhsa_system_sgpr_workgroup_id_x 1
		.amdhsa_system_sgpr_workgroup_id_y 0
		.amdhsa_system_sgpr_workgroup_id_z 0
		.amdhsa_system_sgpr_workgroup_info 0
		.amdhsa_system_vgpr_workitem_id 0
		.amdhsa_next_free_vgpr 4
		.amdhsa_next_free_sgpr 16
		.amdhsa_accum_offset 4
		.amdhsa_reserve_vcc 1
		.amdhsa_float_round_mode_32 0
		.amdhsa_float_round_mode_16_64 0
		.amdhsa_float_denorm_mode_32 3
		.amdhsa_float_denorm_mode_16_64 3
		.amdhsa_dx10_clamp 1
		.amdhsa_ieee_mode 1
		.amdhsa_fp16_overflow 0
		.amdhsa_tg_split 0
		.amdhsa_exception_fp_ieee_invalid_op 0
		.amdhsa_exception_fp_denorm_src 0
		.amdhsa_exception_fp_ieee_div_zero 0
		.amdhsa_exception_fp_ieee_overflow 0
		.amdhsa_exception_fp_ieee_underflow 0
		.amdhsa_exception_fp_ieee_inexact 0
		.amdhsa_exception_int_div_zero 0
	.end_amdhsa_kernel
	.section	.text._ZN6thrust23THRUST_200600_302600_NS11hip_rocprim14__parallel_for6kernelILj256ENS1_20__uninitialized_fill7functorINS0_10device_ptrIiEEiEEmLj1EEEvT0_T1_SA_,"axG",@progbits,_ZN6thrust23THRUST_200600_302600_NS11hip_rocprim14__parallel_for6kernelILj256ENS1_20__uninitialized_fill7functorINS0_10device_ptrIiEEiEEmLj1EEEvT0_T1_SA_,comdat
.Lfunc_end223:
	.size	_ZN6thrust23THRUST_200600_302600_NS11hip_rocprim14__parallel_for6kernelILj256ENS1_20__uninitialized_fill7functorINS0_10device_ptrIiEEiEEmLj1EEEvT0_T1_SA_, .Lfunc_end223-_ZN6thrust23THRUST_200600_302600_NS11hip_rocprim14__parallel_for6kernelILj256ENS1_20__uninitialized_fill7functorINS0_10device_ptrIiEEiEEmLj1EEEvT0_T1_SA_
                                        ; -- End function
	.set _ZN6thrust23THRUST_200600_302600_NS11hip_rocprim14__parallel_for6kernelILj256ENS1_20__uninitialized_fill7functorINS0_10device_ptrIiEEiEEmLj1EEEvT0_T1_SA_.num_vgpr, 4
	.set _ZN6thrust23THRUST_200600_302600_NS11hip_rocprim14__parallel_for6kernelILj256ENS1_20__uninitialized_fill7functorINS0_10device_ptrIiEEiEEmLj1EEEvT0_T1_SA_.num_agpr, 0
	.set _ZN6thrust23THRUST_200600_302600_NS11hip_rocprim14__parallel_for6kernelILj256ENS1_20__uninitialized_fill7functorINS0_10device_ptrIiEEiEEmLj1EEEvT0_T1_SA_.numbered_sgpr, 16
	.set _ZN6thrust23THRUST_200600_302600_NS11hip_rocprim14__parallel_for6kernelILj256ENS1_20__uninitialized_fill7functorINS0_10device_ptrIiEEiEEmLj1EEEvT0_T1_SA_.num_named_barrier, 0
	.set _ZN6thrust23THRUST_200600_302600_NS11hip_rocprim14__parallel_for6kernelILj256ENS1_20__uninitialized_fill7functorINS0_10device_ptrIiEEiEEmLj1EEEvT0_T1_SA_.private_seg_size, 0
	.set _ZN6thrust23THRUST_200600_302600_NS11hip_rocprim14__parallel_for6kernelILj256ENS1_20__uninitialized_fill7functorINS0_10device_ptrIiEEiEEmLj1EEEvT0_T1_SA_.uses_vcc, 1
	.set _ZN6thrust23THRUST_200600_302600_NS11hip_rocprim14__parallel_for6kernelILj256ENS1_20__uninitialized_fill7functorINS0_10device_ptrIiEEiEEmLj1EEEvT0_T1_SA_.uses_flat_scratch, 0
	.set _ZN6thrust23THRUST_200600_302600_NS11hip_rocprim14__parallel_for6kernelILj256ENS1_20__uninitialized_fill7functorINS0_10device_ptrIiEEiEEmLj1EEEvT0_T1_SA_.has_dyn_sized_stack, 0
	.set _ZN6thrust23THRUST_200600_302600_NS11hip_rocprim14__parallel_for6kernelILj256ENS1_20__uninitialized_fill7functorINS0_10device_ptrIiEEiEEmLj1EEEvT0_T1_SA_.has_recursion, 0
	.set _ZN6thrust23THRUST_200600_302600_NS11hip_rocprim14__parallel_for6kernelILj256ENS1_20__uninitialized_fill7functorINS0_10device_ptrIiEEiEEmLj1EEEvT0_T1_SA_.has_indirect_call, 0
	.section	.AMDGPU.csdata,"",@progbits
; Kernel info:
; codeLenInByte = 184
; TotalNumSgprs: 22
; NumVgprs: 4
; NumAgprs: 0
; TotalNumVgprs: 4
; ScratchSize: 0
; MemoryBound: 0
; FloatMode: 240
; IeeeMode: 1
; LDSByteSize: 0 bytes/workgroup (compile time only)
; SGPRBlocks: 2
; VGPRBlocks: 0
; NumSGPRsForWavesPerEU: 22
; NumVGPRsForWavesPerEU: 4
; AccumOffset: 4
; Occupancy: 8
; WaveLimiterHint : 0
; COMPUTE_PGM_RSRC2:SCRATCH_EN: 0
; COMPUTE_PGM_RSRC2:USER_SGPR: 2
; COMPUTE_PGM_RSRC2:TRAP_HANDLER: 0
; COMPUTE_PGM_RSRC2:TGID_X_EN: 1
; COMPUTE_PGM_RSRC2:TGID_Y_EN: 0
; COMPUTE_PGM_RSRC2:TGID_Z_EN: 0
; COMPUTE_PGM_RSRC2:TIDIG_COMP_CNT: 0
; COMPUTE_PGM_RSRC3_GFX90A:ACCUM_OFFSET: 0
; COMPUTE_PGM_RSRC3_GFX90A:TG_SPLIT: 0
	.section	.text._ZN7rocprim17ROCPRIM_400000_NS6detail17trampoline_kernelINS0_14default_configENS1_22reduce_config_selectorIiEEZNS1_11reduce_implILb1ES3_PiS7_iN6thrust23THRUST_200600_302600_NS4plusIiEEEE10hipError_tPvRmT1_T2_T3_mT4_P12ihipStream_tbEUlT_E0_NS1_11comp_targetILNS1_3genE0ELNS1_11target_archE4294967295ELNS1_3gpuE0ELNS1_3repE0EEENS1_30default_config_static_selectorELNS0_4arch9wavefront6targetE1EEEvSF_,"axG",@progbits,_ZN7rocprim17ROCPRIM_400000_NS6detail17trampoline_kernelINS0_14default_configENS1_22reduce_config_selectorIiEEZNS1_11reduce_implILb1ES3_PiS7_iN6thrust23THRUST_200600_302600_NS4plusIiEEEE10hipError_tPvRmT1_T2_T3_mT4_P12ihipStream_tbEUlT_E0_NS1_11comp_targetILNS1_3genE0ELNS1_11target_archE4294967295ELNS1_3gpuE0ELNS1_3repE0EEENS1_30default_config_static_selectorELNS0_4arch9wavefront6targetE1EEEvSF_,comdat
	.protected	_ZN7rocprim17ROCPRIM_400000_NS6detail17trampoline_kernelINS0_14default_configENS1_22reduce_config_selectorIiEEZNS1_11reduce_implILb1ES3_PiS7_iN6thrust23THRUST_200600_302600_NS4plusIiEEEE10hipError_tPvRmT1_T2_T3_mT4_P12ihipStream_tbEUlT_E0_NS1_11comp_targetILNS1_3genE0ELNS1_11target_archE4294967295ELNS1_3gpuE0ELNS1_3repE0EEENS1_30default_config_static_selectorELNS0_4arch9wavefront6targetE1EEEvSF_ ; -- Begin function _ZN7rocprim17ROCPRIM_400000_NS6detail17trampoline_kernelINS0_14default_configENS1_22reduce_config_selectorIiEEZNS1_11reduce_implILb1ES3_PiS7_iN6thrust23THRUST_200600_302600_NS4plusIiEEEE10hipError_tPvRmT1_T2_T3_mT4_P12ihipStream_tbEUlT_E0_NS1_11comp_targetILNS1_3genE0ELNS1_11target_archE4294967295ELNS1_3gpuE0ELNS1_3repE0EEENS1_30default_config_static_selectorELNS0_4arch9wavefront6targetE1EEEvSF_
	.globl	_ZN7rocprim17ROCPRIM_400000_NS6detail17trampoline_kernelINS0_14default_configENS1_22reduce_config_selectorIiEEZNS1_11reduce_implILb1ES3_PiS7_iN6thrust23THRUST_200600_302600_NS4plusIiEEEE10hipError_tPvRmT1_T2_T3_mT4_P12ihipStream_tbEUlT_E0_NS1_11comp_targetILNS1_3genE0ELNS1_11target_archE4294967295ELNS1_3gpuE0ELNS1_3repE0EEENS1_30default_config_static_selectorELNS0_4arch9wavefront6targetE1EEEvSF_
	.p2align	8
	.type	_ZN7rocprim17ROCPRIM_400000_NS6detail17trampoline_kernelINS0_14default_configENS1_22reduce_config_selectorIiEEZNS1_11reduce_implILb1ES3_PiS7_iN6thrust23THRUST_200600_302600_NS4plusIiEEEE10hipError_tPvRmT1_T2_T3_mT4_P12ihipStream_tbEUlT_E0_NS1_11comp_targetILNS1_3genE0ELNS1_11target_archE4294967295ELNS1_3gpuE0ELNS1_3repE0EEENS1_30default_config_static_selectorELNS0_4arch9wavefront6targetE1EEEvSF_,@function
_ZN7rocprim17ROCPRIM_400000_NS6detail17trampoline_kernelINS0_14default_configENS1_22reduce_config_selectorIiEEZNS1_11reduce_implILb1ES3_PiS7_iN6thrust23THRUST_200600_302600_NS4plusIiEEEE10hipError_tPvRmT1_T2_T3_mT4_P12ihipStream_tbEUlT_E0_NS1_11comp_targetILNS1_3genE0ELNS1_11target_archE4294967295ELNS1_3gpuE0ELNS1_3repE0EEENS1_30default_config_static_selectorELNS0_4arch9wavefront6targetE1EEEvSF_: ; @_ZN7rocprim17ROCPRIM_400000_NS6detail17trampoline_kernelINS0_14default_configENS1_22reduce_config_selectorIiEEZNS1_11reduce_implILb1ES3_PiS7_iN6thrust23THRUST_200600_302600_NS4plusIiEEEE10hipError_tPvRmT1_T2_T3_mT4_P12ihipStream_tbEUlT_E0_NS1_11comp_targetILNS1_3genE0ELNS1_11target_archE4294967295ELNS1_3gpuE0ELNS1_3repE0EEENS1_30default_config_static_selectorELNS0_4arch9wavefront6targetE1EEEvSF_
; %bb.0:
	s_load_dwordx8 s[4:11], s[0:1], 0x0
	s_load_dwordx4 s[12:15], s[0:1], 0x20
	v_lshlrev_b32_e32 v6, 2, v0
	v_mbcnt_lo_u32_b32 v1, -1, 0
	s_waitcnt lgkmcnt(0)
	s_lshl_b64 s[6:7], s[6:7], 2
	s_add_u32 s18, s4, s6
	s_addc_u32 s19, s5, s7
	s_lshl_b32 s4, s2, 10
	s_mov_b32 s5, 0
	s_lshr_b64 s[16:17], s[8:9], 10
	s_lshl_b64 s[6:7], s[4:5], 2
	s_add_u32 s6, s18, s6
	s_mov_b32 s3, s5
	s_addc_u32 s7, s19, s7
	s_cmp_lg_u64 s[16:17], s[2:3]
	s_cbranch_scc0 .LBB224_6
; %bb.1:
	global_load_dword v2, v6, s[6:7]
	global_load_dword v5, v6, s[6:7] offset:1024
	global_load_dword v7, v6, s[6:7] offset:2048
	;; [unrolled: 1-line block ×3, first 2 shown]
	v_mbcnt_hi_u32_b32 v3, -1, v1
	v_lshlrev_b32_e32 v4, 2, v3
	v_cmp_eq_u32_e32 vcc, 0, v3
	s_waitcnt vmcnt(2)
	v_add_u32_e32 v2, v5, v2
	v_or_b32_e32 v5, 0xfc, v4
	s_waitcnt vmcnt(0)
	v_add3_u32 v2, v2, v7, v8
	s_nop 1
	v_add_u32_dpp v2, v2, v2 quad_perm:[1,0,3,2] row_mask:0xf bank_mask:0xf bound_ctrl:1
	s_nop 1
	v_add_u32_dpp v2, v2, v2 quad_perm:[2,3,0,1] row_mask:0xf bank_mask:0xf bound_ctrl:1
	s_nop 1
	v_add_u32_dpp v2, v2, v2 row_ror:4 row_mask:0xf bank_mask:0xf bound_ctrl:1
	s_nop 1
	v_add_u32_dpp v2, v2, v2 row_ror:8 row_mask:0xf bank_mask:0xf bound_ctrl:1
	s_nop 1
	v_add_u32_dpp v2, v2, v2 row_bcast:15 row_mask:0xf bank_mask:0xf bound_ctrl:1
	s_nop 1
	v_add_u32_dpp v2, v2, v2 row_bcast:31 row_mask:0xf bank_mask:0xf bound_ctrl:1
	ds_bpermute_b32 v2, v5, v2
	s_and_saveexec_b64 s[16:17], vcc
	s_cbranch_execz .LBB224_3
; %bb.2:
	v_lshrrev_b32_e32 v5, 4, v0
	v_and_b32_e32 v5, 12, v5
	s_waitcnt lgkmcnt(0)
	ds_write_b32 v5, v2
.LBB224_3:
	s_or_b64 exec, exec, s[16:17]
	v_cmp_gt_u32_e32 vcc, 64, v0
	s_waitcnt lgkmcnt(0)
	s_barrier
	s_and_saveexec_b64 s[16:17], vcc
	s_cbranch_execz .LBB224_5
; %bb.4:
	v_and_b32_e32 v2, 3, v3
	v_lshlrev_b32_e32 v5, 2, v2
	ds_read_b32 v5, v5
	v_cmp_ne_u32_e32 vcc, 3, v2
	s_nop 1
	v_addc_co_u32_e32 v2, vcc, 0, v3, vcc
	v_lshlrev_b32_e32 v2, 2, v2
	s_waitcnt lgkmcnt(0)
	ds_bpermute_b32 v2, v2, v5
	v_or_b32_e32 v3, 8, v4
	s_waitcnt lgkmcnt(0)
	v_add_u32_e32 v2, v2, v5
	ds_bpermute_b32 v3, v3, v2
	s_waitcnt lgkmcnt(0)
	v_add_u32_e32 v2, v3, v2
.LBB224_5:
	s_or_b64 exec, exec, s[16:17]
	s_load_dword s18, s[0:1], 0x30
	s_branch .LBB224_20
.LBB224_6:
                                        ; implicit-def: $vgpr2
	s_load_dword s18, s[0:1], 0x30
	s_cbranch_execz .LBB224_20
; %bb.7:
	s_sub_i32 s19, s8, s4
	v_mov_b32_e32 v2, 0
	v_cmp_gt_u32_e32 vcc, s19, v0
	v_mov_b32_e32 v3, v2
	v_mov_b32_e32 v4, v2
	;; [unrolled: 1-line block ×3, first 2 shown]
	s_and_saveexec_b64 s[0:1], vcc
	s_cbranch_execz .LBB224_9
; %bb.8:
	global_load_dword v8, v6, s[6:7]
	v_mov_b32_e32 v9, v2
	v_mov_b32_e32 v10, v2
	;; [unrolled: 1-line block ×3, first 2 shown]
	s_waitcnt vmcnt(0)
	v_mov_b64_e32 v[2:3], v[8:9]
	v_mov_b64_e32 v[4:5], v[10:11]
.LBB224_9:
	s_or_b64 exec, exec, s[0:1]
	v_or_b32_e32 v7, 0x100, v0
	v_cmp_gt_u32_e32 vcc, s19, v7
	s_and_saveexec_b64 s[0:1], vcc
	s_cbranch_execz .LBB224_11
; %bb.10:
	global_load_dword v3, v6, s[6:7] offset:1024
.LBB224_11:
	s_or_b64 exec, exec, s[0:1]
	v_or_b32_e32 v7, 0x200, v0
	v_cmp_gt_u32_e64 s[0:1], s19, v7
	s_and_saveexec_b64 s[4:5], s[0:1]
	s_cbranch_execz .LBB224_13
; %bb.12:
	global_load_dword v4, v6, s[6:7] offset:2048
.LBB224_13:
	s_or_b64 exec, exec, s[4:5]
	v_or_b32_e32 v7, 0x300, v0
	v_cmp_gt_u32_e64 s[4:5], s19, v7
	s_and_saveexec_b64 s[16:17], s[4:5]
	s_cbranch_execz .LBB224_15
; %bb.14:
	global_load_dword v5, v6, s[6:7] offset:3072
.LBB224_15:
	s_or_b64 exec, exec, s[16:17]
	s_waitcnt vmcnt(0)
	v_cndmask_b32_e32 v3, 0, v3, vcc
	v_add_u32_e32 v2, v3, v2
	v_cndmask_b32_e64 v3, 0, v4, s[0:1]
	v_cndmask_b32_e64 v4, 0, v5, s[4:5]
	v_mbcnt_hi_u32_b32 v1, -1, v1
	v_add3_u32 v2, v2, v3, v4
	v_and_b32_e32 v4, 63, v1
	v_cmp_ne_u32_e32 vcc, 63, v4
	s_min_u32 s4, s19, 0x100
	v_and_b32_e32 v5, 0xc0, v0
	v_addc_co_u32_e32 v3, vcc, 0, v1, vcc
	v_lshlrev_b32_e32 v3, 2, v3
	ds_bpermute_b32 v3, v3, v2
	v_sub_u32_e64 v5, s4, v5 clamp
	v_add_u32_e32 v6, 1, v4
	v_cmp_lt_u32_e32 vcc, v6, v5
	v_add_u32_e32 v6, 2, v4
	s_waitcnt lgkmcnt(0)
	v_cndmask_b32_e32 v3, 0, v3, vcc
	v_cmp_gt_u32_e32 vcc, 62, v4
	v_add_u32_e32 v2, v3, v2
	s_nop 0
	v_cndmask_b32_e64 v3, 0, 2, vcc
	v_add_lshl_u32 v3, v3, v1, 2
	ds_bpermute_b32 v3, v3, v2
	v_cmp_lt_u32_e32 vcc, v6, v5
	v_add_u32_e32 v6, 4, v4
	s_waitcnt lgkmcnt(0)
	v_cndmask_b32_e32 v3, 0, v3, vcc
	v_cmp_gt_u32_e32 vcc, 60, v4
	v_add_u32_e32 v2, v2, v3
	s_nop 0
	v_cndmask_b32_e64 v3, 0, 4, vcc
	v_add_lshl_u32 v3, v3, v1, 2
	ds_bpermute_b32 v3, v3, v2
	;; [unrolled: 10-line block ×3, first 2 shown]
	v_cmp_lt_u32_e32 vcc, v6, v5
	v_add_u32_e32 v6, 16, v4
	s_waitcnt lgkmcnt(0)
	v_cndmask_b32_e32 v3, 0, v3, vcc
	v_cmp_gt_u32_e32 vcc, 48, v4
	v_add_u32_e32 v2, v2, v3
	v_add_u32_e32 v4, 32, v4
	v_cndmask_b32_e64 v3, 0, 16, vcc
	v_add_lshl_u32 v3, v3, v1, 2
	ds_bpermute_b32 v3, v3, v2
	v_cmp_lt_u32_e32 vcc, v6, v5
	s_waitcnt lgkmcnt(0)
	s_nop 0
	v_cndmask_b32_e32 v3, 0, v3, vcc
	v_add_u32_e32 v2, v2, v3
	v_lshlrev_b32_e32 v3, 2, v1
	v_or_b32_e32 v6, 0x80, v3
	ds_bpermute_b32 v6, v6, v2
	v_cmp_lt_u32_e32 vcc, v4, v5
	s_waitcnt lgkmcnt(0)
	s_nop 0
	v_cndmask_b32_e32 v4, 0, v6, vcc
	v_add_u32_e32 v2, v2, v4
	v_cmp_eq_u32_e32 vcc, 0, v1
	s_and_saveexec_b64 s[0:1], vcc
; %bb.16:
	v_lshrrev_b32_e32 v4, 4, v0
	v_and_b32_e32 v4, 12, v4
	ds_write_b32 v4, v2 offset:16
; %bb.17:
	s_or_b64 exec, exec, s[0:1]
	v_cmp_gt_u32_e32 vcc, 4, v0
	s_waitcnt lgkmcnt(0)
	s_barrier
	s_and_saveexec_b64 s[0:1], vcc
	s_cbranch_execz .LBB224_19
; %bb.18:
	ds_read_b32 v2, v3 offset:16
	v_and_b32_e32 v4, 3, v1
	v_cmp_ne_u32_e32 vcc, 3, v4
	s_add_i32 s4, s4, 63
	s_lshr_b32 s4, s4, 6
	v_addc_co_u32_e32 v1, vcc, 0, v1, vcc
	v_lshlrev_b32_e32 v1, 2, v1
	s_waitcnt lgkmcnt(0)
	ds_bpermute_b32 v1, v1, v2
	v_add_u32_e32 v5, 1, v4
	v_cmp_gt_u32_e32 vcc, s4, v5
	s_waitcnt lgkmcnt(0)
	s_nop 0
	v_cndmask_b32_e32 v1, 0, v1, vcc
	v_add_u32_e32 v1, v1, v2
	v_or_b32_e32 v2, 8, v3
	ds_bpermute_b32 v2, v2, v1
	v_add_u32_e32 v3, 2, v4
	v_cmp_gt_u32_e32 vcc, s4, v3
	s_waitcnt lgkmcnt(0)
	s_nop 0
	v_cndmask_b32_e32 v2, 0, v2, vcc
	v_add_u32_e32 v2, v1, v2
.LBB224_19:
	s_or_b64 exec, exec, s[0:1]
.LBB224_20:
	v_cmp_eq_u32_e32 vcc, 0, v0
	s_and_saveexec_b64 s[0:1], vcc
	s_cbranch_execnz .LBB224_22
; %bb.21:
	s_endpgm
.LBB224_22:
	s_mul_i32 s0, s14, s13
	s_mul_hi_u32 s1, s14, s12
	s_add_i32 s0, s1, s0
	s_mul_i32 s1, s15, s12
	s_add_i32 s1, s0, s1
	s_mul_i32 s0, s14, s12
	s_lshl_b64 s[0:1], s[0:1], 2
	s_add_u32 s4, s10, s0
	s_addc_u32 s5, s11, s1
	s_cmp_eq_u64 s[8:9], 0
	s_cselect_b64 vcc, -1, 0
	s_lshl_b64 s[0:1], s[2:3], 2
	s_waitcnt lgkmcnt(0)
	v_mov_b32_e32 v0, s18
	s_add_u32 s0, s4, s0
	v_cndmask_b32_e32 v0, v2, v0, vcc
	s_addc_u32 s1, s5, s1
	v_mov_b32_e32 v1, 0
	global_store_dword v1, v0, s[0:1]
	s_endpgm
	.section	.rodata,"a",@progbits
	.p2align	6, 0x0
	.amdhsa_kernel _ZN7rocprim17ROCPRIM_400000_NS6detail17trampoline_kernelINS0_14default_configENS1_22reduce_config_selectorIiEEZNS1_11reduce_implILb1ES3_PiS7_iN6thrust23THRUST_200600_302600_NS4plusIiEEEE10hipError_tPvRmT1_T2_T3_mT4_P12ihipStream_tbEUlT_E0_NS1_11comp_targetILNS1_3genE0ELNS1_11target_archE4294967295ELNS1_3gpuE0ELNS1_3repE0EEENS1_30default_config_static_selectorELNS0_4arch9wavefront6targetE1EEEvSF_
		.amdhsa_group_segment_fixed_size 32
		.amdhsa_private_segment_fixed_size 0
		.amdhsa_kernarg_size 56
		.amdhsa_user_sgpr_count 2
		.amdhsa_user_sgpr_dispatch_ptr 0
		.amdhsa_user_sgpr_queue_ptr 0
		.amdhsa_user_sgpr_kernarg_segment_ptr 1
		.amdhsa_user_sgpr_dispatch_id 0
		.amdhsa_user_sgpr_kernarg_preload_length 0
		.amdhsa_user_sgpr_kernarg_preload_offset 0
		.amdhsa_user_sgpr_private_segment_size 0
		.amdhsa_uses_dynamic_stack 0
		.amdhsa_enable_private_segment 0
		.amdhsa_system_sgpr_workgroup_id_x 1
		.amdhsa_system_sgpr_workgroup_id_y 0
		.amdhsa_system_sgpr_workgroup_id_z 0
		.amdhsa_system_sgpr_workgroup_info 0
		.amdhsa_system_vgpr_workitem_id 0
		.amdhsa_next_free_vgpr 12
		.amdhsa_next_free_sgpr 20
		.amdhsa_accum_offset 12
		.amdhsa_reserve_vcc 1
		.amdhsa_float_round_mode_32 0
		.amdhsa_float_round_mode_16_64 0
		.amdhsa_float_denorm_mode_32 3
		.amdhsa_float_denorm_mode_16_64 3
		.amdhsa_dx10_clamp 1
		.amdhsa_ieee_mode 1
		.amdhsa_fp16_overflow 0
		.amdhsa_tg_split 0
		.amdhsa_exception_fp_ieee_invalid_op 0
		.amdhsa_exception_fp_denorm_src 0
		.amdhsa_exception_fp_ieee_div_zero 0
		.amdhsa_exception_fp_ieee_overflow 0
		.amdhsa_exception_fp_ieee_underflow 0
		.amdhsa_exception_fp_ieee_inexact 0
		.amdhsa_exception_int_div_zero 0
	.end_amdhsa_kernel
	.section	.text._ZN7rocprim17ROCPRIM_400000_NS6detail17trampoline_kernelINS0_14default_configENS1_22reduce_config_selectorIiEEZNS1_11reduce_implILb1ES3_PiS7_iN6thrust23THRUST_200600_302600_NS4plusIiEEEE10hipError_tPvRmT1_T2_T3_mT4_P12ihipStream_tbEUlT_E0_NS1_11comp_targetILNS1_3genE0ELNS1_11target_archE4294967295ELNS1_3gpuE0ELNS1_3repE0EEENS1_30default_config_static_selectorELNS0_4arch9wavefront6targetE1EEEvSF_,"axG",@progbits,_ZN7rocprim17ROCPRIM_400000_NS6detail17trampoline_kernelINS0_14default_configENS1_22reduce_config_selectorIiEEZNS1_11reduce_implILb1ES3_PiS7_iN6thrust23THRUST_200600_302600_NS4plusIiEEEE10hipError_tPvRmT1_T2_T3_mT4_P12ihipStream_tbEUlT_E0_NS1_11comp_targetILNS1_3genE0ELNS1_11target_archE4294967295ELNS1_3gpuE0ELNS1_3repE0EEENS1_30default_config_static_selectorELNS0_4arch9wavefront6targetE1EEEvSF_,comdat
.Lfunc_end224:
	.size	_ZN7rocprim17ROCPRIM_400000_NS6detail17trampoline_kernelINS0_14default_configENS1_22reduce_config_selectorIiEEZNS1_11reduce_implILb1ES3_PiS7_iN6thrust23THRUST_200600_302600_NS4plusIiEEEE10hipError_tPvRmT1_T2_T3_mT4_P12ihipStream_tbEUlT_E0_NS1_11comp_targetILNS1_3genE0ELNS1_11target_archE4294967295ELNS1_3gpuE0ELNS1_3repE0EEENS1_30default_config_static_selectorELNS0_4arch9wavefront6targetE1EEEvSF_, .Lfunc_end224-_ZN7rocprim17ROCPRIM_400000_NS6detail17trampoline_kernelINS0_14default_configENS1_22reduce_config_selectorIiEEZNS1_11reduce_implILb1ES3_PiS7_iN6thrust23THRUST_200600_302600_NS4plusIiEEEE10hipError_tPvRmT1_T2_T3_mT4_P12ihipStream_tbEUlT_E0_NS1_11comp_targetILNS1_3genE0ELNS1_11target_archE4294967295ELNS1_3gpuE0ELNS1_3repE0EEENS1_30default_config_static_selectorELNS0_4arch9wavefront6targetE1EEEvSF_
                                        ; -- End function
	.set _ZN7rocprim17ROCPRIM_400000_NS6detail17trampoline_kernelINS0_14default_configENS1_22reduce_config_selectorIiEEZNS1_11reduce_implILb1ES3_PiS7_iN6thrust23THRUST_200600_302600_NS4plusIiEEEE10hipError_tPvRmT1_T2_T3_mT4_P12ihipStream_tbEUlT_E0_NS1_11comp_targetILNS1_3genE0ELNS1_11target_archE4294967295ELNS1_3gpuE0ELNS1_3repE0EEENS1_30default_config_static_selectorELNS0_4arch9wavefront6targetE1EEEvSF_.num_vgpr, 12
	.set _ZN7rocprim17ROCPRIM_400000_NS6detail17trampoline_kernelINS0_14default_configENS1_22reduce_config_selectorIiEEZNS1_11reduce_implILb1ES3_PiS7_iN6thrust23THRUST_200600_302600_NS4plusIiEEEE10hipError_tPvRmT1_T2_T3_mT4_P12ihipStream_tbEUlT_E0_NS1_11comp_targetILNS1_3genE0ELNS1_11target_archE4294967295ELNS1_3gpuE0ELNS1_3repE0EEENS1_30default_config_static_selectorELNS0_4arch9wavefront6targetE1EEEvSF_.num_agpr, 0
	.set _ZN7rocprim17ROCPRIM_400000_NS6detail17trampoline_kernelINS0_14default_configENS1_22reduce_config_selectorIiEEZNS1_11reduce_implILb1ES3_PiS7_iN6thrust23THRUST_200600_302600_NS4plusIiEEEE10hipError_tPvRmT1_T2_T3_mT4_P12ihipStream_tbEUlT_E0_NS1_11comp_targetILNS1_3genE0ELNS1_11target_archE4294967295ELNS1_3gpuE0ELNS1_3repE0EEENS1_30default_config_static_selectorELNS0_4arch9wavefront6targetE1EEEvSF_.numbered_sgpr, 20
	.set _ZN7rocprim17ROCPRIM_400000_NS6detail17trampoline_kernelINS0_14default_configENS1_22reduce_config_selectorIiEEZNS1_11reduce_implILb1ES3_PiS7_iN6thrust23THRUST_200600_302600_NS4plusIiEEEE10hipError_tPvRmT1_T2_T3_mT4_P12ihipStream_tbEUlT_E0_NS1_11comp_targetILNS1_3genE0ELNS1_11target_archE4294967295ELNS1_3gpuE0ELNS1_3repE0EEENS1_30default_config_static_selectorELNS0_4arch9wavefront6targetE1EEEvSF_.num_named_barrier, 0
	.set _ZN7rocprim17ROCPRIM_400000_NS6detail17trampoline_kernelINS0_14default_configENS1_22reduce_config_selectorIiEEZNS1_11reduce_implILb1ES3_PiS7_iN6thrust23THRUST_200600_302600_NS4plusIiEEEE10hipError_tPvRmT1_T2_T3_mT4_P12ihipStream_tbEUlT_E0_NS1_11comp_targetILNS1_3genE0ELNS1_11target_archE4294967295ELNS1_3gpuE0ELNS1_3repE0EEENS1_30default_config_static_selectorELNS0_4arch9wavefront6targetE1EEEvSF_.private_seg_size, 0
	.set _ZN7rocprim17ROCPRIM_400000_NS6detail17trampoline_kernelINS0_14default_configENS1_22reduce_config_selectorIiEEZNS1_11reduce_implILb1ES3_PiS7_iN6thrust23THRUST_200600_302600_NS4plusIiEEEE10hipError_tPvRmT1_T2_T3_mT4_P12ihipStream_tbEUlT_E0_NS1_11comp_targetILNS1_3genE0ELNS1_11target_archE4294967295ELNS1_3gpuE0ELNS1_3repE0EEENS1_30default_config_static_selectorELNS0_4arch9wavefront6targetE1EEEvSF_.uses_vcc, 1
	.set _ZN7rocprim17ROCPRIM_400000_NS6detail17trampoline_kernelINS0_14default_configENS1_22reduce_config_selectorIiEEZNS1_11reduce_implILb1ES3_PiS7_iN6thrust23THRUST_200600_302600_NS4plusIiEEEE10hipError_tPvRmT1_T2_T3_mT4_P12ihipStream_tbEUlT_E0_NS1_11comp_targetILNS1_3genE0ELNS1_11target_archE4294967295ELNS1_3gpuE0ELNS1_3repE0EEENS1_30default_config_static_selectorELNS0_4arch9wavefront6targetE1EEEvSF_.uses_flat_scratch, 0
	.set _ZN7rocprim17ROCPRIM_400000_NS6detail17trampoline_kernelINS0_14default_configENS1_22reduce_config_selectorIiEEZNS1_11reduce_implILb1ES3_PiS7_iN6thrust23THRUST_200600_302600_NS4plusIiEEEE10hipError_tPvRmT1_T2_T3_mT4_P12ihipStream_tbEUlT_E0_NS1_11comp_targetILNS1_3genE0ELNS1_11target_archE4294967295ELNS1_3gpuE0ELNS1_3repE0EEENS1_30default_config_static_selectorELNS0_4arch9wavefront6targetE1EEEvSF_.has_dyn_sized_stack, 0
	.set _ZN7rocprim17ROCPRIM_400000_NS6detail17trampoline_kernelINS0_14default_configENS1_22reduce_config_selectorIiEEZNS1_11reduce_implILb1ES3_PiS7_iN6thrust23THRUST_200600_302600_NS4plusIiEEEE10hipError_tPvRmT1_T2_T3_mT4_P12ihipStream_tbEUlT_E0_NS1_11comp_targetILNS1_3genE0ELNS1_11target_archE4294967295ELNS1_3gpuE0ELNS1_3repE0EEENS1_30default_config_static_selectorELNS0_4arch9wavefront6targetE1EEEvSF_.has_recursion, 0
	.set _ZN7rocprim17ROCPRIM_400000_NS6detail17trampoline_kernelINS0_14default_configENS1_22reduce_config_selectorIiEEZNS1_11reduce_implILb1ES3_PiS7_iN6thrust23THRUST_200600_302600_NS4plusIiEEEE10hipError_tPvRmT1_T2_T3_mT4_P12ihipStream_tbEUlT_E0_NS1_11comp_targetILNS1_3genE0ELNS1_11target_archE4294967295ELNS1_3gpuE0ELNS1_3repE0EEENS1_30default_config_static_selectorELNS0_4arch9wavefront6targetE1EEEvSF_.has_indirect_call, 0
	.section	.AMDGPU.csdata,"",@progbits
; Kernel info:
; codeLenInByte = 1180
; TotalNumSgprs: 26
; NumVgprs: 12
; NumAgprs: 0
; TotalNumVgprs: 12
; ScratchSize: 0
; MemoryBound: 0
; FloatMode: 240
; IeeeMode: 1
; LDSByteSize: 32 bytes/workgroup (compile time only)
; SGPRBlocks: 3
; VGPRBlocks: 1
; NumSGPRsForWavesPerEU: 26
; NumVGPRsForWavesPerEU: 12
; AccumOffset: 12
; Occupancy: 8
; WaveLimiterHint : 1
; COMPUTE_PGM_RSRC2:SCRATCH_EN: 0
; COMPUTE_PGM_RSRC2:USER_SGPR: 2
; COMPUTE_PGM_RSRC2:TRAP_HANDLER: 0
; COMPUTE_PGM_RSRC2:TGID_X_EN: 1
; COMPUTE_PGM_RSRC2:TGID_Y_EN: 0
; COMPUTE_PGM_RSRC2:TGID_Z_EN: 0
; COMPUTE_PGM_RSRC2:TIDIG_COMP_CNT: 0
; COMPUTE_PGM_RSRC3_GFX90A:ACCUM_OFFSET: 2
; COMPUTE_PGM_RSRC3_GFX90A:TG_SPLIT: 0
	.section	.text._ZN7rocprim17ROCPRIM_400000_NS6detail17trampoline_kernelINS0_14default_configENS1_22reduce_config_selectorIiEEZNS1_11reduce_implILb1ES3_PiS7_iN6thrust23THRUST_200600_302600_NS4plusIiEEEE10hipError_tPvRmT1_T2_T3_mT4_P12ihipStream_tbEUlT_E0_NS1_11comp_targetILNS1_3genE5ELNS1_11target_archE942ELNS1_3gpuE9ELNS1_3repE0EEENS1_30default_config_static_selectorELNS0_4arch9wavefront6targetE1EEEvSF_,"axG",@progbits,_ZN7rocprim17ROCPRIM_400000_NS6detail17trampoline_kernelINS0_14default_configENS1_22reduce_config_selectorIiEEZNS1_11reduce_implILb1ES3_PiS7_iN6thrust23THRUST_200600_302600_NS4plusIiEEEE10hipError_tPvRmT1_T2_T3_mT4_P12ihipStream_tbEUlT_E0_NS1_11comp_targetILNS1_3genE5ELNS1_11target_archE942ELNS1_3gpuE9ELNS1_3repE0EEENS1_30default_config_static_selectorELNS0_4arch9wavefront6targetE1EEEvSF_,comdat
	.protected	_ZN7rocprim17ROCPRIM_400000_NS6detail17trampoline_kernelINS0_14default_configENS1_22reduce_config_selectorIiEEZNS1_11reduce_implILb1ES3_PiS7_iN6thrust23THRUST_200600_302600_NS4plusIiEEEE10hipError_tPvRmT1_T2_T3_mT4_P12ihipStream_tbEUlT_E0_NS1_11comp_targetILNS1_3genE5ELNS1_11target_archE942ELNS1_3gpuE9ELNS1_3repE0EEENS1_30default_config_static_selectorELNS0_4arch9wavefront6targetE1EEEvSF_ ; -- Begin function _ZN7rocprim17ROCPRIM_400000_NS6detail17trampoline_kernelINS0_14default_configENS1_22reduce_config_selectorIiEEZNS1_11reduce_implILb1ES3_PiS7_iN6thrust23THRUST_200600_302600_NS4plusIiEEEE10hipError_tPvRmT1_T2_T3_mT4_P12ihipStream_tbEUlT_E0_NS1_11comp_targetILNS1_3genE5ELNS1_11target_archE942ELNS1_3gpuE9ELNS1_3repE0EEENS1_30default_config_static_selectorELNS0_4arch9wavefront6targetE1EEEvSF_
	.globl	_ZN7rocprim17ROCPRIM_400000_NS6detail17trampoline_kernelINS0_14default_configENS1_22reduce_config_selectorIiEEZNS1_11reduce_implILb1ES3_PiS7_iN6thrust23THRUST_200600_302600_NS4plusIiEEEE10hipError_tPvRmT1_T2_T3_mT4_P12ihipStream_tbEUlT_E0_NS1_11comp_targetILNS1_3genE5ELNS1_11target_archE942ELNS1_3gpuE9ELNS1_3repE0EEENS1_30default_config_static_selectorELNS0_4arch9wavefront6targetE1EEEvSF_
	.p2align	8
	.type	_ZN7rocprim17ROCPRIM_400000_NS6detail17trampoline_kernelINS0_14default_configENS1_22reduce_config_selectorIiEEZNS1_11reduce_implILb1ES3_PiS7_iN6thrust23THRUST_200600_302600_NS4plusIiEEEE10hipError_tPvRmT1_T2_T3_mT4_P12ihipStream_tbEUlT_E0_NS1_11comp_targetILNS1_3genE5ELNS1_11target_archE942ELNS1_3gpuE9ELNS1_3repE0EEENS1_30default_config_static_selectorELNS0_4arch9wavefront6targetE1EEEvSF_,@function
_ZN7rocprim17ROCPRIM_400000_NS6detail17trampoline_kernelINS0_14default_configENS1_22reduce_config_selectorIiEEZNS1_11reduce_implILb1ES3_PiS7_iN6thrust23THRUST_200600_302600_NS4plusIiEEEE10hipError_tPvRmT1_T2_T3_mT4_P12ihipStream_tbEUlT_E0_NS1_11comp_targetILNS1_3genE5ELNS1_11target_archE942ELNS1_3gpuE9ELNS1_3repE0EEENS1_30default_config_static_selectorELNS0_4arch9wavefront6targetE1EEEvSF_: ; @_ZN7rocprim17ROCPRIM_400000_NS6detail17trampoline_kernelINS0_14default_configENS1_22reduce_config_selectorIiEEZNS1_11reduce_implILb1ES3_PiS7_iN6thrust23THRUST_200600_302600_NS4plusIiEEEE10hipError_tPvRmT1_T2_T3_mT4_P12ihipStream_tbEUlT_E0_NS1_11comp_targetILNS1_3genE5ELNS1_11target_archE942ELNS1_3gpuE9ELNS1_3repE0EEENS1_30default_config_static_selectorELNS0_4arch9wavefront6targetE1EEEvSF_
; %bb.0:
	.section	.rodata,"a",@progbits
	.p2align	6, 0x0
	.amdhsa_kernel _ZN7rocprim17ROCPRIM_400000_NS6detail17trampoline_kernelINS0_14default_configENS1_22reduce_config_selectorIiEEZNS1_11reduce_implILb1ES3_PiS7_iN6thrust23THRUST_200600_302600_NS4plusIiEEEE10hipError_tPvRmT1_T2_T3_mT4_P12ihipStream_tbEUlT_E0_NS1_11comp_targetILNS1_3genE5ELNS1_11target_archE942ELNS1_3gpuE9ELNS1_3repE0EEENS1_30default_config_static_selectorELNS0_4arch9wavefront6targetE1EEEvSF_
		.amdhsa_group_segment_fixed_size 0
		.amdhsa_private_segment_fixed_size 0
		.amdhsa_kernarg_size 56
		.amdhsa_user_sgpr_count 2
		.amdhsa_user_sgpr_dispatch_ptr 0
		.amdhsa_user_sgpr_queue_ptr 0
		.amdhsa_user_sgpr_kernarg_segment_ptr 1
		.amdhsa_user_sgpr_dispatch_id 0
		.amdhsa_user_sgpr_kernarg_preload_length 0
		.amdhsa_user_sgpr_kernarg_preload_offset 0
		.amdhsa_user_sgpr_private_segment_size 0
		.amdhsa_uses_dynamic_stack 0
		.amdhsa_enable_private_segment 0
		.amdhsa_system_sgpr_workgroup_id_x 1
		.amdhsa_system_sgpr_workgroup_id_y 0
		.amdhsa_system_sgpr_workgroup_id_z 0
		.amdhsa_system_sgpr_workgroup_info 0
		.amdhsa_system_vgpr_workitem_id 0
		.amdhsa_next_free_vgpr 1
		.amdhsa_next_free_sgpr 0
		.amdhsa_accum_offset 4
		.amdhsa_reserve_vcc 0
		.amdhsa_float_round_mode_32 0
		.amdhsa_float_round_mode_16_64 0
		.amdhsa_float_denorm_mode_32 3
		.amdhsa_float_denorm_mode_16_64 3
		.amdhsa_dx10_clamp 1
		.amdhsa_ieee_mode 1
		.amdhsa_fp16_overflow 0
		.amdhsa_tg_split 0
		.amdhsa_exception_fp_ieee_invalid_op 0
		.amdhsa_exception_fp_denorm_src 0
		.amdhsa_exception_fp_ieee_div_zero 0
		.amdhsa_exception_fp_ieee_overflow 0
		.amdhsa_exception_fp_ieee_underflow 0
		.amdhsa_exception_fp_ieee_inexact 0
		.amdhsa_exception_int_div_zero 0
	.end_amdhsa_kernel
	.section	.text._ZN7rocprim17ROCPRIM_400000_NS6detail17trampoline_kernelINS0_14default_configENS1_22reduce_config_selectorIiEEZNS1_11reduce_implILb1ES3_PiS7_iN6thrust23THRUST_200600_302600_NS4plusIiEEEE10hipError_tPvRmT1_T2_T3_mT4_P12ihipStream_tbEUlT_E0_NS1_11comp_targetILNS1_3genE5ELNS1_11target_archE942ELNS1_3gpuE9ELNS1_3repE0EEENS1_30default_config_static_selectorELNS0_4arch9wavefront6targetE1EEEvSF_,"axG",@progbits,_ZN7rocprim17ROCPRIM_400000_NS6detail17trampoline_kernelINS0_14default_configENS1_22reduce_config_selectorIiEEZNS1_11reduce_implILb1ES3_PiS7_iN6thrust23THRUST_200600_302600_NS4plusIiEEEE10hipError_tPvRmT1_T2_T3_mT4_P12ihipStream_tbEUlT_E0_NS1_11comp_targetILNS1_3genE5ELNS1_11target_archE942ELNS1_3gpuE9ELNS1_3repE0EEENS1_30default_config_static_selectorELNS0_4arch9wavefront6targetE1EEEvSF_,comdat
.Lfunc_end225:
	.size	_ZN7rocprim17ROCPRIM_400000_NS6detail17trampoline_kernelINS0_14default_configENS1_22reduce_config_selectorIiEEZNS1_11reduce_implILb1ES3_PiS7_iN6thrust23THRUST_200600_302600_NS4plusIiEEEE10hipError_tPvRmT1_T2_T3_mT4_P12ihipStream_tbEUlT_E0_NS1_11comp_targetILNS1_3genE5ELNS1_11target_archE942ELNS1_3gpuE9ELNS1_3repE0EEENS1_30default_config_static_selectorELNS0_4arch9wavefront6targetE1EEEvSF_, .Lfunc_end225-_ZN7rocprim17ROCPRIM_400000_NS6detail17trampoline_kernelINS0_14default_configENS1_22reduce_config_selectorIiEEZNS1_11reduce_implILb1ES3_PiS7_iN6thrust23THRUST_200600_302600_NS4plusIiEEEE10hipError_tPvRmT1_T2_T3_mT4_P12ihipStream_tbEUlT_E0_NS1_11comp_targetILNS1_3genE5ELNS1_11target_archE942ELNS1_3gpuE9ELNS1_3repE0EEENS1_30default_config_static_selectorELNS0_4arch9wavefront6targetE1EEEvSF_
                                        ; -- End function
	.set _ZN7rocprim17ROCPRIM_400000_NS6detail17trampoline_kernelINS0_14default_configENS1_22reduce_config_selectorIiEEZNS1_11reduce_implILb1ES3_PiS7_iN6thrust23THRUST_200600_302600_NS4plusIiEEEE10hipError_tPvRmT1_T2_T3_mT4_P12ihipStream_tbEUlT_E0_NS1_11comp_targetILNS1_3genE5ELNS1_11target_archE942ELNS1_3gpuE9ELNS1_3repE0EEENS1_30default_config_static_selectorELNS0_4arch9wavefront6targetE1EEEvSF_.num_vgpr, 0
	.set _ZN7rocprim17ROCPRIM_400000_NS6detail17trampoline_kernelINS0_14default_configENS1_22reduce_config_selectorIiEEZNS1_11reduce_implILb1ES3_PiS7_iN6thrust23THRUST_200600_302600_NS4plusIiEEEE10hipError_tPvRmT1_T2_T3_mT4_P12ihipStream_tbEUlT_E0_NS1_11comp_targetILNS1_3genE5ELNS1_11target_archE942ELNS1_3gpuE9ELNS1_3repE0EEENS1_30default_config_static_selectorELNS0_4arch9wavefront6targetE1EEEvSF_.num_agpr, 0
	.set _ZN7rocprim17ROCPRIM_400000_NS6detail17trampoline_kernelINS0_14default_configENS1_22reduce_config_selectorIiEEZNS1_11reduce_implILb1ES3_PiS7_iN6thrust23THRUST_200600_302600_NS4plusIiEEEE10hipError_tPvRmT1_T2_T3_mT4_P12ihipStream_tbEUlT_E0_NS1_11comp_targetILNS1_3genE5ELNS1_11target_archE942ELNS1_3gpuE9ELNS1_3repE0EEENS1_30default_config_static_selectorELNS0_4arch9wavefront6targetE1EEEvSF_.numbered_sgpr, 0
	.set _ZN7rocprim17ROCPRIM_400000_NS6detail17trampoline_kernelINS0_14default_configENS1_22reduce_config_selectorIiEEZNS1_11reduce_implILb1ES3_PiS7_iN6thrust23THRUST_200600_302600_NS4plusIiEEEE10hipError_tPvRmT1_T2_T3_mT4_P12ihipStream_tbEUlT_E0_NS1_11comp_targetILNS1_3genE5ELNS1_11target_archE942ELNS1_3gpuE9ELNS1_3repE0EEENS1_30default_config_static_selectorELNS0_4arch9wavefront6targetE1EEEvSF_.num_named_barrier, 0
	.set _ZN7rocprim17ROCPRIM_400000_NS6detail17trampoline_kernelINS0_14default_configENS1_22reduce_config_selectorIiEEZNS1_11reduce_implILb1ES3_PiS7_iN6thrust23THRUST_200600_302600_NS4plusIiEEEE10hipError_tPvRmT1_T2_T3_mT4_P12ihipStream_tbEUlT_E0_NS1_11comp_targetILNS1_3genE5ELNS1_11target_archE942ELNS1_3gpuE9ELNS1_3repE0EEENS1_30default_config_static_selectorELNS0_4arch9wavefront6targetE1EEEvSF_.private_seg_size, 0
	.set _ZN7rocprim17ROCPRIM_400000_NS6detail17trampoline_kernelINS0_14default_configENS1_22reduce_config_selectorIiEEZNS1_11reduce_implILb1ES3_PiS7_iN6thrust23THRUST_200600_302600_NS4plusIiEEEE10hipError_tPvRmT1_T2_T3_mT4_P12ihipStream_tbEUlT_E0_NS1_11comp_targetILNS1_3genE5ELNS1_11target_archE942ELNS1_3gpuE9ELNS1_3repE0EEENS1_30default_config_static_selectorELNS0_4arch9wavefront6targetE1EEEvSF_.uses_vcc, 0
	.set _ZN7rocprim17ROCPRIM_400000_NS6detail17trampoline_kernelINS0_14default_configENS1_22reduce_config_selectorIiEEZNS1_11reduce_implILb1ES3_PiS7_iN6thrust23THRUST_200600_302600_NS4plusIiEEEE10hipError_tPvRmT1_T2_T3_mT4_P12ihipStream_tbEUlT_E0_NS1_11comp_targetILNS1_3genE5ELNS1_11target_archE942ELNS1_3gpuE9ELNS1_3repE0EEENS1_30default_config_static_selectorELNS0_4arch9wavefront6targetE1EEEvSF_.uses_flat_scratch, 0
	.set _ZN7rocprim17ROCPRIM_400000_NS6detail17trampoline_kernelINS0_14default_configENS1_22reduce_config_selectorIiEEZNS1_11reduce_implILb1ES3_PiS7_iN6thrust23THRUST_200600_302600_NS4plusIiEEEE10hipError_tPvRmT1_T2_T3_mT4_P12ihipStream_tbEUlT_E0_NS1_11comp_targetILNS1_3genE5ELNS1_11target_archE942ELNS1_3gpuE9ELNS1_3repE0EEENS1_30default_config_static_selectorELNS0_4arch9wavefront6targetE1EEEvSF_.has_dyn_sized_stack, 0
	.set _ZN7rocprim17ROCPRIM_400000_NS6detail17trampoline_kernelINS0_14default_configENS1_22reduce_config_selectorIiEEZNS1_11reduce_implILb1ES3_PiS7_iN6thrust23THRUST_200600_302600_NS4plusIiEEEE10hipError_tPvRmT1_T2_T3_mT4_P12ihipStream_tbEUlT_E0_NS1_11comp_targetILNS1_3genE5ELNS1_11target_archE942ELNS1_3gpuE9ELNS1_3repE0EEENS1_30default_config_static_selectorELNS0_4arch9wavefront6targetE1EEEvSF_.has_recursion, 0
	.set _ZN7rocprim17ROCPRIM_400000_NS6detail17trampoline_kernelINS0_14default_configENS1_22reduce_config_selectorIiEEZNS1_11reduce_implILb1ES3_PiS7_iN6thrust23THRUST_200600_302600_NS4plusIiEEEE10hipError_tPvRmT1_T2_T3_mT4_P12ihipStream_tbEUlT_E0_NS1_11comp_targetILNS1_3genE5ELNS1_11target_archE942ELNS1_3gpuE9ELNS1_3repE0EEENS1_30default_config_static_selectorELNS0_4arch9wavefront6targetE1EEEvSF_.has_indirect_call, 0
	.section	.AMDGPU.csdata,"",@progbits
; Kernel info:
; codeLenInByte = 0
; TotalNumSgprs: 6
; NumVgprs: 0
; NumAgprs: 0
; TotalNumVgprs: 0
; ScratchSize: 0
; MemoryBound: 0
; FloatMode: 240
; IeeeMode: 1
; LDSByteSize: 0 bytes/workgroup (compile time only)
; SGPRBlocks: 0
; VGPRBlocks: 0
; NumSGPRsForWavesPerEU: 6
; NumVGPRsForWavesPerEU: 1
; AccumOffset: 4
; Occupancy: 8
; WaveLimiterHint : 0
; COMPUTE_PGM_RSRC2:SCRATCH_EN: 0
; COMPUTE_PGM_RSRC2:USER_SGPR: 2
; COMPUTE_PGM_RSRC2:TRAP_HANDLER: 0
; COMPUTE_PGM_RSRC2:TGID_X_EN: 1
; COMPUTE_PGM_RSRC2:TGID_Y_EN: 0
; COMPUTE_PGM_RSRC2:TGID_Z_EN: 0
; COMPUTE_PGM_RSRC2:TIDIG_COMP_CNT: 0
; COMPUTE_PGM_RSRC3_GFX90A:ACCUM_OFFSET: 0
; COMPUTE_PGM_RSRC3_GFX90A:TG_SPLIT: 0
	.section	.text._ZN7rocprim17ROCPRIM_400000_NS6detail17trampoline_kernelINS0_14default_configENS1_22reduce_config_selectorIiEEZNS1_11reduce_implILb1ES3_PiS7_iN6thrust23THRUST_200600_302600_NS4plusIiEEEE10hipError_tPvRmT1_T2_T3_mT4_P12ihipStream_tbEUlT_E0_NS1_11comp_targetILNS1_3genE4ELNS1_11target_archE910ELNS1_3gpuE8ELNS1_3repE0EEENS1_30default_config_static_selectorELNS0_4arch9wavefront6targetE1EEEvSF_,"axG",@progbits,_ZN7rocprim17ROCPRIM_400000_NS6detail17trampoline_kernelINS0_14default_configENS1_22reduce_config_selectorIiEEZNS1_11reduce_implILb1ES3_PiS7_iN6thrust23THRUST_200600_302600_NS4plusIiEEEE10hipError_tPvRmT1_T2_T3_mT4_P12ihipStream_tbEUlT_E0_NS1_11comp_targetILNS1_3genE4ELNS1_11target_archE910ELNS1_3gpuE8ELNS1_3repE0EEENS1_30default_config_static_selectorELNS0_4arch9wavefront6targetE1EEEvSF_,comdat
	.protected	_ZN7rocprim17ROCPRIM_400000_NS6detail17trampoline_kernelINS0_14default_configENS1_22reduce_config_selectorIiEEZNS1_11reduce_implILb1ES3_PiS7_iN6thrust23THRUST_200600_302600_NS4plusIiEEEE10hipError_tPvRmT1_T2_T3_mT4_P12ihipStream_tbEUlT_E0_NS1_11comp_targetILNS1_3genE4ELNS1_11target_archE910ELNS1_3gpuE8ELNS1_3repE0EEENS1_30default_config_static_selectorELNS0_4arch9wavefront6targetE1EEEvSF_ ; -- Begin function _ZN7rocprim17ROCPRIM_400000_NS6detail17trampoline_kernelINS0_14default_configENS1_22reduce_config_selectorIiEEZNS1_11reduce_implILb1ES3_PiS7_iN6thrust23THRUST_200600_302600_NS4plusIiEEEE10hipError_tPvRmT1_T2_T3_mT4_P12ihipStream_tbEUlT_E0_NS1_11comp_targetILNS1_3genE4ELNS1_11target_archE910ELNS1_3gpuE8ELNS1_3repE0EEENS1_30default_config_static_selectorELNS0_4arch9wavefront6targetE1EEEvSF_
	.globl	_ZN7rocprim17ROCPRIM_400000_NS6detail17trampoline_kernelINS0_14default_configENS1_22reduce_config_selectorIiEEZNS1_11reduce_implILb1ES3_PiS7_iN6thrust23THRUST_200600_302600_NS4plusIiEEEE10hipError_tPvRmT1_T2_T3_mT4_P12ihipStream_tbEUlT_E0_NS1_11comp_targetILNS1_3genE4ELNS1_11target_archE910ELNS1_3gpuE8ELNS1_3repE0EEENS1_30default_config_static_selectorELNS0_4arch9wavefront6targetE1EEEvSF_
	.p2align	8
	.type	_ZN7rocprim17ROCPRIM_400000_NS6detail17trampoline_kernelINS0_14default_configENS1_22reduce_config_selectorIiEEZNS1_11reduce_implILb1ES3_PiS7_iN6thrust23THRUST_200600_302600_NS4plusIiEEEE10hipError_tPvRmT1_T2_T3_mT4_P12ihipStream_tbEUlT_E0_NS1_11comp_targetILNS1_3genE4ELNS1_11target_archE910ELNS1_3gpuE8ELNS1_3repE0EEENS1_30default_config_static_selectorELNS0_4arch9wavefront6targetE1EEEvSF_,@function
_ZN7rocprim17ROCPRIM_400000_NS6detail17trampoline_kernelINS0_14default_configENS1_22reduce_config_selectorIiEEZNS1_11reduce_implILb1ES3_PiS7_iN6thrust23THRUST_200600_302600_NS4plusIiEEEE10hipError_tPvRmT1_T2_T3_mT4_P12ihipStream_tbEUlT_E0_NS1_11comp_targetILNS1_3genE4ELNS1_11target_archE910ELNS1_3gpuE8ELNS1_3repE0EEENS1_30default_config_static_selectorELNS0_4arch9wavefront6targetE1EEEvSF_: ; @_ZN7rocprim17ROCPRIM_400000_NS6detail17trampoline_kernelINS0_14default_configENS1_22reduce_config_selectorIiEEZNS1_11reduce_implILb1ES3_PiS7_iN6thrust23THRUST_200600_302600_NS4plusIiEEEE10hipError_tPvRmT1_T2_T3_mT4_P12ihipStream_tbEUlT_E0_NS1_11comp_targetILNS1_3genE4ELNS1_11target_archE910ELNS1_3gpuE8ELNS1_3repE0EEENS1_30default_config_static_selectorELNS0_4arch9wavefront6targetE1EEEvSF_
; %bb.0:
	.section	.rodata,"a",@progbits
	.p2align	6, 0x0
	.amdhsa_kernel _ZN7rocprim17ROCPRIM_400000_NS6detail17trampoline_kernelINS0_14default_configENS1_22reduce_config_selectorIiEEZNS1_11reduce_implILb1ES3_PiS7_iN6thrust23THRUST_200600_302600_NS4plusIiEEEE10hipError_tPvRmT1_T2_T3_mT4_P12ihipStream_tbEUlT_E0_NS1_11comp_targetILNS1_3genE4ELNS1_11target_archE910ELNS1_3gpuE8ELNS1_3repE0EEENS1_30default_config_static_selectorELNS0_4arch9wavefront6targetE1EEEvSF_
		.amdhsa_group_segment_fixed_size 0
		.amdhsa_private_segment_fixed_size 0
		.amdhsa_kernarg_size 56
		.amdhsa_user_sgpr_count 2
		.amdhsa_user_sgpr_dispatch_ptr 0
		.amdhsa_user_sgpr_queue_ptr 0
		.amdhsa_user_sgpr_kernarg_segment_ptr 1
		.amdhsa_user_sgpr_dispatch_id 0
		.amdhsa_user_sgpr_kernarg_preload_length 0
		.amdhsa_user_sgpr_kernarg_preload_offset 0
		.amdhsa_user_sgpr_private_segment_size 0
		.amdhsa_uses_dynamic_stack 0
		.amdhsa_enable_private_segment 0
		.amdhsa_system_sgpr_workgroup_id_x 1
		.amdhsa_system_sgpr_workgroup_id_y 0
		.amdhsa_system_sgpr_workgroup_id_z 0
		.amdhsa_system_sgpr_workgroup_info 0
		.amdhsa_system_vgpr_workitem_id 0
		.amdhsa_next_free_vgpr 1
		.amdhsa_next_free_sgpr 0
		.amdhsa_accum_offset 4
		.amdhsa_reserve_vcc 0
		.amdhsa_float_round_mode_32 0
		.amdhsa_float_round_mode_16_64 0
		.amdhsa_float_denorm_mode_32 3
		.amdhsa_float_denorm_mode_16_64 3
		.amdhsa_dx10_clamp 1
		.amdhsa_ieee_mode 1
		.amdhsa_fp16_overflow 0
		.amdhsa_tg_split 0
		.amdhsa_exception_fp_ieee_invalid_op 0
		.amdhsa_exception_fp_denorm_src 0
		.amdhsa_exception_fp_ieee_div_zero 0
		.amdhsa_exception_fp_ieee_overflow 0
		.amdhsa_exception_fp_ieee_underflow 0
		.amdhsa_exception_fp_ieee_inexact 0
		.amdhsa_exception_int_div_zero 0
	.end_amdhsa_kernel
	.section	.text._ZN7rocprim17ROCPRIM_400000_NS6detail17trampoline_kernelINS0_14default_configENS1_22reduce_config_selectorIiEEZNS1_11reduce_implILb1ES3_PiS7_iN6thrust23THRUST_200600_302600_NS4plusIiEEEE10hipError_tPvRmT1_T2_T3_mT4_P12ihipStream_tbEUlT_E0_NS1_11comp_targetILNS1_3genE4ELNS1_11target_archE910ELNS1_3gpuE8ELNS1_3repE0EEENS1_30default_config_static_selectorELNS0_4arch9wavefront6targetE1EEEvSF_,"axG",@progbits,_ZN7rocprim17ROCPRIM_400000_NS6detail17trampoline_kernelINS0_14default_configENS1_22reduce_config_selectorIiEEZNS1_11reduce_implILb1ES3_PiS7_iN6thrust23THRUST_200600_302600_NS4plusIiEEEE10hipError_tPvRmT1_T2_T3_mT4_P12ihipStream_tbEUlT_E0_NS1_11comp_targetILNS1_3genE4ELNS1_11target_archE910ELNS1_3gpuE8ELNS1_3repE0EEENS1_30default_config_static_selectorELNS0_4arch9wavefront6targetE1EEEvSF_,comdat
.Lfunc_end226:
	.size	_ZN7rocprim17ROCPRIM_400000_NS6detail17trampoline_kernelINS0_14default_configENS1_22reduce_config_selectorIiEEZNS1_11reduce_implILb1ES3_PiS7_iN6thrust23THRUST_200600_302600_NS4plusIiEEEE10hipError_tPvRmT1_T2_T3_mT4_P12ihipStream_tbEUlT_E0_NS1_11comp_targetILNS1_3genE4ELNS1_11target_archE910ELNS1_3gpuE8ELNS1_3repE0EEENS1_30default_config_static_selectorELNS0_4arch9wavefront6targetE1EEEvSF_, .Lfunc_end226-_ZN7rocprim17ROCPRIM_400000_NS6detail17trampoline_kernelINS0_14default_configENS1_22reduce_config_selectorIiEEZNS1_11reduce_implILb1ES3_PiS7_iN6thrust23THRUST_200600_302600_NS4plusIiEEEE10hipError_tPvRmT1_T2_T3_mT4_P12ihipStream_tbEUlT_E0_NS1_11comp_targetILNS1_3genE4ELNS1_11target_archE910ELNS1_3gpuE8ELNS1_3repE0EEENS1_30default_config_static_selectorELNS0_4arch9wavefront6targetE1EEEvSF_
                                        ; -- End function
	.set _ZN7rocprim17ROCPRIM_400000_NS6detail17trampoline_kernelINS0_14default_configENS1_22reduce_config_selectorIiEEZNS1_11reduce_implILb1ES3_PiS7_iN6thrust23THRUST_200600_302600_NS4plusIiEEEE10hipError_tPvRmT1_T2_T3_mT4_P12ihipStream_tbEUlT_E0_NS1_11comp_targetILNS1_3genE4ELNS1_11target_archE910ELNS1_3gpuE8ELNS1_3repE0EEENS1_30default_config_static_selectorELNS0_4arch9wavefront6targetE1EEEvSF_.num_vgpr, 0
	.set _ZN7rocprim17ROCPRIM_400000_NS6detail17trampoline_kernelINS0_14default_configENS1_22reduce_config_selectorIiEEZNS1_11reduce_implILb1ES3_PiS7_iN6thrust23THRUST_200600_302600_NS4plusIiEEEE10hipError_tPvRmT1_T2_T3_mT4_P12ihipStream_tbEUlT_E0_NS1_11comp_targetILNS1_3genE4ELNS1_11target_archE910ELNS1_3gpuE8ELNS1_3repE0EEENS1_30default_config_static_selectorELNS0_4arch9wavefront6targetE1EEEvSF_.num_agpr, 0
	.set _ZN7rocprim17ROCPRIM_400000_NS6detail17trampoline_kernelINS0_14default_configENS1_22reduce_config_selectorIiEEZNS1_11reduce_implILb1ES3_PiS7_iN6thrust23THRUST_200600_302600_NS4plusIiEEEE10hipError_tPvRmT1_T2_T3_mT4_P12ihipStream_tbEUlT_E0_NS1_11comp_targetILNS1_3genE4ELNS1_11target_archE910ELNS1_3gpuE8ELNS1_3repE0EEENS1_30default_config_static_selectorELNS0_4arch9wavefront6targetE1EEEvSF_.numbered_sgpr, 0
	.set _ZN7rocprim17ROCPRIM_400000_NS6detail17trampoline_kernelINS0_14default_configENS1_22reduce_config_selectorIiEEZNS1_11reduce_implILb1ES3_PiS7_iN6thrust23THRUST_200600_302600_NS4plusIiEEEE10hipError_tPvRmT1_T2_T3_mT4_P12ihipStream_tbEUlT_E0_NS1_11comp_targetILNS1_3genE4ELNS1_11target_archE910ELNS1_3gpuE8ELNS1_3repE0EEENS1_30default_config_static_selectorELNS0_4arch9wavefront6targetE1EEEvSF_.num_named_barrier, 0
	.set _ZN7rocprim17ROCPRIM_400000_NS6detail17trampoline_kernelINS0_14default_configENS1_22reduce_config_selectorIiEEZNS1_11reduce_implILb1ES3_PiS7_iN6thrust23THRUST_200600_302600_NS4plusIiEEEE10hipError_tPvRmT1_T2_T3_mT4_P12ihipStream_tbEUlT_E0_NS1_11comp_targetILNS1_3genE4ELNS1_11target_archE910ELNS1_3gpuE8ELNS1_3repE0EEENS1_30default_config_static_selectorELNS0_4arch9wavefront6targetE1EEEvSF_.private_seg_size, 0
	.set _ZN7rocprim17ROCPRIM_400000_NS6detail17trampoline_kernelINS0_14default_configENS1_22reduce_config_selectorIiEEZNS1_11reduce_implILb1ES3_PiS7_iN6thrust23THRUST_200600_302600_NS4plusIiEEEE10hipError_tPvRmT1_T2_T3_mT4_P12ihipStream_tbEUlT_E0_NS1_11comp_targetILNS1_3genE4ELNS1_11target_archE910ELNS1_3gpuE8ELNS1_3repE0EEENS1_30default_config_static_selectorELNS0_4arch9wavefront6targetE1EEEvSF_.uses_vcc, 0
	.set _ZN7rocprim17ROCPRIM_400000_NS6detail17trampoline_kernelINS0_14default_configENS1_22reduce_config_selectorIiEEZNS1_11reduce_implILb1ES3_PiS7_iN6thrust23THRUST_200600_302600_NS4plusIiEEEE10hipError_tPvRmT1_T2_T3_mT4_P12ihipStream_tbEUlT_E0_NS1_11comp_targetILNS1_3genE4ELNS1_11target_archE910ELNS1_3gpuE8ELNS1_3repE0EEENS1_30default_config_static_selectorELNS0_4arch9wavefront6targetE1EEEvSF_.uses_flat_scratch, 0
	.set _ZN7rocprim17ROCPRIM_400000_NS6detail17trampoline_kernelINS0_14default_configENS1_22reduce_config_selectorIiEEZNS1_11reduce_implILb1ES3_PiS7_iN6thrust23THRUST_200600_302600_NS4plusIiEEEE10hipError_tPvRmT1_T2_T3_mT4_P12ihipStream_tbEUlT_E0_NS1_11comp_targetILNS1_3genE4ELNS1_11target_archE910ELNS1_3gpuE8ELNS1_3repE0EEENS1_30default_config_static_selectorELNS0_4arch9wavefront6targetE1EEEvSF_.has_dyn_sized_stack, 0
	.set _ZN7rocprim17ROCPRIM_400000_NS6detail17trampoline_kernelINS0_14default_configENS1_22reduce_config_selectorIiEEZNS1_11reduce_implILb1ES3_PiS7_iN6thrust23THRUST_200600_302600_NS4plusIiEEEE10hipError_tPvRmT1_T2_T3_mT4_P12ihipStream_tbEUlT_E0_NS1_11comp_targetILNS1_3genE4ELNS1_11target_archE910ELNS1_3gpuE8ELNS1_3repE0EEENS1_30default_config_static_selectorELNS0_4arch9wavefront6targetE1EEEvSF_.has_recursion, 0
	.set _ZN7rocprim17ROCPRIM_400000_NS6detail17trampoline_kernelINS0_14default_configENS1_22reduce_config_selectorIiEEZNS1_11reduce_implILb1ES3_PiS7_iN6thrust23THRUST_200600_302600_NS4plusIiEEEE10hipError_tPvRmT1_T2_T3_mT4_P12ihipStream_tbEUlT_E0_NS1_11comp_targetILNS1_3genE4ELNS1_11target_archE910ELNS1_3gpuE8ELNS1_3repE0EEENS1_30default_config_static_selectorELNS0_4arch9wavefront6targetE1EEEvSF_.has_indirect_call, 0
	.section	.AMDGPU.csdata,"",@progbits
; Kernel info:
; codeLenInByte = 0
; TotalNumSgprs: 6
; NumVgprs: 0
; NumAgprs: 0
; TotalNumVgprs: 0
; ScratchSize: 0
; MemoryBound: 0
; FloatMode: 240
; IeeeMode: 1
; LDSByteSize: 0 bytes/workgroup (compile time only)
; SGPRBlocks: 0
; VGPRBlocks: 0
; NumSGPRsForWavesPerEU: 6
; NumVGPRsForWavesPerEU: 1
; AccumOffset: 4
; Occupancy: 8
; WaveLimiterHint : 0
; COMPUTE_PGM_RSRC2:SCRATCH_EN: 0
; COMPUTE_PGM_RSRC2:USER_SGPR: 2
; COMPUTE_PGM_RSRC2:TRAP_HANDLER: 0
; COMPUTE_PGM_RSRC2:TGID_X_EN: 1
; COMPUTE_PGM_RSRC2:TGID_Y_EN: 0
; COMPUTE_PGM_RSRC2:TGID_Z_EN: 0
; COMPUTE_PGM_RSRC2:TIDIG_COMP_CNT: 0
; COMPUTE_PGM_RSRC3_GFX90A:ACCUM_OFFSET: 0
; COMPUTE_PGM_RSRC3_GFX90A:TG_SPLIT: 0
	.section	.text._ZN7rocprim17ROCPRIM_400000_NS6detail17trampoline_kernelINS0_14default_configENS1_22reduce_config_selectorIiEEZNS1_11reduce_implILb1ES3_PiS7_iN6thrust23THRUST_200600_302600_NS4plusIiEEEE10hipError_tPvRmT1_T2_T3_mT4_P12ihipStream_tbEUlT_E0_NS1_11comp_targetILNS1_3genE3ELNS1_11target_archE908ELNS1_3gpuE7ELNS1_3repE0EEENS1_30default_config_static_selectorELNS0_4arch9wavefront6targetE1EEEvSF_,"axG",@progbits,_ZN7rocprim17ROCPRIM_400000_NS6detail17trampoline_kernelINS0_14default_configENS1_22reduce_config_selectorIiEEZNS1_11reduce_implILb1ES3_PiS7_iN6thrust23THRUST_200600_302600_NS4plusIiEEEE10hipError_tPvRmT1_T2_T3_mT4_P12ihipStream_tbEUlT_E0_NS1_11comp_targetILNS1_3genE3ELNS1_11target_archE908ELNS1_3gpuE7ELNS1_3repE0EEENS1_30default_config_static_selectorELNS0_4arch9wavefront6targetE1EEEvSF_,comdat
	.protected	_ZN7rocprim17ROCPRIM_400000_NS6detail17trampoline_kernelINS0_14default_configENS1_22reduce_config_selectorIiEEZNS1_11reduce_implILb1ES3_PiS7_iN6thrust23THRUST_200600_302600_NS4plusIiEEEE10hipError_tPvRmT1_T2_T3_mT4_P12ihipStream_tbEUlT_E0_NS1_11comp_targetILNS1_3genE3ELNS1_11target_archE908ELNS1_3gpuE7ELNS1_3repE0EEENS1_30default_config_static_selectorELNS0_4arch9wavefront6targetE1EEEvSF_ ; -- Begin function _ZN7rocprim17ROCPRIM_400000_NS6detail17trampoline_kernelINS0_14default_configENS1_22reduce_config_selectorIiEEZNS1_11reduce_implILb1ES3_PiS7_iN6thrust23THRUST_200600_302600_NS4plusIiEEEE10hipError_tPvRmT1_T2_T3_mT4_P12ihipStream_tbEUlT_E0_NS1_11comp_targetILNS1_3genE3ELNS1_11target_archE908ELNS1_3gpuE7ELNS1_3repE0EEENS1_30default_config_static_selectorELNS0_4arch9wavefront6targetE1EEEvSF_
	.globl	_ZN7rocprim17ROCPRIM_400000_NS6detail17trampoline_kernelINS0_14default_configENS1_22reduce_config_selectorIiEEZNS1_11reduce_implILb1ES3_PiS7_iN6thrust23THRUST_200600_302600_NS4plusIiEEEE10hipError_tPvRmT1_T2_T3_mT4_P12ihipStream_tbEUlT_E0_NS1_11comp_targetILNS1_3genE3ELNS1_11target_archE908ELNS1_3gpuE7ELNS1_3repE0EEENS1_30default_config_static_selectorELNS0_4arch9wavefront6targetE1EEEvSF_
	.p2align	8
	.type	_ZN7rocprim17ROCPRIM_400000_NS6detail17trampoline_kernelINS0_14default_configENS1_22reduce_config_selectorIiEEZNS1_11reduce_implILb1ES3_PiS7_iN6thrust23THRUST_200600_302600_NS4plusIiEEEE10hipError_tPvRmT1_T2_T3_mT4_P12ihipStream_tbEUlT_E0_NS1_11comp_targetILNS1_3genE3ELNS1_11target_archE908ELNS1_3gpuE7ELNS1_3repE0EEENS1_30default_config_static_selectorELNS0_4arch9wavefront6targetE1EEEvSF_,@function
_ZN7rocprim17ROCPRIM_400000_NS6detail17trampoline_kernelINS0_14default_configENS1_22reduce_config_selectorIiEEZNS1_11reduce_implILb1ES3_PiS7_iN6thrust23THRUST_200600_302600_NS4plusIiEEEE10hipError_tPvRmT1_T2_T3_mT4_P12ihipStream_tbEUlT_E0_NS1_11comp_targetILNS1_3genE3ELNS1_11target_archE908ELNS1_3gpuE7ELNS1_3repE0EEENS1_30default_config_static_selectorELNS0_4arch9wavefront6targetE1EEEvSF_: ; @_ZN7rocprim17ROCPRIM_400000_NS6detail17trampoline_kernelINS0_14default_configENS1_22reduce_config_selectorIiEEZNS1_11reduce_implILb1ES3_PiS7_iN6thrust23THRUST_200600_302600_NS4plusIiEEEE10hipError_tPvRmT1_T2_T3_mT4_P12ihipStream_tbEUlT_E0_NS1_11comp_targetILNS1_3genE3ELNS1_11target_archE908ELNS1_3gpuE7ELNS1_3repE0EEENS1_30default_config_static_selectorELNS0_4arch9wavefront6targetE1EEEvSF_
; %bb.0:
	.section	.rodata,"a",@progbits
	.p2align	6, 0x0
	.amdhsa_kernel _ZN7rocprim17ROCPRIM_400000_NS6detail17trampoline_kernelINS0_14default_configENS1_22reduce_config_selectorIiEEZNS1_11reduce_implILb1ES3_PiS7_iN6thrust23THRUST_200600_302600_NS4plusIiEEEE10hipError_tPvRmT1_T2_T3_mT4_P12ihipStream_tbEUlT_E0_NS1_11comp_targetILNS1_3genE3ELNS1_11target_archE908ELNS1_3gpuE7ELNS1_3repE0EEENS1_30default_config_static_selectorELNS0_4arch9wavefront6targetE1EEEvSF_
		.amdhsa_group_segment_fixed_size 0
		.amdhsa_private_segment_fixed_size 0
		.amdhsa_kernarg_size 56
		.amdhsa_user_sgpr_count 2
		.amdhsa_user_sgpr_dispatch_ptr 0
		.amdhsa_user_sgpr_queue_ptr 0
		.amdhsa_user_sgpr_kernarg_segment_ptr 1
		.amdhsa_user_sgpr_dispatch_id 0
		.amdhsa_user_sgpr_kernarg_preload_length 0
		.amdhsa_user_sgpr_kernarg_preload_offset 0
		.amdhsa_user_sgpr_private_segment_size 0
		.amdhsa_uses_dynamic_stack 0
		.amdhsa_enable_private_segment 0
		.amdhsa_system_sgpr_workgroup_id_x 1
		.amdhsa_system_sgpr_workgroup_id_y 0
		.amdhsa_system_sgpr_workgroup_id_z 0
		.amdhsa_system_sgpr_workgroup_info 0
		.amdhsa_system_vgpr_workitem_id 0
		.amdhsa_next_free_vgpr 1
		.amdhsa_next_free_sgpr 0
		.amdhsa_accum_offset 4
		.amdhsa_reserve_vcc 0
		.amdhsa_float_round_mode_32 0
		.amdhsa_float_round_mode_16_64 0
		.amdhsa_float_denorm_mode_32 3
		.amdhsa_float_denorm_mode_16_64 3
		.amdhsa_dx10_clamp 1
		.amdhsa_ieee_mode 1
		.amdhsa_fp16_overflow 0
		.amdhsa_tg_split 0
		.amdhsa_exception_fp_ieee_invalid_op 0
		.amdhsa_exception_fp_denorm_src 0
		.amdhsa_exception_fp_ieee_div_zero 0
		.amdhsa_exception_fp_ieee_overflow 0
		.amdhsa_exception_fp_ieee_underflow 0
		.amdhsa_exception_fp_ieee_inexact 0
		.amdhsa_exception_int_div_zero 0
	.end_amdhsa_kernel
	.section	.text._ZN7rocprim17ROCPRIM_400000_NS6detail17trampoline_kernelINS0_14default_configENS1_22reduce_config_selectorIiEEZNS1_11reduce_implILb1ES3_PiS7_iN6thrust23THRUST_200600_302600_NS4plusIiEEEE10hipError_tPvRmT1_T2_T3_mT4_P12ihipStream_tbEUlT_E0_NS1_11comp_targetILNS1_3genE3ELNS1_11target_archE908ELNS1_3gpuE7ELNS1_3repE0EEENS1_30default_config_static_selectorELNS0_4arch9wavefront6targetE1EEEvSF_,"axG",@progbits,_ZN7rocprim17ROCPRIM_400000_NS6detail17trampoline_kernelINS0_14default_configENS1_22reduce_config_selectorIiEEZNS1_11reduce_implILb1ES3_PiS7_iN6thrust23THRUST_200600_302600_NS4plusIiEEEE10hipError_tPvRmT1_T2_T3_mT4_P12ihipStream_tbEUlT_E0_NS1_11comp_targetILNS1_3genE3ELNS1_11target_archE908ELNS1_3gpuE7ELNS1_3repE0EEENS1_30default_config_static_selectorELNS0_4arch9wavefront6targetE1EEEvSF_,comdat
.Lfunc_end227:
	.size	_ZN7rocprim17ROCPRIM_400000_NS6detail17trampoline_kernelINS0_14default_configENS1_22reduce_config_selectorIiEEZNS1_11reduce_implILb1ES3_PiS7_iN6thrust23THRUST_200600_302600_NS4plusIiEEEE10hipError_tPvRmT1_T2_T3_mT4_P12ihipStream_tbEUlT_E0_NS1_11comp_targetILNS1_3genE3ELNS1_11target_archE908ELNS1_3gpuE7ELNS1_3repE0EEENS1_30default_config_static_selectorELNS0_4arch9wavefront6targetE1EEEvSF_, .Lfunc_end227-_ZN7rocprim17ROCPRIM_400000_NS6detail17trampoline_kernelINS0_14default_configENS1_22reduce_config_selectorIiEEZNS1_11reduce_implILb1ES3_PiS7_iN6thrust23THRUST_200600_302600_NS4plusIiEEEE10hipError_tPvRmT1_T2_T3_mT4_P12ihipStream_tbEUlT_E0_NS1_11comp_targetILNS1_3genE3ELNS1_11target_archE908ELNS1_3gpuE7ELNS1_3repE0EEENS1_30default_config_static_selectorELNS0_4arch9wavefront6targetE1EEEvSF_
                                        ; -- End function
	.set _ZN7rocprim17ROCPRIM_400000_NS6detail17trampoline_kernelINS0_14default_configENS1_22reduce_config_selectorIiEEZNS1_11reduce_implILb1ES3_PiS7_iN6thrust23THRUST_200600_302600_NS4plusIiEEEE10hipError_tPvRmT1_T2_T3_mT4_P12ihipStream_tbEUlT_E0_NS1_11comp_targetILNS1_3genE3ELNS1_11target_archE908ELNS1_3gpuE7ELNS1_3repE0EEENS1_30default_config_static_selectorELNS0_4arch9wavefront6targetE1EEEvSF_.num_vgpr, 0
	.set _ZN7rocprim17ROCPRIM_400000_NS6detail17trampoline_kernelINS0_14default_configENS1_22reduce_config_selectorIiEEZNS1_11reduce_implILb1ES3_PiS7_iN6thrust23THRUST_200600_302600_NS4plusIiEEEE10hipError_tPvRmT1_T2_T3_mT4_P12ihipStream_tbEUlT_E0_NS1_11comp_targetILNS1_3genE3ELNS1_11target_archE908ELNS1_3gpuE7ELNS1_3repE0EEENS1_30default_config_static_selectorELNS0_4arch9wavefront6targetE1EEEvSF_.num_agpr, 0
	.set _ZN7rocprim17ROCPRIM_400000_NS6detail17trampoline_kernelINS0_14default_configENS1_22reduce_config_selectorIiEEZNS1_11reduce_implILb1ES3_PiS7_iN6thrust23THRUST_200600_302600_NS4plusIiEEEE10hipError_tPvRmT1_T2_T3_mT4_P12ihipStream_tbEUlT_E0_NS1_11comp_targetILNS1_3genE3ELNS1_11target_archE908ELNS1_3gpuE7ELNS1_3repE0EEENS1_30default_config_static_selectorELNS0_4arch9wavefront6targetE1EEEvSF_.numbered_sgpr, 0
	.set _ZN7rocprim17ROCPRIM_400000_NS6detail17trampoline_kernelINS0_14default_configENS1_22reduce_config_selectorIiEEZNS1_11reduce_implILb1ES3_PiS7_iN6thrust23THRUST_200600_302600_NS4plusIiEEEE10hipError_tPvRmT1_T2_T3_mT4_P12ihipStream_tbEUlT_E0_NS1_11comp_targetILNS1_3genE3ELNS1_11target_archE908ELNS1_3gpuE7ELNS1_3repE0EEENS1_30default_config_static_selectorELNS0_4arch9wavefront6targetE1EEEvSF_.num_named_barrier, 0
	.set _ZN7rocprim17ROCPRIM_400000_NS6detail17trampoline_kernelINS0_14default_configENS1_22reduce_config_selectorIiEEZNS1_11reduce_implILb1ES3_PiS7_iN6thrust23THRUST_200600_302600_NS4plusIiEEEE10hipError_tPvRmT1_T2_T3_mT4_P12ihipStream_tbEUlT_E0_NS1_11comp_targetILNS1_3genE3ELNS1_11target_archE908ELNS1_3gpuE7ELNS1_3repE0EEENS1_30default_config_static_selectorELNS0_4arch9wavefront6targetE1EEEvSF_.private_seg_size, 0
	.set _ZN7rocprim17ROCPRIM_400000_NS6detail17trampoline_kernelINS0_14default_configENS1_22reduce_config_selectorIiEEZNS1_11reduce_implILb1ES3_PiS7_iN6thrust23THRUST_200600_302600_NS4plusIiEEEE10hipError_tPvRmT1_T2_T3_mT4_P12ihipStream_tbEUlT_E0_NS1_11comp_targetILNS1_3genE3ELNS1_11target_archE908ELNS1_3gpuE7ELNS1_3repE0EEENS1_30default_config_static_selectorELNS0_4arch9wavefront6targetE1EEEvSF_.uses_vcc, 0
	.set _ZN7rocprim17ROCPRIM_400000_NS6detail17trampoline_kernelINS0_14default_configENS1_22reduce_config_selectorIiEEZNS1_11reduce_implILb1ES3_PiS7_iN6thrust23THRUST_200600_302600_NS4plusIiEEEE10hipError_tPvRmT1_T2_T3_mT4_P12ihipStream_tbEUlT_E0_NS1_11comp_targetILNS1_3genE3ELNS1_11target_archE908ELNS1_3gpuE7ELNS1_3repE0EEENS1_30default_config_static_selectorELNS0_4arch9wavefront6targetE1EEEvSF_.uses_flat_scratch, 0
	.set _ZN7rocprim17ROCPRIM_400000_NS6detail17trampoline_kernelINS0_14default_configENS1_22reduce_config_selectorIiEEZNS1_11reduce_implILb1ES3_PiS7_iN6thrust23THRUST_200600_302600_NS4plusIiEEEE10hipError_tPvRmT1_T2_T3_mT4_P12ihipStream_tbEUlT_E0_NS1_11comp_targetILNS1_3genE3ELNS1_11target_archE908ELNS1_3gpuE7ELNS1_3repE0EEENS1_30default_config_static_selectorELNS0_4arch9wavefront6targetE1EEEvSF_.has_dyn_sized_stack, 0
	.set _ZN7rocprim17ROCPRIM_400000_NS6detail17trampoline_kernelINS0_14default_configENS1_22reduce_config_selectorIiEEZNS1_11reduce_implILb1ES3_PiS7_iN6thrust23THRUST_200600_302600_NS4plusIiEEEE10hipError_tPvRmT1_T2_T3_mT4_P12ihipStream_tbEUlT_E0_NS1_11comp_targetILNS1_3genE3ELNS1_11target_archE908ELNS1_3gpuE7ELNS1_3repE0EEENS1_30default_config_static_selectorELNS0_4arch9wavefront6targetE1EEEvSF_.has_recursion, 0
	.set _ZN7rocprim17ROCPRIM_400000_NS6detail17trampoline_kernelINS0_14default_configENS1_22reduce_config_selectorIiEEZNS1_11reduce_implILb1ES3_PiS7_iN6thrust23THRUST_200600_302600_NS4plusIiEEEE10hipError_tPvRmT1_T2_T3_mT4_P12ihipStream_tbEUlT_E0_NS1_11comp_targetILNS1_3genE3ELNS1_11target_archE908ELNS1_3gpuE7ELNS1_3repE0EEENS1_30default_config_static_selectorELNS0_4arch9wavefront6targetE1EEEvSF_.has_indirect_call, 0
	.section	.AMDGPU.csdata,"",@progbits
; Kernel info:
; codeLenInByte = 0
; TotalNumSgprs: 6
; NumVgprs: 0
; NumAgprs: 0
; TotalNumVgprs: 0
; ScratchSize: 0
; MemoryBound: 0
; FloatMode: 240
; IeeeMode: 1
; LDSByteSize: 0 bytes/workgroup (compile time only)
; SGPRBlocks: 0
; VGPRBlocks: 0
; NumSGPRsForWavesPerEU: 6
; NumVGPRsForWavesPerEU: 1
; AccumOffset: 4
; Occupancy: 8
; WaveLimiterHint : 0
; COMPUTE_PGM_RSRC2:SCRATCH_EN: 0
; COMPUTE_PGM_RSRC2:USER_SGPR: 2
; COMPUTE_PGM_RSRC2:TRAP_HANDLER: 0
; COMPUTE_PGM_RSRC2:TGID_X_EN: 1
; COMPUTE_PGM_RSRC2:TGID_Y_EN: 0
; COMPUTE_PGM_RSRC2:TGID_Z_EN: 0
; COMPUTE_PGM_RSRC2:TIDIG_COMP_CNT: 0
; COMPUTE_PGM_RSRC3_GFX90A:ACCUM_OFFSET: 0
; COMPUTE_PGM_RSRC3_GFX90A:TG_SPLIT: 0
	.section	.text._ZN7rocprim17ROCPRIM_400000_NS6detail17trampoline_kernelINS0_14default_configENS1_22reduce_config_selectorIiEEZNS1_11reduce_implILb1ES3_PiS7_iN6thrust23THRUST_200600_302600_NS4plusIiEEEE10hipError_tPvRmT1_T2_T3_mT4_P12ihipStream_tbEUlT_E0_NS1_11comp_targetILNS1_3genE2ELNS1_11target_archE906ELNS1_3gpuE6ELNS1_3repE0EEENS1_30default_config_static_selectorELNS0_4arch9wavefront6targetE1EEEvSF_,"axG",@progbits,_ZN7rocprim17ROCPRIM_400000_NS6detail17trampoline_kernelINS0_14default_configENS1_22reduce_config_selectorIiEEZNS1_11reduce_implILb1ES3_PiS7_iN6thrust23THRUST_200600_302600_NS4plusIiEEEE10hipError_tPvRmT1_T2_T3_mT4_P12ihipStream_tbEUlT_E0_NS1_11comp_targetILNS1_3genE2ELNS1_11target_archE906ELNS1_3gpuE6ELNS1_3repE0EEENS1_30default_config_static_selectorELNS0_4arch9wavefront6targetE1EEEvSF_,comdat
	.protected	_ZN7rocprim17ROCPRIM_400000_NS6detail17trampoline_kernelINS0_14default_configENS1_22reduce_config_selectorIiEEZNS1_11reduce_implILb1ES3_PiS7_iN6thrust23THRUST_200600_302600_NS4plusIiEEEE10hipError_tPvRmT1_T2_T3_mT4_P12ihipStream_tbEUlT_E0_NS1_11comp_targetILNS1_3genE2ELNS1_11target_archE906ELNS1_3gpuE6ELNS1_3repE0EEENS1_30default_config_static_selectorELNS0_4arch9wavefront6targetE1EEEvSF_ ; -- Begin function _ZN7rocprim17ROCPRIM_400000_NS6detail17trampoline_kernelINS0_14default_configENS1_22reduce_config_selectorIiEEZNS1_11reduce_implILb1ES3_PiS7_iN6thrust23THRUST_200600_302600_NS4plusIiEEEE10hipError_tPvRmT1_T2_T3_mT4_P12ihipStream_tbEUlT_E0_NS1_11comp_targetILNS1_3genE2ELNS1_11target_archE906ELNS1_3gpuE6ELNS1_3repE0EEENS1_30default_config_static_selectorELNS0_4arch9wavefront6targetE1EEEvSF_
	.globl	_ZN7rocprim17ROCPRIM_400000_NS6detail17trampoline_kernelINS0_14default_configENS1_22reduce_config_selectorIiEEZNS1_11reduce_implILb1ES3_PiS7_iN6thrust23THRUST_200600_302600_NS4plusIiEEEE10hipError_tPvRmT1_T2_T3_mT4_P12ihipStream_tbEUlT_E0_NS1_11comp_targetILNS1_3genE2ELNS1_11target_archE906ELNS1_3gpuE6ELNS1_3repE0EEENS1_30default_config_static_selectorELNS0_4arch9wavefront6targetE1EEEvSF_
	.p2align	8
	.type	_ZN7rocprim17ROCPRIM_400000_NS6detail17trampoline_kernelINS0_14default_configENS1_22reduce_config_selectorIiEEZNS1_11reduce_implILb1ES3_PiS7_iN6thrust23THRUST_200600_302600_NS4plusIiEEEE10hipError_tPvRmT1_T2_T3_mT4_P12ihipStream_tbEUlT_E0_NS1_11comp_targetILNS1_3genE2ELNS1_11target_archE906ELNS1_3gpuE6ELNS1_3repE0EEENS1_30default_config_static_selectorELNS0_4arch9wavefront6targetE1EEEvSF_,@function
_ZN7rocprim17ROCPRIM_400000_NS6detail17trampoline_kernelINS0_14default_configENS1_22reduce_config_selectorIiEEZNS1_11reduce_implILb1ES3_PiS7_iN6thrust23THRUST_200600_302600_NS4plusIiEEEE10hipError_tPvRmT1_T2_T3_mT4_P12ihipStream_tbEUlT_E0_NS1_11comp_targetILNS1_3genE2ELNS1_11target_archE906ELNS1_3gpuE6ELNS1_3repE0EEENS1_30default_config_static_selectorELNS0_4arch9wavefront6targetE1EEEvSF_: ; @_ZN7rocprim17ROCPRIM_400000_NS6detail17trampoline_kernelINS0_14default_configENS1_22reduce_config_selectorIiEEZNS1_11reduce_implILb1ES3_PiS7_iN6thrust23THRUST_200600_302600_NS4plusIiEEEE10hipError_tPvRmT1_T2_T3_mT4_P12ihipStream_tbEUlT_E0_NS1_11comp_targetILNS1_3genE2ELNS1_11target_archE906ELNS1_3gpuE6ELNS1_3repE0EEENS1_30default_config_static_selectorELNS0_4arch9wavefront6targetE1EEEvSF_
; %bb.0:
	.section	.rodata,"a",@progbits
	.p2align	6, 0x0
	.amdhsa_kernel _ZN7rocprim17ROCPRIM_400000_NS6detail17trampoline_kernelINS0_14default_configENS1_22reduce_config_selectorIiEEZNS1_11reduce_implILb1ES3_PiS7_iN6thrust23THRUST_200600_302600_NS4plusIiEEEE10hipError_tPvRmT1_T2_T3_mT4_P12ihipStream_tbEUlT_E0_NS1_11comp_targetILNS1_3genE2ELNS1_11target_archE906ELNS1_3gpuE6ELNS1_3repE0EEENS1_30default_config_static_selectorELNS0_4arch9wavefront6targetE1EEEvSF_
		.amdhsa_group_segment_fixed_size 0
		.amdhsa_private_segment_fixed_size 0
		.amdhsa_kernarg_size 56
		.amdhsa_user_sgpr_count 2
		.amdhsa_user_sgpr_dispatch_ptr 0
		.amdhsa_user_sgpr_queue_ptr 0
		.amdhsa_user_sgpr_kernarg_segment_ptr 1
		.amdhsa_user_sgpr_dispatch_id 0
		.amdhsa_user_sgpr_kernarg_preload_length 0
		.amdhsa_user_sgpr_kernarg_preload_offset 0
		.amdhsa_user_sgpr_private_segment_size 0
		.amdhsa_uses_dynamic_stack 0
		.amdhsa_enable_private_segment 0
		.amdhsa_system_sgpr_workgroup_id_x 1
		.amdhsa_system_sgpr_workgroup_id_y 0
		.amdhsa_system_sgpr_workgroup_id_z 0
		.amdhsa_system_sgpr_workgroup_info 0
		.amdhsa_system_vgpr_workitem_id 0
		.amdhsa_next_free_vgpr 1
		.amdhsa_next_free_sgpr 0
		.amdhsa_accum_offset 4
		.amdhsa_reserve_vcc 0
		.amdhsa_float_round_mode_32 0
		.amdhsa_float_round_mode_16_64 0
		.amdhsa_float_denorm_mode_32 3
		.amdhsa_float_denorm_mode_16_64 3
		.amdhsa_dx10_clamp 1
		.amdhsa_ieee_mode 1
		.amdhsa_fp16_overflow 0
		.amdhsa_tg_split 0
		.amdhsa_exception_fp_ieee_invalid_op 0
		.amdhsa_exception_fp_denorm_src 0
		.amdhsa_exception_fp_ieee_div_zero 0
		.amdhsa_exception_fp_ieee_overflow 0
		.amdhsa_exception_fp_ieee_underflow 0
		.amdhsa_exception_fp_ieee_inexact 0
		.amdhsa_exception_int_div_zero 0
	.end_amdhsa_kernel
	.section	.text._ZN7rocprim17ROCPRIM_400000_NS6detail17trampoline_kernelINS0_14default_configENS1_22reduce_config_selectorIiEEZNS1_11reduce_implILb1ES3_PiS7_iN6thrust23THRUST_200600_302600_NS4plusIiEEEE10hipError_tPvRmT1_T2_T3_mT4_P12ihipStream_tbEUlT_E0_NS1_11comp_targetILNS1_3genE2ELNS1_11target_archE906ELNS1_3gpuE6ELNS1_3repE0EEENS1_30default_config_static_selectorELNS0_4arch9wavefront6targetE1EEEvSF_,"axG",@progbits,_ZN7rocprim17ROCPRIM_400000_NS6detail17trampoline_kernelINS0_14default_configENS1_22reduce_config_selectorIiEEZNS1_11reduce_implILb1ES3_PiS7_iN6thrust23THRUST_200600_302600_NS4plusIiEEEE10hipError_tPvRmT1_T2_T3_mT4_P12ihipStream_tbEUlT_E0_NS1_11comp_targetILNS1_3genE2ELNS1_11target_archE906ELNS1_3gpuE6ELNS1_3repE0EEENS1_30default_config_static_selectorELNS0_4arch9wavefront6targetE1EEEvSF_,comdat
.Lfunc_end228:
	.size	_ZN7rocprim17ROCPRIM_400000_NS6detail17trampoline_kernelINS0_14default_configENS1_22reduce_config_selectorIiEEZNS1_11reduce_implILb1ES3_PiS7_iN6thrust23THRUST_200600_302600_NS4plusIiEEEE10hipError_tPvRmT1_T2_T3_mT4_P12ihipStream_tbEUlT_E0_NS1_11comp_targetILNS1_3genE2ELNS1_11target_archE906ELNS1_3gpuE6ELNS1_3repE0EEENS1_30default_config_static_selectorELNS0_4arch9wavefront6targetE1EEEvSF_, .Lfunc_end228-_ZN7rocprim17ROCPRIM_400000_NS6detail17trampoline_kernelINS0_14default_configENS1_22reduce_config_selectorIiEEZNS1_11reduce_implILb1ES3_PiS7_iN6thrust23THRUST_200600_302600_NS4plusIiEEEE10hipError_tPvRmT1_T2_T3_mT4_P12ihipStream_tbEUlT_E0_NS1_11comp_targetILNS1_3genE2ELNS1_11target_archE906ELNS1_3gpuE6ELNS1_3repE0EEENS1_30default_config_static_selectorELNS0_4arch9wavefront6targetE1EEEvSF_
                                        ; -- End function
	.set _ZN7rocprim17ROCPRIM_400000_NS6detail17trampoline_kernelINS0_14default_configENS1_22reduce_config_selectorIiEEZNS1_11reduce_implILb1ES3_PiS7_iN6thrust23THRUST_200600_302600_NS4plusIiEEEE10hipError_tPvRmT1_T2_T3_mT4_P12ihipStream_tbEUlT_E0_NS1_11comp_targetILNS1_3genE2ELNS1_11target_archE906ELNS1_3gpuE6ELNS1_3repE0EEENS1_30default_config_static_selectorELNS0_4arch9wavefront6targetE1EEEvSF_.num_vgpr, 0
	.set _ZN7rocprim17ROCPRIM_400000_NS6detail17trampoline_kernelINS0_14default_configENS1_22reduce_config_selectorIiEEZNS1_11reduce_implILb1ES3_PiS7_iN6thrust23THRUST_200600_302600_NS4plusIiEEEE10hipError_tPvRmT1_T2_T3_mT4_P12ihipStream_tbEUlT_E0_NS1_11comp_targetILNS1_3genE2ELNS1_11target_archE906ELNS1_3gpuE6ELNS1_3repE0EEENS1_30default_config_static_selectorELNS0_4arch9wavefront6targetE1EEEvSF_.num_agpr, 0
	.set _ZN7rocprim17ROCPRIM_400000_NS6detail17trampoline_kernelINS0_14default_configENS1_22reduce_config_selectorIiEEZNS1_11reduce_implILb1ES3_PiS7_iN6thrust23THRUST_200600_302600_NS4plusIiEEEE10hipError_tPvRmT1_T2_T3_mT4_P12ihipStream_tbEUlT_E0_NS1_11comp_targetILNS1_3genE2ELNS1_11target_archE906ELNS1_3gpuE6ELNS1_3repE0EEENS1_30default_config_static_selectorELNS0_4arch9wavefront6targetE1EEEvSF_.numbered_sgpr, 0
	.set _ZN7rocprim17ROCPRIM_400000_NS6detail17trampoline_kernelINS0_14default_configENS1_22reduce_config_selectorIiEEZNS1_11reduce_implILb1ES3_PiS7_iN6thrust23THRUST_200600_302600_NS4plusIiEEEE10hipError_tPvRmT1_T2_T3_mT4_P12ihipStream_tbEUlT_E0_NS1_11comp_targetILNS1_3genE2ELNS1_11target_archE906ELNS1_3gpuE6ELNS1_3repE0EEENS1_30default_config_static_selectorELNS0_4arch9wavefront6targetE1EEEvSF_.num_named_barrier, 0
	.set _ZN7rocprim17ROCPRIM_400000_NS6detail17trampoline_kernelINS0_14default_configENS1_22reduce_config_selectorIiEEZNS1_11reduce_implILb1ES3_PiS7_iN6thrust23THRUST_200600_302600_NS4plusIiEEEE10hipError_tPvRmT1_T2_T3_mT4_P12ihipStream_tbEUlT_E0_NS1_11comp_targetILNS1_3genE2ELNS1_11target_archE906ELNS1_3gpuE6ELNS1_3repE0EEENS1_30default_config_static_selectorELNS0_4arch9wavefront6targetE1EEEvSF_.private_seg_size, 0
	.set _ZN7rocprim17ROCPRIM_400000_NS6detail17trampoline_kernelINS0_14default_configENS1_22reduce_config_selectorIiEEZNS1_11reduce_implILb1ES3_PiS7_iN6thrust23THRUST_200600_302600_NS4plusIiEEEE10hipError_tPvRmT1_T2_T3_mT4_P12ihipStream_tbEUlT_E0_NS1_11comp_targetILNS1_3genE2ELNS1_11target_archE906ELNS1_3gpuE6ELNS1_3repE0EEENS1_30default_config_static_selectorELNS0_4arch9wavefront6targetE1EEEvSF_.uses_vcc, 0
	.set _ZN7rocprim17ROCPRIM_400000_NS6detail17trampoline_kernelINS0_14default_configENS1_22reduce_config_selectorIiEEZNS1_11reduce_implILb1ES3_PiS7_iN6thrust23THRUST_200600_302600_NS4plusIiEEEE10hipError_tPvRmT1_T2_T3_mT4_P12ihipStream_tbEUlT_E0_NS1_11comp_targetILNS1_3genE2ELNS1_11target_archE906ELNS1_3gpuE6ELNS1_3repE0EEENS1_30default_config_static_selectorELNS0_4arch9wavefront6targetE1EEEvSF_.uses_flat_scratch, 0
	.set _ZN7rocprim17ROCPRIM_400000_NS6detail17trampoline_kernelINS0_14default_configENS1_22reduce_config_selectorIiEEZNS1_11reduce_implILb1ES3_PiS7_iN6thrust23THRUST_200600_302600_NS4plusIiEEEE10hipError_tPvRmT1_T2_T3_mT4_P12ihipStream_tbEUlT_E0_NS1_11comp_targetILNS1_3genE2ELNS1_11target_archE906ELNS1_3gpuE6ELNS1_3repE0EEENS1_30default_config_static_selectorELNS0_4arch9wavefront6targetE1EEEvSF_.has_dyn_sized_stack, 0
	.set _ZN7rocprim17ROCPRIM_400000_NS6detail17trampoline_kernelINS0_14default_configENS1_22reduce_config_selectorIiEEZNS1_11reduce_implILb1ES3_PiS7_iN6thrust23THRUST_200600_302600_NS4plusIiEEEE10hipError_tPvRmT1_T2_T3_mT4_P12ihipStream_tbEUlT_E0_NS1_11comp_targetILNS1_3genE2ELNS1_11target_archE906ELNS1_3gpuE6ELNS1_3repE0EEENS1_30default_config_static_selectorELNS0_4arch9wavefront6targetE1EEEvSF_.has_recursion, 0
	.set _ZN7rocprim17ROCPRIM_400000_NS6detail17trampoline_kernelINS0_14default_configENS1_22reduce_config_selectorIiEEZNS1_11reduce_implILb1ES3_PiS7_iN6thrust23THRUST_200600_302600_NS4plusIiEEEE10hipError_tPvRmT1_T2_T3_mT4_P12ihipStream_tbEUlT_E0_NS1_11comp_targetILNS1_3genE2ELNS1_11target_archE906ELNS1_3gpuE6ELNS1_3repE0EEENS1_30default_config_static_selectorELNS0_4arch9wavefront6targetE1EEEvSF_.has_indirect_call, 0
	.section	.AMDGPU.csdata,"",@progbits
; Kernel info:
; codeLenInByte = 0
; TotalNumSgprs: 6
; NumVgprs: 0
; NumAgprs: 0
; TotalNumVgprs: 0
; ScratchSize: 0
; MemoryBound: 0
; FloatMode: 240
; IeeeMode: 1
; LDSByteSize: 0 bytes/workgroup (compile time only)
; SGPRBlocks: 0
; VGPRBlocks: 0
; NumSGPRsForWavesPerEU: 6
; NumVGPRsForWavesPerEU: 1
; AccumOffset: 4
; Occupancy: 8
; WaveLimiterHint : 0
; COMPUTE_PGM_RSRC2:SCRATCH_EN: 0
; COMPUTE_PGM_RSRC2:USER_SGPR: 2
; COMPUTE_PGM_RSRC2:TRAP_HANDLER: 0
; COMPUTE_PGM_RSRC2:TGID_X_EN: 1
; COMPUTE_PGM_RSRC2:TGID_Y_EN: 0
; COMPUTE_PGM_RSRC2:TGID_Z_EN: 0
; COMPUTE_PGM_RSRC2:TIDIG_COMP_CNT: 0
; COMPUTE_PGM_RSRC3_GFX90A:ACCUM_OFFSET: 0
; COMPUTE_PGM_RSRC3_GFX90A:TG_SPLIT: 0
	.section	.text._ZN7rocprim17ROCPRIM_400000_NS6detail17trampoline_kernelINS0_14default_configENS1_22reduce_config_selectorIiEEZNS1_11reduce_implILb1ES3_PiS7_iN6thrust23THRUST_200600_302600_NS4plusIiEEEE10hipError_tPvRmT1_T2_T3_mT4_P12ihipStream_tbEUlT_E0_NS1_11comp_targetILNS1_3genE10ELNS1_11target_archE1201ELNS1_3gpuE5ELNS1_3repE0EEENS1_30default_config_static_selectorELNS0_4arch9wavefront6targetE1EEEvSF_,"axG",@progbits,_ZN7rocprim17ROCPRIM_400000_NS6detail17trampoline_kernelINS0_14default_configENS1_22reduce_config_selectorIiEEZNS1_11reduce_implILb1ES3_PiS7_iN6thrust23THRUST_200600_302600_NS4plusIiEEEE10hipError_tPvRmT1_T2_T3_mT4_P12ihipStream_tbEUlT_E0_NS1_11comp_targetILNS1_3genE10ELNS1_11target_archE1201ELNS1_3gpuE5ELNS1_3repE0EEENS1_30default_config_static_selectorELNS0_4arch9wavefront6targetE1EEEvSF_,comdat
	.protected	_ZN7rocprim17ROCPRIM_400000_NS6detail17trampoline_kernelINS0_14default_configENS1_22reduce_config_selectorIiEEZNS1_11reduce_implILb1ES3_PiS7_iN6thrust23THRUST_200600_302600_NS4plusIiEEEE10hipError_tPvRmT1_T2_T3_mT4_P12ihipStream_tbEUlT_E0_NS1_11comp_targetILNS1_3genE10ELNS1_11target_archE1201ELNS1_3gpuE5ELNS1_3repE0EEENS1_30default_config_static_selectorELNS0_4arch9wavefront6targetE1EEEvSF_ ; -- Begin function _ZN7rocprim17ROCPRIM_400000_NS6detail17trampoline_kernelINS0_14default_configENS1_22reduce_config_selectorIiEEZNS1_11reduce_implILb1ES3_PiS7_iN6thrust23THRUST_200600_302600_NS4plusIiEEEE10hipError_tPvRmT1_T2_T3_mT4_P12ihipStream_tbEUlT_E0_NS1_11comp_targetILNS1_3genE10ELNS1_11target_archE1201ELNS1_3gpuE5ELNS1_3repE0EEENS1_30default_config_static_selectorELNS0_4arch9wavefront6targetE1EEEvSF_
	.globl	_ZN7rocprim17ROCPRIM_400000_NS6detail17trampoline_kernelINS0_14default_configENS1_22reduce_config_selectorIiEEZNS1_11reduce_implILb1ES3_PiS7_iN6thrust23THRUST_200600_302600_NS4plusIiEEEE10hipError_tPvRmT1_T2_T3_mT4_P12ihipStream_tbEUlT_E0_NS1_11comp_targetILNS1_3genE10ELNS1_11target_archE1201ELNS1_3gpuE5ELNS1_3repE0EEENS1_30default_config_static_selectorELNS0_4arch9wavefront6targetE1EEEvSF_
	.p2align	8
	.type	_ZN7rocprim17ROCPRIM_400000_NS6detail17trampoline_kernelINS0_14default_configENS1_22reduce_config_selectorIiEEZNS1_11reduce_implILb1ES3_PiS7_iN6thrust23THRUST_200600_302600_NS4plusIiEEEE10hipError_tPvRmT1_T2_T3_mT4_P12ihipStream_tbEUlT_E0_NS1_11comp_targetILNS1_3genE10ELNS1_11target_archE1201ELNS1_3gpuE5ELNS1_3repE0EEENS1_30default_config_static_selectorELNS0_4arch9wavefront6targetE1EEEvSF_,@function
_ZN7rocprim17ROCPRIM_400000_NS6detail17trampoline_kernelINS0_14default_configENS1_22reduce_config_selectorIiEEZNS1_11reduce_implILb1ES3_PiS7_iN6thrust23THRUST_200600_302600_NS4plusIiEEEE10hipError_tPvRmT1_T2_T3_mT4_P12ihipStream_tbEUlT_E0_NS1_11comp_targetILNS1_3genE10ELNS1_11target_archE1201ELNS1_3gpuE5ELNS1_3repE0EEENS1_30default_config_static_selectorELNS0_4arch9wavefront6targetE1EEEvSF_: ; @_ZN7rocprim17ROCPRIM_400000_NS6detail17trampoline_kernelINS0_14default_configENS1_22reduce_config_selectorIiEEZNS1_11reduce_implILb1ES3_PiS7_iN6thrust23THRUST_200600_302600_NS4plusIiEEEE10hipError_tPvRmT1_T2_T3_mT4_P12ihipStream_tbEUlT_E0_NS1_11comp_targetILNS1_3genE10ELNS1_11target_archE1201ELNS1_3gpuE5ELNS1_3repE0EEENS1_30default_config_static_selectorELNS0_4arch9wavefront6targetE1EEEvSF_
; %bb.0:
	.section	.rodata,"a",@progbits
	.p2align	6, 0x0
	.amdhsa_kernel _ZN7rocprim17ROCPRIM_400000_NS6detail17trampoline_kernelINS0_14default_configENS1_22reduce_config_selectorIiEEZNS1_11reduce_implILb1ES3_PiS7_iN6thrust23THRUST_200600_302600_NS4plusIiEEEE10hipError_tPvRmT1_T2_T3_mT4_P12ihipStream_tbEUlT_E0_NS1_11comp_targetILNS1_3genE10ELNS1_11target_archE1201ELNS1_3gpuE5ELNS1_3repE0EEENS1_30default_config_static_selectorELNS0_4arch9wavefront6targetE1EEEvSF_
		.amdhsa_group_segment_fixed_size 0
		.amdhsa_private_segment_fixed_size 0
		.amdhsa_kernarg_size 56
		.amdhsa_user_sgpr_count 2
		.amdhsa_user_sgpr_dispatch_ptr 0
		.amdhsa_user_sgpr_queue_ptr 0
		.amdhsa_user_sgpr_kernarg_segment_ptr 1
		.amdhsa_user_sgpr_dispatch_id 0
		.amdhsa_user_sgpr_kernarg_preload_length 0
		.amdhsa_user_sgpr_kernarg_preload_offset 0
		.amdhsa_user_sgpr_private_segment_size 0
		.amdhsa_uses_dynamic_stack 0
		.amdhsa_enable_private_segment 0
		.amdhsa_system_sgpr_workgroup_id_x 1
		.amdhsa_system_sgpr_workgroup_id_y 0
		.amdhsa_system_sgpr_workgroup_id_z 0
		.amdhsa_system_sgpr_workgroup_info 0
		.amdhsa_system_vgpr_workitem_id 0
		.amdhsa_next_free_vgpr 1
		.amdhsa_next_free_sgpr 0
		.amdhsa_accum_offset 4
		.amdhsa_reserve_vcc 0
		.amdhsa_float_round_mode_32 0
		.amdhsa_float_round_mode_16_64 0
		.amdhsa_float_denorm_mode_32 3
		.amdhsa_float_denorm_mode_16_64 3
		.amdhsa_dx10_clamp 1
		.amdhsa_ieee_mode 1
		.amdhsa_fp16_overflow 0
		.amdhsa_tg_split 0
		.amdhsa_exception_fp_ieee_invalid_op 0
		.amdhsa_exception_fp_denorm_src 0
		.amdhsa_exception_fp_ieee_div_zero 0
		.amdhsa_exception_fp_ieee_overflow 0
		.amdhsa_exception_fp_ieee_underflow 0
		.amdhsa_exception_fp_ieee_inexact 0
		.amdhsa_exception_int_div_zero 0
	.end_amdhsa_kernel
	.section	.text._ZN7rocprim17ROCPRIM_400000_NS6detail17trampoline_kernelINS0_14default_configENS1_22reduce_config_selectorIiEEZNS1_11reduce_implILb1ES3_PiS7_iN6thrust23THRUST_200600_302600_NS4plusIiEEEE10hipError_tPvRmT1_T2_T3_mT4_P12ihipStream_tbEUlT_E0_NS1_11comp_targetILNS1_3genE10ELNS1_11target_archE1201ELNS1_3gpuE5ELNS1_3repE0EEENS1_30default_config_static_selectorELNS0_4arch9wavefront6targetE1EEEvSF_,"axG",@progbits,_ZN7rocprim17ROCPRIM_400000_NS6detail17trampoline_kernelINS0_14default_configENS1_22reduce_config_selectorIiEEZNS1_11reduce_implILb1ES3_PiS7_iN6thrust23THRUST_200600_302600_NS4plusIiEEEE10hipError_tPvRmT1_T2_T3_mT4_P12ihipStream_tbEUlT_E0_NS1_11comp_targetILNS1_3genE10ELNS1_11target_archE1201ELNS1_3gpuE5ELNS1_3repE0EEENS1_30default_config_static_selectorELNS0_4arch9wavefront6targetE1EEEvSF_,comdat
.Lfunc_end229:
	.size	_ZN7rocprim17ROCPRIM_400000_NS6detail17trampoline_kernelINS0_14default_configENS1_22reduce_config_selectorIiEEZNS1_11reduce_implILb1ES3_PiS7_iN6thrust23THRUST_200600_302600_NS4plusIiEEEE10hipError_tPvRmT1_T2_T3_mT4_P12ihipStream_tbEUlT_E0_NS1_11comp_targetILNS1_3genE10ELNS1_11target_archE1201ELNS1_3gpuE5ELNS1_3repE0EEENS1_30default_config_static_selectorELNS0_4arch9wavefront6targetE1EEEvSF_, .Lfunc_end229-_ZN7rocprim17ROCPRIM_400000_NS6detail17trampoline_kernelINS0_14default_configENS1_22reduce_config_selectorIiEEZNS1_11reduce_implILb1ES3_PiS7_iN6thrust23THRUST_200600_302600_NS4plusIiEEEE10hipError_tPvRmT1_T2_T3_mT4_P12ihipStream_tbEUlT_E0_NS1_11comp_targetILNS1_3genE10ELNS1_11target_archE1201ELNS1_3gpuE5ELNS1_3repE0EEENS1_30default_config_static_selectorELNS0_4arch9wavefront6targetE1EEEvSF_
                                        ; -- End function
	.set _ZN7rocprim17ROCPRIM_400000_NS6detail17trampoline_kernelINS0_14default_configENS1_22reduce_config_selectorIiEEZNS1_11reduce_implILb1ES3_PiS7_iN6thrust23THRUST_200600_302600_NS4plusIiEEEE10hipError_tPvRmT1_T2_T3_mT4_P12ihipStream_tbEUlT_E0_NS1_11comp_targetILNS1_3genE10ELNS1_11target_archE1201ELNS1_3gpuE5ELNS1_3repE0EEENS1_30default_config_static_selectorELNS0_4arch9wavefront6targetE1EEEvSF_.num_vgpr, 0
	.set _ZN7rocprim17ROCPRIM_400000_NS6detail17trampoline_kernelINS0_14default_configENS1_22reduce_config_selectorIiEEZNS1_11reduce_implILb1ES3_PiS7_iN6thrust23THRUST_200600_302600_NS4plusIiEEEE10hipError_tPvRmT1_T2_T3_mT4_P12ihipStream_tbEUlT_E0_NS1_11comp_targetILNS1_3genE10ELNS1_11target_archE1201ELNS1_3gpuE5ELNS1_3repE0EEENS1_30default_config_static_selectorELNS0_4arch9wavefront6targetE1EEEvSF_.num_agpr, 0
	.set _ZN7rocprim17ROCPRIM_400000_NS6detail17trampoline_kernelINS0_14default_configENS1_22reduce_config_selectorIiEEZNS1_11reduce_implILb1ES3_PiS7_iN6thrust23THRUST_200600_302600_NS4plusIiEEEE10hipError_tPvRmT1_T2_T3_mT4_P12ihipStream_tbEUlT_E0_NS1_11comp_targetILNS1_3genE10ELNS1_11target_archE1201ELNS1_3gpuE5ELNS1_3repE0EEENS1_30default_config_static_selectorELNS0_4arch9wavefront6targetE1EEEvSF_.numbered_sgpr, 0
	.set _ZN7rocprim17ROCPRIM_400000_NS6detail17trampoline_kernelINS0_14default_configENS1_22reduce_config_selectorIiEEZNS1_11reduce_implILb1ES3_PiS7_iN6thrust23THRUST_200600_302600_NS4plusIiEEEE10hipError_tPvRmT1_T2_T3_mT4_P12ihipStream_tbEUlT_E0_NS1_11comp_targetILNS1_3genE10ELNS1_11target_archE1201ELNS1_3gpuE5ELNS1_3repE0EEENS1_30default_config_static_selectorELNS0_4arch9wavefront6targetE1EEEvSF_.num_named_barrier, 0
	.set _ZN7rocprim17ROCPRIM_400000_NS6detail17trampoline_kernelINS0_14default_configENS1_22reduce_config_selectorIiEEZNS1_11reduce_implILb1ES3_PiS7_iN6thrust23THRUST_200600_302600_NS4plusIiEEEE10hipError_tPvRmT1_T2_T3_mT4_P12ihipStream_tbEUlT_E0_NS1_11comp_targetILNS1_3genE10ELNS1_11target_archE1201ELNS1_3gpuE5ELNS1_3repE0EEENS1_30default_config_static_selectorELNS0_4arch9wavefront6targetE1EEEvSF_.private_seg_size, 0
	.set _ZN7rocprim17ROCPRIM_400000_NS6detail17trampoline_kernelINS0_14default_configENS1_22reduce_config_selectorIiEEZNS1_11reduce_implILb1ES3_PiS7_iN6thrust23THRUST_200600_302600_NS4plusIiEEEE10hipError_tPvRmT1_T2_T3_mT4_P12ihipStream_tbEUlT_E0_NS1_11comp_targetILNS1_3genE10ELNS1_11target_archE1201ELNS1_3gpuE5ELNS1_3repE0EEENS1_30default_config_static_selectorELNS0_4arch9wavefront6targetE1EEEvSF_.uses_vcc, 0
	.set _ZN7rocprim17ROCPRIM_400000_NS6detail17trampoline_kernelINS0_14default_configENS1_22reduce_config_selectorIiEEZNS1_11reduce_implILb1ES3_PiS7_iN6thrust23THRUST_200600_302600_NS4plusIiEEEE10hipError_tPvRmT1_T2_T3_mT4_P12ihipStream_tbEUlT_E0_NS1_11comp_targetILNS1_3genE10ELNS1_11target_archE1201ELNS1_3gpuE5ELNS1_3repE0EEENS1_30default_config_static_selectorELNS0_4arch9wavefront6targetE1EEEvSF_.uses_flat_scratch, 0
	.set _ZN7rocprim17ROCPRIM_400000_NS6detail17trampoline_kernelINS0_14default_configENS1_22reduce_config_selectorIiEEZNS1_11reduce_implILb1ES3_PiS7_iN6thrust23THRUST_200600_302600_NS4plusIiEEEE10hipError_tPvRmT1_T2_T3_mT4_P12ihipStream_tbEUlT_E0_NS1_11comp_targetILNS1_3genE10ELNS1_11target_archE1201ELNS1_3gpuE5ELNS1_3repE0EEENS1_30default_config_static_selectorELNS0_4arch9wavefront6targetE1EEEvSF_.has_dyn_sized_stack, 0
	.set _ZN7rocprim17ROCPRIM_400000_NS6detail17trampoline_kernelINS0_14default_configENS1_22reduce_config_selectorIiEEZNS1_11reduce_implILb1ES3_PiS7_iN6thrust23THRUST_200600_302600_NS4plusIiEEEE10hipError_tPvRmT1_T2_T3_mT4_P12ihipStream_tbEUlT_E0_NS1_11comp_targetILNS1_3genE10ELNS1_11target_archE1201ELNS1_3gpuE5ELNS1_3repE0EEENS1_30default_config_static_selectorELNS0_4arch9wavefront6targetE1EEEvSF_.has_recursion, 0
	.set _ZN7rocprim17ROCPRIM_400000_NS6detail17trampoline_kernelINS0_14default_configENS1_22reduce_config_selectorIiEEZNS1_11reduce_implILb1ES3_PiS7_iN6thrust23THRUST_200600_302600_NS4plusIiEEEE10hipError_tPvRmT1_T2_T3_mT4_P12ihipStream_tbEUlT_E0_NS1_11comp_targetILNS1_3genE10ELNS1_11target_archE1201ELNS1_3gpuE5ELNS1_3repE0EEENS1_30default_config_static_selectorELNS0_4arch9wavefront6targetE1EEEvSF_.has_indirect_call, 0
	.section	.AMDGPU.csdata,"",@progbits
; Kernel info:
; codeLenInByte = 0
; TotalNumSgprs: 6
; NumVgprs: 0
; NumAgprs: 0
; TotalNumVgprs: 0
; ScratchSize: 0
; MemoryBound: 0
; FloatMode: 240
; IeeeMode: 1
; LDSByteSize: 0 bytes/workgroup (compile time only)
; SGPRBlocks: 0
; VGPRBlocks: 0
; NumSGPRsForWavesPerEU: 6
; NumVGPRsForWavesPerEU: 1
; AccumOffset: 4
; Occupancy: 8
; WaveLimiterHint : 0
; COMPUTE_PGM_RSRC2:SCRATCH_EN: 0
; COMPUTE_PGM_RSRC2:USER_SGPR: 2
; COMPUTE_PGM_RSRC2:TRAP_HANDLER: 0
; COMPUTE_PGM_RSRC2:TGID_X_EN: 1
; COMPUTE_PGM_RSRC2:TGID_Y_EN: 0
; COMPUTE_PGM_RSRC2:TGID_Z_EN: 0
; COMPUTE_PGM_RSRC2:TIDIG_COMP_CNT: 0
; COMPUTE_PGM_RSRC3_GFX90A:ACCUM_OFFSET: 0
; COMPUTE_PGM_RSRC3_GFX90A:TG_SPLIT: 0
	.section	.text._ZN7rocprim17ROCPRIM_400000_NS6detail17trampoline_kernelINS0_14default_configENS1_22reduce_config_selectorIiEEZNS1_11reduce_implILb1ES3_PiS7_iN6thrust23THRUST_200600_302600_NS4plusIiEEEE10hipError_tPvRmT1_T2_T3_mT4_P12ihipStream_tbEUlT_E0_NS1_11comp_targetILNS1_3genE10ELNS1_11target_archE1200ELNS1_3gpuE4ELNS1_3repE0EEENS1_30default_config_static_selectorELNS0_4arch9wavefront6targetE1EEEvSF_,"axG",@progbits,_ZN7rocprim17ROCPRIM_400000_NS6detail17trampoline_kernelINS0_14default_configENS1_22reduce_config_selectorIiEEZNS1_11reduce_implILb1ES3_PiS7_iN6thrust23THRUST_200600_302600_NS4plusIiEEEE10hipError_tPvRmT1_T2_T3_mT4_P12ihipStream_tbEUlT_E0_NS1_11comp_targetILNS1_3genE10ELNS1_11target_archE1200ELNS1_3gpuE4ELNS1_3repE0EEENS1_30default_config_static_selectorELNS0_4arch9wavefront6targetE1EEEvSF_,comdat
	.protected	_ZN7rocprim17ROCPRIM_400000_NS6detail17trampoline_kernelINS0_14default_configENS1_22reduce_config_selectorIiEEZNS1_11reduce_implILb1ES3_PiS7_iN6thrust23THRUST_200600_302600_NS4plusIiEEEE10hipError_tPvRmT1_T2_T3_mT4_P12ihipStream_tbEUlT_E0_NS1_11comp_targetILNS1_3genE10ELNS1_11target_archE1200ELNS1_3gpuE4ELNS1_3repE0EEENS1_30default_config_static_selectorELNS0_4arch9wavefront6targetE1EEEvSF_ ; -- Begin function _ZN7rocprim17ROCPRIM_400000_NS6detail17trampoline_kernelINS0_14default_configENS1_22reduce_config_selectorIiEEZNS1_11reduce_implILb1ES3_PiS7_iN6thrust23THRUST_200600_302600_NS4plusIiEEEE10hipError_tPvRmT1_T2_T3_mT4_P12ihipStream_tbEUlT_E0_NS1_11comp_targetILNS1_3genE10ELNS1_11target_archE1200ELNS1_3gpuE4ELNS1_3repE0EEENS1_30default_config_static_selectorELNS0_4arch9wavefront6targetE1EEEvSF_
	.globl	_ZN7rocprim17ROCPRIM_400000_NS6detail17trampoline_kernelINS0_14default_configENS1_22reduce_config_selectorIiEEZNS1_11reduce_implILb1ES3_PiS7_iN6thrust23THRUST_200600_302600_NS4plusIiEEEE10hipError_tPvRmT1_T2_T3_mT4_P12ihipStream_tbEUlT_E0_NS1_11comp_targetILNS1_3genE10ELNS1_11target_archE1200ELNS1_3gpuE4ELNS1_3repE0EEENS1_30default_config_static_selectorELNS0_4arch9wavefront6targetE1EEEvSF_
	.p2align	8
	.type	_ZN7rocprim17ROCPRIM_400000_NS6detail17trampoline_kernelINS0_14default_configENS1_22reduce_config_selectorIiEEZNS1_11reduce_implILb1ES3_PiS7_iN6thrust23THRUST_200600_302600_NS4plusIiEEEE10hipError_tPvRmT1_T2_T3_mT4_P12ihipStream_tbEUlT_E0_NS1_11comp_targetILNS1_3genE10ELNS1_11target_archE1200ELNS1_3gpuE4ELNS1_3repE0EEENS1_30default_config_static_selectorELNS0_4arch9wavefront6targetE1EEEvSF_,@function
_ZN7rocprim17ROCPRIM_400000_NS6detail17trampoline_kernelINS0_14default_configENS1_22reduce_config_selectorIiEEZNS1_11reduce_implILb1ES3_PiS7_iN6thrust23THRUST_200600_302600_NS4plusIiEEEE10hipError_tPvRmT1_T2_T3_mT4_P12ihipStream_tbEUlT_E0_NS1_11comp_targetILNS1_3genE10ELNS1_11target_archE1200ELNS1_3gpuE4ELNS1_3repE0EEENS1_30default_config_static_selectorELNS0_4arch9wavefront6targetE1EEEvSF_: ; @_ZN7rocprim17ROCPRIM_400000_NS6detail17trampoline_kernelINS0_14default_configENS1_22reduce_config_selectorIiEEZNS1_11reduce_implILb1ES3_PiS7_iN6thrust23THRUST_200600_302600_NS4plusIiEEEE10hipError_tPvRmT1_T2_T3_mT4_P12ihipStream_tbEUlT_E0_NS1_11comp_targetILNS1_3genE10ELNS1_11target_archE1200ELNS1_3gpuE4ELNS1_3repE0EEENS1_30default_config_static_selectorELNS0_4arch9wavefront6targetE1EEEvSF_
; %bb.0:
	.section	.rodata,"a",@progbits
	.p2align	6, 0x0
	.amdhsa_kernel _ZN7rocprim17ROCPRIM_400000_NS6detail17trampoline_kernelINS0_14default_configENS1_22reduce_config_selectorIiEEZNS1_11reduce_implILb1ES3_PiS7_iN6thrust23THRUST_200600_302600_NS4plusIiEEEE10hipError_tPvRmT1_T2_T3_mT4_P12ihipStream_tbEUlT_E0_NS1_11comp_targetILNS1_3genE10ELNS1_11target_archE1200ELNS1_3gpuE4ELNS1_3repE0EEENS1_30default_config_static_selectorELNS0_4arch9wavefront6targetE1EEEvSF_
		.amdhsa_group_segment_fixed_size 0
		.amdhsa_private_segment_fixed_size 0
		.amdhsa_kernarg_size 56
		.amdhsa_user_sgpr_count 2
		.amdhsa_user_sgpr_dispatch_ptr 0
		.amdhsa_user_sgpr_queue_ptr 0
		.amdhsa_user_sgpr_kernarg_segment_ptr 1
		.amdhsa_user_sgpr_dispatch_id 0
		.amdhsa_user_sgpr_kernarg_preload_length 0
		.amdhsa_user_sgpr_kernarg_preload_offset 0
		.amdhsa_user_sgpr_private_segment_size 0
		.amdhsa_uses_dynamic_stack 0
		.amdhsa_enable_private_segment 0
		.amdhsa_system_sgpr_workgroup_id_x 1
		.amdhsa_system_sgpr_workgroup_id_y 0
		.amdhsa_system_sgpr_workgroup_id_z 0
		.amdhsa_system_sgpr_workgroup_info 0
		.amdhsa_system_vgpr_workitem_id 0
		.amdhsa_next_free_vgpr 1
		.amdhsa_next_free_sgpr 0
		.amdhsa_accum_offset 4
		.amdhsa_reserve_vcc 0
		.amdhsa_float_round_mode_32 0
		.amdhsa_float_round_mode_16_64 0
		.amdhsa_float_denorm_mode_32 3
		.amdhsa_float_denorm_mode_16_64 3
		.amdhsa_dx10_clamp 1
		.amdhsa_ieee_mode 1
		.amdhsa_fp16_overflow 0
		.amdhsa_tg_split 0
		.amdhsa_exception_fp_ieee_invalid_op 0
		.amdhsa_exception_fp_denorm_src 0
		.amdhsa_exception_fp_ieee_div_zero 0
		.amdhsa_exception_fp_ieee_overflow 0
		.amdhsa_exception_fp_ieee_underflow 0
		.amdhsa_exception_fp_ieee_inexact 0
		.amdhsa_exception_int_div_zero 0
	.end_amdhsa_kernel
	.section	.text._ZN7rocprim17ROCPRIM_400000_NS6detail17trampoline_kernelINS0_14default_configENS1_22reduce_config_selectorIiEEZNS1_11reduce_implILb1ES3_PiS7_iN6thrust23THRUST_200600_302600_NS4plusIiEEEE10hipError_tPvRmT1_T2_T3_mT4_P12ihipStream_tbEUlT_E0_NS1_11comp_targetILNS1_3genE10ELNS1_11target_archE1200ELNS1_3gpuE4ELNS1_3repE0EEENS1_30default_config_static_selectorELNS0_4arch9wavefront6targetE1EEEvSF_,"axG",@progbits,_ZN7rocprim17ROCPRIM_400000_NS6detail17trampoline_kernelINS0_14default_configENS1_22reduce_config_selectorIiEEZNS1_11reduce_implILb1ES3_PiS7_iN6thrust23THRUST_200600_302600_NS4plusIiEEEE10hipError_tPvRmT1_T2_T3_mT4_P12ihipStream_tbEUlT_E0_NS1_11comp_targetILNS1_3genE10ELNS1_11target_archE1200ELNS1_3gpuE4ELNS1_3repE0EEENS1_30default_config_static_selectorELNS0_4arch9wavefront6targetE1EEEvSF_,comdat
.Lfunc_end230:
	.size	_ZN7rocprim17ROCPRIM_400000_NS6detail17trampoline_kernelINS0_14default_configENS1_22reduce_config_selectorIiEEZNS1_11reduce_implILb1ES3_PiS7_iN6thrust23THRUST_200600_302600_NS4plusIiEEEE10hipError_tPvRmT1_T2_T3_mT4_P12ihipStream_tbEUlT_E0_NS1_11comp_targetILNS1_3genE10ELNS1_11target_archE1200ELNS1_3gpuE4ELNS1_3repE0EEENS1_30default_config_static_selectorELNS0_4arch9wavefront6targetE1EEEvSF_, .Lfunc_end230-_ZN7rocprim17ROCPRIM_400000_NS6detail17trampoline_kernelINS0_14default_configENS1_22reduce_config_selectorIiEEZNS1_11reduce_implILb1ES3_PiS7_iN6thrust23THRUST_200600_302600_NS4plusIiEEEE10hipError_tPvRmT1_T2_T3_mT4_P12ihipStream_tbEUlT_E0_NS1_11comp_targetILNS1_3genE10ELNS1_11target_archE1200ELNS1_3gpuE4ELNS1_3repE0EEENS1_30default_config_static_selectorELNS0_4arch9wavefront6targetE1EEEvSF_
                                        ; -- End function
	.set _ZN7rocprim17ROCPRIM_400000_NS6detail17trampoline_kernelINS0_14default_configENS1_22reduce_config_selectorIiEEZNS1_11reduce_implILb1ES3_PiS7_iN6thrust23THRUST_200600_302600_NS4plusIiEEEE10hipError_tPvRmT1_T2_T3_mT4_P12ihipStream_tbEUlT_E0_NS1_11comp_targetILNS1_3genE10ELNS1_11target_archE1200ELNS1_3gpuE4ELNS1_3repE0EEENS1_30default_config_static_selectorELNS0_4arch9wavefront6targetE1EEEvSF_.num_vgpr, 0
	.set _ZN7rocprim17ROCPRIM_400000_NS6detail17trampoline_kernelINS0_14default_configENS1_22reduce_config_selectorIiEEZNS1_11reduce_implILb1ES3_PiS7_iN6thrust23THRUST_200600_302600_NS4plusIiEEEE10hipError_tPvRmT1_T2_T3_mT4_P12ihipStream_tbEUlT_E0_NS1_11comp_targetILNS1_3genE10ELNS1_11target_archE1200ELNS1_3gpuE4ELNS1_3repE0EEENS1_30default_config_static_selectorELNS0_4arch9wavefront6targetE1EEEvSF_.num_agpr, 0
	.set _ZN7rocprim17ROCPRIM_400000_NS6detail17trampoline_kernelINS0_14default_configENS1_22reduce_config_selectorIiEEZNS1_11reduce_implILb1ES3_PiS7_iN6thrust23THRUST_200600_302600_NS4plusIiEEEE10hipError_tPvRmT1_T2_T3_mT4_P12ihipStream_tbEUlT_E0_NS1_11comp_targetILNS1_3genE10ELNS1_11target_archE1200ELNS1_3gpuE4ELNS1_3repE0EEENS1_30default_config_static_selectorELNS0_4arch9wavefront6targetE1EEEvSF_.numbered_sgpr, 0
	.set _ZN7rocprim17ROCPRIM_400000_NS6detail17trampoline_kernelINS0_14default_configENS1_22reduce_config_selectorIiEEZNS1_11reduce_implILb1ES3_PiS7_iN6thrust23THRUST_200600_302600_NS4plusIiEEEE10hipError_tPvRmT1_T2_T3_mT4_P12ihipStream_tbEUlT_E0_NS1_11comp_targetILNS1_3genE10ELNS1_11target_archE1200ELNS1_3gpuE4ELNS1_3repE0EEENS1_30default_config_static_selectorELNS0_4arch9wavefront6targetE1EEEvSF_.num_named_barrier, 0
	.set _ZN7rocprim17ROCPRIM_400000_NS6detail17trampoline_kernelINS0_14default_configENS1_22reduce_config_selectorIiEEZNS1_11reduce_implILb1ES3_PiS7_iN6thrust23THRUST_200600_302600_NS4plusIiEEEE10hipError_tPvRmT1_T2_T3_mT4_P12ihipStream_tbEUlT_E0_NS1_11comp_targetILNS1_3genE10ELNS1_11target_archE1200ELNS1_3gpuE4ELNS1_3repE0EEENS1_30default_config_static_selectorELNS0_4arch9wavefront6targetE1EEEvSF_.private_seg_size, 0
	.set _ZN7rocprim17ROCPRIM_400000_NS6detail17trampoline_kernelINS0_14default_configENS1_22reduce_config_selectorIiEEZNS1_11reduce_implILb1ES3_PiS7_iN6thrust23THRUST_200600_302600_NS4plusIiEEEE10hipError_tPvRmT1_T2_T3_mT4_P12ihipStream_tbEUlT_E0_NS1_11comp_targetILNS1_3genE10ELNS1_11target_archE1200ELNS1_3gpuE4ELNS1_3repE0EEENS1_30default_config_static_selectorELNS0_4arch9wavefront6targetE1EEEvSF_.uses_vcc, 0
	.set _ZN7rocprim17ROCPRIM_400000_NS6detail17trampoline_kernelINS0_14default_configENS1_22reduce_config_selectorIiEEZNS1_11reduce_implILb1ES3_PiS7_iN6thrust23THRUST_200600_302600_NS4plusIiEEEE10hipError_tPvRmT1_T2_T3_mT4_P12ihipStream_tbEUlT_E0_NS1_11comp_targetILNS1_3genE10ELNS1_11target_archE1200ELNS1_3gpuE4ELNS1_3repE0EEENS1_30default_config_static_selectorELNS0_4arch9wavefront6targetE1EEEvSF_.uses_flat_scratch, 0
	.set _ZN7rocprim17ROCPRIM_400000_NS6detail17trampoline_kernelINS0_14default_configENS1_22reduce_config_selectorIiEEZNS1_11reduce_implILb1ES3_PiS7_iN6thrust23THRUST_200600_302600_NS4plusIiEEEE10hipError_tPvRmT1_T2_T3_mT4_P12ihipStream_tbEUlT_E0_NS1_11comp_targetILNS1_3genE10ELNS1_11target_archE1200ELNS1_3gpuE4ELNS1_3repE0EEENS1_30default_config_static_selectorELNS0_4arch9wavefront6targetE1EEEvSF_.has_dyn_sized_stack, 0
	.set _ZN7rocprim17ROCPRIM_400000_NS6detail17trampoline_kernelINS0_14default_configENS1_22reduce_config_selectorIiEEZNS1_11reduce_implILb1ES3_PiS7_iN6thrust23THRUST_200600_302600_NS4plusIiEEEE10hipError_tPvRmT1_T2_T3_mT4_P12ihipStream_tbEUlT_E0_NS1_11comp_targetILNS1_3genE10ELNS1_11target_archE1200ELNS1_3gpuE4ELNS1_3repE0EEENS1_30default_config_static_selectorELNS0_4arch9wavefront6targetE1EEEvSF_.has_recursion, 0
	.set _ZN7rocprim17ROCPRIM_400000_NS6detail17trampoline_kernelINS0_14default_configENS1_22reduce_config_selectorIiEEZNS1_11reduce_implILb1ES3_PiS7_iN6thrust23THRUST_200600_302600_NS4plusIiEEEE10hipError_tPvRmT1_T2_T3_mT4_P12ihipStream_tbEUlT_E0_NS1_11comp_targetILNS1_3genE10ELNS1_11target_archE1200ELNS1_3gpuE4ELNS1_3repE0EEENS1_30default_config_static_selectorELNS0_4arch9wavefront6targetE1EEEvSF_.has_indirect_call, 0
	.section	.AMDGPU.csdata,"",@progbits
; Kernel info:
; codeLenInByte = 0
; TotalNumSgprs: 6
; NumVgprs: 0
; NumAgprs: 0
; TotalNumVgprs: 0
; ScratchSize: 0
; MemoryBound: 0
; FloatMode: 240
; IeeeMode: 1
; LDSByteSize: 0 bytes/workgroup (compile time only)
; SGPRBlocks: 0
; VGPRBlocks: 0
; NumSGPRsForWavesPerEU: 6
; NumVGPRsForWavesPerEU: 1
; AccumOffset: 4
; Occupancy: 8
; WaveLimiterHint : 0
; COMPUTE_PGM_RSRC2:SCRATCH_EN: 0
; COMPUTE_PGM_RSRC2:USER_SGPR: 2
; COMPUTE_PGM_RSRC2:TRAP_HANDLER: 0
; COMPUTE_PGM_RSRC2:TGID_X_EN: 1
; COMPUTE_PGM_RSRC2:TGID_Y_EN: 0
; COMPUTE_PGM_RSRC2:TGID_Z_EN: 0
; COMPUTE_PGM_RSRC2:TIDIG_COMP_CNT: 0
; COMPUTE_PGM_RSRC3_GFX90A:ACCUM_OFFSET: 0
; COMPUTE_PGM_RSRC3_GFX90A:TG_SPLIT: 0
	.section	.text._ZN7rocprim17ROCPRIM_400000_NS6detail17trampoline_kernelINS0_14default_configENS1_22reduce_config_selectorIiEEZNS1_11reduce_implILb1ES3_PiS7_iN6thrust23THRUST_200600_302600_NS4plusIiEEEE10hipError_tPvRmT1_T2_T3_mT4_P12ihipStream_tbEUlT_E0_NS1_11comp_targetILNS1_3genE9ELNS1_11target_archE1100ELNS1_3gpuE3ELNS1_3repE0EEENS1_30default_config_static_selectorELNS0_4arch9wavefront6targetE1EEEvSF_,"axG",@progbits,_ZN7rocprim17ROCPRIM_400000_NS6detail17trampoline_kernelINS0_14default_configENS1_22reduce_config_selectorIiEEZNS1_11reduce_implILb1ES3_PiS7_iN6thrust23THRUST_200600_302600_NS4plusIiEEEE10hipError_tPvRmT1_T2_T3_mT4_P12ihipStream_tbEUlT_E0_NS1_11comp_targetILNS1_3genE9ELNS1_11target_archE1100ELNS1_3gpuE3ELNS1_3repE0EEENS1_30default_config_static_selectorELNS0_4arch9wavefront6targetE1EEEvSF_,comdat
	.protected	_ZN7rocprim17ROCPRIM_400000_NS6detail17trampoline_kernelINS0_14default_configENS1_22reduce_config_selectorIiEEZNS1_11reduce_implILb1ES3_PiS7_iN6thrust23THRUST_200600_302600_NS4plusIiEEEE10hipError_tPvRmT1_T2_T3_mT4_P12ihipStream_tbEUlT_E0_NS1_11comp_targetILNS1_3genE9ELNS1_11target_archE1100ELNS1_3gpuE3ELNS1_3repE0EEENS1_30default_config_static_selectorELNS0_4arch9wavefront6targetE1EEEvSF_ ; -- Begin function _ZN7rocprim17ROCPRIM_400000_NS6detail17trampoline_kernelINS0_14default_configENS1_22reduce_config_selectorIiEEZNS1_11reduce_implILb1ES3_PiS7_iN6thrust23THRUST_200600_302600_NS4plusIiEEEE10hipError_tPvRmT1_T2_T3_mT4_P12ihipStream_tbEUlT_E0_NS1_11comp_targetILNS1_3genE9ELNS1_11target_archE1100ELNS1_3gpuE3ELNS1_3repE0EEENS1_30default_config_static_selectorELNS0_4arch9wavefront6targetE1EEEvSF_
	.globl	_ZN7rocprim17ROCPRIM_400000_NS6detail17trampoline_kernelINS0_14default_configENS1_22reduce_config_selectorIiEEZNS1_11reduce_implILb1ES3_PiS7_iN6thrust23THRUST_200600_302600_NS4plusIiEEEE10hipError_tPvRmT1_T2_T3_mT4_P12ihipStream_tbEUlT_E0_NS1_11comp_targetILNS1_3genE9ELNS1_11target_archE1100ELNS1_3gpuE3ELNS1_3repE0EEENS1_30default_config_static_selectorELNS0_4arch9wavefront6targetE1EEEvSF_
	.p2align	8
	.type	_ZN7rocprim17ROCPRIM_400000_NS6detail17trampoline_kernelINS0_14default_configENS1_22reduce_config_selectorIiEEZNS1_11reduce_implILb1ES3_PiS7_iN6thrust23THRUST_200600_302600_NS4plusIiEEEE10hipError_tPvRmT1_T2_T3_mT4_P12ihipStream_tbEUlT_E0_NS1_11comp_targetILNS1_3genE9ELNS1_11target_archE1100ELNS1_3gpuE3ELNS1_3repE0EEENS1_30default_config_static_selectorELNS0_4arch9wavefront6targetE1EEEvSF_,@function
_ZN7rocprim17ROCPRIM_400000_NS6detail17trampoline_kernelINS0_14default_configENS1_22reduce_config_selectorIiEEZNS1_11reduce_implILb1ES3_PiS7_iN6thrust23THRUST_200600_302600_NS4plusIiEEEE10hipError_tPvRmT1_T2_T3_mT4_P12ihipStream_tbEUlT_E0_NS1_11comp_targetILNS1_3genE9ELNS1_11target_archE1100ELNS1_3gpuE3ELNS1_3repE0EEENS1_30default_config_static_selectorELNS0_4arch9wavefront6targetE1EEEvSF_: ; @_ZN7rocprim17ROCPRIM_400000_NS6detail17trampoline_kernelINS0_14default_configENS1_22reduce_config_selectorIiEEZNS1_11reduce_implILb1ES3_PiS7_iN6thrust23THRUST_200600_302600_NS4plusIiEEEE10hipError_tPvRmT1_T2_T3_mT4_P12ihipStream_tbEUlT_E0_NS1_11comp_targetILNS1_3genE9ELNS1_11target_archE1100ELNS1_3gpuE3ELNS1_3repE0EEENS1_30default_config_static_selectorELNS0_4arch9wavefront6targetE1EEEvSF_
; %bb.0:
	.section	.rodata,"a",@progbits
	.p2align	6, 0x0
	.amdhsa_kernel _ZN7rocprim17ROCPRIM_400000_NS6detail17trampoline_kernelINS0_14default_configENS1_22reduce_config_selectorIiEEZNS1_11reduce_implILb1ES3_PiS7_iN6thrust23THRUST_200600_302600_NS4plusIiEEEE10hipError_tPvRmT1_T2_T3_mT4_P12ihipStream_tbEUlT_E0_NS1_11comp_targetILNS1_3genE9ELNS1_11target_archE1100ELNS1_3gpuE3ELNS1_3repE0EEENS1_30default_config_static_selectorELNS0_4arch9wavefront6targetE1EEEvSF_
		.amdhsa_group_segment_fixed_size 0
		.amdhsa_private_segment_fixed_size 0
		.amdhsa_kernarg_size 56
		.amdhsa_user_sgpr_count 2
		.amdhsa_user_sgpr_dispatch_ptr 0
		.amdhsa_user_sgpr_queue_ptr 0
		.amdhsa_user_sgpr_kernarg_segment_ptr 1
		.amdhsa_user_sgpr_dispatch_id 0
		.amdhsa_user_sgpr_kernarg_preload_length 0
		.amdhsa_user_sgpr_kernarg_preload_offset 0
		.amdhsa_user_sgpr_private_segment_size 0
		.amdhsa_uses_dynamic_stack 0
		.amdhsa_enable_private_segment 0
		.amdhsa_system_sgpr_workgroup_id_x 1
		.amdhsa_system_sgpr_workgroup_id_y 0
		.amdhsa_system_sgpr_workgroup_id_z 0
		.amdhsa_system_sgpr_workgroup_info 0
		.amdhsa_system_vgpr_workitem_id 0
		.amdhsa_next_free_vgpr 1
		.amdhsa_next_free_sgpr 0
		.amdhsa_accum_offset 4
		.amdhsa_reserve_vcc 0
		.amdhsa_float_round_mode_32 0
		.amdhsa_float_round_mode_16_64 0
		.amdhsa_float_denorm_mode_32 3
		.amdhsa_float_denorm_mode_16_64 3
		.amdhsa_dx10_clamp 1
		.amdhsa_ieee_mode 1
		.amdhsa_fp16_overflow 0
		.amdhsa_tg_split 0
		.amdhsa_exception_fp_ieee_invalid_op 0
		.amdhsa_exception_fp_denorm_src 0
		.amdhsa_exception_fp_ieee_div_zero 0
		.amdhsa_exception_fp_ieee_overflow 0
		.amdhsa_exception_fp_ieee_underflow 0
		.amdhsa_exception_fp_ieee_inexact 0
		.amdhsa_exception_int_div_zero 0
	.end_amdhsa_kernel
	.section	.text._ZN7rocprim17ROCPRIM_400000_NS6detail17trampoline_kernelINS0_14default_configENS1_22reduce_config_selectorIiEEZNS1_11reduce_implILb1ES3_PiS7_iN6thrust23THRUST_200600_302600_NS4plusIiEEEE10hipError_tPvRmT1_T2_T3_mT4_P12ihipStream_tbEUlT_E0_NS1_11comp_targetILNS1_3genE9ELNS1_11target_archE1100ELNS1_3gpuE3ELNS1_3repE0EEENS1_30default_config_static_selectorELNS0_4arch9wavefront6targetE1EEEvSF_,"axG",@progbits,_ZN7rocprim17ROCPRIM_400000_NS6detail17trampoline_kernelINS0_14default_configENS1_22reduce_config_selectorIiEEZNS1_11reduce_implILb1ES3_PiS7_iN6thrust23THRUST_200600_302600_NS4plusIiEEEE10hipError_tPvRmT1_T2_T3_mT4_P12ihipStream_tbEUlT_E0_NS1_11comp_targetILNS1_3genE9ELNS1_11target_archE1100ELNS1_3gpuE3ELNS1_3repE0EEENS1_30default_config_static_selectorELNS0_4arch9wavefront6targetE1EEEvSF_,comdat
.Lfunc_end231:
	.size	_ZN7rocprim17ROCPRIM_400000_NS6detail17trampoline_kernelINS0_14default_configENS1_22reduce_config_selectorIiEEZNS1_11reduce_implILb1ES3_PiS7_iN6thrust23THRUST_200600_302600_NS4plusIiEEEE10hipError_tPvRmT1_T2_T3_mT4_P12ihipStream_tbEUlT_E0_NS1_11comp_targetILNS1_3genE9ELNS1_11target_archE1100ELNS1_3gpuE3ELNS1_3repE0EEENS1_30default_config_static_selectorELNS0_4arch9wavefront6targetE1EEEvSF_, .Lfunc_end231-_ZN7rocprim17ROCPRIM_400000_NS6detail17trampoline_kernelINS0_14default_configENS1_22reduce_config_selectorIiEEZNS1_11reduce_implILb1ES3_PiS7_iN6thrust23THRUST_200600_302600_NS4plusIiEEEE10hipError_tPvRmT1_T2_T3_mT4_P12ihipStream_tbEUlT_E0_NS1_11comp_targetILNS1_3genE9ELNS1_11target_archE1100ELNS1_3gpuE3ELNS1_3repE0EEENS1_30default_config_static_selectorELNS0_4arch9wavefront6targetE1EEEvSF_
                                        ; -- End function
	.set _ZN7rocprim17ROCPRIM_400000_NS6detail17trampoline_kernelINS0_14default_configENS1_22reduce_config_selectorIiEEZNS1_11reduce_implILb1ES3_PiS7_iN6thrust23THRUST_200600_302600_NS4plusIiEEEE10hipError_tPvRmT1_T2_T3_mT4_P12ihipStream_tbEUlT_E0_NS1_11comp_targetILNS1_3genE9ELNS1_11target_archE1100ELNS1_3gpuE3ELNS1_3repE0EEENS1_30default_config_static_selectorELNS0_4arch9wavefront6targetE1EEEvSF_.num_vgpr, 0
	.set _ZN7rocprim17ROCPRIM_400000_NS6detail17trampoline_kernelINS0_14default_configENS1_22reduce_config_selectorIiEEZNS1_11reduce_implILb1ES3_PiS7_iN6thrust23THRUST_200600_302600_NS4plusIiEEEE10hipError_tPvRmT1_T2_T3_mT4_P12ihipStream_tbEUlT_E0_NS1_11comp_targetILNS1_3genE9ELNS1_11target_archE1100ELNS1_3gpuE3ELNS1_3repE0EEENS1_30default_config_static_selectorELNS0_4arch9wavefront6targetE1EEEvSF_.num_agpr, 0
	.set _ZN7rocprim17ROCPRIM_400000_NS6detail17trampoline_kernelINS0_14default_configENS1_22reduce_config_selectorIiEEZNS1_11reduce_implILb1ES3_PiS7_iN6thrust23THRUST_200600_302600_NS4plusIiEEEE10hipError_tPvRmT1_T2_T3_mT4_P12ihipStream_tbEUlT_E0_NS1_11comp_targetILNS1_3genE9ELNS1_11target_archE1100ELNS1_3gpuE3ELNS1_3repE0EEENS1_30default_config_static_selectorELNS0_4arch9wavefront6targetE1EEEvSF_.numbered_sgpr, 0
	.set _ZN7rocprim17ROCPRIM_400000_NS6detail17trampoline_kernelINS0_14default_configENS1_22reduce_config_selectorIiEEZNS1_11reduce_implILb1ES3_PiS7_iN6thrust23THRUST_200600_302600_NS4plusIiEEEE10hipError_tPvRmT1_T2_T3_mT4_P12ihipStream_tbEUlT_E0_NS1_11comp_targetILNS1_3genE9ELNS1_11target_archE1100ELNS1_3gpuE3ELNS1_3repE0EEENS1_30default_config_static_selectorELNS0_4arch9wavefront6targetE1EEEvSF_.num_named_barrier, 0
	.set _ZN7rocprim17ROCPRIM_400000_NS6detail17trampoline_kernelINS0_14default_configENS1_22reduce_config_selectorIiEEZNS1_11reduce_implILb1ES3_PiS7_iN6thrust23THRUST_200600_302600_NS4plusIiEEEE10hipError_tPvRmT1_T2_T3_mT4_P12ihipStream_tbEUlT_E0_NS1_11comp_targetILNS1_3genE9ELNS1_11target_archE1100ELNS1_3gpuE3ELNS1_3repE0EEENS1_30default_config_static_selectorELNS0_4arch9wavefront6targetE1EEEvSF_.private_seg_size, 0
	.set _ZN7rocprim17ROCPRIM_400000_NS6detail17trampoline_kernelINS0_14default_configENS1_22reduce_config_selectorIiEEZNS1_11reduce_implILb1ES3_PiS7_iN6thrust23THRUST_200600_302600_NS4plusIiEEEE10hipError_tPvRmT1_T2_T3_mT4_P12ihipStream_tbEUlT_E0_NS1_11comp_targetILNS1_3genE9ELNS1_11target_archE1100ELNS1_3gpuE3ELNS1_3repE0EEENS1_30default_config_static_selectorELNS0_4arch9wavefront6targetE1EEEvSF_.uses_vcc, 0
	.set _ZN7rocprim17ROCPRIM_400000_NS6detail17trampoline_kernelINS0_14default_configENS1_22reduce_config_selectorIiEEZNS1_11reduce_implILb1ES3_PiS7_iN6thrust23THRUST_200600_302600_NS4plusIiEEEE10hipError_tPvRmT1_T2_T3_mT4_P12ihipStream_tbEUlT_E0_NS1_11comp_targetILNS1_3genE9ELNS1_11target_archE1100ELNS1_3gpuE3ELNS1_3repE0EEENS1_30default_config_static_selectorELNS0_4arch9wavefront6targetE1EEEvSF_.uses_flat_scratch, 0
	.set _ZN7rocprim17ROCPRIM_400000_NS6detail17trampoline_kernelINS0_14default_configENS1_22reduce_config_selectorIiEEZNS1_11reduce_implILb1ES3_PiS7_iN6thrust23THRUST_200600_302600_NS4plusIiEEEE10hipError_tPvRmT1_T2_T3_mT4_P12ihipStream_tbEUlT_E0_NS1_11comp_targetILNS1_3genE9ELNS1_11target_archE1100ELNS1_3gpuE3ELNS1_3repE0EEENS1_30default_config_static_selectorELNS0_4arch9wavefront6targetE1EEEvSF_.has_dyn_sized_stack, 0
	.set _ZN7rocprim17ROCPRIM_400000_NS6detail17trampoline_kernelINS0_14default_configENS1_22reduce_config_selectorIiEEZNS1_11reduce_implILb1ES3_PiS7_iN6thrust23THRUST_200600_302600_NS4plusIiEEEE10hipError_tPvRmT1_T2_T3_mT4_P12ihipStream_tbEUlT_E0_NS1_11comp_targetILNS1_3genE9ELNS1_11target_archE1100ELNS1_3gpuE3ELNS1_3repE0EEENS1_30default_config_static_selectorELNS0_4arch9wavefront6targetE1EEEvSF_.has_recursion, 0
	.set _ZN7rocprim17ROCPRIM_400000_NS6detail17trampoline_kernelINS0_14default_configENS1_22reduce_config_selectorIiEEZNS1_11reduce_implILb1ES3_PiS7_iN6thrust23THRUST_200600_302600_NS4plusIiEEEE10hipError_tPvRmT1_T2_T3_mT4_P12ihipStream_tbEUlT_E0_NS1_11comp_targetILNS1_3genE9ELNS1_11target_archE1100ELNS1_3gpuE3ELNS1_3repE0EEENS1_30default_config_static_selectorELNS0_4arch9wavefront6targetE1EEEvSF_.has_indirect_call, 0
	.section	.AMDGPU.csdata,"",@progbits
; Kernel info:
; codeLenInByte = 0
; TotalNumSgprs: 6
; NumVgprs: 0
; NumAgprs: 0
; TotalNumVgprs: 0
; ScratchSize: 0
; MemoryBound: 0
; FloatMode: 240
; IeeeMode: 1
; LDSByteSize: 0 bytes/workgroup (compile time only)
; SGPRBlocks: 0
; VGPRBlocks: 0
; NumSGPRsForWavesPerEU: 6
; NumVGPRsForWavesPerEU: 1
; AccumOffset: 4
; Occupancy: 8
; WaveLimiterHint : 0
; COMPUTE_PGM_RSRC2:SCRATCH_EN: 0
; COMPUTE_PGM_RSRC2:USER_SGPR: 2
; COMPUTE_PGM_RSRC2:TRAP_HANDLER: 0
; COMPUTE_PGM_RSRC2:TGID_X_EN: 1
; COMPUTE_PGM_RSRC2:TGID_Y_EN: 0
; COMPUTE_PGM_RSRC2:TGID_Z_EN: 0
; COMPUTE_PGM_RSRC2:TIDIG_COMP_CNT: 0
; COMPUTE_PGM_RSRC3_GFX90A:ACCUM_OFFSET: 0
; COMPUTE_PGM_RSRC3_GFX90A:TG_SPLIT: 0
	.section	.text._ZN7rocprim17ROCPRIM_400000_NS6detail17trampoline_kernelINS0_14default_configENS1_22reduce_config_selectorIiEEZNS1_11reduce_implILb1ES3_PiS7_iN6thrust23THRUST_200600_302600_NS4plusIiEEEE10hipError_tPvRmT1_T2_T3_mT4_P12ihipStream_tbEUlT_E0_NS1_11comp_targetILNS1_3genE8ELNS1_11target_archE1030ELNS1_3gpuE2ELNS1_3repE0EEENS1_30default_config_static_selectorELNS0_4arch9wavefront6targetE1EEEvSF_,"axG",@progbits,_ZN7rocprim17ROCPRIM_400000_NS6detail17trampoline_kernelINS0_14default_configENS1_22reduce_config_selectorIiEEZNS1_11reduce_implILb1ES3_PiS7_iN6thrust23THRUST_200600_302600_NS4plusIiEEEE10hipError_tPvRmT1_T2_T3_mT4_P12ihipStream_tbEUlT_E0_NS1_11comp_targetILNS1_3genE8ELNS1_11target_archE1030ELNS1_3gpuE2ELNS1_3repE0EEENS1_30default_config_static_selectorELNS0_4arch9wavefront6targetE1EEEvSF_,comdat
	.protected	_ZN7rocprim17ROCPRIM_400000_NS6detail17trampoline_kernelINS0_14default_configENS1_22reduce_config_selectorIiEEZNS1_11reduce_implILb1ES3_PiS7_iN6thrust23THRUST_200600_302600_NS4plusIiEEEE10hipError_tPvRmT1_T2_T3_mT4_P12ihipStream_tbEUlT_E0_NS1_11comp_targetILNS1_3genE8ELNS1_11target_archE1030ELNS1_3gpuE2ELNS1_3repE0EEENS1_30default_config_static_selectorELNS0_4arch9wavefront6targetE1EEEvSF_ ; -- Begin function _ZN7rocprim17ROCPRIM_400000_NS6detail17trampoline_kernelINS0_14default_configENS1_22reduce_config_selectorIiEEZNS1_11reduce_implILb1ES3_PiS7_iN6thrust23THRUST_200600_302600_NS4plusIiEEEE10hipError_tPvRmT1_T2_T3_mT4_P12ihipStream_tbEUlT_E0_NS1_11comp_targetILNS1_3genE8ELNS1_11target_archE1030ELNS1_3gpuE2ELNS1_3repE0EEENS1_30default_config_static_selectorELNS0_4arch9wavefront6targetE1EEEvSF_
	.globl	_ZN7rocprim17ROCPRIM_400000_NS6detail17trampoline_kernelINS0_14default_configENS1_22reduce_config_selectorIiEEZNS1_11reduce_implILb1ES3_PiS7_iN6thrust23THRUST_200600_302600_NS4plusIiEEEE10hipError_tPvRmT1_T2_T3_mT4_P12ihipStream_tbEUlT_E0_NS1_11comp_targetILNS1_3genE8ELNS1_11target_archE1030ELNS1_3gpuE2ELNS1_3repE0EEENS1_30default_config_static_selectorELNS0_4arch9wavefront6targetE1EEEvSF_
	.p2align	8
	.type	_ZN7rocprim17ROCPRIM_400000_NS6detail17trampoline_kernelINS0_14default_configENS1_22reduce_config_selectorIiEEZNS1_11reduce_implILb1ES3_PiS7_iN6thrust23THRUST_200600_302600_NS4plusIiEEEE10hipError_tPvRmT1_T2_T3_mT4_P12ihipStream_tbEUlT_E0_NS1_11comp_targetILNS1_3genE8ELNS1_11target_archE1030ELNS1_3gpuE2ELNS1_3repE0EEENS1_30default_config_static_selectorELNS0_4arch9wavefront6targetE1EEEvSF_,@function
_ZN7rocprim17ROCPRIM_400000_NS6detail17trampoline_kernelINS0_14default_configENS1_22reduce_config_selectorIiEEZNS1_11reduce_implILb1ES3_PiS7_iN6thrust23THRUST_200600_302600_NS4plusIiEEEE10hipError_tPvRmT1_T2_T3_mT4_P12ihipStream_tbEUlT_E0_NS1_11comp_targetILNS1_3genE8ELNS1_11target_archE1030ELNS1_3gpuE2ELNS1_3repE0EEENS1_30default_config_static_selectorELNS0_4arch9wavefront6targetE1EEEvSF_: ; @_ZN7rocprim17ROCPRIM_400000_NS6detail17trampoline_kernelINS0_14default_configENS1_22reduce_config_selectorIiEEZNS1_11reduce_implILb1ES3_PiS7_iN6thrust23THRUST_200600_302600_NS4plusIiEEEE10hipError_tPvRmT1_T2_T3_mT4_P12ihipStream_tbEUlT_E0_NS1_11comp_targetILNS1_3genE8ELNS1_11target_archE1030ELNS1_3gpuE2ELNS1_3repE0EEENS1_30default_config_static_selectorELNS0_4arch9wavefront6targetE1EEEvSF_
; %bb.0:
	.section	.rodata,"a",@progbits
	.p2align	6, 0x0
	.amdhsa_kernel _ZN7rocprim17ROCPRIM_400000_NS6detail17trampoline_kernelINS0_14default_configENS1_22reduce_config_selectorIiEEZNS1_11reduce_implILb1ES3_PiS7_iN6thrust23THRUST_200600_302600_NS4plusIiEEEE10hipError_tPvRmT1_T2_T3_mT4_P12ihipStream_tbEUlT_E0_NS1_11comp_targetILNS1_3genE8ELNS1_11target_archE1030ELNS1_3gpuE2ELNS1_3repE0EEENS1_30default_config_static_selectorELNS0_4arch9wavefront6targetE1EEEvSF_
		.amdhsa_group_segment_fixed_size 0
		.amdhsa_private_segment_fixed_size 0
		.amdhsa_kernarg_size 56
		.amdhsa_user_sgpr_count 2
		.amdhsa_user_sgpr_dispatch_ptr 0
		.amdhsa_user_sgpr_queue_ptr 0
		.amdhsa_user_sgpr_kernarg_segment_ptr 1
		.amdhsa_user_sgpr_dispatch_id 0
		.amdhsa_user_sgpr_kernarg_preload_length 0
		.amdhsa_user_sgpr_kernarg_preload_offset 0
		.amdhsa_user_sgpr_private_segment_size 0
		.amdhsa_uses_dynamic_stack 0
		.amdhsa_enable_private_segment 0
		.amdhsa_system_sgpr_workgroup_id_x 1
		.amdhsa_system_sgpr_workgroup_id_y 0
		.amdhsa_system_sgpr_workgroup_id_z 0
		.amdhsa_system_sgpr_workgroup_info 0
		.amdhsa_system_vgpr_workitem_id 0
		.amdhsa_next_free_vgpr 1
		.amdhsa_next_free_sgpr 0
		.amdhsa_accum_offset 4
		.amdhsa_reserve_vcc 0
		.amdhsa_float_round_mode_32 0
		.amdhsa_float_round_mode_16_64 0
		.amdhsa_float_denorm_mode_32 3
		.amdhsa_float_denorm_mode_16_64 3
		.amdhsa_dx10_clamp 1
		.amdhsa_ieee_mode 1
		.amdhsa_fp16_overflow 0
		.amdhsa_tg_split 0
		.amdhsa_exception_fp_ieee_invalid_op 0
		.amdhsa_exception_fp_denorm_src 0
		.amdhsa_exception_fp_ieee_div_zero 0
		.amdhsa_exception_fp_ieee_overflow 0
		.amdhsa_exception_fp_ieee_underflow 0
		.amdhsa_exception_fp_ieee_inexact 0
		.amdhsa_exception_int_div_zero 0
	.end_amdhsa_kernel
	.section	.text._ZN7rocprim17ROCPRIM_400000_NS6detail17trampoline_kernelINS0_14default_configENS1_22reduce_config_selectorIiEEZNS1_11reduce_implILb1ES3_PiS7_iN6thrust23THRUST_200600_302600_NS4plusIiEEEE10hipError_tPvRmT1_T2_T3_mT4_P12ihipStream_tbEUlT_E0_NS1_11comp_targetILNS1_3genE8ELNS1_11target_archE1030ELNS1_3gpuE2ELNS1_3repE0EEENS1_30default_config_static_selectorELNS0_4arch9wavefront6targetE1EEEvSF_,"axG",@progbits,_ZN7rocprim17ROCPRIM_400000_NS6detail17trampoline_kernelINS0_14default_configENS1_22reduce_config_selectorIiEEZNS1_11reduce_implILb1ES3_PiS7_iN6thrust23THRUST_200600_302600_NS4plusIiEEEE10hipError_tPvRmT1_T2_T3_mT4_P12ihipStream_tbEUlT_E0_NS1_11comp_targetILNS1_3genE8ELNS1_11target_archE1030ELNS1_3gpuE2ELNS1_3repE0EEENS1_30default_config_static_selectorELNS0_4arch9wavefront6targetE1EEEvSF_,comdat
.Lfunc_end232:
	.size	_ZN7rocprim17ROCPRIM_400000_NS6detail17trampoline_kernelINS0_14default_configENS1_22reduce_config_selectorIiEEZNS1_11reduce_implILb1ES3_PiS7_iN6thrust23THRUST_200600_302600_NS4plusIiEEEE10hipError_tPvRmT1_T2_T3_mT4_P12ihipStream_tbEUlT_E0_NS1_11comp_targetILNS1_3genE8ELNS1_11target_archE1030ELNS1_3gpuE2ELNS1_3repE0EEENS1_30default_config_static_selectorELNS0_4arch9wavefront6targetE1EEEvSF_, .Lfunc_end232-_ZN7rocprim17ROCPRIM_400000_NS6detail17trampoline_kernelINS0_14default_configENS1_22reduce_config_selectorIiEEZNS1_11reduce_implILb1ES3_PiS7_iN6thrust23THRUST_200600_302600_NS4plusIiEEEE10hipError_tPvRmT1_T2_T3_mT4_P12ihipStream_tbEUlT_E0_NS1_11comp_targetILNS1_3genE8ELNS1_11target_archE1030ELNS1_3gpuE2ELNS1_3repE0EEENS1_30default_config_static_selectorELNS0_4arch9wavefront6targetE1EEEvSF_
                                        ; -- End function
	.set _ZN7rocprim17ROCPRIM_400000_NS6detail17trampoline_kernelINS0_14default_configENS1_22reduce_config_selectorIiEEZNS1_11reduce_implILb1ES3_PiS7_iN6thrust23THRUST_200600_302600_NS4plusIiEEEE10hipError_tPvRmT1_T2_T3_mT4_P12ihipStream_tbEUlT_E0_NS1_11comp_targetILNS1_3genE8ELNS1_11target_archE1030ELNS1_3gpuE2ELNS1_3repE0EEENS1_30default_config_static_selectorELNS0_4arch9wavefront6targetE1EEEvSF_.num_vgpr, 0
	.set _ZN7rocprim17ROCPRIM_400000_NS6detail17trampoline_kernelINS0_14default_configENS1_22reduce_config_selectorIiEEZNS1_11reduce_implILb1ES3_PiS7_iN6thrust23THRUST_200600_302600_NS4plusIiEEEE10hipError_tPvRmT1_T2_T3_mT4_P12ihipStream_tbEUlT_E0_NS1_11comp_targetILNS1_3genE8ELNS1_11target_archE1030ELNS1_3gpuE2ELNS1_3repE0EEENS1_30default_config_static_selectorELNS0_4arch9wavefront6targetE1EEEvSF_.num_agpr, 0
	.set _ZN7rocprim17ROCPRIM_400000_NS6detail17trampoline_kernelINS0_14default_configENS1_22reduce_config_selectorIiEEZNS1_11reduce_implILb1ES3_PiS7_iN6thrust23THRUST_200600_302600_NS4plusIiEEEE10hipError_tPvRmT1_T2_T3_mT4_P12ihipStream_tbEUlT_E0_NS1_11comp_targetILNS1_3genE8ELNS1_11target_archE1030ELNS1_3gpuE2ELNS1_3repE0EEENS1_30default_config_static_selectorELNS0_4arch9wavefront6targetE1EEEvSF_.numbered_sgpr, 0
	.set _ZN7rocprim17ROCPRIM_400000_NS6detail17trampoline_kernelINS0_14default_configENS1_22reduce_config_selectorIiEEZNS1_11reduce_implILb1ES3_PiS7_iN6thrust23THRUST_200600_302600_NS4plusIiEEEE10hipError_tPvRmT1_T2_T3_mT4_P12ihipStream_tbEUlT_E0_NS1_11comp_targetILNS1_3genE8ELNS1_11target_archE1030ELNS1_3gpuE2ELNS1_3repE0EEENS1_30default_config_static_selectorELNS0_4arch9wavefront6targetE1EEEvSF_.num_named_barrier, 0
	.set _ZN7rocprim17ROCPRIM_400000_NS6detail17trampoline_kernelINS0_14default_configENS1_22reduce_config_selectorIiEEZNS1_11reduce_implILb1ES3_PiS7_iN6thrust23THRUST_200600_302600_NS4plusIiEEEE10hipError_tPvRmT1_T2_T3_mT4_P12ihipStream_tbEUlT_E0_NS1_11comp_targetILNS1_3genE8ELNS1_11target_archE1030ELNS1_3gpuE2ELNS1_3repE0EEENS1_30default_config_static_selectorELNS0_4arch9wavefront6targetE1EEEvSF_.private_seg_size, 0
	.set _ZN7rocprim17ROCPRIM_400000_NS6detail17trampoline_kernelINS0_14default_configENS1_22reduce_config_selectorIiEEZNS1_11reduce_implILb1ES3_PiS7_iN6thrust23THRUST_200600_302600_NS4plusIiEEEE10hipError_tPvRmT1_T2_T3_mT4_P12ihipStream_tbEUlT_E0_NS1_11comp_targetILNS1_3genE8ELNS1_11target_archE1030ELNS1_3gpuE2ELNS1_3repE0EEENS1_30default_config_static_selectorELNS0_4arch9wavefront6targetE1EEEvSF_.uses_vcc, 0
	.set _ZN7rocprim17ROCPRIM_400000_NS6detail17trampoline_kernelINS0_14default_configENS1_22reduce_config_selectorIiEEZNS1_11reduce_implILb1ES3_PiS7_iN6thrust23THRUST_200600_302600_NS4plusIiEEEE10hipError_tPvRmT1_T2_T3_mT4_P12ihipStream_tbEUlT_E0_NS1_11comp_targetILNS1_3genE8ELNS1_11target_archE1030ELNS1_3gpuE2ELNS1_3repE0EEENS1_30default_config_static_selectorELNS0_4arch9wavefront6targetE1EEEvSF_.uses_flat_scratch, 0
	.set _ZN7rocprim17ROCPRIM_400000_NS6detail17trampoline_kernelINS0_14default_configENS1_22reduce_config_selectorIiEEZNS1_11reduce_implILb1ES3_PiS7_iN6thrust23THRUST_200600_302600_NS4plusIiEEEE10hipError_tPvRmT1_T2_T3_mT4_P12ihipStream_tbEUlT_E0_NS1_11comp_targetILNS1_3genE8ELNS1_11target_archE1030ELNS1_3gpuE2ELNS1_3repE0EEENS1_30default_config_static_selectorELNS0_4arch9wavefront6targetE1EEEvSF_.has_dyn_sized_stack, 0
	.set _ZN7rocprim17ROCPRIM_400000_NS6detail17trampoline_kernelINS0_14default_configENS1_22reduce_config_selectorIiEEZNS1_11reduce_implILb1ES3_PiS7_iN6thrust23THRUST_200600_302600_NS4plusIiEEEE10hipError_tPvRmT1_T2_T3_mT4_P12ihipStream_tbEUlT_E0_NS1_11comp_targetILNS1_3genE8ELNS1_11target_archE1030ELNS1_3gpuE2ELNS1_3repE0EEENS1_30default_config_static_selectorELNS0_4arch9wavefront6targetE1EEEvSF_.has_recursion, 0
	.set _ZN7rocprim17ROCPRIM_400000_NS6detail17trampoline_kernelINS0_14default_configENS1_22reduce_config_selectorIiEEZNS1_11reduce_implILb1ES3_PiS7_iN6thrust23THRUST_200600_302600_NS4plusIiEEEE10hipError_tPvRmT1_T2_T3_mT4_P12ihipStream_tbEUlT_E0_NS1_11comp_targetILNS1_3genE8ELNS1_11target_archE1030ELNS1_3gpuE2ELNS1_3repE0EEENS1_30default_config_static_selectorELNS0_4arch9wavefront6targetE1EEEvSF_.has_indirect_call, 0
	.section	.AMDGPU.csdata,"",@progbits
; Kernel info:
; codeLenInByte = 0
; TotalNumSgprs: 6
; NumVgprs: 0
; NumAgprs: 0
; TotalNumVgprs: 0
; ScratchSize: 0
; MemoryBound: 0
; FloatMode: 240
; IeeeMode: 1
; LDSByteSize: 0 bytes/workgroup (compile time only)
; SGPRBlocks: 0
; VGPRBlocks: 0
; NumSGPRsForWavesPerEU: 6
; NumVGPRsForWavesPerEU: 1
; AccumOffset: 4
; Occupancy: 8
; WaveLimiterHint : 0
; COMPUTE_PGM_RSRC2:SCRATCH_EN: 0
; COMPUTE_PGM_RSRC2:USER_SGPR: 2
; COMPUTE_PGM_RSRC2:TRAP_HANDLER: 0
; COMPUTE_PGM_RSRC2:TGID_X_EN: 1
; COMPUTE_PGM_RSRC2:TGID_Y_EN: 0
; COMPUTE_PGM_RSRC2:TGID_Z_EN: 0
; COMPUTE_PGM_RSRC2:TIDIG_COMP_CNT: 0
; COMPUTE_PGM_RSRC3_GFX90A:ACCUM_OFFSET: 0
; COMPUTE_PGM_RSRC3_GFX90A:TG_SPLIT: 0
	.section	.text._ZN7rocprim17ROCPRIM_400000_NS6detail17trampoline_kernelINS0_14default_configENS1_22reduce_config_selectorIiEEZNS1_11reduce_implILb1ES3_PiS7_iN6thrust23THRUST_200600_302600_NS4plusIiEEEE10hipError_tPvRmT1_T2_T3_mT4_P12ihipStream_tbEUlT_E1_NS1_11comp_targetILNS1_3genE0ELNS1_11target_archE4294967295ELNS1_3gpuE0ELNS1_3repE0EEENS1_30default_config_static_selectorELNS0_4arch9wavefront6targetE1EEEvSF_,"axG",@progbits,_ZN7rocprim17ROCPRIM_400000_NS6detail17trampoline_kernelINS0_14default_configENS1_22reduce_config_selectorIiEEZNS1_11reduce_implILb1ES3_PiS7_iN6thrust23THRUST_200600_302600_NS4plusIiEEEE10hipError_tPvRmT1_T2_T3_mT4_P12ihipStream_tbEUlT_E1_NS1_11comp_targetILNS1_3genE0ELNS1_11target_archE4294967295ELNS1_3gpuE0ELNS1_3repE0EEENS1_30default_config_static_selectorELNS0_4arch9wavefront6targetE1EEEvSF_,comdat
	.protected	_ZN7rocprim17ROCPRIM_400000_NS6detail17trampoline_kernelINS0_14default_configENS1_22reduce_config_selectorIiEEZNS1_11reduce_implILb1ES3_PiS7_iN6thrust23THRUST_200600_302600_NS4plusIiEEEE10hipError_tPvRmT1_T2_T3_mT4_P12ihipStream_tbEUlT_E1_NS1_11comp_targetILNS1_3genE0ELNS1_11target_archE4294967295ELNS1_3gpuE0ELNS1_3repE0EEENS1_30default_config_static_selectorELNS0_4arch9wavefront6targetE1EEEvSF_ ; -- Begin function _ZN7rocprim17ROCPRIM_400000_NS6detail17trampoline_kernelINS0_14default_configENS1_22reduce_config_selectorIiEEZNS1_11reduce_implILb1ES3_PiS7_iN6thrust23THRUST_200600_302600_NS4plusIiEEEE10hipError_tPvRmT1_T2_T3_mT4_P12ihipStream_tbEUlT_E1_NS1_11comp_targetILNS1_3genE0ELNS1_11target_archE4294967295ELNS1_3gpuE0ELNS1_3repE0EEENS1_30default_config_static_selectorELNS0_4arch9wavefront6targetE1EEEvSF_
	.globl	_ZN7rocprim17ROCPRIM_400000_NS6detail17trampoline_kernelINS0_14default_configENS1_22reduce_config_selectorIiEEZNS1_11reduce_implILb1ES3_PiS7_iN6thrust23THRUST_200600_302600_NS4plusIiEEEE10hipError_tPvRmT1_T2_T3_mT4_P12ihipStream_tbEUlT_E1_NS1_11comp_targetILNS1_3genE0ELNS1_11target_archE4294967295ELNS1_3gpuE0ELNS1_3repE0EEENS1_30default_config_static_selectorELNS0_4arch9wavefront6targetE1EEEvSF_
	.p2align	8
	.type	_ZN7rocprim17ROCPRIM_400000_NS6detail17trampoline_kernelINS0_14default_configENS1_22reduce_config_selectorIiEEZNS1_11reduce_implILb1ES3_PiS7_iN6thrust23THRUST_200600_302600_NS4plusIiEEEE10hipError_tPvRmT1_T2_T3_mT4_P12ihipStream_tbEUlT_E1_NS1_11comp_targetILNS1_3genE0ELNS1_11target_archE4294967295ELNS1_3gpuE0ELNS1_3repE0EEENS1_30default_config_static_selectorELNS0_4arch9wavefront6targetE1EEEvSF_,@function
_ZN7rocprim17ROCPRIM_400000_NS6detail17trampoline_kernelINS0_14default_configENS1_22reduce_config_selectorIiEEZNS1_11reduce_implILb1ES3_PiS7_iN6thrust23THRUST_200600_302600_NS4plusIiEEEE10hipError_tPvRmT1_T2_T3_mT4_P12ihipStream_tbEUlT_E1_NS1_11comp_targetILNS1_3genE0ELNS1_11target_archE4294967295ELNS1_3gpuE0ELNS1_3repE0EEENS1_30default_config_static_selectorELNS0_4arch9wavefront6targetE1EEEvSF_: ; @_ZN7rocprim17ROCPRIM_400000_NS6detail17trampoline_kernelINS0_14default_configENS1_22reduce_config_selectorIiEEZNS1_11reduce_implILb1ES3_PiS7_iN6thrust23THRUST_200600_302600_NS4plusIiEEEE10hipError_tPvRmT1_T2_T3_mT4_P12ihipStream_tbEUlT_E1_NS1_11comp_targetILNS1_3genE0ELNS1_11target_archE4294967295ELNS1_3gpuE0ELNS1_3repE0EEENS1_30default_config_static_selectorELNS0_4arch9wavefront6targetE1EEEvSF_
; %bb.0:
	s_load_dword s33, s[0:1], 0x4
	s_load_dwordx4 s[68:71], s[0:1], 0x8
	s_waitcnt lgkmcnt(0)
	s_cmp_lt_i32 s33, 8
	s_cbranch_scc1 .LBB233_11
; %bb.1:
	s_cmp_gt_i32 s33, 15
	s_cbranch_scc0 .LBB233_12
; %bb.2:
	s_cmp_gt_i32 s33, 31
	s_cbranch_scc0 .LBB233_13
; %bb.3:
	s_cmp_eq_u32 s33, 32
	s_mov_b64 s[66:67], 0
	s_cbranch_scc0 .LBB233_14
; %bb.4:
	s_mov_b32 s3, 0
	s_lshl_b32 s4, s2, 13
	s_mov_b32 s5, s3
	s_lshr_b64 s[6:7], s[70:71], 13
	s_lshl_b64 s[8:9], s[4:5], 2
	s_add_u32 s72, s68, s8
	s_addc_u32 s73, s69, s9
	s_cmp_lg_u64 s[6:7], s[2:3]
	s_cbranch_scc0 .LBB233_23
; %bb.5:
	v_lshlrev_b32_e32 v2, 2, v0
	v_mov_b32_e32 v3, 0
	v_lshl_add_u64 v[4:5], s[72:73], 0, v[2:3]
	global_load_dword v1, v2, s[72:73]
	global_load_dword v8, v2, s[72:73] offset:1024
	global_load_dword v9, v2, s[72:73] offset:2048
	;; [unrolled: 1-line block ×3, first 2 shown]
	v_add_co_u32_e32 v2, vcc, 0x1000, v4
	s_waitcnt vmcnt(2)
	v_add_u32_e32 v1, v8, v1
	v_addc_co_u32_e32 v3, vcc, 0, v5, vcc
	v_add_co_u32_e32 v6, vcc, 0x2000, v4
	s_waitcnt vmcnt(0)
	v_add3_u32 v1, v1, v9, v10
	v_addc_co_u32_e32 v7, vcc, 0, v5, vcc
	global_load_dword v11, v[2:3], off
	global_load_dword v12, v[2:3], off offset:1024
	global_load_dword v13, v[2:3], off offset:2048
	global_load_dword v14, v[2:3], off offset:3072
	global_load_dword v15, v[6:7], off
	global_load_dword v16, v[6:7], off offset:1024
	global_load_dword v17, v[6:7], off offset:2048
	global_load_dword v18, v[6:7], off offset:3072
	v_add_co_u32_e32 v2, vcc, 0x3000, v4
	s_waitcnt vmcnt(6)
	v_add3_u32 v1, v1, v11, v12
	v_addc_co_u32_e32 v3, vcc, 0, v5, vcc
	v_add_co_u32_e32 v6, vcc, 0x4000, v4
	s_waitcnt vmcnt(4)
	v_add3_u32 v1, v1, v13, v14
	v_addc_co_u32_e32 v7, vcc, 0, v5, vcc
	global_load_dword v19, v[2:3], off
	global_load_dword v20, v[2:3], off offset:1024
	global_load_dword v21, v[2:3], off offset:2048
	global_load_dword v22, v[2:3], off offset:3072
	global_load_dword v23, v[6:7], off
	global_load_dword v24, v[6:7], off offset:1024
	global_load_dword v25, v[6:7], off offset:2048
	global_load_dword v26, v[6:7], off offset:3072
	v_add_co_u32_e32 v2, vcc, 0x5000, v4
	s_waitcnt vmcnt(10)
	v_add3_u32 v1, v1, v15, v16
	;; [unrolled: 16-line block ×3, first 2 shown]
	v_addc_co_u32_e32 v3, vcc, 0, v5, vcc
	global_load_dword v4, v[2:3], off
	global_load_dword v5, v[2:3], off offset:1024
	global_load_dword v6, v[2:3], off offset:2048
	;; [unrolled: 1-line block ×3, first 2 shown]
	s_waitcnt vmcnt(16)
	v_add3_u32 v1, v1, v21, v22
	s_waitcnt vmcnt(14)
	v_add3_u32 v1, v1, v23, v24
	s_waitcnt vmcnt(12)
	v_add3_u32 v1, v1, v25, v26
	v_mbcnt_lo_u32_b32 v2, -1, 0
	v_mbcnt_hi_u32_b32 v2, -1, v2
	v_lshlrev_b32_e32 v3, 2, v2
	v_cmp_eq_u32_e32 vcc, 0, v2
	s_waitcnt vmcnt(10)
	v_add3_u32 v1, v1, v27, v28
	s_waitcnt vmcnt(8)
	v_add3_u32 v1, v1, v29, v30
	;; [unrolled: 2-line block ×5, first 2 shown]
	v_or_b32_e32 v4, 0xfc, v3
	s_waitcnt vmcnt(0)
	v_add3_u32 v1, v1, v6, v7
	s_nop 1
	v_add_u32_dpp v1, v1, v1 quad_perm:[1,0,3,2] row_mask:0xf bank_mask:0xf bound_ctrl:1
	s_nop 1
	v_add_u32_dpp v1, v1, v1 quad_perm:[2,3,0,1] row_mask:0xf bank_mask:0xf bound_ctrl:1
	s_nop 1
	v_add_u32_dpp v1, v1, v1 row_ror:4 row_mask:0xf bank_mask:0xf bound_ctrl:1
	s_nop 1
	v_add_u32_dpp v1, v1, v1 row_ror:8 row_mask:0xf bank_mask:0xf bound_ctrl:1
	s_nop 1
	v_add_u32_dpp v1, v1, v1 row_bcast:15 row_mask:0xf bank_mask:0xf bound_ctrl:1
	s_nop 1
	v_add_u32_dpp v1, v1, v1 row_bcast:31 row_mask:0xf bank_mask:0xf bound_ctrl:1
	ds_bpermute_b32 v1, v4, v1
	s_and_saveexec_b64 s[6:7], vcc
	s_cbranch_execz .LBB233_7
; %bb.6:
	v_lshrrev_b32_e32 v4, 4, v0
	v_and_b32_e32 v4, 12, v4
	s_waitcnt lgkmcnt(0)
	ds_write_b32 v4, v1 offset:48
.LBB233_7:
	s_or_b64 exec, exec, s[6:7]
	v_cmp_gt_u32_e32 vcc, 64, v0
	s_waitcnt lgkmcnt(0)
	s_barrier
	s_and_saveexec_b64 s[6:7], vcc
	s_cbranch_execz .LBB233_9
; %bb.8:
	v_and_b32_e32 v1, 3, v2
	v_lshlrev_b32_e32 v4, 2, v1
	ds_read_b32 v4, v4 offset:48
	v_cmp_ne_u32_e32 vcc, 3, v1
	s_nop 1
	v_addc_co_u32_e32 v1, vcc, 0, v2, vcc
	v_lshlrev_b32_e32 v1, 2, v1
	s_waitcnt lgkmcnt(0)
	ds_bpermute_b32 v1, v1, v4
	v_or_b32_e32 v2, 8, v3
	s_waitcnt lgkmcnt(0)
	v_add_u32_e32 v1, v1, v4
	ds_bpermute_b32 v2, v2, v1
	s_waitcnt lgkmcnt(0)
	v_add_u32_e32 v1, v2, v1
.LBB233_9:
	s_or_b64 exec, exec, s[6:7]
.LBB233_10:
	v_cmp_eq_u32_e64 s[4:5], 0, v0
	s_and_b64 vcc, exec, s[66:67]
	s_cbranch_vccnz .LBB233_15
	s_branch .LBB233_93
.LBB233_11:
	s_mov_b64 s[4:5], 0
                                        ; implicit-def: $vgpr1
	s_cbranch_execnz .LBB233_166
	s_branch .LBB233_224
.LBB233_12:
	s_mov_b64 s[4:5], 0
                                        ; implicit-def: $vgpr1
	s_cbranch_execnz .LBB233_134
	s_branch .LBB233_142
.LBB233_13:
	s_mov_b64 s[66:67], -1
.LBB233_14:
	s_mov_b64 s[4:5], 0
                                        ; implicit-def: $vgpr1
	s_and_b64 vcc, exec, s[66:67]
	s_cbranch_vccz .LBB233_93
.LBB233_15:
	s_cmp_eq_u32 s33, 16
	s_cbranch_scc0 .LBB233_22
; %bb.16:
	s_mov_b32 s3, 0
	s_lshl_b32 s4, s2, 12
	s_mov_b32 s5, s3
	s_lshr_b64 s[6:7], s[70:71], 12
	s_lshl_b64 s[8:9], s[4:5], 2
	s_add_u32 s34, s68, s8
	s_addc_u32 s35, s69, s9
	s_cmp_lg_u64 s[6:7], s[2:3]
	s_cbranch_scc0 .LBB233_94
; %bb.17:
	v_lshlrev_b32_e32 v2, 2, v0
	v_mov_b32_e32 v3, 0
	v_lshl_add_u64 v[4:5], s[34:35], 0, v[2:3]
	global_load_dword v1, v2, s[34:35]
	global_load_dword v8, v2, s[34:35] offset:1024
	global_load_dword v9, v2, s[34:35] offset:2048
	;; [unrolled: 1-line block ×3, first 2 shown]
	v_add_co_u32_e32 v2, vcc, 0x1000, v4
	s_waitcnt vmcnt(2)
	v_add_u32_e32 v1, v8, v1
	v_addc_co_u32_e32 v3, vcc, 0, v5, vcc
	v_add_co_u32_e32 v6, vcc, 0x2000, v4
	s_waitcnt vmcnt(0)
	v_add3_u32 v1, v1, v9, v10
	v_addc_co_u32_e32 v7, vcc, 0, v5, vcc
	global_load_dword v11, v[2:3], off
	global_load_dword v12, v[2:3], off offset:1024
	global_load_dword v13, v[2:3], off offset:2048
	;; [unrolled: 1-line block ×3, first 2 shown]
	global_load_dword v15, v[6:7], off
	global_load_dword v16, v[6:7], off offset:1024
	global_load_dword v17, v[6:7], off offset:2048
	;; [unrolled: 1-line block ×3, first 2 shown]
	v_add_co_u32_e32 v2, vcc, 0x3000, v4
	s_waitcnt vmcnt(6)
	v_add3_u32 v1, v1, v11, v12
	v_addc_co_u32_e32 v3, vcc, 0, v5, vcc
	global_load_dword v4, v[2:3], off
	global_load_dword v5, v[2:3], off offset:1024
	global_load_dword v6, v[2:3], off offset:2048
	;; [unrolled: 1-line block ×3, first 2 shown]
	s_waitcnt vmcnt(8)
	v_add3_u32 v1, v1, v13, v14
	s_waitcnt vmcnt(6)
	v_add3_u32 v1, v1, v15, v16
	;; [unrolled: 2-line block ×3, first 2 shown]
	v_mbcnt_lo_u32_b32 v2, -1, 0
	v_mbcnt_hi_u32_b32 v2, -1, v2
	v_lshlrev_b32_e32 v3, 2, v2
	v_cmp_eq_u32_e32 vcc, 0, v2
	s_waitcnt vmcnt(2)
	v_add3_u32 v1, v1, v4, v5
	v_or_b32_e32 v4, 0xfc, v3
	s_waitcnt vmcnt(0)
	v_add3_u32 v1, v1, v6, v7
	s_nop 1
	v_add_u32_dpp v1, v1, v1 quad_perm:[1,0,3,2] row_mask:0xf bank_mask:0xf bound_ctrl:1
	s_nop 1
	v_add_u32_dpp v1, v1, v1 quad_perm:[2,3,0,1] row_mask:0xf bank_mask:0xf bound_ctrl:1
	s_nop 1
	v_add_u32_dpp v1, v1, v1 row_ror:4 row_mask:0xf bank_mask:0xf bound_ctrl:1
	s_nop 1
	v_add_u32_dpp v1, v1, v1 row_ror:8 row_mask:0xf bank_mask:0xf bound_ctrl:1
	s_nop 1
	v_add_u32_dpp v1, v1, v1 row_bcast:15 row_mask:0xf bank_mask:0xf bound_ctrl:1
	s_nop 1
	v_add_u32_dpp v1, v1, v1 row_bcast:31 row_mask:0xf bank_mask:0xf bound_ctrl:1
	ds_bpermute_b32 v1, v4, v1
	s_and_saveexec_b64 s[6:7], vcc
	s_cbranch_execz .LBB233_19
; %bb.18:
	v_lshrrev_b32_e32 v4, 4, v0
	v_and_b32_e32 v4, 12, v4
	s_waitcnt lgkmcnt(0)
	ds_write_b32 v4, v1
.LBB233_19:
	s_or_b64 exec, exec, s[6:7]
	v_cmp_gt_u32_e32 vcc, 64, v0
	s_waitcnt lgkmcnt(0)
	s_barrier
	s_and_saveexec_b64 s[6:7], vcc
	s_cbranch_execz .LBB233_21
; %bb.20:
	v_and_b32_e32 v1, 3, v2
	v_lshlrev_b32_e32 v4, 2, v1
	ds_read_b32 v4, v4
	v_cmp_ne_u32_e32 vcc, 3, v1
	s_nop 1
	v_addc_co_u32_e32 v1, vcc, 0, v2, vcc
	v_lshlrev_b32_e32 v1, 2, v1
	s_waitcnt lgkmcnt(0)
	ds_bpermute_b32 v1, v1, v4
	v_or_b32_e32 v2, 8, v3
	s_waitcnt lgkmcnt(0)
	v_add_u32_e32 v1, v1, v4
	ds_bpermute_b32 v2, v2, v1
	s_waitcnt lgkmcnt(0)
	v_add_u32_e32 v1, v2, v1
.LBB233_21:
	s_or_b64 exec, exec, s[6:7]
	s_mov_b64 s[6:7], 0
	s_branch .LBB233_95
.LBB233_22:
                                        ; implicit-def: $vgpr1
	s_branch .LBB233_142
.LBB233_23:
                                        ; implicit-def: $vgpr1
	s_cbranch_execz .LBB233_10
; %bb.24:
	s_sub_i32 s76, s70, s4
	v_mov_b32_e32 v2, 0
	v_cmp_gt_u32_e32 vcc, s76, v0
	v_mov_b32_e32 v3, v2
	v_mov_b32_e32 v4, v2
	;; [unrolled: 1-line block ×31, first 2 shown]
	s_and_saveexec_b64 s[4:5], vcc
	s_cbranch_execz .LBB233_26
; %bb.25:
	v_lshlrev_b32_e32 v1, 2, v0
	global_load_dword v4, v1, s[72:73]
	v_mov_b32_e32 v5, v2
	v_mov_b32_e32 v6, v2
	;; [unrolled: 1-line block ×31, first 2 shown]
	s_waitcnt vmcnt(0)
	v_mov_b64_e32 v[2:3], v[4:5]
	v_mov_b64_e32 v[4:5], v[6:7]
	;; [unrolled: 1-line block ×16, first 2 shown]
.LBB233_26:
	s_or_b64 exec, exec, s[4:5]
	v_or_b32_e32 v1, 0x100, v0
	v_cmp_gt_u32_e32 vcc, s76, v1
	s_and_saveexec_b64 s[4:5], vcc
	s_cbranch_execz .LBB233_28
; %bb.27:
	v_lshlrev_b32_e32 v1, 2, v0
	global_load_dword v3, v1, s[72:73] offset:1024
.LBB233_28:
	s_or_b64 exec, exec, s[4:5]
	v_or_b32_e32 v1, 0x200, v0
	v_cmp_gt_u32_e64 s[4:5], s76, v1
	s_and_saveexec_b64 s[6:7], s[4:5]
	s_cbranch_execz .LBB233_30
; %bb.29:
	v_lshlrev_b32_e32 v1, 2, v0
	global_load_dword v4, v1, s[72:73] offset:2048
.LBB233_30:
	s_or_b64 exec, exec, s[6:7]
	v_or_b32_e32 v1, 0x300, v0
	v_cmp_gt_u32_e64 s[6:7], s76, v1
	s_and_saveexec_b64 s[8:9], s[6:7]
	;; [unrolled: 9-line block ×3, first 2 shown]
	s_cbranch_execz .LBB233_34
; %bb.33:
	v_lshlrev_b32_e32 v1, 2, v1
	global_load_dword v6, v1, s[72:73]
.LBB233_34:
	s_or_b64 exec, exec, s[10:11]
	v_or_b32_e32 v1, 0x500, v0
	v_cmp_gt_u32_e64 s[10:11], s76, v1
	s_and_saveexec_b64 s[12:13], s[10:11]
	s_cbranch_execz .LBB233_36
; %bb.35:
	v_lshlrev_b32_e32 v1, 2, v1
	global_load_dword v7, v1, s[72:73]
.LBB233_36:
	s_or_b64 exec, exec, s[12:13]
	v_or_b32_e32 v1, 0x600, v0
	v_cmp_gt_u32_e64 s[12:13], s76, v1
	s_and_saveexec_b64 s[14:15], s[12:13]
	;; [unrolled: 9-line block ×27, first 2 shown]
	s_cbranch_execz .LBB233_88
; %bb.87:
	v_lshlrev_b32_e32 v1, 2, v1
	global_load_dword v33, v1, s[72:73]
.LBB233_88:
	s_or_b64 exec, exec, s[74:75]
	s_waitcnt vmcnt(0)
	v_cndmask_b32_e32 v1, 0, v3, vcc
	v_add_u32_e32 v1, v1, v2
	v_cndmask_b32_e64 v2, 0, v4, s[4:5]
	v_cndmask_b32_e64 v3, 0, v5, s[6:7]
	v_add3_u32 v1, v1, v2, v3
	v_cndmask_b32_e64 v2, 0, v6, s[8:9]
	v_cndmask_b32_e64 v3, 0, v7, s[10:11]
	v_add3_u32 v1, v1, v2, v3
	;; [unrolled: 3-line block ×15, first 2 shown]
	v_mbcnt_lo_u32_b32 v2, -1, 0
	v_mbcnt_hi_u32_b32 v2, -1, v2
	v_and_b32_e32 v4, 63, v2
	v_cmp_ne_u32_e32 vcc, 63, v4
	s_min_u32 s6, s76, 0x100
	v_and_b32_e32 v5, 0xc0, v0
	v_addc_co_u32_e32 v3, vcc, 0, v2, vcc
	v_lshlrev_b32_e32 v3, 2, v3
	ds_bpermute_b32 v3, v3, v1
	v_sub_u32_e64 v5, s6, v5 clamp
	v_add_u32_e32 v6, 1, v4
	v_cmp_lt_u32_e32 vcc, v6, v5
	v_add_u32_e32 v6, 2, v4
	s_waitcnt lgkmcnt(0)
	v_cndmask_b32_e32 v3, 0, v3, vcc
	v_cmp_gt_u32_e32 vcc, 62, v4
	v_add_u32_e32 v1, v1, v3
	s_nop 0
	v_cndmask_b32_e64 v3, 0, 2, vcc
	v_add_lshl_u32 v3, v3, v2, 2
	ds_bpermute_b32 v3, v3, v1
	v_cmp_lt_u32_e32 vcc, v6, v5
	v_add_u32_e32 v6, 4, v4
	s_waitcnt lgkmcnt(0)
	v_cndmask_b32_e32 v3, 0, v3, vcc
	v_cmp_gt_u32_e32 vcc, 60, v4
	v_add_u32_e32 v1, v1, v3
	s_nop 0
	v_cndmask_b32_e64 v3, 0, 4, vcc
	v_add_lshl_u32 v3, v3, v2, 2
	ds_bpermute_b32 v3, v3, v1
	;; [unrolled: 10-line block ×3, first 2 shown]
	v_cmp_lt_u32_e32 vcc, v6, v5
	v_add_u32_e32 v6, 16, v4
	s_waitcnt lgkmcnt(0)
	v_cndmask_b32_e32 v3, 0, v3, vcc
	v_cmp_gt_u32_e32 vcc, 48, v4
	v_add_u32_e32 v1, v1, v3
	v_add_u32_e32 v4, 32, v4
	v_cndmask_b32_e64 v3, 0, 16, vcc
	v_add_lshl_u32 v3, v3, v2, 2
	ds_bpermute_b32 v3, v3, v1
	v_cmp_lt_u32_e32 vcc, v6, v5
	s_waitcnt lgkmcnt(0)
	s_nop 0
	v_cndmask_b32_e32 v3, 0, v3, vcc
	v_add_u32_e32 v1, v1, v3
	v_lshlrev_b32_e32 v3, 2, v2
	v_or_b32_e32 v6, 0x80, v3
	ds_bpermute_b32 v6, v6, v1
	v_cmp_lt_u32_e32 vcc, v4, v5
	s_waitcnt lgkmcnt(0)
	s_nop 0
	v_cndmask_b32_e32 v4, 0, v6, vcc
	v_add_u32_e32 v1, v1, v4
	v_cmp_eq_u32_e32 vcc, 0, v2
	s_and_saveexec_b64 s[4:5], vcc
; %bb.89:
	v_lshrrev_b32_e32 v4, 4, v0
	v_and_b32_e32 v4, 12, v4
	ds_write_b32 v4, v1 offset:96
; %bb.90:
	s_or_b64 exec, exec, s[4:5]
	v_cmp_gt_u32_e32 vcc, 4, v0
	s_waitcnt lgkmcnt(0)
	s_barrier
	s_and_saveexec_b64 s[4:5], vcc
	s_cbranch_execz .LBB233_92
; %bb.91:
	ds_read_b32 v1, v3 offset:96
	v_and_b32_e32 v4, 3, v2
	v_cmp_ne_u32_e32 vcc, 3, v4
	s_add_i32 s6, s6, 63
	s_lshr_b32 s6, s6, 6
	v_addc_co_u32_e32 v2, vcc, 0, v2, vcc
	v_lshlrev_b32_e32 v2, 2, v2
	s_waitcnt lgkmcnt(0)
	ds_bpermute_b32 v2, v2, v1
	v_add_u32_e32 v5, 1, v4
	v_cmp_gt_u32_e32 vcc, s6, v5
	s_waitcnt lgkmcnt(0)
	s_nop 0
	v_cndmask_b32_e32 v2, 0, v2, vcc
	v_add_u32_e32 v1, v2, v1
	v_or_b32_e32 v2, 8, v3
	ds_bpermute_b32 v2, v2, v1
	v_add_u32_e32 v3, 2, v4
	v_cmp_gt_u32_e32 vcc, s6, v3
	s_waitcnt lgkmcnt(0)
	s_nop 0
	v_cndmask_b32_e32 v2, 0, v2, vcc
	v_add_u32_e32 v1, v1, v2
.LBB233_92:
	s_or_b64 exec, exec, s[4:5]
	v_cmp_eq_u32_e64 s[4:5], 0, v0
	s_and_b64 vcc, exec, s[66:67]
	s_cbranch_vccnz .LBB233_15
.LBB233_93:
	s_branch .LBB233_142
.LBB233_94:
	s_mov_b64 s[6:7], -1
                                        ; implicit-def: $vgpr1
.LBB233_95:
	s_and_b64 vcc, exec, s[6:7]
	s_cbranch_vccz .LBB233_133
; %bb.96:
	s_sub_i32 s38, s70, s4
	v_mov_b32_e32 v2, 0
	v_cmp_gt_u32_e32 vcc, s38, v0
	v_mov_b32_e32 v3, v2
	v_mov_b32_e32 v4, v2
	;; [unrolled: 1-line block ×15, first 2 shown]
	s_and_saveexec_b64 s[4:5], vcc
	s_cbranch_execz .LBB233_98
; %bb.97:
	v_lshlrev_b32_e32 v1, 2, v0
	global_load_dword v4, v1, s[34:35]
	v_mov_b32_e32 v5, v2
	v_mov_b32_e32 v6, v2
	;; [unrolled: 1-line block ×15, first 2 shown]
	s_waitcnt vmcnt(0)
	v_mov_b64_e32 v[2:3], v[4:5]
	v_mov_b64_e32 v[4:5], v[6:7]
	;; [unrolled: 1-line block ×8, first 2 shown]
.LBB233_98:
	s_or_b64 exec, exec, s[4:5]
	v_or_b32_e32 v1, 0x100, v0
	v_cmp_gt_u32_e32 vcc, s38, v1
	s_and_saveexec_b64 s[4:5], vcc
	s_cbranch_execz .LBB233_100
; %bb.99:
	v_lshlrev_b32_e32 v1, 2, v0
	global_load_dword v3, v1, s[34:35] offset:1024
.LBB233_100:
	s_or_b64 exec, exec, s[4:5]
	v_or_b32_e32 v1, 0x200, v0
	v_cmp_gt_u32_e64 s[4:5], s38, v1
	s_and_saveexec_b64 s[6:7], s[4:5]
	s_cbranch_execz .LBB233_102
; %bb.101:
	v_lshlrev_b32_e32 v1, 2, v0
	global_load_dword v4, v1, s[34:35] offset:2048
.LBB233_102:
	s_or_b64 exec, exec, s[6:7]
	v_or_b32_e32 v1, 0x300, v0
	v_cmp_gt_u32_e64 s[6:7], s38, v1
	s_and_saveexec_b64 s[8:9], s[6:7]
	s_cbranch_execz .LBB233_104
; %bb.103:
	v_lshlrev_b32_e32 v1, 2, v0
	global_load_dword v5, v1, s[34:35] offset:3072
.LBB233_104:
	s_or_b64 exec, exec, s[8:9]
	v_or_b32_e32 v1, 0x400, v0
	v_cmp_gt_u32_e64 s[8:9], s38, v1
	s_and_saveexec_b64 s[10:11], s[8:9]
	s_cbranch_execz .LBB233_106
; %bb.105:
	v_lshlrev_b32_e32 v1, 2, v1
	global_load_dword v6, v1, s[34:35]
.LBB233_106:
	s_or_b64 exec, exec, s[10:11]
	v_or_b32_e32 v1, 0x500, v0
	v_cmp_gt_u32_e64 s[10:11], s38, v1
	s_and_saveexec_b64 s[12:13], s[10:11]
	s_cbranch_execz .LBB233_108
; %bb.107:
	v_lshlrev_b32_e32 v1, 2, v1
	global_load_dword v7, v1, s[34:35]
.LBB233_108:
	s_or_b64 exec, exec, s[12:13]
	v_or_b32_e32 v1, 0x600, v0
	v_cmp_gt_u32_e64 s[12:13], s38, v1
	s_and_saveexec_b64 s[14:15], s[12:13]
	;; [unrolled: 9-line block ×11, first 2 shown]
	s_cbranch_execz .LBB233_128
; %bb.127:
	v_lshlrev_b32_e32 v1, 2, v1
	global_load_dword v17, v1, s[34:35]
.LBB233_128:
	s_or_b64 exec, exec, s[36:37]
	s_waitcnt vmcnt(0)
	v_cndmask_b32_e32 v1, 0, v3, vcc
	v_add_u32_e32 v1, v1, v2
	v_cndmask_b32_e64 v2, 0, v4, s[4:5]
	v_cndmask_b32_e64 v3, 0, v5, s[6:7]
	v_add3_u32 v1, v1, v2, v3
	v_cndmask_b32_e64 v2, 0, v6, s[8:9]
	v_cndmask_b32_e64 v3, 0, v7, s[10:11]
	v_add3_u32 v1, v1, v2, v3
	;; [unrolled: 3-line block ×7, first 2 shown]
	v_mbcnt_lo_u32_b32 v2, -1, 0
	v_mbcnt_hi_u32_b32 v2, -1, v2
	v_and_b32_e32 v4, 63, v2
	v_cmp_ne_u32_e32 vcc, 63, v4
	s_min_u32 s6, s38, 0x100
	v_and_b32_e32 v5, 0xc0, v0
	v_addc_co_u32_e32 v3, vcc, 0, v2, vcc
	v_lshlrev_b32_e32 v3, 2, v3
	ds_bpermute_b32 v3, v3, v1
	v_sub_u32_e64 v5, s6, v5 clamp
	v_add_u32_e32 v6, 1, v4
	v_cmp_lt_u32_e32 vcc, v6, v5
	v_add_u32_e32 v6, 2, v4
	s_waitcnt lgkmcnt(0)
	v_cndmask_b32_e32 v3, 0, v3, vcc
	v_cmp_gt_u32_e32 vcc, 62, v4
	v_add_u32_e32 v1, v1, v3
	s_nop 0
	v_cndmask_b32_e64 v3, 0, 2, vcc
	v_add_lshl_u32 v3, v3, v2, 2
	ds_bpermute_b32 v3, v3, v1
	v_cmp_lt_u32_e32 vcc, v6, v5
	v_add_u32_e32 v6, 4, v4
	s_waitcnt lgkmcnt(0)
	v_cndmask_b32_e32 v3, 0, v3, vcc
	v_cmp_gt_u32_e32 vcc, 60, v4
	v_add_u32_e32 v1, v1, v3
	s_nop 0
	v_cndmask_b32_e64 v3, 0, 4, vcc
	v_add_lshl_u32 v3, v3, v2, 2
	ds_bpermute_b32 v3, v3, v1
	;; [unrolled: 10-line block ×3, first 2 shown]
	v_cmp_lt_u32_e32 vcc, v6, v5
	v_add_u32_e32 v6, 16, v4
	s_waitcnt lgkmcnt(0)
	v_cndmask_b32_e32 v3, 0, v3, vcc
	v_cmp_gt_u32_e32 vcc, 48, v4
	v_add_u32_e32 v1, v1, v3
	v_add_u32_e32 v4, 32, v4
	v_cndmask_b32_e64 v3, 0, 16, vcc
	v_add_lshl_u32 v3, v3, v2, 2
	ds_bpermute_b32 v3, v3, v1
	v_cmp_lt_u32_e32 vcc, v6, v5
	s_waitcnt lgkmcnt(0)
	s_nop 0
	v_cndmask_b32_e32 v3, 0, v3, vcc
	v_add_u32_e32 v1, v1, v3
	v_lshlrev_b32_e32 v3, 2, v2
	v_or_b32_e32 v6, 0x80, v3
	ds_bpermute_b32 v6, v6, v1
	v_cmp_lt_u32_e32 vcc, v4, v5
	s_waitcnt lgkmcnt(0)
	s_nop 0
	v_cndmask_b32_e32 v4, 0, v6, vcc
	v_add_u32_e32 v1, v1, v4
	v_cmp_eq_u32_e32 vcc, 0, v2
	s_and_saveexec_b64 s[4:5], vcc
; %bb.129:
	v_lshrrev_b32_e32 v4, 4, v0
	v_and_b32_e32 v4, 12, v4
	ds_write_b32 v4, v1 offset:96
; %bb.130:
	s_or_b64 exec, exec, s[4:5]
	v_cmp_gt_u32_e32 vcc, 4, v0
	s_waitcnt lgkmcnt(0)
	s_barrier
	s_and_saveexec_b64 s[4:5], vcc
	s_cbranch_execz .LBB233_132
; %bb.131:
	ds_read_b32 v1, v3 offset:96
	v_and_b32_e32 v4, 3, v2
	v_cmp_ne_u32_e32 vcc, 3, v4
	s_add_i32 s6, s6, 63
	s_lshr_b32 s6, s6, 6
	v_addc_co_u32_e32 v2, vcc, 0, v2, vcc
	v_lshlrev_b32_e32 v2, 2, v2
	s_waitcnt lgkmcnt(0)
	ds_bpermute_b32 v2, v2, v1
	v_add_u32_e32 v5, 1, v4
	v_cmp_gt_u32_e32 vcc, s6, v5
	s_waitcnt lgkmcnt(0)
	s_nop 0
	v_cndmask_b32_e32 v2, 0, v2, vcc
	v_add_u32_e32 v1, v2, v1
	v_or_b32_e32 v2, 8, v3
	ds_bpermute_b32 v2, v2, v1
	v_add_u32_e32 v3, 2, v4
	v_cmp_gt_u32_e32 vcc, s6, v3
	s_waitcnt lgkmcnt(0)
	s_nop 0
	v_cndmask_b32_e32 v2, 0, v2, vcc
	v_add_u32_e32 v1, v1, v2
.LBB233_132:
	s_or_b64 exec, exec, s[4:5]
.LBB233_133:
	v_cmp_eq_u32_e64 s[4:5], 0, v0
	s_branch .LBB233_142
.LBB233_134:
	s_cmp_eq_u32 s33, 8
	s_cbranch_scc0 .LBB233_141
; %bb.135:
	s_mov_b32 s3, 0
	s_lshl_b32 s4, s2, 11
	s_mov_b32 s5, s3
	s_lshr_b64 s[6:7], s[70:71], 11
	s_lshl_b64 s[8:9], s[4:5], 2
	s_add_u32 s16, s68, s8
	s_addc_u32 s17, s69, s9
	s_cmp_lg_u64 s[6:7], s[2:3]
	s_cbranch_scc0 .LBB233_143
; %bb.136:
	v_lshlrev_b32_e32 v2, 2, v0
	v_mov_b32_e32 v3, 0
	v_lshl_add_u64 v[4:5], s[16:17], 0, v[2:3]
	v_add_co_u32_e32 v4, vcc, 0x1000, v4
	s_nop 1
	v_addc_co_u32_e32 v5, vcc, 0, v5, vcc
	global_load_dword v1, v2, s[16:17]
	global_load_dword v6, v2, s[16:17] offset:1024
	global_load_dword v7, v2, s[16:17] offset:2048
	;; [unrolled: 1-line block ×3, first 2 shown]
	global_load_dword v9, v[4:5], off
	global_load_dword v10, v[4:5], off offset:1024
	global_load_dword v11, v[4:5], off offset:2048
	;; [unrolled: 1-line block ×3, first 2 shown]
	v_mbcnt_lo_u32_b32 v2, -1, 0
	v_mbcnt_hi_u32_b32 v2, -1, v2
	v_lshlrev_b32_e32 v3, 2, v2
	v_or_b32_e32 v4, 0xfc, v3
	v_cmp_eq_u32_e32 vcc, 0, v2
	s_waitcnt vmcnt(6)
	v_add_u32_e32 v1, v6, v1
	s_waitcnt vmcnt(4)
	v_add3_u32 v1, v1, v7, v8
	s_waitcnt vmcnt(2)
	v_add3_u32 v1, v1, v9, v10
	s_waitcnt vmcnt(0)
	v_add3_u32 v1, v1, v11, v12
	s_nop 1
	v_add_u32_dpp v1, v1, v1 quad_perm:[1,0,3,2] row_mask:0xf bank_mask:0xf bound_ctrl:1
	s_nop 1
	v_add_u32_dpp v1, v1, v1 quad_perm:[2,3,0,1] row_mask:0xf bank_mask:0xf bound_ctrl:1
	s_nop 1
	v_add_u32_dpp v1, v1, v1 row_ror:4 row_mask:0xf bank_mask:0xf bound_ctrl:1
	s_nop 1
	v_add_u32_dpp v1, v1, v1 row_ror:8 row_mask:0xf bank_mask:0xf bound_ctrl:1
	s_nop 1
	v_add_u32_dpp v1, v1, v1 row_bcast:15 row_mask:0xf bank_mask:0xf bound_ctrl:1
	s_nop 1
	v_add_u32_dpp v1, v1, v1 row_bcast:31 row_mask:0xf bank_mask:0xf bound_ctrl:1
	ds_bpermute_b32 v1, v4, v1
	s_and_saveexec_b64 s[6:7], vcc
	s_cbranch_execz .LBB233_138
; %bb.137:
	v_lshrrev_b32_e32 v4, 4, v0
	v_and_b32_e32 v4, 12, v4
	s_waitcnt lgkmcnt(0)
	ds_write_b32 v4, v1 offset:80
.LBB233_138:
	s_or_b64 exec, exec, s[6:7]
	v_cmp_gt_u32_e32 vcc, 64, v0
	s_waitcnt lgkmcnt(0)
	s_barrier
	s_and_saveexec_b64 s[6:7], vcc
	s_cbranch_execz .LBB233_140
; %bb.139:
	v_and_b32_e32 v1, 3, v2
	v_lshlrev_b32_e32 v4, 2, v1
	ds_read_b32 v4, v4 offset:80
	v_cmp_ne_u32_e32 vcc, 3, v1
	s_nop 1
	v_addc_co_u32_e32 v1, vcc, 0, v2, vcc
	v_lshlrev_b32_e32 v1, 2, v1
	s_waitcnt lgkmcnt(0)
	ds_bpermute_b32 v1, v1, v4
	v_or_b32_e32 v2, 8, v3
	s_waitcnt lgkmcnt(0)
	v_add_u32_e32 v1, v1, v4
	ds_bpermute_b32 v2, v2, v1
	s_waitcnt lgkmcnt(0)
	v_add_u32_e32 v1, v2, v1
.LBB233_140:
	s_or_b64 exec, exec, s[6:7]
	s_branch .LBB233_165
.LBB233_141:
                                        ; implicit-def: $vgpr1
.LBB233_142:
	s_branch .LBB233_224
.LBB233_143:
                                        ; implicit-def: $vgpr1
	s_cbranch_execz .LBB233_165
; %bb.144:
	s_sub_i32 s20, s70, s4
	v_mov_b32_e32 v2, 0
	v_cmp_gt_u32_e32 vcc, s20, v0
	v_mov_b32_e32 v3, v2
	v_mov_b32_e32 v4, v2
	;; [unrolled: 1-line block ×7, first 2 shown]
	s_and_saveexec_b64 s[4:5], vcc
	s_cbranch_execz .LBB233_146
; %bb.145:
	v_lshlrev_b32_e32 v1, 2, v0
	global_load_dword v4, v1, s[16:17]
	v_mov_b32_e32 v5, v2
	v_mov_b32_e32 v6, v2
	;; [unrolled: 1-line block ×7, first 2 shown]
	s_waitcnt vmcnt(0)
	v_mov_b64_e32 v[2:3], v[4:5]
	v_mov_b64_e32 v[4:5], v[6:7]
	;; [unrolled: 1-line block ×4, first 2 shown]
.LBB233_146:
	s_or_b64 exec, exec, s[4:5]
	v_or_b32_e32 v1, 0x100, v0
	v_cmp_gt_u32_e32 vcc, s20, v1
	s_and_saveexec_b64 s[4:5], vcc
	s_cbranch_execz .LBB233_148
; %bb.147:
	v_lshlrev_b32_e32 v1, 2, v0
	global_load_dword v3, v1, s[16:17] offset:1024
.LBB233_148:
	s_or_b64 exec, exec, s[4:5]
	v_or_b32_e32 v1, 0x200, v0
	v_cmp_gt_u32_e64 s[4:5], s20, v1
	s_and_saveexec_b64 s[6:7], s[4:5]
	s_cbranch_execz .LBB233_150
; %bb.149:
	v_lshlrev_b32_e32 v1, 2, v0
	global_load_dword v4, v1, s[16:17] offset:2048
.LBB233_150:
	s_or_b64 exec, exec, s[6:7]
	v_or_b32_e32 v1, 0x300, v0
	v_cmp_gt_u32_e64 s[6:7], s20, v1
	s_and_saveexec_b64 s[8:9], s[6:7]
	;; [unrolled: 9-line block ×3, first 2 shown]
	s_cbranch_execz .LBB233_154
; %bb.153:
	v_lshlrev_b32_e32 v1, 2, v1
	global_load_dword v6, v1, s[16:17]
.LBB233_154:
	s_or_b64 exec, exec, s[10:11]
	v_or_b32_e32 v1, 0x500, v0
	v_cmp_gt_u32_e64 s[10:11], s20, v1
	s_and_saveexec_b64 s[12:13], s[10:11]
	s_cbranch_execz .LBB233_156
; %bb.155:
	v_lshlrev_b32_e32 v1, 2, v1
	global_load_dword v7, v1, s[16:17]
.LBB233_156:
	s_or_b64 exec, exec, s[12:13]
	v_or_b32_e32 v1, 0x600, v0
	v_cmp_gt_u32_e64 s[12:13], s20, v1
	s_and_saveexec_b64 s[14:15], s[12:13]
	;; [unrolled: 9-line block ×3, first 2 shown]
	s_cbranch_execz .LBB233_160
; %bb.159:
	v_lshlrev_b32_e32 v1, 2, v1
	global_load_dword v9, v1, s[16:17]
.LBB233_160:
	s_or_b64 exec, exec, s[18:19]
	s_waitcnt vmcnt(0)
	v_cndmask_b32_e32 v1, 0, v3, vcc
	v_add_u32_e32 v1, v1, v2
	v_cndmask_b32_e64 v2, 0, v4, s[4:5]
	v_cndmask_b32_e64 v3, 0, v5, s[6:7]
	v_add3_u32 v1, v1, v2, v3
	v_cndmask_b32_e64 v2, 0, v6, s[8:9]
	v_cndmask_b32_e64 v3, 0, v7, s[10:11]
	v_add3_u32 v1, v1, v2, v3
	;; [unrolled: 3-line block ×3, first 2 shown]
	v_mbcnt_lo_u32_b32 v2, -1, 0
	v_mbcnt_hi_u32_b32 v2, -1, v2
	v_and_b32_e32 v4, 63, v2
	v_cmp_ne_u32_e32 vcc, 63, v4
	s_min_u32 s6, s20, 0x100
	v_and_b32_e32 v5, 0xc0, v0
	v_addc_co_u32_e32 v3, vcc, 0, v2, vcc
	v_lshlrev_b32_e32 v3, 2, v3
	ds_bpermute_b32 v3, v3, v1
	v_sub_u32_e64 v5, s6, v5 clamp
	v_add_u32_e32 v6, 1, v4
	v_cmp_lt_u32_e32 vcc, v6, v5
	v_add_u32_e32 v6, 2, v4
	s_waitcnt lgkmcnt(0)
	v_cndmask_b32_e32 v3, 0, v3, vcc
	v_cmp_gt_u32_e32 vcc, 62, v4
	v_add_u32_e32 v1, v1, v3
	s_nop 0
	v_cndmask_b32_e64 v3, 0, 2, vcc
	v_add_lshl_u32 v3, v3, v2, 2
	ds_bpermute_b32 v3, v3, v1
	v_cmp_lt_u32_e32 vcc, v6, v5
	v_add_u32_e32 v6, 4, v4
	s_waitcnt lgkmcnt(0)
	v_cndmask_b32_e32 v3, 0, v3, vcc
	v_cmp_gt_u32_e32 vcc, 60, v4
	v_add_u32_e32 v1, v1, v3
	s_nop 0
	v_cndmask_b32_e64 v3, 0, 4, vcc
	v_add_lshl_u32 v3, v3, v2, 2
	ds_bpermute_b32 v3, v3, v1
	;; [unrolled: 10-line block ×3, first 2 shown]
	v_cmp_lt_u32_e32 vcc, v6, v5
	v_add_u32_e32 v6, 16, v4
	s_waitcnt lgkmcnt(0)
	v_cndmask_b32_e32 v3, 0, v3, vcc
	v_cmp_gt_u32_e32 vcc, 48, v4
	v_add_u32_e32 v1, v1, v3
	v_add_u32_e32 v4, 32, v4
	v_cndmask_b32_e64 v3, 0, 16, vcc
	v_add_lshl_u32 v3, v3, v2, 2
	ds_bpermute_b32 v3, v3, v1
	v_cmp_lt_u32_e32 vcc, v6, v5
	s_waitcnt lgkmcnt(0)
	s_nop 0
	v_cndmask_b32_e32 v3, 0, v3, vcc
	v_add_u32_e32 v1, v1, v3
	v_lshlrev_b32_e32 v3, 2, v2
	v_or_b32_e32 v6, 0x80, v3
	ds_bpermute_b32 v6, v6, v1
	v_cmp_lt_u32_e32 vcc, v4, v5
	s_waitcnt lgkmcnt(0)
	s_nop 0
	v_cndmask_b32_e32 v4, 0, v6, vcc
	v_add_u32_e32 v1, v1, v4
	v_cmp_eq_u32_e32 vcc, 0, v2
	s_and_saveexec_b64 s[4:5], vcc
; %bb.161:
	v_lshrrev_b32_e32 v4, 4, v0
	v_and_b32_e32 v4, 12, v4
	ds_write_b32 v4, v1 offset:96
; %bb.162:
	s_or_b64 exec, exec, s[4:5]
	v_cmp_gt_u32_e32 vcc, 4, v0
	s_waitcnt lgkmcnt(0)
	s_barrier
	s_and_saveexec_b64 s[4:5], vcc
	s_cbranch_execz .LBB233_164
; %bb.163:
	ds_read_b32 v1, v3 offset:96
	v_and_b32_e32 v4, 3, v2
	v_cmp_ne_u32_e32 vcc, 3, v4
	s_add_i32 s6, s6, 63
	s_lshr_b32 s6, s6, 6
	v_addc_co_u32_e32 v2, vcc, 0, v2, vcc
	v_lshlrev_b32_e32 v2, 2, v2
	s_waitcnt lgkmcnt(0)
	ds_bpermute_b32 v2, v2, v1
	v_add_u32_e32 v5, 1, v4
	v_cmp_gt_u32_e32 vcc, s6, v5
	s_waitcnt lgkmcnt(0)
	s_nop 0
	v_cndmask_b32_e32 v2, 0, v2, vcc
	v_add_u32_e32 v1, v2, v1
	v_or_b32_e32 v2, 8, v3
	ds_bpermute_b32 v2, v2, v1
	v_add_u32_e32 v3, 2, v4
	v_cmp_gt_u32_e32 vcc, s6, v3
	s_waitcnt lgkmcnt(0)
	s_nop 0
	v_cndmask_b32_e32 v2, 0, v2, vcc
	v_add_u32_e32 v1, v1, v2
.LBB233_164:
	s_or_b64 exec, exec, s[4:5]
.LBB233_165:
	v_cmp_eq_u32_e64 s[4:5], 0, v0
	s_branch .LBB233_224
.LBB233_166:
	s_cmp_gt_i32 s33, 1
	s_cbranch_scc0 .LBB233_175
; %bb.167:
	s_cmp_gt_i32 s33, 3
	s_cbranch_scc0 .LBB233_176
; %bb.168:
	s_cmp_eq_u32 s33, 4
	s_cbranch_scc0 .LBB233_177
; %bb.169:
	s_mov_b32 s3, 0
	s_lshl_b32 s4, s2, 10
	s_mov_b32 s5, s3
	s_lshr_b64 s[6:7], s[70:71], 10
	s_lshl_b64 s[8:9], s[4:5], 2
	s_add_u32 s8, s68, s8
	s_addc_u32 s9, s69, s9
	s_cmp_lg_u64 s[6:7], s[2:3]
	s_cbranch_scc0 .LBB233_179
; %bb.170:
	v_lshlrev_b32_e32 v1, 2, v0
	global_load_dword v4, v1, s[8:9]
	global_load_dword v5, v1, s[8:9] offset:1024
	global_load_dword v6, v1, s[8:9] offset:2048
	;; [unrolled: 1-line block ×3, first 2 shown]
	v_mbcnt_lo_u32_b32 v1, -1, 0
	v_mbcnt_hi_u32_b32 v2, -1, v1
	v_lshlrev_b32_e32 v3, 2, v2
	v_cmp_eq_u32_e32 vcc, 0, v2
	s_waitcnt vmcnt(2)
	v_add_u32_e32 v1, v5, v4
	v_or_b32_e32 v4, 0xfc, v3
	s_waitcnt vmcnt(0)
	v_add3_u32 v1, v1, v6, v7
	s_nop 1
	v_add_u32_dpp v1, v1, v1 quad_perm:[1,0,3,2] row_mask:0xf bank_mask:0xf bound_ctrl:1
	s_nop 1
	v_add_u32_dpp v1, v1, v1 quad_perm:[2,3,0,1] row_mask:0xf bank_mask:0xf bound_ctrl:1
	s_nop 1
	v_add_u32_dpp v1, v1, v1 row_ror:4 row_mask:0xf bank_mask:0xf bound_ctrl:1
	s_nop 1
	v_add_u32_dpp v1, v1, v1 row_ror:8 row_mask:0xf bank_mask:0xf bound_ctrl:1
	s_nop 1
	v_add_u32_dpp v1, v1, v1 row_bcast:15 row_mask:0xf bank_mask:0xf bound_ctrl:1
	s_nop 1
	v_add_u32_dpp v1, v1, v1 row_bcast:31 row_mask:0xf bank_mask:0xf bound_ctrl:1
	ds_bpermute_b32 v1, v4, v1
	s_and_saveexec_b64 s[6:7], vcc
	s_cbranch_execz .LBB233_172
; %bb.171:
	v_lshrrev_b32_e32 v4, 4, v0
	v_and_b32_e32 v4, 12, v4
	s_waitcnt lgkmcnt(0)
	ds_write_b32 v4, v1 offset:64
.LBB233_172:
	s_or_b64 exec, exec, s[6:7]
	v_cmp_gt_u32_e32 vcc, 64, v0
	s_waitcnt lgkmcnt(0)
	s_barrier
	s_and_saveexec_b64 s[6:7], vcc
	s_cbranch_execz .LBB233_174
; %bb.173:
	v_and_b32_e32 v1, 3, v2
	v_lshlrev_b32_e32 v4, 2, v1
	ds_read_b32 v4, v4 offset:64
	v_cmp_ne_u32_e32 vcc, 3, v1
	s_nop 1
	v_addc_co_u32_e32 v1, vcc, 0, v2, vcc
	v_lshlrev_b32_e32 v1, 2, v1
	s_waitcnt lgkmcnt(0)
	ds_bpermute_b32 v1, v1, v4
	v_or_b32_e32 v2, 8, v3
	s_waitcnt lgkmcnt(0)
	v_add_u32_e32 v1, v1, v4
	ds_bpermute_b32 v2, v2, v1
	s_waitcnt lgkmcnt(0)
	v_add_u32_e32 v1, v2, v1
.LBB233_174:
	s_or_b64 exec, exec, s[6:7]
	s_mov_b64 s[6:7], 0
	s_branch .LBB233_180
.LBB233_175:
                                        ; implicit-def: $vgpr1
	s_cbranch_execnz .LBB233_215
	s_branch .LBB233_224
.LBB233_176:
                                        ; implicit-def: $vgpr1
	s_cbranch_execz .LBB233_178
	s_branch .LBB233_195
.LBB233_177:
                                        ; implicit-def: $vgpr1
.LBB233_178:
	s_branch .LBB233_224
.LBB233_179:
	s_mov_b64 s[6:7], -1
                                        ; implicit-def: $vgpr1
.LBB233_180:
	s_and_b64 vcc, exec, s[6:7]
	s_cbranch_vccz .LBB233_194
; %bb.181:
	s_sub_i32 s12, s70, s4
	v_mov_b32_e32 v2, 0
	v_cmp_gt_u32_e32 vcc, s12, v0
	v_mov_b32_e32 v3, v2
	v_mov_b32_e32 v4, v2
	;; [unrolled: 1-line block ×3, first 2 shown]
	s_and_saveexec_b64 s[4:5], vcc
	s_cbranch_execz .LBB233_183
; %bb.182:
	v_lshlrev_b32_e32 v1, 2, v0
	global_load_dword v4, v1, s[8:9]
	v_mov_b32_e32 v5, v2
	v_mov_b32_e32 v6, v2
	;; [unrolled: 1-line block ×3, first 2 shown]
	s_waitcnt vmcnt(0)
	v_mov_b64_e32 v[2:3], v[4:5]
	v_mov_b64_e32 v[4:5], v[6:7]
.LBB233_183:
	s_or_b64 exec, exec, s[4:5]
	v_or_b32_e32 v1, 0x100, v0
	v_cmp_gt_u32_e32 vcc, s12, v1
	s_and_saveexec_b64 s[4:5], vcc
	s_cbranch_execz .LBB233_185
; %bb.184:
	v_lshlrev_b32_e32 v1, 2, v0
	global_load_dword v3, v1, s[8:9] offset:1024
.LBB233_185:
	s_or_b64 exec, exec, s[4:5]
	v_or_b32_e32 v1, 0x200, v0
	v_cmp_gt_u32_e64 s[4:5], s12, v1
	s_and_saveexec_b64 s[6:7], s[4:5]
	s_cbranch_execz .LBB233_187
; %bb.186:
	v_lshlrev_b32_e32 v1, 2, v0
	global_load_dword v4, v1, s[8:9] offset:2048
.LBB233_187:
	s_or_b64 exec, exec, s[6:7]
	v_or_b32_e32 v1, 0x300, v0
	v_cmp_gt_u32_e64 s[6:7], s12, v1
	s_and_saveexec_b64 s[10:11], s[6:7]
	s_cbranch_execz .LBB233_189
; %bb.188:
	v_lshlrev_b32_e32 v1, 2, v0
	global_load_dword v5, v1, s[8:9] offset:3072
.LBB233_189:
	s_or_b64 exec, exec, s[10:11]
	s_waitcnt vmcnt(0)
	v_cndmask_b32_e32 v1, 0, v3, vcc
	v_add_u32_e32 v1, v1, v2
	v_cndmask_b32_e64 v2, 0, v4, s[4:5]
	v_cndmask_b32_e64 v3, 0, v5, s[6:7]
	v_add3_u32 v1, v1, v2, v3
	v_mbcnt_lo_u32_b32 v2, -1, 0
	v_mbcnt_hi_u32_b32 v2, -1, v2
	v_and_b32_e32 v4, 63, v2
	v_cmp_ne_u32_e32 vcc, 63, v4
	s_min_u32 s6, s12, 0x100
	v_and_b32_e32 v5, 0xc0, v0
	v_addc_co_u32_e32 v3, vcc, 0, v2, vcc
	v_lshlrev_b32_e32 v3, 2, v3
	ds_bpermute_b32 v3, v3, v1
	v_sub_u32_e64 v5, s6, v5 clamp
	v_add_u32_e32 v6, 1, v4
	v_cmp_lt_u32_e32 vcc, v6, v5
	v_add_u32_e32 v6, 2, v4
	s_waitcnt lgkmcnt(0)
	v_cndmask_b32_e32 v3, 0, v3, vcc
	v_cmp_gt_u32_e32 vcc, 62, v4
	v_add_u32_e32 v1, v3, v1
	s_nop 0
	v_cndmask_b32_e64 v3, 0, 2, vcc
	v_add_lshl_u32 v3, v3, v2, 2
	ds_bpermute_b32 v3, v3, v1
	v_cmp_lt_u32_e32 vcc, v6, v5
	v_add_u32_e32 v6, 4, v4
	s_waitcnt lgkmcnt(0)
	v_cndmask_b32_e32 v3, 0, v3, vcc
	v_cmp_gt_u32_e32 vcc, 60, v4
	v_add_u32_e32 v1, v1, v3
	s_nop 0
	v_cndmask_b32_e64 v3, 0, 4, vcc
	v_add_lshl_u32 v3, v3, v2, 2
	ds_bpermute_b32 v3, v3, v1
	;; [unrolled: 10-line block ×3, first 2 shown]
	v_cmp_lt_u32_e32 vcc, v6, v5
	v_add_u32_e32 v6, 16, v4
	s_waitcnt lgkmcnt(0)
	v_cndmask_b32_e32 v3, 0, v3, vcc
	v_cmp_gt_u32_e32 vcc, 48, v4
	v_add_u32_e32 v1, v1, v3
	v_add_u32_e32 v4, 32, v4
	v_cndmask_b32_e64 v3, 0, 16, vcc
	v_add_lshl_u32 v3, v3, v2, 2
	ds_bpermute_b32 v3, v3, v1
	v_cmp_lt_u32_e32 vcc, v6, v5
	s_waitcnt lgkmcnt(0)
	s_nop 0
	v_cndmask_b32_e32 v3, 0, v3, vcc
	v_add_u32_e32 v1, v1, v3
	v_lshlrev_b32_e32 v3, 2, v2
	v_or_b32_e32 v6, 0x80, v3
	ds_bpermute_b32 v6, v6, v1
	v_cmp_lt_u32_e32 vcc, v4, v5
	s_waitcnt lgkmcnt(0)
	s_nop 0
	v_cndmask_b32_e32 v4, 0, v6, vcc
	v_add_u32_e32 v1, v1, v4
	v_cmp_eq_u32_e32 vcc, 0, v2
	s_and_saveexec_b64 s[4:5], vcc
; %bb.190:
	v_lshrrev_b32_e32 v4, 4, v0
	v_and_b32_e32 v4, 12, v4
	ds_write_b32 v4, v1 offset:96
; %bb.191:
	s_or_b64 exec, exec, s[4:5]
	v_cmp_gt_u32_e32 vcc, 4, v0
	s_waitcnt lgkmcnt(0)
	s_barrier
	s_and_saveexec_b64 s[4:5], vcc
	s_cbranch_execz .LBB233_193
; %bb.192:
	ds_read_b32 v1, v3 offset:96
	v_and_b32_e32 v4, 3, v2
	v_cmp_ne_u32_e32 vcc, 3, v4
	s_add_i32 s6, s6, 63
	s_lshr_b32 s6, s6, 6
	v_addc_co_u32_e32 v2, vcc, 0, v2, vcc
	v_lshlrev_b32_e32 v2, 2, v2
	s_waitcnt lgkmcnt(0)
	ds_bpermute_b32 v2, v2, v1
	v_add_u32_e32 v5, 1, v4
	v_cmp_gt_u32_e32 vcc, s6, v5
	s_waitcnt lgkmcnt(0)
	s_nop 0
	v_cndmask_b32_e32 v2, 0, v2, vcc
	v_add_u32_e32 v1, v2, v1
	v_or_b32_e32 v2, 8, v3
	ds_bpermute_b32 v2, v2, v1
	v_add_u32_e32 v3, 2, v4
	v_cmp_gt_u32_e32 vcc, s6, v3
	s_waitcnt lgkmcnt(0)
	s_nop 0
	v_cndmask_b32_e32 v2, 0, v2, vcc
	v_add_u32_e32 v1, v1, v2
.LBB233_193:
	s_or_b64 exec, exec, s[4:5]
.LBB233_194:
	v_cmp_eq_u32_e64 s[4:5], 0, v0
	s_branch .LBB233_178
.LBB233_195:
	s_cmp_eq_u32 s33, 2
	s_cbranch_scc0 .LBB233_202
; %bb.196:
	s_mov_b32 s3, 0
	s_lshl_b32 s6, s2, 9
	s_mov_b32 s7, s3
	s_lshr_b64 s[8:9], s[70:71], 9
	s_lshl_b64 s[4:5], s[6:7], 2
	s_add_u32 s4, s68, s4
	s_addc_u32 s5, s69, s5
	s_cmp_lg_u64 s[8:9], s[2:3]
	s_cbranch_scc0 .LBB233_203
; %bb.197:
	v_lshlrev_b32_e32 v1, 2, v0
	global_load_dword v4, v1, s[4:5]
	global_load_dword v5, v1, s[4:5] offset:1024
	v_mbcnt_lo_u32_b32 v1, -1, 0
	v_mbcnt_hi_u32_b32 v2, -1, v1
	v_lshlrev_b32_e32 v3, 2, v2
	v_cmp_eq_u32_e32 vcc, 0, v2
	s_waitcnt vmcnt(0)
	v_add_u32_e32 v1, v5, v4
	s_nop 1
	v_add_u32_dpp v1, v1, v1 quad_perm:[1,0,3,2] row_mask:0xf bank_mask:0xf bound_ctrl:1
	v_or_b32_e32 v4, 0xfc, v3
	s_nop 0
	v_add_u32_dpp v1, v1, v1 quad_perm:[2,3,0,1] row_mask:0xf bank_mask:0xf bound_ctrl:1
	s_nop 1
	v_add_u32_dpp v1, v1, v1 row_ror:4 row_mask:0xf bank_mask:0xf bound_ctrl:1
	s_nop 1
	v_add_u32_dpp v1, v1, v1 row_ror:8 row_mask:0xf bank_mask:0xf bound_ctrl:1
	s_nop 1
	v_add_u32_dpp v1, v1, v1 row_bcast:15 row_mask:0xf bank_mask:0xf bound_ctrl:1
	s_nop 1
	v_add_u32_dpp v1, v1, v1 row_bcast:31 row_mask:0xf bank_mask:0xf bound_ctrl:1
	ds_bpermute_b32 v1, v4, v1
	s_and_saveexec_b64 s[8:9], vcc
	s_cbranch_execz .LBB233_199
; %bb.198:
	v_lshrrev_b32_e32 v4, 4, v0
	v_and_b32_e32 v4, 12, v4
	s_waitcnt lgkmcnt(0)
	ds_write_b32 v4, v1 offset:32
.LBB233_199:
	s_or_b64 exec, exec, s[8:9]
	v_cmp_gt_u32_e32 vcc, 64, v0
	s_waitcnt lgkmcnt(0)
	s_barrier
	s_and_saveexec_b64 s[8:9], vcc
	s_cbranch_execz .LBB233_201
; %bb.200:
	v_and_b32_e32 v1, 3, v2
	v_lshlrev_b32_e32 v4, 2, v1
	ds_read_b32 v4, v4 offset:32
	v_cmp_ne_u32_e32 vcc, 3, v1
	s_nop 1
	v_addc_co_u32_e32 v1, vcc, 0, v2, vcc
	v_lshlrev_b32_e32 v1, 2, v1
	s_waitcnt lgkmcnt(0)
	ds_bpermute_b32 v1, v1, v4
	v_or_b32_e32 v2, 8, v3
	s_waitcnt lgkmcnt(0)
	v_add_u32_e32 v1, v1, v4
	ds_bpermute_b32 v2, v2, v1
	s_waitcnt lgkmcnt(0)
	v_add_u32_e32 v1, v2, v1
.LBB233_201:
	s_or_b64 exec, exec, s[8:9]
	s_mov_b64 s[8:9], 0
	s_branch .LBB233_204
.LBB233_202:
                                        ; implicit-def: $vgpr1
	s_branch .LBB233_224
.LBB233_203:
	s_mov_b64 s[8:9], -1
                                        ; implicit-def: $vgpr1
.LBB233_204:
	s_and_b64 vcc, exec, s[8:9]
	s_cbranch_vccz .LBB233_214
; %bb.205:
	s_sub_i32 s8, s70, s6
	v_mov_b32_e32 v2, 0
	v_cmp_gt_u32_e32 vcc, s8, v0
	v_mov_b32_e32 v3, v2
	s_and_saveexec_b64 s[6:7], vcc
	s_cbranch_execz .LBB233_207
; %bb.206:
	v_lshlrev_b32_e32 v1, 2, v0
	global_load_dword v4, v1, s[4:5]
	v_mov_b32_e32 v5, v2
	s_waitcnt vmcnt(0)
	v_mov_b64_e32 v[2:3], v[4:5]
.LBB233_207:
	s_or_b64 exec, exec, s[6:7]
	v_or_b32_e32 v1, 0x100, v0
	v_cmp_gt_u32_e32 vcc, s8, v1
	s_and_saveexec_b64 s[6:7], vcc
	s_cbranch_execz .LBB233_209
; %bb.208:
	v_lshlrev_b32_e32 v1, 2, v0
	global_load_dword v3, v1, s[4:5] offset:1024
.LBB233_209:
	s_or_b64 exec, exec, s[6:7]
	s_waitcnt vmcnt(0)
	v_cndmask_b32_e32 v1, 0, v3, vcc
	v_add_u32_e32 v1, v1, v2
	v_mbcnt_lo_u32_b32 v2, -1, 0
	v_mbcnt_hi_u32_b32 v2, -1, v2
	v_and_b32_e32 v4, 63, v2
	v_cmp_ne_u32_e32 vcc, 63, v4
	s_min_u32 s6, s8, 0x100
	v_and_b32_e32 v5, 0xc0, v0
	v_addc_co_u32_e32 v3, vcc, 0, v2, vcc
	v_lshlrev_b32_e32 v3, 2, v3
	ds_bpermute_b32 v3, v3, v1
	v_sub_u32_e64 v5, s6, v5 clamp
	v_add_u32_e32 v6, 1, v4
	v_cmp_lt_u32_e32 vcc, v6, v5
	v_add_u32_e32 v6, 2, v4
	s_waitcnt lgkmcnt(0)
	v_cndmask_b32_e32 v3, 0, v3, vcc
	v_cmp_gt_u32_e32 vcc, 62, v4
	v_add_u32_e32 v1, v3, v1
	s_nop 0
	v_cndmask_b32_e64 v3, 0, 2, vcc
	v_add_lshl_u32 v3, v3, v2, 2
	ds_bpermute_b32 v3, v3, v1
	v_cmp_lt_u32_e32 vcc, v6, v5
	v_add_u32_e32 v6, 4, v4
	s_waitcnt lgkmcnt(0)
	v_cndmask_b32_e32 v3, 0, v3, vcc
	v_cmp_gt_u32_e32 vcc, 60, v4
	v_add_u32_e32 v1, v1, v3
	s_nop 0
	v_cndmask_b32_e64 v3, 0, 4, vcc
	v_add_lshl_u32 v3, v3, v2, 2
	ds_bpermute_b32 v3, v3, v1
	;; [unrolled: 10-line block ×3, first 2 shown]
	v_cmp_lt_u32_e32 vcc, v6, v5
	v_add_u32_e32 v6, 16, v4
	s_waitcnt lgkmcnt(0)
	v_cndmask_b32_e32 v3, 0, v3, vcc
	v_cmp_gt_u32_e32 vcc, 48, v4
	v_add_u32_e32 v1, v1, v3
	v_add_u32_e32 v4, 32, v4
	v_cndmask_b32_e64 v3, 0, 16, vcc
	v_add_lshl_u32 v3, v3, v2, 2
	ds_bpermute_b32 v3, v3, v1
	v_cmp_lt_u32_e32 vcc, v6, v5
	s_waitcnt lgkmcnt(0)
	s_nop 0
	v_cndmask_b32_e32 v3, 0, v3, vcc
	v_add_u32_e32 v1, v1, v3
	v_lshlrev_b32_e32 v3, 2, v2
	v_or_b32_e32 v6, 0x80, v3
	ds_bpermute_b32 v6, v6, v1
	v_cmp_lt_u32_e32 vcc, v4, v5
	s_waitcnt lgkmcnt(0)
	s_nop 0
	v_cndmask_b32_e32 v4, 0, v6, vcc
	v_add_u32_e32 v1, v1, v4
	v_cmp_eq_u32_e32 vcc, 0, v2
	s_and_saveexec_b64 s[4:5], vcc
; %bb.210:
	v_lshrrev_b32_e32 v4, 4, v0
	v_and_b32_e32 v4, 12, v4
	ds_write_b32 v4, v1 offset:96
; %bb.211:
	s_or_b64 exec, exec, s[4:5]
	v_cmp_gt_u32_e32 vcc, 4, v0
	s_waitcnt lgkmcnt(0)
	s_barrier
	s_and_saveexec_b64 s[4:5], vcc
	s_cbranch_execz .LBB233_213
; %bb.212:
	ds_read_b32 v1, v3 offset:96
	v_and_b32_e32 v4, 3, v2
	v_cmp_ne_u32_e32 vcc, 3, v4
	s_add_i32 s6, s6, 63
	s_lshr_b32 s6, s6, 6
	v_addc_co_u32_e32 v2, vcc, 0, v2, vcc
	v_lshlrev_b32_e32 v2, 2, v2
	s_waitcnt lgkmcnt(0)
	ds_bpermute_b32 v2, v2, v1
	v_add_u32_e32 v5, 1, v4
	v_cmp_gt_u32_e32 vcc, s6, v5
	s_waitcnt lgkmcnt(0)
	s_nop 0
	v_cndmask_b32_e32 v2, 0, v2, vcc
	v_add_u32_e32 v1, v2, v1
	v_or_b32_e32 v2, 8, v3
	ds_bpermute_b32 v2, v2, v1
	v_add_u32_e32 v3, 2, v4
	v_cmp_gt_u32_e32 vcc, s6, v3
	s_waitcnt lgkmcnt(0)
	s_nop 0
	v_cndmask_b32_e32 v2, 0, v2, vcc
	v_add_u32_e32 v1, v1, v2
.LBB233_213:
	s_or_b64 exec, exec, s[4:5]
.LBB233_214:
	v_cmp_eq_u32_e64 s[4:5], 0, v0
	s_branch .LBB233_224
.LBB233_215:
	s_cmp_eq_u32 s33, 1
	s_cbranch_scc0 .LBB233_223
; %bb.216:
	s_mov_b32 s5, 0
	s_lshl_b32 s4, s2, 8
	s_mov_b32 s3, s5
	s_lshr_b64 s[6:7], s[70:71], 8
	s_cmp_lg_u64 s[6:7], s[2:3]
	v_mbcnt_lo_u32_b32 v2, -1, 0
	s_cbranch_scc0 .LBB233_227
; %bb.217:
	s_lshl_b64 s[6:7], s[4:5], 2
	s_add_u32 s6, s68, s6
	s_addc_u32 s7, s69, s7
	v_lshlrev_b32_e32 v1, 2, v0
	global_load_dword v1, v1, s[6:7]
	v_mbcnt_hi_u32_b32 v3, -1, v2
	v_lshlrev_b32_e32 v4, 2, v3
	v_or_b32_e32 v5, 0xfc, v4
	v_cmp_eq_u32_e32 vcc, 0, v3
	s_waitcnt vmcnt(0)
	v_add_u32_dpp v1, v1, v1 quad_perm:[1,0,3,2] row_mask:0xf bank_mask:0xf bound_ctrl:1
	s_nop 1
	v_add_u32_dpp v1, v1, v1 quad_perm:[2,3,0,1] row_mask:0xf bank_mask:0xf bound_ctrl:1
	s_nop 1
	v_add_u32_dpp v1, v1, v1 row_ror:4 row_mask:0xf bank_mask:0xf bound_ctrl:1
	s_nop 1
	v_add_u32_dpp v1, v1, v1 row_ror:8 row_mask:0xf bank_mask:0xf bound_ctrl:1
	s_nop 1
	v_add_u32_dpp v1, v1, v1 row_bcast:15 row_mask:0xf bank_mask:0xf bound_ctrl:1
	s_nop 1
	v_add_u32_dpp v1, v1, v1 row_bcast:31 row_mask:0xf bank_mask:0xf bound_ctrl:1
	ds_bpermute_b32 v1, v5, v1
	s_and_saveexec_b64 s[6:7], vcc
	s_cbranch_execz .LBB233_219
; %bb.218:
	v_lshrrev_b32_e32 v5, 4, v0
	v_and_b32_e32 v5, 12, v5
	s_waitcnt lgkmcnt(0)
	ds_write_b32 v5, v1 offset:16
.LBB233_219:
	s_or_b64 exec, exec, s[6:7]
	v_cmp_gt_u32_e32 vcc, 64, v0
	s_waitcnt lgkmcnt(0)
	s_barrier
	s_and_saveexec_b64 s[6:7], vcc
	s_cbranch_execz .LBB233_221
; %bb.220:
	v_and_b32_e32 v1, 3, v3
	v_lshlrev_b32_e32 v5, 2, v1
	ds_read_b32 v5, v5 offset:16
	v_cmp_ne_u32_e32 vcc, 3, v1
	s_nop 1
	v_addc_co_u32_e32 v1, vcc, 0, v3, vcc
	v_lshlrev_b32_e32 v1, 2, v1
	s_waitcnt lgkmcnt(0)
	ds_bpermute_b32 v1, v1, v5
	v_or_b32_e32 v3, 8, v4
	s_waitcnt lgkmcnt(0)
	v_add_u32_e32 v1, v1, v5
	ds_bpermute_b32 v3, v3, v1
	s_waitcnt lgkmcnt(0)
	v_add_u32_e32 v1, v3, v1
.LBB233_221:
	s_or_b64 exec, exec, s[6:7]
.LBB233_222:
	v_cmp_eq_u32_e64 s[4:5], 0, v0
	s_and_saveexec_b64 s[6:7], s[4:5]
	s_cbranch_execnz .LBB233_225
	s_branch .LBB233_226
.LBB233_223:
                                        ; implicit-def: $vgpr1
                                        ; implicit-def: $sgpr2_sgpr3
.LBB233_224:
	s_and_saveexec_b64 s[6:7], s[4:5]
	s_cbranch_execz .LBB233_226
.LBB233_225:
	s_load_dwordx2 s[4:5], s[0:1], 0x18
	s_load_dword s6, s[0:1], 0x20
	s_lshl_b64 s[0:1], s[2:3], 2
	v_mov_b32_e32 v0, 0
	s_waitcnt lgkmcnt(0)
	s_add_u32 s0, s4, s0
	s_addc_u32 s1, s5, s1
	s_cmp_lg_u64 s[70:71], 0
	s_cselect_b64 vcc, -1, 0
	v_cndmask_b32_e32 v1, 0, v1, vcc
	v_add_u32_e32 v1, s6, v1
	global_store_dword v0, v1, s[0:1]
.LBB233_226:
	s_endpgm
.LBB233_227:
                                        ; implicit-def: $vgpr1
	s_cbranch_execz .LBB233_222
; %bb.228:
	s_sub_i32 s8, s70, s4
	v_cmp_gt_u32_e32 vcc, s8, v0
                                        ; implicit-def: $vgpr1
	s_and_saveexec_b64 s[6:7], vcc
	s_cbranch_execz .LBB233_230
; %bb.229:
	s_lshl_b64 s[4:5], s[4:5], 2
	s_add_u32 s4, s68, s4
	s_addc_u32 s5, s69, s5
	v_lshlrev_b32_e32 v1, 2, v0
	global_load_dword v1, v1, s[4:5]
.LBB233_230:
	s_or_b64 exec, exec, s[6:7]
	v_mbcnt_hi_u32_b32 v2, -1, v2
	v_and_b32_e32 v4, 63, v2
	v_cmp_ne_u32_e32 vcc, 63, v4
	s_min_u32 s6, s8, 0x100
	v_and_b32_e32 v5, 0xc0, v0
	v_addc_co_u32_e32 v3, vcc, 0, v2, vcc
	v_lshlrev_b32_e32 v3, 2, v3
	s_waitcnt vmcnt(0)
	ds_bpermute_b32 v3, v3, v1
	v_sub_u32_e64 v5, s6, v5 clamp
	v_add_u32_e32 v6, 1, v4
	v_cmp_lt_u32_e32 vcc, v6, v5
	v_add_u32_e32 v6, 2, v4
	s_waitcnt lgkmcnt(0)
	v_cndmask_b32_e32 v3, 0, v3, vcc
	v_cmp_gt_u32_e32 vcc, 62, v4
	v_add_u32_e32 v1, v3, v1
	s_nop 0
	v_cndmask_b32_e64 v3, 0, 2, vcc
	v_add_lshl_u32 v3, v3, v2, 2
	ds_bpermute_b32 v3, v3, v1
	v_cmp_lt_u32_e32 vcc, v6, v5
	v_add_u32_e32 v6, 4, v4
	s_waitcnt lgkmcnt(0)
	v_cndmask_b32_e32 v3, 0, v3, vcc
	v_cmp_gt_u32_e32 vcc, 60, v4
	v_add_u32_e32 v1, v1, v3
	s_nop 0
	v_cndmask_b32_e64 v3, 0, 4, vcc
	v_add_lshl_u32 v3, v3, v2, 2
	ds_bpermute_b32 v3, v3, v1
	;; [unrolled: 10-line block ×3, first 2 shown]
	v_cmp_lt_u32_e32 vcc, v6, v5
	v_add_u32_e32 v6, 16, v4
	s_waitcnt lgkmcnt(0)
	v_cndmask_b32_e32 v3, 0, v3, vcc
	v_cmp_gt_u32_e32 vcc, 48, v4
	v_add_u32_e32 v1, v1, v3
	v_add_u32_e32 v4, 32, v4
	v_cndmask_b32_e64 v3, 0, 16, vcc
	v_add_lshl_u32 v3, v3, v2, 2
	ds_bpermute_b32 v3, v3, v1
	v_cmp_lt_u32_e32 vcc, v6, v5
	s_waitcnt lgkmcnt(0)
	s_nop 0
	v_cndmask_b32_e32 v3, 0, v3, vcc
	v_add_u32_e32 v1, v1, v3
	v_lshlrev_b32_e32 v3, 2, v2
	v_or_b32_e32 v6, 0x80, v3
	ds_bpermute_b32 v6, v6, v1
	v_cmp_lt_u32_e32 vcc, v4, v5
	s_waitcnt lgkmcnt(0)
	s_nop 0
	v_cndmask_b32_e32 v4, 0, v6, vcc
	v_add_u32_e32 v1, v1, v4
	v_cmp_eq_u32_e32 vcc, 0, v2
	s_and_saveexec_b64 s[4:5], vcc
; %bb.231:
	v_lshrrev_b32_e32 v4, 4, v0
	v_and_b32_e32 v4, 12, v4
	ds_write_b32 v4, v1 offset:96
; %bb.232:
	s_or_b64 exec, exec, s[4:5]
	v_cmp_gt_u32_e32 vcc, 4, v0
	s_waitcnt lgkmcnt(0)
	s_barrier
	s_and_saveexec_b64 s[4:5], vcc
	s_cbranch_execz .LBB233_234
; %bb.233:
	ds_read_b32 v1, v3 offset:96
	v_and_b32_e32 v4, 3, v2
	v_cmp_ne_u32_e32 vcc, 3, v4
	s_add_i32 s6, s6, 63
	s_lshr_b32 s6, s6, 6
	v_addc_co_u32_e32 v2, vcc, 0, v2, vcc
	v_lshlrev_b32_e32 v2, 2, v2
	s_waitcnt lgkmcnt(0)
	ds_bpermute_b32 v2, v2, v1
	v_add_u32_e32 v5, 1, v4
	v_cmp_gt_u32_e32 vcc, s6, v5
	s_waitcnt lgkmcnt(0)
	s_nop 0
	v_cndmask_b32_e32 v2, 0, v2, vcc
	v_add_u32_e32 v1, v2, v1
	v_or_b32_e32 v2, 8, v3
	ds_bpermute_b32 v2, v2, v1
	v_add_u32_e32 v3, 2, v4
	v_cmp_gt_u32_e32 vcc, s6, v3
	s_waitcnt lgkmcnt(0)
	s_nop 0
	v_cndmask_b32_e32 v2, 0, v2, vcc
	v_add_u32_e32 v1, v1, v2
.LBB233_234:
	s_or_b64 exec, exec, s[4:5]
	v_cmp_eq_u32_e64 s[4:5], 0, v0
	s_and_saveexec_b64 s[6:7], s[4:5]
	s_cbranch_execnz .LBB233_225
	s_branch .LBB233_226
	.section	.rodata,"a",@progbits
	.p2align	6, 0x0
	.amdhsa_kernel _ZN7rocprim17ROCPRIM_400000_NS6detail17trampoline_kernelINS0_14default_configENS1_22reduce_config_selectorIiEEZNS1_11reduce_implILb1ES3_PiS7_iN6thrust23THRUST_200600_302600_NS4plusIiEEEE10hipError_tPvRmT1_T2_T3_mT4_P12ihipStream_tbEUlT_E1_NS1_11comp_targetILNS1_3genE0ELNS1_11target_archE4294967295ELNS1_3gpuE0ELNS1_3repE0EEENS1_30default_config_static_selectorELNS0_4arch9wavefront6targetE1EEEvSF_
		.amdhsa_group_segment_fixed_size 112
		.amdhsa_private_segment_fixed_size 0
		.amdhsa_kernarg_size 40
		.amdhsa_user_sgpr_count 2
		.amdhsa_user_sgpr_dispatch_ptr 0
		.amdhsa_user_sgpr_queue_ptr 0
		.amdhsa_user_sgpr_kernarg_segment_ptr 1
		.amdhsa_user_sgpr_dispatch_id 0
		.amdhsa_user_sgpr_kernarg_preload_length 0
		.amdhsa_user_sgpr_kernarg_preload_offset 0
		.amdhsa_user_sgpr_private_segment_size 0
		.amdhsa_uses_dynamic_stack 0
		.amdhsa_enable_private_segment 0
		.amdhsa_system_sgpr_workgroup_id_x 1
		.amdhsa_system_sgpr_workgroup_id_y 0
		.amdhsa_system_sgpr_workgroup_id_z 0
		.amdhsa_system_sgpr_workgroup_info 0
		.amdhsa_system_vgpr_workitem_id 0
		.amdhsa_next_free_vgpr 36
		.amdhsa_next_free_sgpr 77
		.amdhsa_accum_offset 36
		.amdhsa_reserve_vcc 1
		.amdhsa_float_round_mode_32 0
		.amdhsa_float_round_mode_16_64 0
		.amdhsa_float_denorm_mode_32 3
		.amdhsa_float_denorm_mode_16_64 3
		.amdhsa_dx10_clamp 1
		.amdhsa_ieee_mode 1
		.amdhsa_fp16_overflow 0
		.amdhsa_tg_split 0
		.amdhsa_exception_fp_ieee_invalid_op 0
		.amdhsa_exception_fp_denorm_src 0
		.amdhsa_exception_fp_ieee_div_zero 0
		.amdhsa_exception_fp_ieee_overflow 0
		.amdhsa_exception_fp_ieee_underflow 0
		.amdhsa_exception_fp_ieee_inexact 0
		.amdhsa_exception_int_div_zero 0
	.end_amdhsa_kernel
	.section	.text._ZN7rocprim17ROCPRIM_400000_NS6detail17trampoline_kernelINS0_14default_configENS1_22reduce_config_selectorIiEEZNS1_11reduce_implILb1ES3_PiS7_iN6thrust23THRUST_200600_302600_NS4plusIiEEEE10hipError_tPvRmT1_T2_T3_mT4_P12ihipStream_tbEUlT_E1_NS1_11comp_targetILNS1_3genE0ELNS1_11target_archE4294967295ELNS1_3gpuE0ELNS1_3repE0EEENS1_30default_config_static_selectorELNS0_4arch9wavefront6targetE1EEEvSF_,"axG",@progbits,_ZN7rocprim17ROCPRIM_400000_NS6detail17trampoline_kernelINS0_14default_configENS1_22reduce_config_selectorIiEEZNS1_11reduce_implILb1ES3_PiS7_iN6thrust23THRUST_200600_302600_NS4plusIiEEEE10hipError_tPvRmT1_T2_T3_mT4_P12ihipStream_tbEUlT_E1_NS1_11comp_targetILNS1_3genE0ELNS1_11target_archE4294967295ELNS1_3gpuE0ELNS1_3repE0EEENS1_30default_config_static_selectorELNS0_4arch9wavefront6targetE1EEEvSF_,comdat
.Lfunc_end233:
	.size	_ZN7rocprim17ROCPRIM_400000_NS6detail17trampoline_kernelINS0_14default_configENS1_22reduce_config_selectorIiEEZNS1_11reduce_implILb1ES3_PiS7_iN6thrust23THRUST_200600_302600_NS4plusIiEEEE10hipError_tPvRmT1_T2_T3_mT4_P12ihipStream_tbEUlT_E1_NS1_11comp_targetILNS1_3genE0ELNS1_11target_archE4294967295ELNS1_3gpuE0ELNS1_3repE0EEENS1_30default_config_static_selectorELNS0_4arch9wavefront6targetE1EEEvSF_, .Lfunc_end233-_ZN7rocprim17ROCPRIM_400000_NS6detail17trampoline_kernelINS0_14default_configENS1_22reduce_config_selectorIiEEZNS1_11reduce_implILb1ES3_PiS7_iN6thrust23THRUST_200600_302600_NS4plusIiEEEE10hipError_tPvRmT1_T2_T3_mT4_P12ihipStream_tbEUlT_E1_NS1_11comp_targetILNS1_3genE0ELNS1_11target_archE4294967295ELNS1_3gpuE0ELNS1_3repE0EEENS1_30default_config_static_selectorELNS0_4arch9wavefront6targetE1EEEvSF_
                                        ; -- End function
	.set _ZN7rocprim17ROCPRIM_400000_NS6detail17trampoline_kernelINS0_14default_configENS1_22reduce_config_selectorIiEEZNS1_11reduce_implILb1ES3_PiS7_iN6thrust23THRUST_200600_302600_NS4plusIiEEEE10hipError_tPvRmT1_T2_T3_mT4_P12ihipStream_tbEUlT_E1_NS1_11comp_targetILNS1_3genE0ELNS1_11target_archE4294967295ELNS1_3gpuE0ELNS1_3repE0EEENS1_30default_config_static_selectorELNS0_4arch9wavefront6targetE1EEEvSF_.num_vgpr, 36
	.set _ZN7rocprim17ROCPRIM_400000_NS6detail17trampoline_kernelINS0_14default_configENS1_22reduce_config_selectorIiEEZNS1_11reduce_implILb1ES3_PiS7_iN6thrust23THRUST_200600_302600_NS4plusIiEEEE10hipError_tPvRmT1_T2_T3_mT4_P12ihipStream_tbEUlT_E1_NS1_11comp_targetILNS1_3genE0ELNS1_11target_archE4294967295ELNS1_3gpuE0ELNS1_3repE0EEENS1_30default_config_static_selectorELNS0_4arch9wavefront6targetE1EEEvSF_.num_agpr, 0
	.set _ZN7rocprim17ROCPRIM_400000_NS6detail17trampoline_kernelINS0_14default_configENS1_22reduce_config_selectorIiEEZNS1_11reduce_implILb1ES3_PiS7_iN6thrust23THRUST_200600_302600_NS4plusIiEEEE10hipError_tPvRmT1_T2_T3_mT4_P12ihipStream_tbEUlT_E1_NS1_11comp_targetILNS1_3genE0ELNS1_11target_archE4294967295ELNS1_3gpuE0ELNS1_3repE0EEENS1_30default_config_static_selectorELNS0_4arch9wavefront6targetE1EEEvSF_.numbered_sgpr, 77
	.set _ZN7rocprim17ROCPRIM_400000_NS6detail17trampoline_kernelINS0_14default_configENS1_22reduce_config_selectorIiEEZNS1_11reduce_implILb1ES3_PiS7_iN6thrust23THRUST_200600_302600_NS4plusIiEEEE10hipError_tPvRmT1_T2_T3_mT4_P12ihipStream_tbEUlT_E1_NS1_11comp_targetILNS1_3genE0ELNS1_11target_archE4294967295ELNS1_3gpuE0ELNS1_3repE0EEENS1_30default_config_static_selectorELNS0_4arch9wavefront6targetE1EEEvSF_.num_named_barrier, 0
	.set _ZN7rocprim17ROCPRIM_400000_NS6detail17trampoline_kernelINS0_14default_configENS1_22reduce_config_selectorIiEEZNS1_11reduce_implILb1ES3_PiS7_iN6thrust23THRUST_200600_302600_NS4plusIiEEEE10hipError_tPvRmT1_T2_T3_mT4_P12ihipStream_tbEUlT_E1_NS1_11comp_targetILNS1_3genE0ELNS1_11target_archE4294967295ELNS1_3gpuE0ELNS1_3repE0EEENS1_30default_config_static_selectorELNS0_4arch9wavefront6targetE1EEEvSF_.private_seg_size, 0
	.set _ZN7rocprim17ROCPRIM_400000_NS6detail17trampoline_kernelINS0_14default_configENS1_22reduce_config_selectorIiEEZNS1_11reduce_implILb1ES3_PiS7_iN6thrust23THRUST_200600_302600_NS4plusIiEEEE10hipError_tPvRmT1_T2_T3_mT4_P12ihipStream_tbEUlT_E1_NS1_11comp_targetILNS1_3genE0ELNS1_11target_archE4294967295ELNS1_3gpuE0ELNS1_3repE0EEENS1_30default_config_static_selectorELNS0_4arch9wavefront6targetE1EEEvSF_.uses_vcc, 1
	.set _ZN7rocprim17ROCPRIM_400000_NS6detail17trampoline_kernelINS0_14default_configENS1_22reduce_config_selectorIiEEZNS1_11reduce_implILb1ES3_PiS7_iN6thrust23THRUST_200600_302600_NS4plusIiEEEE10hipError_tPvRmT1_T2_T3_mT4_P12ihipStream_tbEUlT_E1_NS1_11comp_targetILNS1_3genE0ELNS1_11target_archE4294967295ELNS1_3gpuE0ELNS1_3repE0EEENS1_30default_config_static_selectorELNS0_4arch9wavefront6targetE1EEEvSF_.uses_flat_scratch, 0
	.set _ZN7rocprim17ROCPRIM_400000_NS6detail17trampoline_kernelINS0_14default_configENS1_22reduce_config_selectorIiEEZNS1_11reduce_implILb1ES3_PiS7_iN6thrust23THRUST_200600_302600_NS4plusIiEEEE10hipError_tPvRmT1_T2_T3_mT4_P12ihipStream_tbEUlT_E1_NS1_11comp_targetILNS1_3genE0ELNS1_11target_archE4294967295ELNS1_3gpuE0ELNS1_3repE0EEENS1_30default_config_static_selectorELNS0_4arch9wavefront6targetE1EEEvSF_.has_dyn_sized_stack, 0
	.set _ZN7rocprim17ROCPRIM_400000_NS6detail17trampoline_kernelINS0_14default_configENS1_22reduce_config_selectorIiEEZNS1_11reduce_implILb1ES3_PiS7_iN6thrust23THRUST_200600_302600_NS4plusIiEEEE10hipError_tPvRmT1_T2_T3_mT4_P12ihipStream_tbEUlT_E1_NS1_11comp_targetILNS1_3genE0ELNS1_11target_archE4294967295ELNS1_3gpuE0ELNS1_3repE0EEENS1_30default_config_static_selectorELNS0_4arch9wavefront6targetE1EEEvSF_.has_recursion, 0
	.set _ZN7rocprim17ROCPRIM_400000_NS6detail17trampoline_kernelINS0_14default_configENS1_22reduce_config_selectorIiEEZNS1_11reduce_implILb1ES3_PiS7_iN6thrust23THRUST_200600_302600_NS4plusIiEEEE10hipError_tPvRmT1_T2_T3_mT4_P12ihipStream_tbEUlT_E1_NS1_11comp_targetILNS1_3genE0ELNS1_11target_archE4294967295ELNS1_3gpuE0ELNS1_3repE0EEENS1_30default_config_static_selectorELNS0_4arch9wavefront6targetE1EEEvSF_.has_indirect_call, 0
	.section	.AMDGPU.csdata,"",@progbits
; Kernel info:
; codeLenInByte = 9884
; TotalNumSgprs: 83
; NumVgprs: 36
; NumAgprs: 0
; TotalNumVgprs: 36
; ScratchSize: 0
; MemoryBound: 0
; FloatMode: 240
; IeeeMode: 1
; LDSByteSize: 112 bytes/workgroup (compile time only)
; SGPRBlocks: 10
; VGPRBlocks: 4
; NumSGPRsForWavesPerEU: 83
; NumVGPRsForWavesPerEU: 36
; AccumOffset: 36
; Occupancy: 8
; WaveLimiterHint : 1
; COMPUTE_PGM_RSRC2:SCRATCH_EN: 0
; COMPUTE_PGM_RSRC2:USER_SGPR: 2
; COMPUTE_PGM_RSRC2:TRAP_HANDLER: 0
; COMPUTE_PGM_RSRC2:TGID_X_EN: 1
; COMPUTE_PGM_RSRC2:TGID_Y_EN: 0
; COMPUTE_PGM_RSRC2:TGID_Z_EN: 0
; COMPUTE_PGM_RSRC2:TIDIG_COMP_CNT: 0
; COMPUTE_PGM_RSRC3_GFX90A:ACCUM_OFFSET: 8
; COMPUTE_PGM_RSRC3_GFX90A:TG_SPLIT: 0
	.section	.text._ZN7rocprim17ROCPRIM_400000_NS6detail17trampoline_kernelINS0_14default_configENS1_22reduce_config_selectorIiEEZNS1_11reduce_implILb1ES3_PiS7_iN6thrust23THRUST_200600_302600_NS4plusIiEEEE10hipError_tPvRmT1_T2_T3_mT4_P12ihipStream_tbEUlT_E1_NS1_11comp_targetILNS1_3genE5ELNS1_11target_archE942ELNS1_3gpuE9ELNS1_3repE0EEENS1_30default_config_static_selectorELNS0_4arch9wavefront6targetE1EEEvSF_,"axG",@progbits,_ZN7rocprim17ROCPRIM_400000_NS6detail17trampoline_kernelINS0_14default_configENS1_22reduce_config_selectorIiEEZNS1_11reduce_implILb1ES3_PiS7_iN6thrust23THRUST_200600_302600_NS4plusIiEEEE10hipError_tPvRmT1_T2_T3_mT4_P12ihipStream_tbEUlT_E1_NS1_11comp_targetILNS1_3genE5ELNS1_11target_archE942ELNS1_3gpuE9ELNS1_3repE0EEENS1_30default_config_static_selectorELNS0_4arch9wavefront6targetE1EEEvSF_,comdat
	.protected	_ZN7rocprim17ROCPRIM_400000_NS6detail17trampoline_kernelINS0_14default_configENS1_22reduce_config_selectorIiEEZNS1_11reduce_implILb1ES3_PiS7_iN6thrust23THRUST_200600_302600_NS4plusIiEEEE10hipError_tPvRmT1_T2_T3_mT4_P12ihipStream_tbEUlT_E1_NS1_11comp_targetILNS1_3genE5ELNS1_11target_archE942ELNS1_3gpuE9ELNS1_3repE0EEENS1_30default_config_static_selectorELNS0_4arch9wavefront6targetE1EEEvSF_ ; -- Begin function _ZN7rocprim17ROCPRIM_400000_NS6detail17trampoline_kernelINS0_14default_configENS1_22reduce_config_selectorIiEEZNS1_11reduce_implILb1ES3_PiS7_iN6thrust23THRUST_200600_302600_NS4plusIiEEEE10hipError_tPvRmT1_T2_T3_mT4_P12ihipStream_tbEUlT_E1_NS1_11comp_targetILNS1_3genE5ELNS1_11target_archE942ELNS1_3gpuE9ELNS1_3repE0EEENS1_30default_config_static_selectorELNS0_4arch9wavefront6targetE1EEEvSF_
	.globl	_ZN7rocprim17ROCPRIM_400000_NS6detail17trampoline_kernelINS0_14default_configENS1_22reduce_config_selectorIiEEZNS1_11reduce_implILb1ES3_PiS7_iN6thrust23THRUST_200600_302600_NS4plusIiEEEE10hipError_tPvRmT1_T2_T3_mT4_P12ihipStream_tbEUlT_E1_NS1_11comp_targetILNS1_3genE5ELNS1_11target_archE942ELNS1_3gpuE9ELNS1_3repE0EEENS1_30default_config_static_selectorELNS0_4arch9wavefront6targetE1EEEvSF_
	.p2align	8
	.type	_ZN7rocprim17ROCPRIM_400000_NS6detail17trampoline_kernelINS0_14default_configENS1_22reduce_config_selectorIiEEZNS1_11reduce_implILb1ES3_PiS7_iN6thrust23THRUST_200600_302600_NS4plusIiEEEE10hipError_tPvRmT1_T2_T3_mT4_P12ihipStream_tbEUlT_E1_NS1_11comp_targetILNS1_3genE5ELNS1_11target_archE942ELNS1_3gpuE9ELNS1_3repE0EEENS1_30default_config_static_selectorELNS0_4arch9wavefront6targetE1EEEvSF_,@function
_ZN7rocprim17ROCPRIM_400000_NS6detail17trampoline_kernelINS0_14default_configENS1_22reduce_config_selectorIiEEZNS1_11reduce_implILb1ES3_PiS7_iN6thrust23THRUST_200600_302600_NS4plusIiEEEE10hipError_tPvRmT1_T2_T3_mT4_P12ihipStream_tbEUlT_E1_NS1_11comp_targetILNS1_3genE5ELNS1_11target_archE942ELNS1_3gpuE9ELNS1_3repE0EEENS1_30default_config_static_selectorELNS0_4arch9wavefront6targetE1EEEvSF_: ; @_ZN7rocprim17ROCPRIM_400000_NS6detail17trampoline_kernelINS0_14default_configENS1_22reduce_config_selectorIiEEZNS1_11reduce_implILb1ES3_PiS7_iN6thrust23THRUST_200600_302600_NS4plusIiEEEE10hipError_tPvRmT1_T2_T3_mT4_P12ihipStream_tbEUlT_E1_NS1_11comp_targetILNS1_3genE5ELNS1_11target_archE942ELNS1_3gpuE9ELNS1_3repE0EEENS1_30default_config_static_selectorELNS0_4arch9wavefront6targetE1EEEvSF_
; %bb.0:
	.section	.rodata,"a",@progbits
	.p2align	6, 0x0
	.amdhsa_kernel _ZN7rocprim17ROCPRIM_400000_NS6detail17trampoline_kernelINS0_14default_configENS1_22reduce_config_selectorIiEEZNS1_11reduce_implILb1ES3_PiS7_iN6thrust23THRUST_200600_302600_NS4plusIiEEEE10hipError_tPvRmT1_T2_T3_mT4_P12ihipStream_tbEUlT_E1_NS1_11comp_targetILNS1_3genE5ELNS1_11target_archE942ELNS1_3gpuE9ELNS1_3repE0EEENS1_30default_config_static_selectorELNS0_4arch9wavefront6targetE1EEEvSF_
		.amdhsa_group_segment_fixed_size 0
		.amdhsa_private_segment_fixed_size 0
		.amdhsa_kernarg_size 40
		.amdhsa_user_sgpr_count 2
		.amdhsa_user_sgpr_dispatch_ptr 0
		.amdhsa_user_sgpr_queue_ptr 0
		.amdhsa_user_sgpr_kernarg_segment_ptr 1
		.amdhsa_user_sgpr_dispatch_id 0
		.amdhsa_user_sgpr_kernarg_preload_length 0
		.amdhsa_user_sgpr_kernarg_preload_offset 0
		.amdhsa_user_sgpr_private_segment_size 0
		.amdhsa_uses_dynamic_stack 0
		.amdhsa_enable_private_segment 0
		.amdhsa_system_sgpr_workgroup_id_x 1
		.amdhsa_system_sgpr_workgroup_id_y 0
		.amdhsa_system_sgpr_workgroup_id_z 0
		.amdhsa_system_sgpr_workgroup_info 0
		.amdhsa_system_vgpr_workitem_id 0
		.amdhsa_next_free_vgpr 1
		.amdhsa_next_free_sgpr 0
		.amdhsa_accum_offset 4
		.amdhsa_reserve_vcc 0
		.amdhsa_float_round_mode_32 0
		.amdhsa_float_round_mode_16_64 0
		.amdhsa_float_denorm_mode_32 3
		.amdhsa_float_denorm_mode_16_64 3
		.amdhsa_dx10_clamp 1
		.amdhsa_ieee_mode 1
		.amdhsa_fp16_overflow 0
		.amdhsa_tg_split 0
		.amdhsa_exception_fp_ieee_invalid_op 0
		.amdhsa_exception_fp_denorm_src 0
		.amdhsa_exception_fp_ieee_div_zero 0
		.amdhsa_exception_fp_ieee_overflow 0
		.amdhsa_exception_fp_ieee_underflow 0
		.amdhsa_exception_fp_ieee_inexact 0
		.amdhsa_exception_int_div_zero 0
	.end_amdhsa_kernel
	.section	.text._ZN7rocprim17ROCPRIM_400000_NS6detail17trampoline_kernelINS0_14default_configENS1_22reduce_config_selectorIiEEZNS1_11reduce_implILb1ES3_PiS7_iN6thrust23THRUST_200600_302600_NS4plusIiEEEE10hipError_tPvRmT1_T2_T3_mT4_P12ihipStream_tbEUlT_E1_NS1_11comp_targetILNS1_3genE5ELNS1_11target_archE942ELNS1_3gpuE9ELNS1_3repE0EEENS1_30default_config_static_selectorELNS0_4arch9wavefront6targetE1EEEvSF_,"axG",@progbits,_ZN7rocprim17ROCPRIM_400000_NS6detail17trampoline_kernelINS0_14default_configENS1_22reduce_config_selectorIiEEZNS1_11reduce_implILb1ES3_PiS7_iN6thrust23THRUST_200600_302600_NS4plusIiEEEE10hipError_tPvRmT1_T2_T3_mT4_P12ihipStream_tbEUlT_E1_NS1_11comp_targetILNS1_3genE5ELNS1_11target_archE942ELNS1_3gpuE9ELNS1_3repE0EEENS1_30default_config_static_selectorELNS0_4arch9wavefront6targetE1EEEvSF_,comdat
.Lfunc_end234:
	.size	_ZN7rocprim17ROCPRIM_400000_NS6detail17trampoline_kernelINS0_14default_configENS1_22reduce_config_selectorIiEEZNS1_11reduce_implILb1ES3_PiS7_iN6thrust23THRUST_200600_302600_NS4plusIiEEEE10hipError_tPvRmT1_T2_T3_mT4_P12ihipStream_tbEUlT_E1_NS1_11comp_targetILNS1_3genE5ELNS1_11target_archE942ELNS1_3gpuE9ELNS1_3repE0EEENS1_30default_config_static_selectorELNS0_4arch9wavefront6targetE1EEEvSF_, .Lfunc_end234-_ZN7rocprim17ROCPRIM_400000_NS6detail17trampoline_kernelINS0_14default_configENS1_22reduce_config_selectorIiEEZNS1_11reduce_implILb1ES3_PiS7_iN6thrust23THRUST_200600_302600_NS4plusIiEEEE10hipError_tPvRmT1_T2_T3_mT4_P12ihipStream_tbEUlT_E1_NS1_11comp_targetILNS1_3genE5ELNS1_11target_archE942ELNS1_3gpuE9ELNS1_3repE0EEENS1_30default_config_static_selectorELNS0_4arch9wavefront6targetE1EEEvSF_
                                        ; -- End function
	.set _ZN7rocprim17ROCPRIM_400000_NS6detail17trampoline_kernelINS0_14default_configENS1_22reduce_config_selectorIiEEZNS1_11reduce_implILb1ES3_PiS7_iN6thrust23THRUST_200600_302600_NS4plusIiEEEE10hipError_tPvRmT1_T2_T3_mT4_P12ihipStream_tbEUlT_E1_NS1_11comp_targetILNS1_3genE5ELNS1_11target_archE942ELNS1_3gpuE9ELNS1_3repE0EEENS1_30default_config_static_selectorELNS0_4arch9wavefront6targetE1EEEvSF_.num_vgpr, 0
	.set _ZN7rocprim17ROCPRIM_400000_NS6detail17trampoline_kernelINS0_14default_configENS1_22reduce_config_selectorIiEEZNS1_11reduce_implILb1ES3_PiS7_iN6thrust23THRUST_200600_302600_NS4plusIiEEEE10hipError_tPvRmT1_T2_T3_mT4_P12ihipStream_tbEUlT_E1_NS1_11comp_targetILNS1_3genE5ELNS1_11target_archE942ELNS1_3gpuE9ELNS1_3repE0EEENS1_30default_config_static_selectorELNS0_4arch9wavefront6targetE1EEEvSF_.num_agpr, 0
	.set _ZN7rocprim17ROCPRIM_400000_NS6detail17trampoline_kernelINS0_14default_configENS1_22reduce_config_selectorIiEEZNS1_11reduce_implILb1ES3_PiS7_iN6thrust23THRUST_200600_302600_NS4plusIiEEEE10hipError_tPvRmT1_T2_T3_mT4_P12ihipStream_tbEUlT_E1_NS1_11comp_targetILNS1_3genE5ELNS1_11target_archE942ELNS1_3gpuE9ELNS1_3repE0EEENS1_30default_config_static_selectorELNS0_4arch9wavefront6targetE1EEEvSF_.numbered_sgpr, 0
	.set _ZN7rocprim17ROCPRIM_400000_NS6detail17trampoline_kernelINS0_14default_configENS1_22reduce_config_selectorIiEEZNS1_11reduce_implILb1ES3_PiS7_iN6thrust23THRUST_200600_302600_NS4plusIiEEEE10hipError_tPvRmT1_T2_T3_mT4_P12ihipStream_tbEUlT_E1_NS1_11comp_targetILNS1_3genE5ELNS1_11target_archE942ELNS1_3gpuE9ELNS1_3repE0EEENS1_30default_config_static_selectorELNS0_4arch9wavefront6targetE1EEEvSF_.num_named_barrier, 0
	.set _ZN7rocprim17ROCPRIM_400000_NS6detail17trampoline_kernelINS0_14default_configENS1_22reduce_config_selectorIiEEZNS1_11reduce_implILb1ES3_PiS7_iN6thrust23THRUST_200600_302600_NS4plusIiEEEE10hipError_tPvRmT1_T2_T3_mT4_P12ihipStream_tbEUlT_E1_NS1_11comp_targetILNS1_3genE5ELNS1_11target_archE942ELNS1_3gpuE9ELNS1_3repE0EEENS1_30default_config_static_selectorELNS0_4arch9wavefront6targetE1EEEvSF_.private_seg_size, 0
	.set _ZN7rocprim17ROCPRIM_400000_NS6detail17trampoline_kernelINS0_14default_configENS1_22reduce_config_selectorIiEEZNS1_11reduce_implILb1ES3_PiS7_iN6thrust23THRUST_200600_302600_NS4plusIiEEEE10hipError_tPvRmT1_T2_T3_mT4_P12ihipStream_tbEUlT_E1_NS1_11comp_targetILNS1_3genE5ELNS1_11target_archE942ELNS1_3gpuE9ELNS1_3repE0EEENS1_30default_config_static_selectorELNS0_4arch9wavefront6targetE1EEEvSF_.uses_vcc, 0
	.set _ZN7rocprim17ROCPRIM_400000_NS6detail17trampoline_kernelINS0_14default_configENS1_22reduce_config_selectorIiEEZNS1_11reduce_implILb1ES3_PiS7_iN6thrust23THRUST_200600_302600_NS4plusIiEEEE10hipError_tPvRmT1_T2_T3_mT4_P12ihipStream_tbEUlT_E1_NS1_11comp_targetILNS1_3genE5ELNS1_11target_archE942ELNS1_3gpuE9ELNS1_3repE0EEENS1_30default_config_static_selectorELNS0_4arch9wavefront6targetE1EEEvSF_.uses_flat_scratch, 0
	.set _ZN7rocprim17ROCPRIM_400000_NS6detail17trampoline_kernelINS0_14default_configENS1_22reduce_config_selectorIiEEZNS1_11reduce_implILb1ES3_PiS7_iN6thrust23THRUST_200600_302600_NS4plusIiEEEE10hipError_tPvRmT1_T2_T3_mT4_P12ihipStream_tbEUlT_E1_NS1_11comp_targetILNS1_3genE5ELNS1_11target_archE942ELNS1_3gpuE9ELNS1_3repE0EEENS1_30default_config_static_selectorELNS0_4arch9wavefront6targetE1EEEvSF_.has_dyn_sized_stack, 0
	.set _ZN7rocprim17ROCPRIM_400000_NS6detail17trampoline_kernelINS0_14default_configENS1_22reduce_config_selectorIiEEZNS1_11reduce_implILb1ES3_PiS7_iN6thrust23THRUST_200600_302600_NS4plusIiEEEE10hipError_tPvRmT1_T2_T3_mT4_P12ihipStream_tbEUlT_E1_NS1_11comp_targetILNS1_3genE5ELNS1_11target_archE942ELNS1_3gpuE9ELNS1_3repE0EEENS1_30default_config_static_selectorELNS0_4arch9wavefront6targetE1EEEvSF_.has_recursion, 0
	.set _ZN7rocprim17ROCPRIM_400000_NS6detail17trampoline_kernelINS0_14default_configENS1_22reduce_config_selectorIiEEZNS1_11reduce_implILb1ES3_PiS7_iN6thrust23THRUST_200600_302600_NS4plusIiEEEE10hipError_tPvRmT1_T2_T3_mT4_P12ihipStream_tbEUlT_E1_NS1_11comp_targetILNS1_3genE5ELNS1_11target_archE942ELNS1_3gpuE9ELNS1_3repE0EEENS1_30default_config_static_selectorELNS0_4arch9wavefront6targetE1EEEvSF_.has_indirect_call, 0
	.section	.AMDGPU.csdata,"",@progbits
; Kernel info:
; codeLenInByte = 0
; TotalNumSgprs: 6
; NumVgprs: 0
; NumAgprs: 0
; TotalNumVgprs: 0
; ScratchSize: 0
; MemoryBound: 0
; FloatMode: 240
; IeeeMode: 1
; LDSByteSize: 0 bytes/workgroup (compile time only)
; SGPRBlocks: 0
; VGPRBlocks: 0
; NumSGPRsForWavesPerEU: 6
; NumVGPRsForWavesPerEU: 1
; AccumOffset: 4
; Occupancy: 8
; WaveLimiterHint : 0
; COMPUTE_PGM_RSRC2:SCRATCH_EN: 0
; COMPUTE_PGM_RSRC2:USER_SGPR: 2
; COMPUTE_PGM_RSRC2:TRAP_HANDLER: 0
; COMPUTE_PGM_RSRC2:TGID_X_EN: 1
; COMPUTE_PGM_RSRC2:TGID_Y_EN: 0
; COMPUTE_PGM_RSRC2:TGID_Z_EN: 0
; COMPUTE_PGM_RSRC2:TIDIG_COMP_CNT: 0
; COMPUTE_PGM_RSRC3_GFX90A:ACCUM_OFFSET: 0
; COMPUTE_PGM_RSRC3_GFX90A:TG_SPLIT: 0
	.section	.text._ZN7rocprim17ROCPRIM_400000_NS6detail17trampoline_kernelINS0_14default_configENS1_22reduce_config_selectorIiEEZNS1_11reduce_implILb1ES3_PiS7_iN6thrust23THRUST_200600_302600_NS4plusIiEEEE10hipError_tPvRmT1_T2_T3_mT4_P12ihipStream_tbEUlT_E1_NS1_11comp_targetILNS1_3genE4ELNS1_11target_archE910ELNS1_3gpuE8ELNS1_3repE0EEENS1_30default_config_static_selectorELNS0_4arch9wavefront6targetE1EEEvSF_,"axG",@progbits,_ZN7rocprim17ROCPRIM_400000_NS6detail17trampoline_kernelINS0_14default_configENS1_22reduce_config_selectorIiEEZNS1_11reduce_implILb1ES3_PiS7_iN6thrust23THRUST_200600_302600_NS4plusIiEEEE10hipError_tPvRmT1_T2_T3_mT4_P12ihipStream_tbEUlT_E1_NS1_11comp_targetILNS1_3genE4ELNS1_11target_archE910ELNS1_3gpuE8ELNS1_3repE0EEENS1_30default_config_static_selectorELNS0_4arch9wavefront6targetE1EEEvSF_,comdat
	.protected	_ZN7rocprim17ROCPRIM_400000_NS6detail17trampoline_kernelINS0_14default_configENS1_22reduce_config_selectorIiEEZNS1_11reduce_implILb1ES3_PiS7_iN6thrust23THRUST_200600_302600_NS4plusIiEEEE10hipError_tPvRmT1_T2_T3_mT4_P12ihipStream_tbEUlT_E1_NS1_11comp_targetILNS1_3genE4ELNS1_11target_archE910ELNS1_3gpuE8ELNS1_3repE0EEENS1_30default_config_static_selectorELNS0_4arch9wavefront6targetE1EEEvSF_ ; -- Begin function _ZN7rocprim17ROCPRIM_400000_NS6detail17trampoline_kernelINS0_14default_configENS1_22reduce_config_selectorIiEEZNS1_11reduce_implILb1ES3_PiS7_iN6thrust23THRUST_200600_302600_NS4plusIiEEEE10hipError_tPvRmT1_T2_T3_mT4_P12ihipStream_tbEUlT_E1_NS1_11comp_targetILNS1_3genE4ELNS1_11target_archE910ELNS1_3gpuE8ELNS1_3repE0EEENS1_30default_config_static_selectorELNS0_4arch9wavefront6targetE1EEEvSF_
	.globl	_ZN7rocprim17ROCPRIM_400000_NS6detail17trampoline_kernelINS0_14default_configENS1_22reduce_config_selectorIiEEZNS1_11reduce_implILb1ES3_PiS7_iN6thrust23THRUST_200600_302600_NS4plusIiEEEE10hipError_tPvRmT1_T2_T3_mT4_P12ihipStream_tbEUlT_E1_NS1_11comp_targetILNS1_3genE4ELNS1_11target_archE910ELNS1_3gpuE8ELNS1_3repE0EEENS1_30default_config_static_selectorELNS0_4arch9wavefront6targetE1EEEvSF_
	.p2align	8
	.type	_ZN7rocprim17ROCPRIM_400000_NS6detail17trampoline_kernelINS0_14default_configENS1_22reduce_config_selectorIiEEZNS1_11reduce_implILb1ES3_PiS7_iN6thrust23THRUST_200600_302600_NS4plusIiEEEE10hipError_tPvRmT1_T2_T3_mT4_P12ihipStream_tbEUlT_E1_NS1_11comp_targetILNS1_3genE4ELNS1_11target_archE910ELNS1_3gpuE8ELNS1_3repE0EEENS1_30default_config_static_selectorELNS0_4arch9wavefront6targetE1EEEvSF_,@function
_ZN7rocprim17ROCPRIM_400000_NS6detail17trampoline_kernelINS0_14default_configENS1_22reduce_config_selectorIiEEZNS1_11reduce_implILb1ES3_PiS7_iN6thrust23THRUST_200600_302600_NS4plusIiEEEE10hipError_tPvRmT1_T2_T3_mT4_P12ihipStream_tbEUlT_E1_NS1_11comp_targetILNS1_3genE4ELNS1_11target_archE910ELNS1_3gpuE8ELNS1_3repE0EEENS1_30default_config_static_selectorELNS0_4arch9wavefront6targetE1EEEvSF_: ; @_ZN7rocprim17ROCPRIM_400000_NS6detail17trampoline_kernelINS0_14default_configENS1_22reduce_config_selectorIiEEZNS1_11reduce_implILb1ES3_PiS7_iN6thrust23THRUST_200600_302600_NS4plusIiEEEE10hipError_tPvRmT1_T2_T3_mT4_P12ihipStream_tbEUlT_E1_NS1_11comp_targetILNS1_3genE4ELNS1_11target_archE910ELNS1_3gpuE8ELNS1_3repE0EEENS1_30default_config_static_selectorELNS0_4arch9wavefront6targetE1EEEvSF_
; %bb.0:
	.section	.rodata,"a",@progbits
	.p2align	6, 0x0
	.amdhsa_kernel _ZN7rocprim17ROCPRIM_400000_NS6detail17trampoline_kernelINS0_14default_configENS1_22reduce_config_selectorIiEEZNS1_11reduce_implILb1ES3_PiS7_iN6thrust23THRUST_200600_302600_NS4plusIiEEEE10hipError_tPvRmT1_T2_T3_mT4_P12ihipStream_tbEUlT_E1_NS1_11comp_targetILNS1_3genE4ELNS1_11target_archE910ELNS1_3gpuE8ELNS1_3repE0EEENS1_30default_config_static_selectorELNS0_4arch9wavefront6targetE1EEEvSF_
		.amdhsa_group_segment_fixed_size 0
		.amdhsa_private_segment_fixed_size 0
		.amdhsa_kernarg_size 40
		.amdhsa_user_sgpr_count 2
		.amdhsa_user_sgpr_dispatch_ptr 0
		.amdhsa_user_sgpr_queue_ptr 0
		.amdhsa_user_sgpr_kernarg_segment_ptr 1
		.amdhsa_user_sgpr_dispatch_id 0
		.amdhsa_user_sgpr_kernarg_preload_length 0
		.amdhsa_user_sgpr_kernarg_preload_offset 0
		.amdhsa_user_sgpr_private_segment_size 0
		.amdhsa_uses_dynamic_stack 0
		.amdhsa_enable_private_segment 0
		.amdhsa_system_sgpr_workgroup_id_x 1
		.amdhsa_system_sgpr_workgroup_id_y 0
		.amdhsa_system_sgpr_workgroup_id_z 0
		.amdhsa_system_sgpr_workgroup_info 0
		.amdhsa_system_vgpr_workitem_id 0
		.amdhsa_next_free_vgpr 1
		.amdhsa_next_free_sgpr 0
		.amdhsa_accum_offset 4
		.amdhsa_reserve_vcc 0
		.amdhsa_float_round_mode_32 0
		.amdhsa_float_round_mode_16_64 0
		.amdhsa_float_denorm_mode_32 3
		.amdhsa_float_denorm_mode_16_64 3
		.amdhsa_dx10_clamp 1
		.amdhsa_ieee_mode 1
		.amdhsa_fp16_overflow 0
		.amdhsa_tg_split 0
		.amdhsa_exception_fp_ieee_invalid_op 0
		.amdhsa_exception_fp_denorm_src 0
		.amdhsa_exception_fp_ieee_div_zero 0
		.amdhsa_exception_fp_ieee_overflow 0
		.amdhsa_exception_fp_ieee_underflow 0
		.amdhsa_exception_fp_ieee_inexact 0
		.amdhsa_exception_int_div_zero 0
	.end_amdhsa_kernel
	.section	.text._ZN7rocprim17ROCPRIM_400000_NS6detail17trampoline_kernelINS0_14default_configENS1_22reduce_config_selectorIiEEZNS1_11reduce_implILb1ES3_PiS7_iN6thrust23THRUST_200600_302600_NS4plusIiEEEE10hipError_tPvRmT1_T2_T3_mT4_P12ihipStream_tbEUlT_E1_NS1_11comp_targetILNS1_3genE4ELNS1_11target_archE910ELNS1_3gpuE8ELNS1_3repE0EEENS1_30default_config_static_selectorELNS0_4arch9wavefront6targetE1EEEvSF_,"axG",@progbits,_ZN7rocprim17ROCPRIM_400000_NS6detail17trampoline_kernelINS0_14default_configENS1_22reduce_config_selectorIiEEZNS1_11reduce_implILb1ES3_PiS7_iN6thrust23THRUST_200600_302600_NS4plusIiEEEE10hipError_tPvRmT1_T2_T3_mT4_P12ihipStream_tbEUlT_E1_NS1_11comp_targetILNS1_3genE4ELNS1_11target_archE910ELNS1_3gpuE8ELNS1_3repE0EEENS1_30default_config_static_selectorELNS0_4arch9wavefront6targetE1EEEvSF_,comdat
.Lfunc_end235:
	.size	_ZN7rocprim17ROCPRIM_400000_NS6detail17trampoline_kernelINS0_14default_configENS1_22reduce_config_selectorIiEEZNS1_11reduce_implILb1ES3_PiS7_iN6thrust23THRUST_200600_302600_NS4plusIiEEEE10hipError_tPvRmT1_T2_T3_mT4_P12ihipStream_tbEUlT_E1_NS1_11comp_targetILNS1_3genE4ELNS1_11target_archE910ELNS1_3gpuE8ELNS1_3repE0EEENS1_30default_config_static_selectorELNS0_4arch9wavefront6targetE1EEEvSF_, .Lfunc_end235-_ZN7rocprim17ROCPRIM_400000_NS6detail17trampoline_kernelINS0_14default_configENS1_22reduce_config_selectorIiEEZNS1_11reduce_implILb1ES3_PiS7_iN6thrust23THRUST_200600_302600_NS4plusIiEEEE10hipError_tPvRmT1_T2_T3_mT4_P12ihipStream_tbEUlT_E1_NS1_11comp_targetILNS1_3genE4ELNS1_11target_archE910ELNS1_3gpuE8ELNS1_3repE0EEENS1_30default_config_static_selectorELNS0_4arch9wavefront6targetE1EEEvSF_
                                        ; -- End function
	.set _ZN7rocprim17ROCPRIM_400000_NS6detail17trampoline_kernelINS0_14default_configENS1_22reduce_config_selectorIiEEZNS1_11reduce_implILb1ES3_PiS7_iN6thrust23THRUST_200600_302600_NS4plusIiEEEE10hipError_tPvRmT1_T2_T3_mT4_P12ihipStream_tbEUlT_E1_NS1_11comp_targetILNS1_3genE4ELNS1_11target_archE910ELNS1_3gpuE8ELNS1_3repE0EEENS1_30default_config_static_selectorELNS0_4arch9wavefront6targetE1EEEvSF_.num_vgpr, 0
	.set _ZN7rocprim17ROCPRIM_400000_NS6detail17trampoline_kernelINS0_14default_configENS1_22reduce_config_selectorIiEEZNS1_11reduce_implILb1ES3_PiS7_iN6thrust23THRUST_200600_302600_NS4plusIiEEEE10hipError_tPvRmT1_T2_T3_mT4_P12ihipStream_tbEUlT_E1_NS1_11comp_targetILNS1_3genE4ELNS1_11target_archE910ELNS1_3gpuE8ELNS1_3repE0EEENS1_30default_config_static_selectorELNS0_4arch9wavefront6targetE1EEEvSF_.num_agpr, 0
	.set _ZN7rocprim17ROCPRIM_400000_NS6detail17trampoline_kernelINS0_14default_configENS1_22reduce_config_selectorIiEEZNS1_11reduce_implILb1ES3_PiS7_iN6thrust23THRUST_200600_302600_NS4plusIiEEEE10hipError_tPvRmT1_T2_T3_mT4_P12ihipStream_tbEUlT_E1_NS1_11comp_targetILNS1_3genE4ELNS1_11target_archE910ELNS1_3gpuE8ELNS1_3repE0EEENS1_30default_config_static_selectorELNS0_4arch9wavefront6targetE1EEEvSF_.numbered_sgpr, 0
	.set _ZN7rocprim17ROCPRIM_400000_NS6detail17trampoline_kernelINS0_14default_configENS1_22reduce_config_selectorIiEEZNS1_11reduce_implILb1ES3_PiS7_iN6thrust23THRUST_200600_302600_NS4plusIiEEEE10hipError_tPvRmT1_T2_T3_mT4_P12ihipStream_tbEUlT_E1_NS1_11comp_targetILNS1_3genE4ELNS1_11target_archE910ELNS1_3gpuE8ELNS1_3repE0EEENS1_30default_config_static_selectorELNS0_4arch9wavefront6targetE1EEEvSF_.num_named_barrier, 0
	.set _ZN7rocprim17ROCPRIM_400000_NS6detail17trampoline_kernelINS0_14default_configENS1_22reduce_config_selectorIiEEZNS1_11reduce_implILb1ES3_PiS7_iN6thrust23THRUST_200600_302600_NS4plusIiEEEE10hipError_tPvRmT1_T2_T3_mT4_P12ihipStream_tbEUlT_E1_NS1_11comp_targetILNS1_3genE4ELNS1_11target_archE910ELNS1_3gpuE8ELNS1_3repE0EEENS1_30default_config_static_selectorELNS0_4arch9wavefront6targetE1EEEvSF_.private_seg_size, 0
	.set _ZN7rocprim17ROCPRIM_400000_NS6detail17trampoline_kernelINS0_14default_configENS1_22reduce_config_selectorIiEEZNS1_11reduce_implILb1ES3_PiS7_iN6thrust23THRUST_200600_302600_NS4plusIiEEEE10hipError_tPvRmT1_T2_T3_mT4_P12ihipStream_tbEUlT_E1_NS1_11comp_targetILNS1_3genE4ELNS1_11target_archE910ELNS1_3gpuE8ELNS1_3repE0EEENS1_30default_config_static_selectorELNS0_4arch9wavefront6targetE1EEEvSF_.uses_vcc, 0
	.set _ZN7rocprim17ROCPRIM_400000_NS6detail17trampoline_kernelINS0_14default_configENS1_22reduce_config_selectorIiEEZNS1_11reduce_implILb1ES3_PiS7_iN6thrust23THRUST_200600_302600_NS4plusIiEEEE10hipError_tPvRmT1_T2_T3_mT4_P12ihipStream_tbEUlT_E1_NS1_11comp_targetILNS1_3genE4ELNS1_11target_archE910ELNS1_3gpuE8ELNS1_3repE0EEENS1_30default_config_static_selectorELNS0_4arch9wavefront6targetE1EEEvSF_.uses_flat_scratch, 0
	.set _ZN7rocprim17ROCPRIM_400000_NS6detail17trampoline_kernelINS0_14default_configENS1_22reduce_config_selectorIiEEZNS1_11reduce_implILb1ES3_PiS7_iN6thrust23THRUST_200600_302600_NS4plusIiEEEE10hipError_tPvRmT1_T2_T3_mT4_P12ihipStream_tbEUlT_E1_NS1_11comp_targetILNS1_3genE4ELNS1_11target_archE910ELNS1_3gpuE8ELNS1_3repE0EEENS1_30default_config_static_selectorELNS0_4arch9wavefront6targetE1EEEvSF_.has_dyn_sized_stack, 0
	.set _ZN7rocprim17ROCPRIM_400000_NS6detail17trampoline_kernelINS0_14default_configENS1_22reduce_config_selectorIiEEZNS1_11reduce_implILb1ES3_PiS7_iN6thrust23THRUST_200600_302600_NS4plusIiEEEE10hipError_tPvRmT1_T2_T3_mT4_P12ihipStream_tbEUlT_E1_NS1_11comp_targetILNS1_3genE4ELNS1_11target_archE910ELNS1_3gpuE8ELNS1_3repE0EEENS1_30default_config_static_selectorELNS0_4arch9wavefront6targetE1EEEvSF_.has_recursion, 0
	.set _ZN7rocprim17ROCPRIM_400000_NS6detail17trampoline_kernelINS0_14default_configENS1_22reduce_config_selectorIiEEZNS1_11reduce_implILb1ES3_PiS7_iN6thrust23THRUST_200600_302600_NS4plusIiEEEE10hipError_tPvRmT1_T2_T3_mT4_P12ihipStream_tbEUlT_E1_NS1_11comp_targetILNS1_3genE4ELNS1_11target_archE910ELNS1_3gpuE8ELNS1_3repE0EEENS1_30default_config_static_selectorELNS0_4arch9wavefront6targetE1EEEvSF_.has_indirect_call, 0
	.section	.AMDGPU.csdata,"",@progbits
; Kernel info:
; codeLenInByte = 0
; TotalNumSgprs: 6
; NumVgprs: 0
; NumAgprs: 0
; TotalNumVgprs: 0
; ScratchSize: 0
; MemoryBound: 0
; FloatMode: 240
; IeeeMode: 1
; LDSByteSize: 0 bytes/workgroup (compile time only)
; SGPRBlocks: 0
; VGPRBlocks: 0
; NumSGPRsForWavesPerEU: 6
; NumVGPRsForWavesPerEU: 1
; AccumOffset: 4
; Occupancy: 8
; WaveLimiterHint : 0
; COMPUTE_PGM_RSRC2:SCRATCH_EN: 0
; COMPUTE_PGM_RSRC2:USER_SGPR: 2
; COMPUTE_PGM_RSRC2:TRAP_HANDLER: 0
; COMPUTE_PGM_RSRC2:TGID_X_EN: 1
; COMPUTE_PGM_RSRC2:TGID_Y_EN: 0
; COMPUTE_PGM_RSRC2:TGID_Z_EN: 0
; COMPUTE_PGM_RSRC2:TIDIG_COMP_CNT: 0
; COMPUTE_PGM_RSRC3_GFX90A:ACCUM_OFFSET: 0
; COMPUTE_PGM_RSRC3_GFX90A:TG_SPLIT: 0
	.section	.text._ZN7rocprim17ROCPRIM_400000_NS6detail17trampoline_kernelINS0_14default_configENS1_22reduce_config_selectorIiEEZNS1_11reduce_implILb1ES3_PiS7_iN6thrust23THRUST_200600_302600_NS4plusIiEEEE10hipError_tPvRmT1_T2_T3_mT4_P12ihipStream_tbEUlT_E1_NS1_11comp_targetILNS1_3genE3ELNS1_11target_archE908ELNS1_3gpuE7ELNS1_3repE0EEENS1_30default_config_static_selectorELNS0_4arch9wavefront6targetE1EEEvSF_,"axG",@progbits,_ZN7rocprim17ROCPRIM_400000_NS6detail17trampoline_kernelINS0_14default_configENS1_22reduce_config_selectorIiEEZNS1_11reduce_implILb1ES3_PiS7_iN6thrust23THRUST_200600_302600_NS4plusIiEEEE10hipError_tPvRmT1_T2_T3_mT4_P12ihipStream_tbEUlT_E1_NS1_11comp_targetILNS1_3genE3ELNS1_11target_archE908ELNS1_3gpuE7ELNS1_3repE0EEENS1_30default_config_static_selectorELNS0_4arch9wavefront6targetE1EEEvSF_,comdat
	.protected	_ZN7rocprim17ROCPRIM_400000_NS6detail17trampoline_kernelINS0_14default_configENS1_22reduce_config_selectorIiEEZNS1_11reduce_implILb1ES3_PiS7_iN6thrust23THRUST_200600_302600_NS4plusIiEEEE10hipError_tPvRmT1_T2_T3_mT4_P12ihipStream_tbEUlT_E1_NS1_11comp_targetILNS1_3genE3ELNS1_11target_archE908ELNS1_3gpuE7ELNS1_3repE0EEENS1_30default_config_static_selectorELNS0_4arch9wavefront6targetE1EEEvSF_ ; -- Begin function _ZN7rocprim17ROCPRIM_400000_NS6detail17trampoline_kernelINS0_14default_configENS1_22reduce_config_selectorIiEEZNS1_11reduce_implILb1ES3_PiS7_iN6thrust23THRUST_200600_302600_NS4plusIiEEEE10hipError_tPvRmT1_T2_T3_mT4_P12ihipStream_tbEUlT_E1_NS1_11comp_targetILNS1_3genE3ELNS1_11target_archE908ELNS1_3gpuE7ELNS1_3repE0EEENS1_30default_config_static_selectorELNS0_4arch9wavefront6targetE1EEEvSF_
	.globl	_ZN7rocprim17ROCPRIM_400000_NS6detail17trampoline_kernelINS0_14default_configENS1_22reduce_config_selectorIiEEZNS1_11reduce_implILb1ES3_PiS7_iN6thrust23THRUST_200600_302600_NS4plusIiEEEE10hipError_tPvRmT1_T2_T3_mT4_P12ihipStream_tbEUlT_E1_NS1_11comp_targetILNS1_3genE3ELNS1_11target_archE908ELNS1_3gpuE7ELNS1_3repE0EEENS1_30default_config_static_selectorELNS0_4arch9wavefront6targetE1EEEvSF_
	.p2align	8
	.type	_ZN7rocprim17ROCPRIM_400000_NS6detail17trampoline_kernelINS0_14default_configENS1_22reduce_config_selectorIiEEZNS1_11reduce_implILb1ES3_PiS7_iN6thrust23THRUST_200600_302600_NS4plusIiEEEE10hipError_tPvRmT1_T2_T3_mT4_P12ihipStream_tbEUlT_E1_NS1_11comp_targetILNS1_3genE3ELNS1_11target_archE908ELNS1_3gpuE7ELNS1_3repE0EEENS1_30default_config_static_selectorELNS0_4arch9wavefront6targetE1EEEvSF_,@function
_ZN7rocprim17ROCPRIM_400000_NS6detail17trampoline_kernelINS0_14default_configENS1_22reduce_config_selectorIiEEZNS1_11reduce_implILb1ES3_PiS7_iN6thrust23THRUST_200600_302600_NS4plusIiEEEE10hipError_tPvRmT1_T2_T3_mT4_P12ihipStream_tbEUlT_E1_NS1_11comp_targetILNS1_3genE3ELNS1_11target_archE908ELNS1_3gpuE7ELNS1_3repE0EEENS1_30default_config_static_selectorELNS0_4arch9wavefront6targetE1EEEvSF_: ; @_ZN7rocprim17ROCPRIM_400000_NS6detail17trampoline_kernelINS0_14default_configENS1_22reduce_config_selectorIiEEZNS1_11reduce_implILb1ES3_PiS7_iN6thrust23THRUST_200600_302600_NS4plusIiEEEE10hipError_tPvRmT1_T2_T3_mT4_P12ihipStream_tbEUlT_E1_NS1_11comp_targetILNS1_3genE3ELNS1_11target_archE908ELNS1_3gpuE7ELNS1_3repE0EEENS1_30default_config_static_selectorELNS0_4arch9wavefront6targetE1EEEvSF_
; %bb.0:
	.section	.rodata,"a",@progbits
	.p2align	6, 0x0
	.amdhsa_kernel _ZN7rocprim17ROCPRIM_400000_NS6detail17trampoline_kernelINS0_14default_configENS1_22reduce_config_selectorIiEEZNS1_11reduce_implILb1ES3_PiS7_iN6thrust23THRUST_200600_302600_NS4plusIiEEEE10hipError_tPvRmT1_T2_T3_mT4_P12ihipStream_tbEUlT_E1_NS1_11comp_targetILNS1_3genE3ELNS1_11target_archE908ELNS1_3gpuE7ELNS1_3repE0EEENS1_30default_config_static_selectorELNS0_4arch9wavefront6targetE1EEEvSF_
		.amdhsa_group_segment_fixed_size 0
		.amdhsa_private_segment_fixed_size 0
		.amdhsa_kernarg_size 40
		.amdhsa_user_sgpr_count 2
		.amdhsa_user_sgpr_dispatch_ptr 0
		.amdhsa_user_sgpr_queue_ptr 0
		.amdhsa_user_sgpr_kernarg_segment_ptr 1
		.amdhsa_user_sgpr_dispatch_id 0
		.amdhsa_user_sgpr_kernarg_preload_length 0
		.amdhsa_user_sgpr_kernarg_preload_offset 0
		.amdhsa_user_sgpr_private_segment_size 0
		.amdhsa_uses_dynamic_stack 0
		.amdhsa_enable_private_segment 0
		.amdhsa_system_sgpr_workgroup_id_x 1
		.amdhsa_system_sgpr_workgroup_id_y 0
		.amdhsa_system_sgpr_workgroup_id_z 0
		.amdhsa_system_sgpr_workgroup_info 0
		.amdhsa_system_vgpr_workitem_id 0
		.amdhsa_next_free_vgpr 1
		.amdhsa_next_free_sgpr 0
		.amdhsa_accum_offset 4
		.amdhsa_reserve_vcc 0
		.amdhsa_float_round_mode_32 0
		.amdhsa_float_round_mode_16_64 0
		.amdhsa_float_denorm_mode_32 3
		.amdhsa_float_denorm_mode_16_64 3
		.amdhsa_dx10_clamp 1
		.amdhsa_ieee_mode 1
		.amdhsa_fp16_overflow 0
		.amdhsa_tg_split 0
		.amdhsa_exception_fp_ieee_invalid_op 0
		.amdhsa_exception_fp_denorm_src 0
		.amdhsa_exception_fp_ieee_div_zero 0
		.amdhsa_exception_fp_ieee_overflow 0
		.amdhsa_exception_fp_ieee_underflow 0
		.amdhsa_exception_fp_ieee_inexact 0
		.amdhsa_exception_int_div_zero 0
	.end_amdhsa_kernel
	.section	.text._ZN7rocprim17ROCPRIM_400000_NS6detail17trampoline_kernelINS0_14default_configENS1_22reduce_config_selectorIiEEZNS1_11reduce_implILb1ES3_PiS7_iN6thrust23THRUST_200600_302600_NS4plusIiEEEE10hipError_tPvRmT1_T2_T3_mT4_P12ihipStream_tbEUlT_E1_NS1_11comp_targetILNS1_3genE3ELNS1_11target_archE908ELNS1_3gpuE7ELNS1_3repE0EEENS1_30default_config_static_selectorELNS0_4arch9wavefront6targetE1EEEvSF_,"axG",@progbits,_ZN7rocprim17ROCPRIM_400000_NS6detail17trampoline_kernelINS0_14default_configENS1_22reduce_config_selectorIiEEZNS1_11reduce_implILb1ES3_PiS7_iN6thrust23THRUST_200600_302600_NS4plusIiEEEE10hipError_tPvRmT1_T2_T3_mT4_P12ihipStream_tbEUlT_E1_NS1_11comp_targetILNS1_3genE3ELNS1_11target_archE908ELNS1_3gpuE7ELNS1_3repE0EEENS1_30default_config_static_selectorELNS0_4arch9wavefront6targetE1EEEvSF_,comdat
.Lfunc_end236:
	.size	_ZN7rocprim17ROCPRIM_400000_NS6detail17trampoline_kernelINS0_14default_configENS1_22reduce_config_selectorIiEEZNS1_11reduce_implILb1ES3_PiS7_iN6thrust23THRUST_200600_302600_NS4plusIiEEEE10hipError_tPvRmT1_T2_T3_mT4_P12ihipStream_tbEUlT_E1_NS1_11comp_targetILNS1_3genE3ELNS1_11target_archE908ELNS1_3gpuE7ELNS1_3repE0EEENS1_30default_config_static_selectorELNS0_4arch9wavefront6targetE1EEEvSF_, .Lfunc_end236-_ZN7rocprim17ROCPRIM_400000_NS6detail17trampoline_kernelINS0_14default_configENS1_22reduce_config_selectorIiEEZNS1_11reduce_implILb1ES3_PiS7_iN6thrust23THRUST_200600_302600_NS4plusIiEEEE10hipError_tPvRmT1_T2_T3_mT4_P12ihipStream_tbEUlT_E1_NS1_11comp_targetILNS1_3genE3ELNS1_11target_archE908ELNS1_3gpuE7ELNS1_3repE0EEENS1_30default_config_static_selectorELNS0_4arch9wavefront6targetE1EEEvSF_
                                        ; -- End function
	.set _ZN7rocprim17ROCPRIM_400000_NS6detail17trampoline_kernelINS0_14default_configENS1_22reduce_config_selectorIiEEZNS1_11reduce_implILb1ES3_PiS7_iN6thrust23THRUST_200600_302600_NS4plusIiEEEE10hipError_tPvRmT1_T2_T3_mT4_P12ihipStream_tbEUlT_E1_NS1_11comp_targetILNS1_3genE3ELNS1_11target_archE908ELNS1_3gpuE7ELNS1_3repE0EEENS1_30default_config_static_selectorELNS0_4arch9wavefront6targetE1EEEvSF_.num_vgpr, 0
	.set _ZN7rocprim17ROCPRIM_400000_NS6detail17trampoline_kernelINS0_14default_configENS1_22reduce_config_selectorIiEEZNS1_11reduce_implILb1ES3_PiS7_iN6thrust23THRUST_200600_302600_NS4plusIiEEEE10hipError_tPvRmT1_T2_T3_mT4_P12ihipStream_tbEUlT_E1_NS1_11comp_targetILNS1_3genE3ELNS1_11target_archE908ELNS1_3gpuE7ELNS1_3repE0EEENS1_30default_config_static_selectorELNS0_4arch9wavefront6targetE1EEEvSF_.num_agpr, 0
	.set _ZN7rocprim17ROCPRIM_400000_NS6detail17trampoline_kernelINS0_14default_configENS1_22reduce_config_selectorIiEEZNS1_11reduce_implILb1ES3_PiS7_iN6thrust23THRUST_200600_302600_NS4plusIiEEEE10hipError_tPvRmT1_T2_T3_mT4_P12ihipStream_tbEUlT_E1_NS1_11comp_targetILNS1_3genE3ELNS1_11target_archE908ELNS1_3gpuE7ELNS1_3repE0EEENS1_30default_config_static_selectorELNS0_4arch9wavefront6targetE1EEEvSF_.numbered_sgpr, 0
	.set _ZN7rocprim17ROCPRIM_400000_NS6detail17trampoline_kernelINS0_14default_configENS1_22reduce_config_selectorIiEEZNS1_11reduce_implILb1ES3_PiS7_iN6thrust23THRUST_200600_302600_NS4plusIiEEEE10hipError_tPvRmT1_T2_T3_mT4_P12ihipStream_tbEUlT_E1_NS1_11comp_targetILNS1_3genE3ELNS1_11target_archE908ELNS1_3gpuE7ELNS1_3repE0EEENS1_30default_config_static_selectorELNS0_4arch9wavefront6targetE1EEEvSF_.num_named_barrier, 0
	.set _ZN7rocprim17ROCPRIM_400000_NS6detail17trampoline_kernelINS0_14default_configENS1_22reduce_config_selectorIiEEZNS1_11reduce_implILb1ES3_PiS7_iN6thrust23THRUST_200600_302600_NS4plusIiEEEE10hipError_tPvRmT1_T2_T3_mT4_P12ihipStream_tbEUlT_E1_NS1_11comp_targetILNS1_3genE3ELNS1_11target_archE908ELNS1_3gpuE7ELNS1_3repE0EEENS1_30default_config_static_selectorELNS0_4arch9wavefront6targetE1EEEvSF_.private_seg_size, 0
	.set _ZN7rocprim17ROCPRIM_400000_NS6detail17trampoline_kernelINS0_14default_configENS1_22reduce_config_selectorIiEEZNS1_11reduce_implILb1ES3_PiS7_iN6thrust23THRUST_200600_302600_NS4plusIiEEEE10hipError_tPvRmT1_T2_T3_mT4_P12ihipStream_tbEUlT_E1_NS1_11comp_targetILNS1_3genE3ELNS1_11target_archE908ELNS1_3gpuE7ELNS1_3repE0EEENS1_30default_config_static_selectorELNS0_4arch9wavefront6targetE1EEEvSF_.uses_vcc, 0
	.set _ZN7rocprim17ROCPRIM_400000_NS6detail17trampoline_kernelINS0_14default_configENS1_22reduce_config_selectorIiEEZNS1_11reduce_implILb1ES3_PiS7_iN6thrust23THRUST_200600_302600_NS4plusIiEEEE10hipError_tPvRmT1_T2_T3_mT4_P12ihipStream_tbEUlT_E1_NS1_11comp_targetILNS1_3genE3ELNS1_11target_archE908ELNS1_3gpuE7ELNS1_3repE0EEENS1_30default_config_static_selectorELNS0_4arch9wavefront6targetE1EEEvSF_.uses_flat_scratch, 0
	.set _ZN7rocprim17ROCPRIM_400000_NS6detail17trampoline_kernelINS0_14default_configENS1_22reduce_config_selectorIiEEZNS1_11reduce_implILb1ES3_PiS7_iN6thrust23THRUST_200600_302600_NS4plusIiEEEE10hipError_tPvRmT1_T2_T3_mT4_P12ihipStream_tbEUlT_E1_NS1_11comp_targetILNS1_3genE3ELNS1_11target_archE908ELNS1_3gpuE7ELNS1_3repE0EEENS1_30default_config_static_selectorELNS0_4arch9wavefront6targetE1EEEvSF_.has_dyn_sized_stack, 0
	.set _ZN7rocprim17ROCPRIM_400000_NS6detail17trampoline_kernelINS0_14default_configENS1_22reduce_config_selectorIiEEZNS1_11reduce_implILb1ES3_PiS7_iN6thrust23THRUST_200600_302600_NS4plusIiEEEE10hipError_tPvRmT1_T2_T3_mT4_P12ihipStream_tbEUlT_E1_NS1_11comp_targetILNS1_3genE3ELNS1_11target_archE908ELNS1_3gpuE7ELNS1_3repE0EEENS1_30default_config_static_selectorELNS0_4arch9wavefront6targetE1EEEvSF_.has_recursion, 0
	.set _ZN7rocprim17ROCPRIM_400000_NS6detail17trampoline_kernelINS0_14default_configENS1_22reduce_config_selectorIiEEZNS1_11reduce_implILb1ES3_PiS7_iN6thrust23THRUST_200600_302600_NS4plusIiEEEE10hipError_tPvRmT1_T2_T3_mT4_P12ihipStream_tbEUlT_E1_NS1_11comp_targetILNS1_3genE3ELNS1_11target_archE908ELNS1_3gpuE7ELNS1_3repE0EEENS1_30default_config_static_selectorELNS0_4arch9wavefront6targetE1EEEvSF_.has_indirect_call, 0
	.section	.AMDGPU.csdata,"",@progbits
; Kernel info:
; codeLenInByte = 0
; TotalNumSgprs: 6
; NumVgprs: 0
; NumAgprs: 0
; TotalNumVgprs: 0
; ScratchSize: 0
; MemoryBound: 0
; FloatMode: 240
; IeeeMode: 1
; LDSByteSize: 0 bytes/workgroup (compile time only)
; SGPRBlocks: 0
; VGPRBlocks: 0
; NumSGPRsForWavesPerEU: 6
; NumVGPRsForWavesPerEU: 1
; AccumOffset: 4
; Occupancy: 8
; WaveLimiterHint : 0
; COMPUTE_PGM_RSRC2:SCRATCH_EN: 0
; COMPUTE_PGM_RSRC2:USER_SGPR: 2
; COMPUTE_PGM_RSRC2:TRAP_HANDLER: 0
; COMPUTE_PGM_RSRC2:TGID_X_EN: 1
; COMPUTE_PGM_RSRC2:TGID_Y_EN: 0
; COMPUTE_PGM_RSRC2:TGID_Z_EN: 0
; COMPUTE_PGM_RSRC2:TIDIG_COMP_CNT: 0
; COMPUTE_PGM_RSRC3_GFX90A:ACCUM_OFFSET: 0
; COMPUTE_PGM_RSRC3_GFX90A:TG_SPLIT: 0
	.section	.text._ZN7rocprim17ROCPRIM_400000_NS6detail17trampoline_kernelINS0_14default_configENS1_22reduce_config_selectorIiEEZNS1_11reduce_implILb1ES3_PiS7_iN6thrust23THRUST_200600_302600_NS4plusIiEEEE10hipError_tPvRmT1_T2_T3_mT4_P12ihipStream_tbEUlT_E1_NS1_11comp_targetILNS1_3genE2ELNS1_11target_archE906ELNS1_3gpuE6ELNS1_3repE0EEENS1_30default_config_static_selectorELNS0_4arch9wavefront6targetE1EEEvSF_,"axG",@progbits,_ZN7rocprim17ROCPRIM_400000_NS6detail17trampoline_kernelINS0_14default_configENS1_22reduce_config_selectorIiEEZNS1_11reduce_implILb1ES3_PiS7_iN6thrust23THRUST_200600_302600_NS4plusIiEEEE10hipError_tPvRmT1_T2_T3_mT4_P12ihipStream_tbEUlT_E1_NS1_11comp_targetILNS1_3genE2ELNS1_11target_archE906ELNS1_3gpuE6ELNS1_3repE0EEENS1_30default_config_static_selectorELNS0_4arch9wavefront6targetE1EEEvSF_,comdat
	.protected	_ZN7rocprim17ROCPRIM_400000_NS6detail17trampoline_kernelINS0_14default_configENS1_22reduce_config_selectorIiEEZNS1_11reduce_implILb1ES3_PiS7_iN6thrust23THRUST_200600_302600_NS4plusIiEEEE10hipError_tPvRmT1_T2_T3_mT4_P12ihipStream_tbEUlT_E1_NS1_11comp_targetILNS1_3genE2ELNS1_11target_archE906ELNS1_3gpuE6ELNS1_3repE0EEENS1_30default_config_static_selectorELNS0_4arch9wavefront6targetE1EEEvSF_ ; -- Begin function _ZN7rocprim17ROCPRIM_400000_NS6detail17trampoline_kernelINS0_14default_configENS1_22reduce_config_selectorIiEEZNS1_11reduce_implILb1ES3_PiS7_iN6thrust23THRUST_200600_302600_NS4plusIiEEEE10hipError_tPvRmT1_T2_T3_mT4_P12ihipStream_tbEUlT_E1_NS1_11comp_targetILNS1_3genE2ELNS1_11target_archE906ELNS1_3gpuE6ELNS1_3repE0EEENS1_30default_config_static_selectorELNS0_4arch9wavefront6targetE1EEEvSF_
	.globl	_ZN7rocprim17ROCPRIM_400000_NS6detail17trampoline_kernelINS0_14default_configENS1_22reduce_config_selectorIiEEZNS1_11reduce_implILb1ES3_PiS7_iN6thrust23THRUST_200600_302600_NS4plusIiEEEE10hipError_tPvRmT1_T2_T3_mT4_P12ihipStream_tbEUlT_E1_NS1_11comp_targetILNS1_3genE2ELNS1_11target_archE906ELNS1_3gpuE6ELNS1_3repE0EEENS1_30default_config_static_selectorELNS0_4arch9wavefront6targetE1EEEvSF_
	.p2align	8
	.type	_ZN7rocprim17ROCPRIM_400000_NS6detail17trampoline_kernelINS0_14default_configENS1_22reduce_config_selectorIiEEZNS1_11reduce_implILb1ES3_PiS7_iN6thrust23THRUST_200600_302600_NS4plusIiEEEE10hipError_tPvRmT1_T2_T3_mT4_P12ihipStream_tbEUlT_E1_NS1_11comp_targetILNS1_3genE2ELNS1_11target_archE906ELNS1_3gpuE6ELNS1_3repE0EEENS1_30default_config_static_selectorELNS0_4arch9wavefront6targetE1EEEvSF_,@function
_ZN7rocprim17ROCPRIM_400000_NS6detail17trampoline_kernelINS0_14default_configENS1_22reduce_config_selectorIiEEZNS1_11reduce_implILb1ES3_PiS7_iN6thrust23THRUST_200600_302600_NS4plusIiEEEE10hipError_tPvRmT1_T2_T3_mT4_P12ihipStream_tbEUlT_E1_NS1_11comp_targetILNS1_3genE2ELNS1_11target_archE906ELNS1_3gpuE6ELNS1_3repE0EEENS1_30default_config_static_selectorELNS0_4arch9wavefront6targetE1EEEvSF_: ; @_ZN7rocprim17ROCPRIM_400000_NS6detail17trampoline_kernelINS0_14default_configENS1_22reduce_config_selectorIiEEZNS1_11reduce_implILb1ES3_PiS7_iN6thrust23THRUST_200600_302600_NS4plusIiEEEE10hipError_tPvRmT1_T2_T3_mT4_P12ihipStream_tbEUlT_E1_NS1_11comp_targetILNS1_3genE2ELNS1_11target_archE906ELNS1_3gpuE6ELNS1_3repE0EEENS1_30default_config_static_selectorELNS0_4arch9wavefront6targetE1EEEvSF_
; %bb.0:
	.section	.rodata,"a",@progbits
	.p2align	6, 0x0
	.amdhsa_kernel _ZN7rocprim17ROCPRIM_400000_NS6detail17trampoline_kernelINS0_14default_configENS1_22reduce_config_selectorIiEEZNS1_11reduce_implILb1ES3_PiS7_iN6thrust23THRUST_200600_302600_NS4plusIiEEEE10hipError_tPvRmT1_T2_T3_mT4_P12ihipStream_tbEUlT_E1_NS1_11comp_targetILNS1_3genE2ELNS1_11target_archE906ELNS1_3gpuE6ELNS1_3repE0EEENS1_30default_config_static_selectorELNS0_4arch9wavefront6targetE1EEEvSF_
		.amdhsa_group_segment_fixed_size 0
		.amdhsa_private_segment_fixed_size 0
		.amdhsa_kernarg_size 40
		.amdhsa_user_sgpr_count 2
		.amdhsa_user_sgpr_dispatch_ptr 0
		.amdhsa_user_sgpr_queue_ptr 0
		.amdhsa_user_sgpr_kernarg_segment_ptr 1
		.amdhsa_user_sgpr_dispatch_id 0
		.amdhsa_user_sgpr_kernarg_preload_length 0
		.amdhsa_user_sgpr_kernarg_preload_offset 0
		.amdhsa_user_sgpr_private_segment_size 0
		.amdhsa_uses_dynamic_stack 0
		.amdhsa_enable_private_segment 0
		.amdhsa_system_sgpr_workgroup_id_x 1
		.amdhsa_system_sgpr_workgroup_id_y 0
		.amdhsa_system_sgpr_workgroup_id_z 0
		.amdhsa_system_sgpr_workgroup_info 0
		.amdhsa_system_vgpr_workitem_id 0
		.amdhsa_next_free_vgpr 1
		.amdhsa_next_free_sgpr 0
		.amdhsa_accum_offset 4
		.amdhsa_reserve_vcc 0
		.amdhsa_float_round_mode_32 0
		.amdhsa_float_round_mode_16_64 0
		.amdhsa_float_denorm_mode_32 3
		.amdhsa_float_denorm_mode_16_64 3
		.amdhsa_dx10_clamp 1
		.amdhsa_ieee_mode 1
		.amdhsa_fp16_overflow 0
		.amdhsa_tg_split 0
		.amdhsa_exception_fp_ieee_invalid_op 0
		.amdhsa_exception_fp_denorm_src 0
		.amdhsa_exception_fp_ieee_div_zero 0
		.amdhsa_exception_fp_ieee_overflow 0
		.amdhsa_exception_fp_ieee_underflow 0
		.amdhsa_exception_fp_ieee_inexact 0
		.amdhsa_exception_int_div_zero 0
	.end_amdhsa_kernel
	.section	.text._ZN7rocprim17ROCPRIM_400000_NS6detail17trampoline_kernelINS0_14default_configENS1_22reduce_config_selectorIiEEZNS1_11reduce_implILb1ES3_PiS7_iN6thrust23THRUST_200600_302600_NS4plusIiEEEE10hipError_tPvRmT1_T2_T3_mT4_P12ihipStream_tbEUlT_E1_NS1_11comp_targetILNS1_3genE2ELNS1_11target_archE906ELNS1_3gpuE6ELNS1_3repE0EEENS1_30default_config_static_selectorELNS0_4arch9wavefront6targetE1EEEvSF_,"axG",@progbits,_ZN7rocprim17ROCPRIM_400000_NS6detail17trampoline_kernelINS0_14default_configENS1_22reduce_config_selectorIiEEZNS1_11reduce_implILb1ES3_PiS7_iN6thrust23THRUST_200600_302600_NS4plusIiEEEE10hipError_tPvRmT1_T2_T3_mT4_P12ihipStream_tbEUlT_E1_NS1_11comp_targetILNS1_3genE2ELNS1_11target_archE906ELNS1_3gpuE6ELNS1_3repE0EEENS1_30default_config_static_selectorELNS0_4arch9wavefront6targetE1EEEvSF_,comdat
.Lfunc_end237:
	.size	_ZN7rocprim17ROCPRIM_400000_NS6detail17trampoline_kernelINS0_14default_configENS1_22reduce_config_selectorIiEEZNS1_11reduce_implILb1ES3_PiS7_iN6thrust23THRUST_200600_302600_NS4plusIiEEEE10hipError_tPvRmT1_T2_T3_mT4_P12ihipStream_tbEUlT_E1_NS1_11comp_targetILNS1_3genE2ELNS1_11target_archE906ELNS1_3gpuE6ELNS1_3repE0EEENS1_30default_config_static_selectorELNS0_4arch9wavefront6targetE1EEEvSF_, .Lfunc_end237-_ZN7rocprim17ROCPRIM_400000_NS6detail17trampoline_kernelINS0_14default_configENS1_22reduce_config_selectorIiEEZNS1_11reduce_implILb1ES3_PiS7_iN6thrust23THRUST_200600_302600_NS4plusIiEEEE10hipError_tPvRmT1_T2_T3_mT4_P12ihipStream_tbEUlT_E1_NS1_11comp_targetILNS1_3genE2ELNS1_11target_archE906ELNS1_3gpuE6ELNS1_3repE0EEENS1_30default_config_static_selectorELNS0_4arch9wavefront6targetE1EEEvSF_
                                        ; -- End function
	.set _ZN7rocprim17ROCPRIM_400000_NS6detail17trampoline_kernelINS0_14default_configENS1_22reduce_config_selectorIiEEZNS1_11reduce_implILb1ES3_PiS7_iN6thrust23THRUST_200600_302600_NS4plusIiEEEE10hipError_tPvRmT1_T2_T3_mT4_P12ihipStream_tbEUlT_E1_NS1_11comp_targetILNS1_3genE2ELNS1_11target_archE906ELNS1_3gpuE6ELNS1_3repE0EEENS1_30default_config_static_selectorELNS0_4arch9wavefront6targetE1EEEvSF_.num_vgpr, 0
	.set _ZN7rocprim17ROCPRIM_400000_NS6detail17trampoline_kernelINS0_14default_configENS1_22reduce_config_selectorIiEEZNS1_11reduce_implILb1ES3_PiS7_iN6thrust23THRUST_200600_302600_NS4plusIiEEEE10hipError_tPvRmT1_T2_T3_mT4_P12ihipStream_tbEUlT_E1_NS1_11comp_targetILNS1_3genE2ELNS1_11target_archE906ELNS1_3gpuE6ELNS1_3repE0EEENS1_30default_config_static_selectorELNS0_4arch9wavefront6targetE1EEEvSF_.num_agpr, 0
	.set _ZN7rocprim17ROCPRIM_400000_NS6detail17trampoline_kernelINS0_14default_configENS1_22reduce_config_selectorIiEEZNS1_11reduce_implILb1ES3_PiS7_iN6thrust23THRUST_200600_302600_NS4plusIiEEEE10hipError_tPvRmT1_T2_T3_mT4_P12ihipStream_tbEUlT_E1_NS1_11comp_targetILNS1_3genE2ELNS1_11target_archE906ELNS1_3gpuE6ELNS1_3repE0EEENS1_30default_config_static_selectorELNS0_4arch9wavefront6targetE1EEEvSF_.numbered_sgpr, 0
	.set _ZN7rocprim17ROCPRIM_400000_NS6detail17trampoline_kernelINS0_14default_configENS1_22reduce_config_selectorIiEEZNS1_11reduce_implILb1ES3_PiS7_iN6thrust23THRUST_200600_302600_NS4plusIiEEEE10hipError_tPvRmT1_T2_T3_mT4_P12ihipStream_tbEUlT_E1_NS1_11comp_targetILNS1_3genE2ELNS1_11target_archE906ELNS1_3gpuE6ELNS1_3repE0EEENS1_30default_config_static_selectorELNS0_4arch9wavefront6targetE1EEEvSF_.num_named_barrier, 0
	.set _ZN7rocprim17ROCPRIM_400000_NS6detail17trampoline_kernelINS0_14default_configENS1_22reduce_config_selectorIiEEZNS1_11reduce_implILb1ES3_PiS7_iN6thrust23THRUST_200600_302600_NS4plusIiEEEE10hipError_tPvRmT1_T2_T3_mT4_P12ihipStream_tbEUlT_E1_NS1_11comp_targetILNS1_3genE2ELNS1_11target_archE906ELNS1_3gpuE6ELNS1_3repE0EEENS1_30default_config_static_selectorELNS0_4arch9wavefront6targetE1EEEvSF_.private_seg_size, 0
	.set _ZN7rocprim17ROCPRIM_400000_NS6detail17trampoline_kernelINS0_14default_configENS1_22reduce_config_selectorIiEEZNS1_11reduce_implILb1ES3_PiS7_iN6thrust23THRUST_200600_302600_NS4plusIiEEEE10hipError_tPvRmT1_T2_T3_mT4_P12ihipStream_tbEUlT_E1_NS1_11comp_targetILNS1_3genE2ELNS1_11target_archE906ELNS1_3gpuE6ELNS1_3repE0EEENS1_30default_config_static_selectorELNS0_4arch9wavefront6targetE1EEEvSF_.uses_vcc, 0
	.set _ZN7rocprim17ROCPRIM_400000_NS6detail17trampoline_kernelINS0_14default_configENS1_22reduce_config_selectorIiEEZNS1_11reduce_implILb1ES3_PiS7_iN6thrust23THRUST_200600_302600_NS4plusIiEEEE10hipError_tPvRmT1_T2_T3_mT4_P12ihipStream_tbEUlT_E1_NS1_11comp_targetILNS1_3genE2ELNS1_11target_archE906ELNS1_3gpuE6ELNS1_3repE0EEENS1_30default_config_static_selectorELNS0_4arch9wavefront6targetE1EEEvSF_.uses_flat_scratch, 0
	.set _ZN7rocprim17ROCPRIM_400000_NS6detail17trampoline_kernelINS0_14default_configENS1_22reduce_config_selectorIiEEZNS1_11reduce_implILb1ES3_PiS7_iN6thrust23THRUST_200600_302600_NS4plusIiEEEE10hipError_tPvRmT1_T2_T3_mT4_P12ihipStream_tbEUlT_E1_NS1_11comp_targetILNS1_3genE2ELNS1_11target_archE906ELNS1_3gpuE6ELNS1_3repE0EEENS1_30default_config_static_selectorELNS0_4arch9wavefront6targetE1EEEvSF_.has_dyn_sized_stack, 0
	.set _ZN7rocprim17ROCPRIM_400000_NS6detail17trampoline_kernelINS0_14default_configENS1_22reduce_config_selectorIiEEZNS1_11reduce_implILb1ES3_PiS7_iN6thrust23THRUST_200600_302600_NS4plusIiEEEE10hipError_tPvRmT1_T2_T3_mT4_P12ihipStream_tbEUlT_E1_NS1_11comp_targetILNS1_3genE2ELNS1_11target_archE906ELNS1_3gpuE6ELNS1_3repE0EEENS1_30default_config_static_selectorELNS0_4arch9wavefront6targetE1EEEvSF_.has_recursion, 0
	.set _ZN7rocprim17ROCPRIM_400000_NS6detail17trampoline_kernelINS0_14default_configENS1_22reduce_config_selectorIiEEZNS1_11reduce_implILb1ES3_PiS7_iN6thrust23THRUST_200600_302600_NS4plusIiEEEE10hipError_tPvRmT1_T2_T3_mT4_P12ihipStream_tbEUlT_E1_NS1_11comp_targetILNS1_3genE2ELNS1_11target_archE906ELNS1_3gpuE6ELNS1_3repE0EEENS1_30default_config_static_selectorELNS0_4arch9wavefront6targetE1EEEvSF_.has_indirect_call, 0
	.section	.AMDGPU.csdata,"",@progbits
; Kernel info:
; codeLenInByte = 0
; TotalNumSgprs: 6
; NumVgprs: 0
; NumAgprs: 0
; TotalNumVgprs: 0
; ScratchSize: 0
; MemoryBound: 0
; FloatMode: 240
; IeeeMode: 1
; LDSByteSize: 0 bytes/workgroup (compile time only)
; SGPRBlocks: 0
; VGPRBlocks: 0
; NumSGPRsForWavesPerEU: 6
; NumVGPRsForWavesPerEU: 1
; AccumOffset: 4
; Occupancy: 8
; WaveLimiterHint : 0
; COMPUTE_PGM_RSRC2:SCRATCH_EN: 0
; COMPUTE_PGM_RSRC2:USER_SGPR: 2
; COMPUTE_PGM_RSRC2:TRAP_HANDLER: 0
; COMPUTE_PGM_RSRC2:TGID_X_EN: 1
; COMPUTE_PGM_RSRC2:TGID_Y_EN: 0
; COMPUTE_PGM_RSRC2:TGID_Z_EN: 0
; COMPUTE_PGM_RSRC2:TIDIG_COMP_CNT: 0
; COMPUTE_PGM_RSRC3_GFX90A:ACCUM_OFFSET: 0
; COMPUTE_PGM_RSRC3_GFX90A:TG_SPLIT: 0
	.section	.text._ZN7rocprim17ROCPRIM_400000_NS6detail17trampoline_kernelINS0_14default_configENS1_22reduce_config_selectorIiEEZNS1_11reduce_implILb1ES3_PiS7_iN6thrust23THRUST_200600_302600_NS4plusIiEEEE10hipError_tPvRmT1_T2_T3_mT4_P12ihipStream_tbEUlT_E1_NS1_11comp_targetILNS1_3genE10ELNS1_11target_archE1201ELNS1_3gpuE5ELNS1_3repE0EEENS1_30default_config_static_selectorELNS0_4arch9wavefront6targetE1EEEvSF_,"axG",@progbits,_ZN7rocprim17ROCPRIM_400000_NS6detail17trampoline_kernelINS0_14default_configENS1_22reduce_config_selectorIiEEZNS1_11reduce_implILb1ES3_PiS7_iN6thrust23THRUST_200600_302600_NS4plusIiEEEE10hipError_tPvRmT1_T2_T3_mT4_P12ihipStream_tbEUlT_E1_NS1_11comp_targetILNS1_3genE10ELNS1_11target_archE1201ELNS1_3gpuE5ELNS1_3repE0EEENS1_30default_config_static_selectorELNS0_4arch9wavefront6targetE1EEEvSF_,comdat
	.protected	_ZN7rocprim17ROCPRIM_400000_NS6detail17trampoline_kernelINS0_14default_configENS1_22reduce_config_selectorIiEEZNS1_11reduce_implILb1ES3_PiS7_iN6thrust23THRUST_200600_302600_NS4plusIiEEEE10hipError_tPvRmT1_T2_T3_mT4_P12ihipStream_tbEUlT_E1_NS1_11comp_targetILNS1_3genE10ELNS1_11target_archE1201ELNS1_3gpuE5ELNS1_3repE0EEENS1_30default_config_static_selectorELNS0_4arch9wavefront6targetE1EEEvSF_ ; -- Begin function _ZN7rocprim17ROCPRIM_400000_NS6detail17trampoline_kernelINS0_14default_configENS1_22reduce_config_selectorIiEEZNS1_11reduce_implILb1ES3_PiS7_iN6thrust23THRUST_200600_302600_NS4plusIiEEEE10hipError_tPvRmT1_T2_T3_mT4_P12ihipStream_tbEUlT_E1_NS1_11comp_targetILNS1_3genE10ELNS1_11target_archE1201ELNS1_3gpuE5ELNS1_3repE0EEENS1_30default_config_static_selectorELNS0_4arch9wavefront6targetE1EEEvSF_
	.globl	_ZN7rocprim17ROCPRIM_400000_NS6detail17trampoline_kernelINS0_14default_configENS1_22reduce_config_selectorIiEEZNS1_11reduce_implILb1ES3_PiS7_iN6thrust23THRUST_200600_302600_NS4plusIiEEEE10hipError_tPvRmT1_T2_T3_mT4_P12ihipStream_tbEUlT_E1_NS1_11comp_targetILNS1_3genE10ELNS1_11target_archE1201ELNS1_3gpuE5ELNS1_3repE0EEENS1_30default_config_static_selectorELNS0_4arch9wavefront6targetE1EEEvSF_
	.p2align	8
	.type	_ZN7rocprim17ROCPRIM_400000_NS6detail17trampoline_kernelINS0_14default_configENS1_22reduce_config_selectorIiEEZNS1_11reduce_implILb1ES3_PiS7_iN6thrust23THRUST_200600_302600_NS4plusIiEEEE10hipError_tPvRmT1_T2_T3_mT4_P12ihipStream_tbEUlT_E1_NS1_11comp_targetILNS1_3genE10ELNS1_11target_archE1201ELNS1_3gpuE5ELNS1_3repE0EEENS1_30default_config_static_selectorELNS0_4arch9wavefront6targetE1EEEvSF_,@function
_ZN7rocprim17ROCPRIM_400000_NS6detail17trampoline_kernelINS0_14default_configENS1_22reduce_config_selectorIiEEZNS1_11reduce_implILb1ES3_PiS7_iN6thrust23THRUST_200600_302600_NS4plusIiEEEE10hipError_tPvRmT1_T2_T3_mT4_P12ihipStream_tbEUlT_E1_NS1_11comp_targetILNS1_3genE10ELNS1_11target_archE1201ELNS1_3gpuE5ELNS1_3repE0EEENS1_30default_config_static_selectorELNS0_4arch9wavefront6targetE1EEEvSF_: ; @_ZN7rocprim17ROCPRIM_400000_NS6detail17trampoline_kernelINS0_14default_configENS1_22reduce_config_selectorIiEEZNS1_11reduce_implILb1ES3_PiS7_iN6thrust23THRUST_200600_302600_NS4plusIiEEEE10hipError_tPvRmT1_T2_T3_mT4_P12ihipStream_tbEUlT_E1_NS1_11comp_targetILNS1_3genE10ELNS1_11target_archE1201ELNS1_3gpuE5ELNS1_3repE0EEENS1_30default_config_static_selectorELNS0_4arch9wavefront6targetE1EEEvSF_
; %bb.0:
	.section	.rodata,"a",@progbits
	.p2align	6, 0x0
	.amdhsa_kernel _ZN7rocprim17ROCPRIM_400000_NS6detail17trampoline_kernelINS0_14default_configENS1_22reduce_config_selectorIiEEZNS1_11reduce_implILb1ES3_PiS7_iN6thrust23THRUST_200600_302600_NS4plusIiEEEE10hipError_tPvRmT1_T2_T3_mT4_P12ihipStream_tbEUlT_E1_NS1_11comp_targetILNS1_3genE10ELNS1_11target_archE1201ELNS1_3gpuE5ELNS1_3repE0EEENS1_30default_config_static_selectorELNS0_4arch9wavefront6targetE1EEEvSF_
		.amdhsa_group_segment_fixed_size 0
		.amdhsa_private_segment_fixed_size 0
		.amdhsa_kernarg_size 40
		.amdhsa_user_sgpr_count 2
		.amdhsa_user_sgpr_dispatch_ptr 0
		.amdhsa_user_sgpr_queue_ptr 0
		.amdhsa_user_sgpr_kernarg_segment_ptr 1
		.amdhsa_user_sgpr_dispatch_id 0
		.amdhsa_user_sgpr_kernarg_preload_length 0
		.amdhsa_user_sgpr_kernarg_preload_offset 0
		.amdhsa_user_sgpr_private_segment_size 0
		.amdhsa_uses_dynamic_stack 0
		.amdhsa_enable_private_segment 0
		.amdhsa_system_sgpr_workgroup_id_x 1
		.amdhsa_system_sgpr_workgroup_id_y 0
		.amdhsa_system_sgpr_workgroup_id_z 0
		.amdhsa_system_sgpr_workgroup_info 0
		.amdhsa_system_vgpr_workitem_id 0
		.amdhsa_next_free_vgpr 1
		.amdhsa_next_free_sgpr 0
		.amdhsa_accum_offset 4
		.amdhsa_reserve_vcc 0
		.amdhsa_float_round_mode_32 0
		.amdhsa_float_round_mode_16_64 0
		.amdhsa_float_denorm_mode_32 3
		.amdhsa_float_denorm_mode_16_64 3
		.amdhsa_dx10_clamp 1
		.amdhsa_ieee_mode 1
		.amdhsa_fp16_overflow 0
		.amdhsa_tg_split 0
		.amdhsa_exception_fp_ieee_invalid_op 0
		.amdhsa_exception_fp_denorm_src 0
		.amdhsa_exception_fp_ieee_div_zero 0
		.amdhsa_exception_fp_ieee_overflow 0
		.amdhsa_exception_fp_ieee_underflow 0
		.amdhsa_exception_fp_ieee_inexact 0
		.amdhsa_exception_int_div_zero 0
	.end_amdhsa_kernel
	.section	.text._ZN7rocprim17ROCPRIM_400000_NS6detail17trampoline_kernelINS0_14default_configENS1_22reduce_config_selectorIiEEZNS1_11reduce_implILb1ES3_PiS7_iN6thrust23THRUST_200600_302600_NS4plusIiEEEE10hipError_tPvRmT1_T2_T3_mT4_P12ihipStream_tbEUlT_E1_NS1_11comp_targetILNS1_3genE10ELNS1_11target_archE1201ELNS1_3gpuE5ELNS1_3repE0EEENS1_30default_config_static_selectorELNS0_4arch9wavefront6targetE1EEEvSF_,"axG",@progbits,_ZN7rocprim17ROCPRIM_400000_NS6detail17trampoline_kernelINS0_14default_configENS1_22reduce_config_selectorIiEEZNS1_11reduce_implILb1ES3_PiS7_iN6thrust23THRUST_200600_302600_NS4plusIiEEEE10hipError_tPvRmT1_T2_T3_mT4_P12ihipStream_tbEUlT_E1_NS1_11comp_targetILNS1_3genE10ELNS1_11target_archE1201ELNS1_3gpuE5ELNS1_3repE0EEENS1_30default_config_static_selectorELNS0_4arch9wavefront6targetE1EEEvSF_,comdat
.Lfunc_end238:
	.size	_ZN7rocprim17ROCPRIM_400000_NS6detail17trampoline_kernelINS0_14default_configENS1_22reduce_config_selectorIiEEZNS1_11reduce_implILb1ES3_PiS7_iN6thrust23THRUST_200600_302600_NS4plusIiEEEE10hipError_tPvRmT1_T2_T3_mT4_P12ihipStream_tbEUlT_E1_NS1_11comp_targetILNS1_3genE10ELNS1_11target_archE1201ELNS1_3gpuE5ELNS1_3repE0EEENS1_30default_config_static_selectorELNS0_4arch9wavefront6targetE1EEEvSF_, .Lfunc_end238-_ZN7rocprim17ROCPRIM_400000_NS6detail17trampoline_kernelINS0_14default_configENS1_22reduce_config_selectorIiEEZNS1_11reduce_implILb1ES3_PiS7_iN6thrust23THRUST_200600_302600_NS4plusIiEEEE10hipError_tPvRmT1_T2_T3_mT4_P12ihipStream_tbEUlT_E1_NS1_11comp_targetILNS1_3genE10ELNS1_11target_archE1201ELNS1_3gpuE5ELNS1_3repE0EEENS1_30default_config_static_selectorELNS0_4arch9wavefront6targetE1EEEvSF_
                                        ; -- End function
	.set _ZN7rocprim17ROCPRIM_400000_NS6detail17trampoline_kernelINS0_14default_configENS1_22reduce_config_selectorIiEEZNS1_11reduce_implILb1ES3_PiS7_iN6thrust23THRUST_200600_302600_NS4plusIiEEEE10hipError_tPvRmT1_T2_T3_mT4_P12ihipStream_tbEUlT_E1_NS1_11comp_targetILNS1_3genE10ELNS1_11target_archE1201ELNS1_3gpuE5ELNS1_3repE0EEENS1_30default_config_static_selectorELNS0_4arch9wavefront6targetE1EEEvSF_.num_vgpr, 0
	.set _ZN7rocprim17ROCPRIM_400000_NS6detail17trampoline_kernelINS0_14default_configENS1_22reduce_config_selectorIiEEZNS1_11reduce_implILb1ES3_PiS7_iN6thrust23THRUST_200600_302600_NS4plusIiEEEE10hipError_tPvRmT1_T2_T3_mT4_P12ihipStream_tbEUlT_E1_NS1_11comp_targetILNS1_3genE10ELNS1_11target_archE1201ELNS1_3gpuE5ELNS1_3repE0EEENS1_30default_config_static_selectorELNS0_4arch9wavefront6targetE1EEEvSF_.num_agpr, 0
	.set _ZN7rocprim17ROCPRIM_400000_NS6detail17trampoline_kernelINS0_14default_configENS1_22reduce_config_selectorIiEEZNS1_11reduce_implILb1ES3_PiS7_iN6thrust23THRUST_200600_302600_NS4plusIiEEEE10hipError_tPvRmT1_T2_T3_mT4_P12ihipStream_tbEUlT_E1_NS1_11comp_targetILNS1_3genE10ELNS1_11target_archE1201ELNS1_3gpuE5ELNS1_3repE0EEENS1_30default_config_static_selectorELNS0_4arch9wavefront6targetE1EEEvSF_.numbered_sgpr, 0
	.set _ZN7rocprim17ROCPRIM_400000_NS6detail17trampoline_kernelINS0_14default_configENS1_22reduce_config_selectorIiEEZNS1_11reduce_implILb1ES3_PiS7_iN6thrust23THRUST_200600_302600_NS4plusIiEEEE10hipError_tPvRmT1_T2_T3_mT4_P12ihipStream_tbEUlT_E1_NS1_11comp_targetILNS1_3genE10ELNS1_11target_archE1201ELNS1_3gpuE5ELNS1_3repE0EEENS1_30default_config_static_selectorELNS0_4arch9wavefront6targetE1EEEvSF_.num_named_barrier, 0
	.set _ZN7rocprim17ROCPRIM_400000_NS6detail17trampoline_kernelINS0_14default_configENS1_22reduce_config_selectorIiEEZNS1_11reduce_implILb1ES3_PiS7_iN6thrust23THRUST_200600_302600_NS4plusIiEEEE10hipError_tPvRmT1_T2_T3_mT4_P12ihipStream_tbEUlT_E1_NS1_11comp_targetILNS1_3genE10ELNS1_11target_archE1201ELNS1_3gpuE5ELNS1_3repE0EEENS1_30default_config_static_selectorELNS0_4arch9wavefront6targetE1EEEvSF_.private_seg_size, 0
	.set _ZN7rocprim17ROCPRIM_400000_NS6detail17trampoline_kernelINS0_14default_configENS1_22reduce_config_selectorIiEEZNS1_11reduce_implILb1ES3_PiS7_iN6thrust23THRUST_200600_302600_NS4plusIiEEEE10hipError_tPvRmT1_T2_T3_mT4_P12ihipStream_tbEUlT_E1_NS1_11comp_targetILNS1_3genE10ELNS1_11target_archE1201ELNS1_3gpuE5ELNS1_3repE0EEENS1_30default_config_static_selectorELNS0_4arch9wavefront6targetE1EEEvSF_.uses_vcc, 0
	.set _ZN7rocprim17ROCPRIM_400000_NS6detail17trampoline_kernelINS0_14default_configENS1_22reduce_config_selectorIiEEZNS1_11reduce_implILb1ES3_PiS7_iN6thrust23THRUST_200600_302600_NS4plusIiEEEE10hipError_tPvRmT1_T2_T3_mT4_P12ihipStream_tbEUlT_E1_NS1_11comp_targetILNS1_3genE10ELNS1_11target_archE1201ELNS1_3gpuE5ELNS1_3repE0EEENS1_30default_config_static_selectorELNS0_4arch9wavefront6targetE1EEEvSF_.uses_flat_scratch, 0
	.set _ZN7rocprim17ROCPRIM_400000_NS6detail17trampoline_kernelINS0_14default_configENS1_22reduce_config_selectorIiEEZNS1_11reduce_implILb1ES3_PiS7_iN6thrust23THRUST_200600_302600_NS4plusIiEEEE10hipError_tPvRmT1_T2_T3_mT4_P12ihipStream_tbEUlT_E1_NS1_11comp_targetILNS1_3genE10ELNS1_11target_archE1201ELNS1_3gpuE5ELNS1_3repE0EEENS1_30default_config_static_selectorELNS0_4arch9wavefront6targetE1EEEvSF_.has_dyn_sized_stack, 0
	.set _ZN7rocprim17ROCPRIM_400000_NS6detail17trampoline_kernelINS0_14default_configENS1_22reduce_config_selectorIiEEZNS1_11reduce_implILb1ES3_PiS7_iN6thrust23THRUST_200600_302600_NS4plusIiEEEE10hipError_tPvRmT1_T2_T3_mT4_P12ihipStream_tbEUlT_E1_NS1_11comp_targetILNS1_3genE10ELNS1_11target_archE1201ELNS1_3gpuE5ELNS1_3repE0EEENS1_30default_config_static_selectorELNS0_4arch9wavefront6targetE1EEEvSF_.has_recursion, 0
	.set _ZN7rocprim17ROCPRIM_400000_NS6detail17trampoline_kernelINS0_14default_configENS1_22reduce_config_selectorIiEEZNS1_11reduce_implILb1ES3_PiS7_iN6thrust23THRUST_200600_302600_NS4plusIiEEEE10hipError_tPvRmT1_T2_T3_mT4_P12ihipStream_tbEUlT_E1_NS1_11comp_targetILNS1_3genE10ELNS1_11target_archE1201ELNS1_3gpuE5ELNS1_3repE0EEENS1_30default_config_static_selectorELNS0_4arch9wavefront6targetE1EEEvSF_.has_indirect_call, 0
	.section	.AMDGPU.csdata,"",@progbits
; Kernel info:
; codeLenInByte = 0
; TotalNumSgprs: 6
; NumVgprs: 0
; NumAgprs: 0
; TotalNumVgprs: 0
; ScratchSize: 0
; MemoryBound: 0
; FloatMode: 240
; IeeeMode: 1
; LDSByteSize: 0 bytes/workgroup (compile time only)
; SGPRBlocks: 0
; VGPRBlocks: 0
; NumSGPRsForWavesPerEU: 6
; NumVGPRsForWavesPerEU: 1
; AccumOffset: 4
; Occupancy: 8
; WaveLimiterHint : 0
; COMPUTE_PGM_RSRC2:SCRATCH_EN: 0
; COMPUTE_PGM_RSRC2:USER_SGPR: 2
; COMPUTE_PGM_RSRC2:TRAP_HANDLER: 0
; COMPUTE_PGM_RSRC2:TGID_X_EN: 1
; COMPUTE_PGM_RSRC2:TGID_Y_EN: 0
; COMPUTE_PGM_RSRC2:TGID_Z_EN: 0
; COMPUTE_PGM_RSRC2:TIDIG_COMP_CNT: 0
; COMPUTE_PGM_RSRC3_GFX90A:ACCUM_OFFSET: 0
; COMPUTE_PGM_RSRC3_GFX90A:TG_SPLIT: 0
	.section	.text._ZN7rocprim17ROCPRIM_400000_NS6detail17trampoline_kernelINS0_14default_configENS1_22reduce_config_selectorIiEEZNS1_11reduce_implILb1ES3_PiS7_iN6thrust23THRUST_200600_302600_NS4plusIiEEEE10hipError_tPvRmT1_T2_T3_mT4_P12ihipStream_tbEUlT_E1_NS1_11comp_targetILNS1_3genE10ELNS1_11target_archE1200ELNS1_3gpuE4ELNS1_3repE0EEENS1_30default_config_static_selectorELNS0_4arch9wavefront6targetE1EEEvSF_,"axG",@progbits,_ZN7rocprim17ROCPRIM_400000_NS6detail17trampoline_kernelINS0_14default_configENS1_22reduce_config_selectorIiEEZNS1_11reduce_implILb1ES3_PiS7_iN6thrust23THRUST_200600_302600_NS4plusIiEEEE10hipError_tPvRmT1_T2_T3_mT4_P12ihipStream_tbEUlT_E1_NS1_11comp_targetILNS1_3genE10ELNS1_11target_archE1200ELNS1_3gpuE4ELNS1_3repE0EEENS1_30default_config_static_selectorELNS0_4arch9wavefront6targetE1EEEvSF_,comdat
	.protected	_ZN7rocprim17ROCPRIM_400000_NS6detail17trampoline_kernelINS0_14default_configENS1_22reduce_config_selectorIiEEZNS1_11reduce_implILb1ES3_PiS7_iN6thrust23THRUST_200600_302600_NS4plusIiEEEE10hipError_tPvRmT1_T2_T3_mT4_P12ihipStream_tbEUlT_E1_NS1_11comp_targetILNS1_3genE10ELNS1_11target_archE1200ELNS1_3gpuE4ELNS1_3repE0EEENS1_30default_config_static_selectorELNS0_4arch9wavefront6targetE1EEEvSF_ ; -- Begin function _ZN7rocprim17ROCPRIM_400000_NS6detail17trampoline_kernelINS0_14default_configENS1_22reduce_config_selectorIiEEZNS1_11reduce_implILb1ES3_PiS7_iN6thrust23THRUST_200600_302600_NS4plusIiEEEE10hipError_tPvRmT1_T2_T3_mT4_P12ihipStream_tbEUlT_E1_NS1_11comp_targetILNS1_3genE10ELNS1_11target_archE1200ELNS1_3gpuE4ELNS1_3repE0EEENS1_30default_config_static_selectorELNS0_4arch9wavefront6targetE1EEEvSF_
	.globl	_ZN7rocprim17ROCPRIM_400000_NS6detail17trampoline_kernelINS0_14default_configENS1_22reduce_config_selectorIiEEZNS1_11reduce_implILb1ES3_PiS7_iN6thrust23THRUST_200600_302600_NS4plusIiEEEE10hipError_tPvRmT1_T2_T3_mT4_P12ihipStream_tbEUlT_E1_NS1_11comp_targetILNS1_3genE10ELNS1_11target_archE1200ELNS1_3gpuE4ELNS1_3repE0EEENS1_30default_config_static_selectorELNS0_4arch9wavefront6targetE1EEEvSF_
	.p2align	8
	.type	_ZN7rocprim17ROCPRIM_400000_NS6detail17trampoline_kernelINS0_14default_configENS1_22reduce_config_selectorIiEEZNS1_11reduce_implILb1ES3_PiS7_iN6thrust23THRUST_200600_302600_NS4plusIiEEEE10hipError_tPvRmT1_T2_T3_mT4_P12ihipStream_tbEUlT_E1_NS1_11comp_targetILNS1_3genE10ELNS1_11target_archE1200ELNS1_3gpuE4ELNS1_3repE0EEENS1_30default_config_static_selectorELNS0_4arch9wavefront6targetE1EEEvSF_,@function
_ZN7rocprim17ROCPRIM_400000_NS6detail17trampoline_kernelINS0_14default_configENS1_22reduce_config_selectorIiEEZNS1_11reduce_implILb1ES3_PiS7_iN6thrust23THRUST_200600_302600_NS4plusIiEEEE10hipError_tPvRmT1_T2_T3_mT4_P12ihipStream_tbEUlT_E1_NS1_11comp_targetILNS1_3genE10ELNS1_11target_archE1200ELNS1_3gpuE4ELNS1_3repE0EEENS1_30default_config_static_selectorELNS0_4arch9wavefront6targetE1EEEvSF_: ; @_ZN7rocprim17ROCPRIM_400000_NS6detail17trampoline_kernelINS0_14default_configENS1_22reduce_config_selectorIiEEZNS1_11reduce_implILb1ES3_PiS7_iN6thrust23THRUST_200600_302600_NS4plusIiEEEE10hipError_tPvRmT1_T2_T3_mT4_P12ihipStream_tbEUlT_E1_NS1_11comp_targetILNS1_3genE10ELNS1_11target_archE1200ELNS1_3gpuE4ELNS1_3repE0EEENS1_30default_config_static_selectorELNS0_4arch9wavefront6targetE1EEEvSF_
; %bb.0:
	.section	.rodata,"a",@progbits
	.p2align	6, 0x0
	.amdhsa_kernel _ZN7rocprim17ROCPRIM_400000_NS6detail17trampoline_kernelINS0_14default_configENS1_22reduce_config_selectorIiEEZNS1_11reduce_implILb1ES3_PiS7_iN6thrust23THRUST_200600_302600_NS4plusIiEEEE10hipError_tPvRmT1_T2_T3_mT4_P12ihipStream_tbEUlT_E1_NS1_11comp_targetILNS1_3genE10ELNS1_11target_archE1200ELNS1_3gpuE4ELNS1_3repE0EEENS1_30default_config_static_selectorELNS0_4arch9wavefront6targetE1EEEvSF_
		.amdhsa_group_segment_fixed_size 0
		.amdhsa_private_segment_fixed_size 0
		.amdhsa_kernarg_size 40
		.amdhsa_user_sgpr_count 2
		.amdhsa_user_sgpr_dispatch_ptr 0
		.amdhsa_user_sgpr_queue_ptr 0
		.amdhsa_user_sgpr_kernarg_segment_ptr 1
		.amdhsa_user_sgpr_dispatch_id 0
		.amdhsa_user_sgpr_kernarg_preload_length 0
		.amdhsa_user_sgpr_kernarg_preload_offset 0
		.amdhsa_user_sgpr_private_segment_size 0
		.amdhsa_uses_dynamic_stack 0
		.amdhsa_enable_private_segment 0
		.amdhsa_system_sgpr_workgroup_id_x 1
		.amdhsa_system_sgpr_workgroup_id_y 0
		.amdhsa_system_sgpr_workgroup_id_z 0
		.amdhsa_system_sgpr_workgroup_info 0
		.amdhsa_system_vgpr_workitem_id 0
		.amdhsa_next_free_vgpr 1
		.amdhsa_next_free_sgpr 0
		.amdhsa_accum_offset 4
		.amdhsa_reserve_vcc 0
		.amdhsa_float_round_mode_32 0
		.amdhsa_float_round_mode_16_64 0
		.amdhsa_float_denorm_mode_32 3
		.amdhsa_float_denorm_mode_16_64 3
		.amdhsa_dx10_clamp 1
		.amdhsa_ieee_mode 1
		.amdhsa_fp16_overflow 0
		.amdhsa_tg_split 0
		.amdhsa_exception_fp_ieee_invalid_op 0
		.amdhsa_exception_fp_denorm_src 0
		.amdhsa_exception_fp_ieee_div_zero 0
		.amdhsa_exception_fp_ieee_overflow 0
		.amdhsa_exception_fp_ieee_underflow 0
		.amdhsa_exception_fp_ieee_inexact 0
		.amdhsa_exception_int_div_zero 0
	.end_amdhsa_kernel
	.section	.text._ZN7rocprim17ROCPRIM_400000_NS6detail17trampoline_kernelINS0_14default_configENS1_22reduce_config_selectorIiEEZNS1_11reduce_implILb1ES3_PiS7_iN6thrust23THRUST_200600_302600_NS4plusIiEEEE10hipError_tPvRmT1_T2_T3_mT4_P12ihipStream_tbEUlT_E1_NS1_11comp_targetILNS1_3genE10ELNS1_11target_archE1200ELNS1_3gpuE4ELNS1_3repE0EEENS1_30default_config_static_selectorELNS0_4arch9wavefront6targetE1EEEvSF_,"axG",@progbits,_ZN7rocprim17ROCPRIM_400000_NS6detail17trampoline_kernelINS0_14default_configENS1_22reduce_config_selectorIiEEZNS1_11reduce_implILb1ES3_PiS7_iN6thrust23THRUST_200600_302600_NS4plusIiEEEE10hipError_tPvRmT1_T2_T3_mT4_P12ihipStream_tbEUlT_E1_NS1_11comp_targetILNS1_3genE10ELNS1_11target_archE1200ELNS1_3gpuE4ELNS1_3repE0EEENS1_30default_config_static_selectorELNS0_4arch9wavefront6targetE1EEEvSF_,comdat
.Lfunc_end239:
	.size	_ZN7rocprim17ROCPRIM_400000_NS6detail17trampoline_kernelINS0_14default_configENS1_22reduce_config_selectorIiEEZNS1_11reduce_implILb1ES3_PiS7_iN6thrust23THRUST_200600_302600_NS4plusIiEEEE10hipError_tPvRmT1_T2_T3_mT4_P12ihipStream_tbEUlT_E1_NS1_11comp_targetILNS1_3genE10ELNS1_11target_archE1200ELNS1_3gpuE4ELNS1_3repE0EEENS1_30default_config_static_selectorELNS0_4arch9wavefront6targetE1EEEvSF_, .Lfunc_end239-_ZN7rocprim17ROCPRIM_400000_NS6detail17trampoline_kernelINS0_14default_configENS1_22reduce_config_selectorIiEEZNS1_11reduce_implILb1ES3_PiS7_iN6thrust23THRUST_200600_302600_NS4plusIiEEEE10hipError_tPvRmT1_T2_T3_mT4_P12ihipStream_tbEUlT_E1_NS1_11comp_targetILNS1_3genE10ELNS1_11target_archE1200ELNS1_3gpuE4ELNS1_3repE0EEENS1_30default_config_static_selectorELNS0_4arch9wavefront6targetE1EEEvSF_
                                        ; -- End function
	.set _ZN7rocprim17ROCPRIM_400000_NS6detail17trampoline_kernelINS0_14default_configENS1_22reduce_config_selectorIiEEZNS1_11reduce_implILb1ES3_PiS7_iN6thrust23THRUST_200600_302600_NS4plusIiEEEE10hipError_tPvRmT1_T2_T3_mT4_P12ihipStream_tbEUlT_E1_NS1_11comp_targetILNS1_3genE10ELNS1_11target_archE1200ELNS1_3gpuE4ELNS1_3repE0EEENS1_30default_config_static_selectorELNS0_4arch9wavefront6targetE1EEEvSF_.num_vgpr, 0
	.set _ZN7rocprim17ROCPRIM_400000_NS6detail17trampoline_kernelINS0_14default_configENS1_22reduce_config_selectorIiEEZNS1_11reduce_implILb1ES3_PiS7_iN6thrust23THRUST_200600_302600_NS4plusIiEEEE10hipError_tPvRmT1_T2_T3_mT4_P12ihipStream_tbEUlT_E1_NS1_11comp_targetILNS1_3genE10ELNS1_11target_archE1200ELNS1_3gpuE4ELNS1_3repE0EEENS1_30default_config_static_selectorELNS0_4arch9wavefront6targetE1EEEvSF_.num_agpr, 0
	.set _ZN7rocprim17ROCPRIM_400000_NS6detail17trampoline_kernelINS0_14default_configENS1_22reduce_config_selectorIiEEZNS1_11reduce_implILb1ES3_PiS7_iN6thrust23THRUST_200600_302600_NS4plusIiEEEE10hipError_tPvRmT1_T2_T3_mT4_P12ihipStream_tbEUlT_E1_NS1_11comp_targetILNS1_3genE10ELNS1_11target_archE1200ELNS1_3gpuE4ELNS1_3repE0EEENS1_30default_config_static_selectorELNS0_4arch9wavefront6targetE1EEEvSF_.numbered_sgpr, 0
	.set _ZN7rocprim17ROCPRIM_400000_NS6detail17trampoline_kernelINS0_14default_configENS1_22reduce_config_selectorIiEEZNS1_11reduce_implILb1ES3_PiS7_iN6thrust23THRUST_200600_302600_NS4plusIiEEEE10hipError_tPvRmT1_T2_T3_mT4_P12ihipStream_tbEUlT_E1_NS1_11comp_targetILNS1_3genE10ELNS1_11target_archE1200ELNS1_3gpuE4ELNS1_3repE0EEENS1_30default_config_static_selectorELNS0_4arch9wavefront6targetE1EEEvSF_.num_named_barrier, 0
	.set _ZN7rocprim17ROCPRIM_400000_NS6detail17trampoline_kernelINS0_14default_configENS1_22reduce_config_selectorIiEEZNS1_11reduce_implILb1ES3_PiS7_iN6thrust23THRUST_200600_302600_NS4plusIiEEEE10hipError_tPvRmT1_T2_T3_mT4_P12ihipStream_tbEUlT_E1_NS1_11comp_targetILNS1_3genE10ELNS1_11target_archE1200ELNS1_3gpuE4ELNS1_3repE0EEENS1_30default_config_static_selectorELNS0_4arch9wavefront6targetE1EEEvSF_.private_seg_size, 0
	.set _ZN7rocprim17ROCPRIM_400000_NS6detail17trampoline_kernelINS0_14default_configENS1_22reduce_config_selectorIiEEZNS1_11reduce_implILb1ES3_PiS7_iN6thrust23THRUST_200600_302600_NS4plusIiEEEE10hipError_tPvRmT1_T2_T3_mT4_P12ihipStream_tbEUlT_E1_NS1_11comp_targetILNS1_3genE10ELNS1_11target_archE1200ELNS1_3gpuE4ELNS1_3repE0EEENS1_30default_config_static_selectorELNS0_4arch9wavefront6targetE1EEEvSF_.uses_vcc, 0
	.set _ZN7rocprim17ROCPRIM_400000_NS6detail17trampoline_kernelINS0_14default_configENS1_22reduce_config_selectorIiEEZNS1_11reduce_implILb1ES3_PiS7_iN6thrust23THRUST_200600_302600_NS4plusIiEEEE10hipError_tPvRmT1_T2_T3_mT4_P12ihipStream_tbEUlT_E1_NS1_11comp_targetILNS1_3genE10ELNS1_11target_archE1200ELNS1_3gpuE4ELNS1_3repE0EEENS1_30default_config_static_selectorELNS0_4arch9wavefront6targetE1EEEvSF_.uses_flat_scratch, 0
	.set _ZN7rocprim17ROCPRIM_400000_NS6detail17trampoline_kernelINS0_14default_configENS1_22reduce_config_selectorIiEEZNS1_11reduce_implILb1ES3_PiS7_iN6thrust23THRUST_200600_302600_NS4plusIiEEEE10hipError_tPvRmT1_T2_T3_mT4_P12ihipStream_tbEUlT_E1_NS1_11comp_targetILNS1_3genE10ELNS1_11target_archE1200ELNS1_3gpuE4ELNS1_3repE0EEENS1_30default_config_static_selectorELNS0_4arch9wavefront6targetE1EEEvSF_.has_dyn_sized_stack, 0
	.set _ZN7rocprim17ROCPRIM_400000_NS6detail17trampoline_kernelINS0_14default_configENS1_22reduce_config_selectorIiEEZNS1_11reduce_implILb1ES3_PiS7_iN6thrust23THRUST_200600_302600_NS4plusIiEEEE10hipError_tPvRmT1_T2_T3_mT4_P12ihipStream_tbEUlT_E1_NS1_11comp_targetILNS1_3genE10ELNS1_11target_archE1200ELNS1_3gpuE4ELNS1_3repE0EEENS1_30default_config_static_selectorELNS0_4arch9wavefront6targetE1EEEvSF_.has_recursion, 0
	.set _ZN7rocprim17ROCPRIM_400000_NS6detail17trampoline_kernelINS0_14default_configENS1_22reduce_config_selectorIiEEZNS1_11reduce_implILb1ES3_PiS7_iN6thrust23THRUST_200600_302600_NS4plusIiEEEE10hipError_tPvRmT1_T2_T3_mT4_P12ihipStream_tbEUlT_E1_NS1_11comp_targetILNS1_3genE10ELNS1_11target_archE1200ELNS1_3gpuE4ELNS1_3repE0EEENS1_30default_config_static_selectorELNS0_4arch9wavefront6targetE1EEEvSF_.has_indirect_call, 0
	.section	.AMDGPU.csdata,"",@progbits
; Kernel info:
; codeLenInByte = 0
; TotalNumSgprs: 6
; NumVgprs: 0
; NumAgprs: 0
; TotalNumVgprs: 0
; ScratchSize: 0
; MemoryBound: 0
; FloatMode: 240
; IeeeMode: 1
; LDSByteSize: 0 bytes/workgroup (compile time only)
; SGPRBlocks: 0
; VGPRBlocks: 0
; NumSGPRsForWavesPerEU: 6
; NumVGPRsForWavesPerEU: 1
; AccumOffset: 4
; Occupancy: 8
; WaveLimiterHint : 0
; COMPUTE_PGM_RSRC2:SCRATCH_EN: 0
; COMPUTE_PGM_RSRC2:USER_SGPR: 2
; COMPUTE_PGM_RSRC2:TRAP_HANDLER: 0
; COMPUTE_PGM_RSRC2:TGID_X_EN: 1
; COMPUTE_PGM_RSRC2:TGID_Y_EN: 0
; COMPUTE_PGM_RSRC2:TGID_Z_EN: 0
; COMPUTE_PGM_RSRC2:TIDIG_COMP_CNT: 0
; COMPUTE_PGM_RSRC3_GFX90A:ACCUM_OFFSET: 0
; COMPUTE_PGM_RSRC3_GFX90A:TG_SPLIT: 0
	.section	.text._ZN7rocprim17ROCPRIM_400000_NS6detail17trampoline_kernelINS0_14default_configENS1_22reduce_config_selectorIiEEZNS1_11reduce_implILb1ES3_PiS7_iN6thrust23THRUST_200600_302600_NS4plusIiEEEE10hipError_tPvRmT1_T2_T3_mT4_P12ihipStream_tbEUlT_E1_NS1_11comp_targetILNS1_3genE9ELNS1_11target_archE1100ELNS1_3gpuE3ELNS1_3repE0EEENS1_30default_config_static_selectorELNS0_4arch9wavefront6targetE1EEEvSF_,"axG",@progbits,_ZN7rocprim17ROCPRIM_400000_NS6detail17trampoline_kernelINS0_14default_configENS1_22reduce_config_selectorIiEEZNS1_11reduce_implILb1ES3_PiS7_iN6thrust23THRUST_200600_302600_NS4plusIiEEEE10hipError_tPvRmT1_T2_T3_mT4_P12ihipStream_tbEUlT_E1_NS1_11comp_targetILNS1_3genE9ELNS1_11target_archE1100ELNS1_3gpuE3ELNS1_3repE0EEENS1_30default_config_static_selectorELNS0_4arch9wavefront6targetE1EEEvSF_,comdat
	.protected	_ZN7rocprim17ROCPRIM_400000_NS6detail17trampoline_kernelINS0_14default_configENS1_22reduce_config_selectorIiEEZNS1_11reduce_implILb1ES3_PiS7_iN6thrust23THRUST_200600_302600_NS4plusIiEEEE10hipError_tPvRmT1_T2_T3_mT4_P12ihipStream_tbEUlT_E1_NS1_11comp_targetILNS1_3genE9ELNS1_11target_archE1100ELNS1_3gpuE3ELNS1_3repE0EEENS1_30default_config_static_selectorELNS0_4arch9wavefront6targetE1EEEvSF_ ; -- Begin function _ZN7rocprim17ROCPRIM_400000_NS6detail17trampoline_kernelINS0_14default_configENS1_22reduce_config_selectorIiEEZNS1_11reduce_implILb1ES3_PiS7_iN6thrust23THRUST_200600_302600_NS4plusIiEEEE10hipError_tPvRmT1_T2_T3_mT4_P12ihipStream_tbEUlT_E1_NS1_11comp_targetILNS1_3genE9ELNS1_11target_archE1100ELNS1_3gpuE3ELNS1_3repE0EEENS1_30default_config_static_selectorELNS0_4arch9wavefront6targetE1EEEvSF_
	.globl	_ZN7rocprim17ROCPRIM_400000_NS6detail17trampoline_kernelINS0_14default_configENS1_22reduce_config_selectorIiEEZNS1_11reduce_implILb1ES3_PiS7_iN6thrust23THRUST_200600_302600_NS4plusIiEEEE10hipError_tPvRmT1_T2_T3_mT4_P12ihipStream_tbEUlT_E1_NS1_11comp_targetILNS1_3genE9ELNS1_11target_archE1100ELNS1_3gpuE3ELNS1_3repE0EEENS1_30default_config_static_selectorELNS0_4arch9wavefront6targetE1EEEvSF_
	.p2align	8
	.type	_ZN7rocprim17ROCPRIM_400000_NS6detail17trampoline_kernelINS0_14default_configENS1_22reduce_config_selectorIiEEZNS1_11reduce_implILb1ES3_PiS7_iN6thrust23THRUST_200600_302600_NS4plusIiEEEE10hipError_tPvRmT1_T2_T3_mT4_P12ihipStream_tbEUlT_E1_NS1_11comp_targetILNS1_3genE9ELNS1_11target_archE1100ELNS1_3gpuE3ELNS1_3repE0EEENS1_30default_config_static_selectorELNS0_4arch9wavefront6targetE1EEEvSF_,@function
_ZN7rocprim17ROCPRIM_400000_NS6detail17trampoline_kernelINS0_14default_configENS1_22reduce_config_selectorIiEEZNS1_11reduce_implILb1ES3_PiS7_iN6thrust23THRUST_200600_302600_NS4plusIiEEEE10hipError_tPvRmT1_T2_T3_mT4_P12ihipStream_tbEUlT_E1_NS1_11comp_targetILNS1_3genE9ELNS1_11target_archE1100ELNS1_3gpuE3ELNS1_3repE0EEENS1_30default_config_static_selectorELNS0_4arch9wavefront6targetE1EEEvSF_: ; @_ZN7rocprim17ROCPRIM_400000_NS6detail17trampoline_kernelINS0_14default_configENS1_22reduce_config_selectorIiEEZNS1_11reduce_implILb1ES3_PiS7_iN6thrust23THRUST_200600_302600_NS4plusIiEEEE10hipError_tPvRmT1_T2_T3_mT4_P12ihipStream_tbEUlT_E1_NS1_11comp_targetILNS1_3genE9ELNS1_11target_archE1100ELNS1_3gpuE3ELNS1_3repE0EEENS1_30default_config_static_selectorELNS0_4arch9wavefront6targetE1EEEvSF_
; %bb.0:
	.section	.rodata,"a",@progbits
	.p2align	6, 0x0
	.amdhsa_kernel _ZN7rocprim17ROCPRIM_400000_NS6detail17trampoline_kernelINS0_14default_configENS1_22reduce_config_selectorIiEEZNS1_11reduce_implILb1ES3_PiS7_iN6thrust23THRUST_200600_302600_NS4plusIiEEEE10hipError_tPvRmT1_T2_T3_mT4_P12ihipStream_tbEUlT_E1_NS1_11comp_targetILNS1_3genE9ELNS1_11target_archE1100ELNS1_3gpuE3ELNS1_3repE0EEENS1_30default_config_static_selectorELNS0_4arch9wavefront6targetE1EEEvSF_
		.amdhsa_group_segment_fixed_size 0
		.amdhsa_private_segment_fixed_size 0
		.amdhsa_kernarg_size 40
		.amdhsa_user_sgpr_count 2
		.amdhsa_user_sgpr_dispatch_ptr 0
		.amdhsa_user_sgpr_queue_ptr 0
		.amdhsa_user_sgpr_kernarg_segment_ptr 1
		.amdhsa_user_sgpr_dispatch_id 0
		.amdhsa_user_sgpr_kernarg_preload_length 0
		.amdhsa_user_sgpr_kernarg_preload_offset 0
		.amdhsa_user_sgpr_private_segment_size 0
		.amdhsa_uses_dynamic_stack 0
		.amdhsa_enable_private_segment 0
		.amdhsa_system_sgpr_workgroup_id_x 1
		.amdhsa_system_sgpr_workgroup_id_y 0
		.amdhsa_system_sgpr_workgroup_id_z 0
		.amdhsa_system_sgpr_workgroup_info 0
		.amdhsa_system_vgpr_workitem_id 0
		.amdhsa_next_free_vgpr 1
		.amdhsa_next_free_sgpr 0
		.amdhsa_accum_offset 4
		.amdhsa_reserve_vcc 0
		.amdhsa_float_round_mode_32 0
		.amdhsa_float_round_mode_16_64 0
		.amdhsa_float_denorm_mode_32 3
		.amdhsa_float_denorm_mode_16_64 3
		.amdhsa_dx10_clamp 1
		.amdhsa_ieee_mode 1
		.amdhsa_fp16_overflow 0
		.amdhsa_tg_split 0
		.amdhsa_exception_fp_ieee_invalid_op 0
		.amdhsa_exception_fp_denorm_src 0
		.amdhsa_exception_fp_ieee_div_zero 0
		.amdhsa_exception_fp_ieee_overflow 0
		.amdhsa_exception_fp_ieee_underflow 0
		.amdhsa_exception_fp_ieee_inexact 0
		.amdhsa_exception_int_div_zero 0
	.end_amdhsa_kernel
	.section	.text._ZN7rocprim17ROCPRIM_400000_NS6detail17trampoline_kernelINS0_14default_configENS1_22reduce_config_selectorIiEEZNS1_11reduce_implILb1ES3_PiS7_iN6thrust23THRUST_200600_302600_NS4plusIiEEEE10hipError_tPvRmT1_T2_T3_mT4_P12ihipStream_tbEUlT_E1_NS1_11comp_targetILNS1_3genE9ELNS1_11target_archE1100ELNS1_3gpuE3ELNS1_3repE0EEENS1_30default_config_static_selectorELNS0_4arch9wavefront6targetE1EEEvSF_,"axG",@progbits,_ZN7rocprim17ROCPRIM_400000_NS6detail17trampoline_kernelINS0_14default_configENS1_22reduce_config_selectorIiEEZNS1_11reduce_implILb1ES3_PiS7_iN6thrust23THRUST_200600_302600_NS4plusIiEEEE10hipError_tPvRmT1_T2_T3_mT4_P12ihipStream_tbEUlT_E1_NS1_11comp_targetILNS1_3genE9ELNS1_11target_archE1100ELNS1_3gpuE3ELNS1_3repE0EEENS1_30default_config_static_selectorELNS0_4arch9wavefront6targetE1EEEvSF_,comdat
.Lfunc_end240:
	.size	_ZN7rocprim17ROCPRIM_400000_NS6detail17trampoline_kernelINS0_14default_configENS1_22reduce_config_selectorIiEEZNS1_11reduce_implILb1ES3_PiS7_iN6thrust23THRUST_200600_302600_NS4plusIiEEEE10hipError_tPvRmT1_T2_T3_mT4_P12ihipStream_tbEUlT_E1_NS1_11comp_targetILNS1_3genE9ELNS1_11target_archE1100ELNS1_3gpuE3ELNS1_3repE0EEENS1_30default_config_static_selectorELNS0_4arch9wavefront6targetE1EEEvSF_, .Lfunc_end240-_ZN7rocprim17ROCPRIM_400000_NS6detail17trampoline_kernelINS0_14default_configENS1_22reduce_config_selectorIiEEZNS1_11reduce_implILb1ES3_PiS7_iN6thrust23THRUST_200600_302600_NS4plusIiEEEE10hipError_tPvRmT1_T2_T3_mT4_P12ihipStream_tbEUlT_E1_NS1_11comp_targetILNS1_3genE9ELNS1_11target_archE1100ELNS1_3gpuE3ELNS1_3repE0EEENS1_30default_config_static_selectorELNS0_4arch9wavefront6targetE1EEEvSF_
                                        ; -- End function
	.set _ZN7rocprim17ROCPRIM_400000_NS6detail17trampoline_kernelINS0_14default_configENS1_22reduce_config_selectorIiEEZNS1_11reduce_implILb1ES3_PiS7_iN6thrust23THRUST_200600_302600_NS4plusIiEEEE10hipError_tPvRmT1_T2_T3_mT4_P12ihipStream_tbEUlT_E1_NS1_11comp_targetILNS1_3genE9ELNS1_11target_archE1100ELNS1_3gpuE3ELNS1_3repE0EEENS1_30default_config_static_selectorELNS0_4arch9wavefront6targetE1EEEvSF_.num_vgpr, 0
	.set _ZN7rocprim17ROCPRIM_400000_NS6detail17trampoline_kernelINS0_14default_configENS1_22reduce_config_selectorIiEEZNS1_11reduce_implILb1ES3_PiS7_iN6thrust23THRUST_200600_302600_NS4plusIiEEEE10hipError_tPvRmT1_T2_T3_mT4_P12ihipStream_tbEUlT_E1_NS1_11comp_targetILNS1_3genE9ELNS1_11target_archE1100ELNS1_3gpuE3ELNS1_3repE0EEENS1_30default_config_static_selectorELNS0_4arch9wavefront6targetE1EEEvSF_.num_agpr, 0
	.set _ZN7rocprim17ROCPRIM_400000_NS6detail17trampoline_kernelINS0_14default_configENS1_22reduce_config_selectorIiEEZNS1_11reduce_implILb1ES3_PiS7_iN6thrust23THRUST_200600_302600_NS4plusIiEEEE10hipError_tPvRmT1_T2_T3_mT4_P12ihipStream_tbEUlT_E1_NS1_11comp_targetILNS1_3genE9ELNS1_11target_archE1100ELNS1_3gpuE3ELNS1_3repE0EEENS1_30default_config_static_selectorELNS0_4arch9wavefront6targetE1EEEvSF_.numbered_sgpr, 0
	.set _ZN7rocprim17ROCPRIM_400000_NS6detail17trampoline_kernelINS0_14default_configENS1_22reduce_config_selectorIiEEZNS1_11reduce_implILb1ES3_PiS7_iN6thrust23THRUST_200600_302600_NS4plusIiEEEE10hipError_tPvRmT1_T2_T3_mT4_P12ihipStream_tbEUlT_E1_NS1_11comp_targetILNS1_3genE9ELNS1_11target_archE1100ELNS1_3gpuE3ELNS1_3repE0EEENS1_30default_config_static_selectorELNS0_4arch9wavefront6targetE1EEEvSF_.num_named_barrier, 0
	.set _ZN7rocprim17ROCPRIM_400000_NS6detail17trampoline_kernelINS0_14default_configENS1_22reduce_config_selectorIiEEZNS1_11reduce_implILb1ES3_PiS7_iN6thrust23THRUST_200600_302600_NS4plusIiEEEE10hipError_tPvRmT1_T2_T3_mT4_P12ihipStream_tbEUlT_E1_NS1_11comp_targetILNS1_3genE9ELNS1_11target_archE1100ELNS1_3gpuE3ELNS1_3repE0EEENS1_30default_config_static_selectorELNS0_4arch9wavefront6targetE1EEEvSF_.private_seg_size, 0
	.set _ZN7rocprim17ROCPRIM_400000_NS6detail17trampoline_kernelINS0_14default_configENS1_22reduce_config_selectorIiEEZNS1_11reduce_implILb1ES3_PiS7_iN6thrust23THRUST_200600_302600_NS4plusIiEEEE10hipError_tPvRmT1_T2_T3_mT4_P12ihipStream_tbEUlT_E1_NS1_11comp_targetILNS1_3genE9ELNS1_11target_archE1100ELNS1_3gpuE3ELNS1_3repE0EEENS1_30default_config_static_selectorELNS0_4arch9wavefront6targetE1EEEvSF_.uses_vcc, 0
	.set _ZN7rocprim17ROCPRIM_400000_NS6detail17trampoline_kernelINS0_14default_configENS1_22reduce_config_selectorIiEEZNS1_11reduce_implILb1ES3_PiS7_iN6thrust23THRUST_200600_302600_NS4plusIiEEEE10hipError_tPvRmT1_T2_T3_mT4_P12ihipStream_tbEUlT_E1_NS1_11comp_targetILNS1_3genE9ELNS1_11target_archE1100ELNS1_3gpuE3ELNS1_3repE0EEENS1_30default_config_static_selectorELNS0_4arch9wavefront6targetE1EEEvSF_.uses_flat_scratch, 0
	.set _ZN7rocprim17ROCPRIM_400000_NS6detail17trampoline_kernelINS0_14default_configENS1_22reduce_config_selectorIiEEZNS1_11reduce_implILb1ES3_PiS7_iN6thrust23THRUST_200600_302600_NS4plusIiEEEE10hipError_tPvRmT1_T2_T3_mT4_P12ihipStream_tbEUlT_E1_NS1_11comp_targetILNS1_3genE9ELNS1_11target_archE1100ELNS1_3gpuE3ELNS1_3repE0EEENS1_30default_config_static_selectorELNS0_4arch9wavefront6targetE1EEEvSF_.has_dyn_sized_stack, 0
	.set _ZN7rocprim17ROCPRIM_400000_NS6detail17trampoline_kernelINS0_14default_configENS1_22reduce_config_selectorIiEEZNS1_11reduce_implILb1ES3_PiS7_iN6thrust23THRUST_200600_302600_NS4plusIiEEEE10hipError_tPvRmT1_T2_T3_mT4_P12ihipStream_tbEUlT_E1_NS1_11comp_targetILNS1_3genE9ELNS1_11target_archE1100ELNS1_3gpuE3ELNS1_3repE0EEENS1_30default_config_static_selectorELNS0_4arch9wavefront6targetE1EEEvSF_.has_recursion, 0
	.set _ZN7rocprim17ROCPRIM_400000_NS6detail17trampoline_kernelINS0_14default_configENS1_22reduce_config_selectorIiEEZNS1_11reduce_implILb1ES3_PiS7_iN6thrust23THRUST_200600_302600_NS4plusIiEEEE10hipError_tPvRmT1_T2_T3_mT4_P12ihipStream_tbEUlT_E1_NS1_11comp_targetILNS1_3genE9ELNS1_11target_archE1100ELNS1_3gpuE3ELNS1_3repE0EEENS1_30default_config_static_selectorELNS0_4arch9wavefront6targetE1EEEvSF_.has_indirect_call, 0
	.section	.AMDGPU.csdata,"",@progbits
; Kernel info:
; codeLenInByte = 0
; TotalNumSgprs: 6
; NumVgprs: 0
; NumAgprs: 0
; TotalNumVgprs: 0
; ScratchSize: 0
; MemoryBound: 0
; FloatMode: 240
; IeeeMode: 1
; LDSByteSize: 0 bytes/workgroup (compile time only)
; SGPRBlocks: 0
; VGPRBlocks: 0
; NumSGPRsForWavesPerEU: 6
; NumVGPRsForWavesPerEU: 1
; AccumOffset: 4
; Occupancy: 8
; WaveLimiterHint : 0
; COMPUTE_PGM_RSRC2:SCRATCH_EN: 0
; COMPUTE_PGM_RSRC2:USER_SGPR: 2
; COMPUTE_PGM_RSRC2:TRAP_HANDLER: 0
; COMPUTE_PGM_RSRC2:TGID_X_EN: 1
; COMPUTE_PGM_RSRC2:TGID_Y_EN: 0
; COMPUTE_PGM_RSRC2:TGID_Z_EN: 0
; COMPUTE_PGM_RSRC2:TIDIG_COMP_CNT: 0
; COMPUTE_PGM_RSRC3_GFX90A:ACCUM_OFFSET: 0
; COMPUTE_PGM_RSRC3_GFX90A:TG_SPLIT: 0
	.section	.text._ZN7rocprim17ROCPRIM_400000_NS6detail17trampoline_kernelINS0_14default_configENS1_22reduce_config_selectorIiEEZNS1_11reduce_implILb1ES3_PiS7_iN6thrust23THRUST_200600_302600_NS4plusIiEEEE10hipError_tPvRmT1_T2_T3_mT4_P12ihipStream_tbEUlT_E1_NS1_11comp_targetILNS1_3genE8ELNS1_11target_archE1030ELNS1_3gpuE2ELNS1_3repE0EEENS1_30default_config_static_selectorELNS0_4arch9wavefront6targetE1EEEvSF_,"axG",@progbits,_ZN7rocprim17ROCPRIM_400000_NS6detail17trampoline_kernelINS0_14default_configENS1_22reduce_config_selectorIiEEZNS1_11reduce_implILb1ES3_PiS7_iN6thrust23THRUST_200600_302600_NS4plusIiEEEE10hipError_tPvRmT1_T2_T3_mT4_P12ihipStream_tbEUlT_E1_NS1_11comp_targetILNS1_3genE8ELNS1_11target_archE1030ELNS1_3gpuE2ELNS1_3repE0EEENS1_30default_config_static_selectorELNS0_4arch9wavefront6targetE1EEEvSF_,comdat
	.protected	_ZN7rocprim17ROCPRIM_400000_NS6detail17trampoline_kernelINS0_14default_configENS1_22reduce_config_selectorIiEEZNS1_11reduce_implILb1ES3_PiS7_iN6thrust23THRUST_200600_302600_NS4plusIiEEEE10hipError_tPvRmT1_T2_T3_mT4_P12ihipStream_tbEUlT_E1_NS1_11comp_targetILNS1_3genE8ELNS1_11target_archE1030ELNS1_3gpuE2ELNS1_3repE0EEENS1_30default_config_static_selectorELNS0_4arch9wavefront6targetE1EEEvSF_ ; -- Begin function _ZN7rocprim17ROCPRIM_400000_NS6detail17trampoline_kernelINS0_14default_configENS1_22reduce_config_selectorIiEEZNS1_11reduce_implILb1ES3_PiS7_iN6thrust23THRUST_200600_302600_NS4plusIiEEEE10hipError_tPvRmT1_T2_T3_mT4_P12ihipStream_tbEUlT_E1_NS1_11comp_targetILNS1_3genE8ELNS1_11target_archE1030ELNS1_3gpuE2ELNS1_3repE0EEENS1_30default_config_static_selectorELNS0_4arch9wavefront6targetE1EEEvSF_
	.globl	_ZN7rocprim17ROCPRIM_400000_NS6detail17trampoline_kernelINS0_14default_configENS1_22reduce_config_selectorIiEEZNS1_11reduce_implILb1ES3_PiS7_iN6thrust23THRUST_200600_302600_NS4plusIiEEEE10hipError_tPvRmT1_T2_T3_mT4_P12ihipStream_tbEUlT_E1_NS1_11comp_targetILNS1_3genE8ELNS1_11target_archE1030ELNS1_3gpuE2ELNS1_3repE0EEENS1_30default_config_static_selectorELNS0_4arch9wavefront6targetE1EEEvSF_
	.p2align	8
	.type	_ZN7rocprim17ROCPRIM_400000_NS6detail17trampoline_kernelINS0_14default_configENS1_22reduce_config_selectorIiEEZNS1_11reduce_implILb1ES3_PiS7_iN6thrust23THRUST_200600_302600_NS4plusIiEEEE10hipError_tPvRmT1_T2_T3_mT4_P12ihipStream_tbEUlT_E1_NS1_11comp_targetILNS1_3genE8ELNS1_11target_archE1030ELNS1_3gpuE2ELNS1_3repE0EEENS1_30default_config_static_selectorELNS0_4arch9wavefront6targetE1EEEvSF_,@function
_ZN7rocprim17ROCPRIM_400000_NS6detail17trampoline_kernelINS0_14default_configENS1_22reduce_config_selectorIiEEZNS1_11reduce_implILb1ES3_PiS7_iN6thrust23THRUST_200600_302600_NS4plusIiEEEE10hipError_tPvRmT1_T2_T3_mT4_P12ihipStream_tbEUlT_E1_NS1_11comp_targetILNS1_3genE8ELNS1_11target_archE1030ELNS1_3gpuE2ELNS1_3repE0EEENS1_30default_config_static_selectorELNS0_4arch9wavefront6targetE1EEEvSF_: ; @_ZN7rocprim17ROCPRIM_400000_NS6detail17trampoline_kernelINS0_14default_configENS1_22reduce_config_selectorIiEEZNS1_11reduce_implILb1ES3_PiS7_iN6thrust23THRUST_200600_302600_NS4plusIiEEEE10hipError_tPvRmT1_T2_T3_mT4_P12ihipStream_tbEUlT_E1_NS1_11comp_targetILNS1_3genE8ELNS1_11target_archE1030ELNS1_3gpuE2ELNS1_3repE0EEENS1_30default_config_static_selectorELNS0_4arch9wavefront6targetE1EEEvSF_
; %bb.0:
	.section	.rodata,"a",@progbits
	.p2align	6, 0x0
	.amdhsa_kernel _ZN7rocprim17ROCPRIM_400000_NS6detail17trampoline_kernelINS0_14default_configENS1_22reduce_config_selectorIiEEZNS1_11reduce_implILb1ES3_PiS7_iN6thrust23THRUST_200600_302600_NS4plusIiEEEE10hipError_tPvRmT1_T2_T3_mT4_P12ihipStream_tbEUlT_E1_NS1_11comp_targetILNS1_3genE8ELNS1_11target_archE1030ELNS1_3gpuE2ELNS1_3repE0EEENS1_30default_config_static_selectorELNS0_4arch9wavefront6targetE1EEEvSF_
		.amdhsa_group_segment_fixed_size 0
		.amdhsa_private_segment_fixed_size 0
		.amdhsa_kernarg_size 40
		.amdhsa_user_sgpr_count 2
		.amdhsa_user_sgpr_dispatch_ptr 0
		.amdhsa_user_sgpr_queue_ptr 0
		.amdhsa_user_sgpr_kernarg_segment_ptr 1
		.amdhsa_user_sgpr_dispatch_id 0
		.amdhsa_user_sgpr_kernarg_preload_length 0
		.amdhsa_user_sgpr_kernarg_preload_offset 0
		.amdhsa_user_sgpr_private_segment_size 0
		.amdhsa_uses_dynamic_stack 0
		.amdhsa_enable_private_segment 0
		.amdhsa_system_sgpr_workgroup_id_x 1
		.amdhsa_system_sgpr_workgroup_id_y 0
		.amdhsa_system_sgpr_workgroup_id_z 0
		.amdhsa_system_sgpr_workgroup_info 0
		.amdhsa_system_vgpr_workitem_id 0
		.amdhsa_next_free_vgpr 1
		.amdhsa_next_free_sgpr 0
		.amdhsa_accum_offset 4
		.amdhsa_reserve_vcc 0
		.amdhsa_float_round_mode_32 0
		.amdhsa_float_round_mode_16_64 0
		.amdhsa_float_denorm_mode_32 3
		.amdhsa_float_denorm_mode_16_64 3
		.amdhsa_dx10_clamp 1
		.amdhsa_ieee_mode 1
		.amdhsa_fp16_overflow 0
		.amdhsa_tg_split 0
		.amdhsa_exception_fp_ieee_invalid_op 0
		.amdhsa_exception_fp_denorm_src 0
		.amdhsa_exception_fp_ieee_div_zero 0
		.amdhsa_exception_fp_ieee_overflow 0
		.amdhsa_exception_fp_ieee_underflow 0
		.amdhsa_exception_fp_ieee_inexact 0
		.amdhsa_exception_int_div_zero 0
	.end_amdhsa_kernel
	.section	.text._ZN7rocprim17ROCPRIM_400000_NS6detail17trampoline_kernelINS0_14default_configENS1_22reduce_config_selectorIiEEZNS1_11reduce_implILb1ES3_PiS7_iN6thrust23THRUST_200600_302600_NS4plusIiEEEE10hipError_tPvRmT1_T2_T3_mT4_P12ihipStream_tbEUlT_E1_NS1_11comp_targetILNS1_3genE8ELNS1_11target_archE1030ELNS1_3gpuE2ELNS1_3repE0EEENS1_30default_config_static_selectorELNS0_4arch9wavefront6targetE1EEEvSF_,"axG",@progbits,_ZN7rocprim17ROCPRIM_400000_NS6detail17trampoline_kernelINS0_14default_configENS1_22reduce_config_selectorIiEEZNS1_11reduce_implILb1ES3_PiS7_iN6thrust23THRUST_200600_302600_NS4plusIiEEEE10hipError_tPvRmT1_T2_T3_mT4_P12ihipStream_tbEUlT_E1_NS1_11comp_targetILNS1_3genE8ELNS1_11target_archE1030ELNS1_3gpuE2ELNS1_3repE0EEENS1_30default_config_static_selectorELNS0_4arch9wavefront6targetE1EEEvSF_,comdat
.Lfunc_end241:
	.size	_ZN7rocprim17ROCPRIM_400000_NS6detail17trampoline_kernelINS0_14default_configENS1_22reduce_config_selectorIiEEZNS1_11reduce_implILb1ES3_PiS7_iN6thrust23THRUST_200600_302600_NS4plusIiEEEE10hipError_tPvRmT1_T2_T3_mT4_P12ihipStream_tbEUlT_E1_NS1_11comp_targetILNS1_3genE8ELNS1_11target_archE1030ELNS1_3gpuE2ELNS1_3repE0EEENS1_30default_config_static_selectorELNS0_4arch9wavefront6targetE1EEEvSF_, .Lfunc_end241-_ZN7rocprim17ROCPRIM_400000_NS6detail17trampoline_kernelINS0_14default_configENS1_22reduce_config_selectorIiEEZNS1_11reduce_implILb1ES3_PiS7_iN6thrust23THRUST_200600_302600_NS4plusIiEEEE10hipError_tPvRmT1_T2_T3_mT4_P12ihipStream_tbEUlT_E1_NS1_11comp_targetILNS1_3genE8ELNS1_11target_archE1030ELNS1_3gpuE2ELNS1_3repE0EEENS1_30default_config_static_selectorELNS0_4arch9wavefront6targetE1EEEvSF_
                                        ; -- End function
	.set _ZN7rocprim17ROCPRIM_400000_NS6detail17trampoline_kernelINS0_14default_configENS1_22reduce_config_selectorIiEEZNS1_11reduce_implILb1ES3_PiS7_iN6thrust23THRUST_200600_302600_NS4plusIiEEEE10hipError_tPvRmT1_T2_T3_mT4_P12ihipStream_tbEUlT_E1_NS1_11comp_targetILNS1_3genE8ELNS1_11target_archE1030ELNS1_3gpuE2ELNS1_3repE0EEENS1_30default_config_static_selectorELNS0_4arch9wavefront6targetE1EEEvSF_.num_vgpr, 0
	.set _ZN7rocprim17ROCPRIM_400000_NS6detail17trampoline_kernelINS0_14default_configENS1_22reduce_config_selectorIiEEZNS1_11reduce_implILb1ES3_PiS7_iN6thrust23THRUST_200600_302600_NS4plusIiEEEE10hipError_tPvRmT1_T2_T3_mT4_P12ihipStream_tbEUlT_E1_NS1_11comp_targetILNS1_3genE8ELNS1_11target_archE1030ELNS1_3gpuE2ELNS1_3repE0EEENS1_30default_config_static_selectorELNS0_4arch9wavefront6targetE1EEEvSF_.num_agpr, 0
	.set _ZN7rocprim17ROCPRIM_400000_NS6detail17trampoline_kernelINS0_14default_configENS1_22reduce_config_selectorIiEEZNS1_11reduce_implILb1ES3_PiS7_iN6thrust23THRUST_200600_302600_NS4plusIiEEEE10hipError_tPvRmT1_T2_T3_mT4_P12ihipStream_tbEUlT_E1_NS1_11comp_targetILNS1_3genE8ELNS1_11target_archE1030ELNS1_3gpuE2ELNS1_3repE0EEENS1_30default_config_static_selectorELNS0_4arch9wavefront6targetE1EEEvSF_.numbered_sgpr, 0
	.set _ZN7rocprim17ROCPRIM_400000_NS6detail17trampoline_kernelINS0_14default_configENS1_22reduce_config_selectorIiEEZNS1_11reduce_implILb1ES3_PiS7_iN6thrust23THRUST_200600_302600_NS4plusIiEEEE10hipError_tPvRmT1_T2_T3_mT4_P12ihipStream_tbEUlT_E1_NS1_11comp_targetILNS1_3genE8ELNS1_11target_archE1030ELNS1_3gpuE2ELNS1_3repE0EEENS1_30default_config_static_selectorELNS0_4arch9wavefront6targetE1EEEvSF_.num_named_barrier, 0
	.set _ZN7rocprim17ROCPRIM_400000_NS6detail17trampoline_kernelINS0_14default_configENS1_22reduce_config_selectorIiEEZNS1_11reduce_implILb1ES3_PiS7_iN6thrust23THRUST_200600_302600_NS4plusIiEEEE10hipError_tPvRmT1_T2_T3_mT4_P12ihipStream_tbEUlT_E1_NS1_11comp_targetILNS1_3genE8ELNS1_11target_archE1030ELNS1_3gpuE2ELNS1_3repE0EEENS1_30default_config_static_selectorELNS0_4arch9wavefront6targetE1EEEvSF_.private_seg_size, 0
	.set _ZN7rocprim17ROCPRIM_400000_NS6detail17trampoline_kernelINS0_14default_configENS1_22reduce_config_selectorIiEEZNS1_11reduce_implILb1ES3_PiS7_iN6thrust23THRUST_200600_302600_NS4plusIiEEEE10hipError_tPvRmT1_T2_T3_mT4_P12ihipStream_tbEUlT_E1_NS1_11comp_targetILNS1_3genE8ELNS1_11target_archE1030ELNS1_3gpuE2ELNS1_3repE0EEENS1_30default_config_static_selectorELNS0_4arch9wavefront6targetE1EEEvSF_.uses_vcc, 0
	.set _ZN7rocprim17ROCPRIM_400000_NS6detail17trampoline_kernelINS0_14default_configENS1_22reduce_config_selectorIiEEZNS1_11reduce_implILb1ES3_PiS7_iN6thrust23THRUST_200600_302600_NS4plusIiEEEE10hipError_tPvRmT1_T2_T3_mT4_P12ihipStream_tbEUlT_E1_NS1_11comp_targetILNS1_3genE8ELNS1_11target_archE1030ELNS1_3gpuE2ELNS1_3repE0EEENS1_30default_config_static_selectorELNS0_4arch9wavefront6targetE1EEEvSF_.uses_flat_scratch, 0
	.set _ZN7rocprim17ROCPRIM_400000_NS6detail17trampoline_kernelINS0_14default_configENS1_22reduce_config_selectorIiEEZNS1_11reduce_implILb1ES3_PiS7_iN6thrust23THRUST_200600_302600_NS4plusIiEEEE10hipError_tPvRmT1_T2_T3_mT4_P12ihipStream_tbEUlT_E1_NS1_11comp_targetILNS1_3genE8ELNS1_11target_archE1030ELNS1_3gpuE2ELNS1_3repE0EEENS1_30default_config_static_selectorELNS0_4arch9wavefront6targetE1EEEvSF_.has_dyn_sized_stack, 0
	.set _ZN7rocprim17ROCPRIM_400000_NS6detail17trampoline_kernelINS0_14default_configENS1_22reduce_config_selectorIiEEZNS1_11reduce_implILb1ES3_PiS7_iN6thrust23THRUST_200600_302600_NS4plusIiEEEE10hipError_tPvRmT1_T2_T3_mT4_P12ihipStream_tbEUlT_E1_NS1_11comp_targetILNS1_3genE8ELNS1_11target_archE1030ELNS1_3gpuE2ELNS1_3repE0EEENS1_30default_config_static_selectorELNS0_4arch9wavefront6targetE1EEEvSF_.has_recursion, 0
	.set _ZN7rocprim17ROCPRIM_400000_NS6detail17trampoline_kernelINS0_14default_configENS1_22reduce_config_selectorIiEEZNS1_11reduce_implILb1ES3_PiS7_iN6thrust23THRUST_200600_302600_NS4plusIiEEEE10hipError_tPvRmT1_T2_T3_mT4_P12ihipStream_tbEUlT_E1_NS1_11comp_targetILNS1_3genE8ELNS1_11target_archE1030ELNS1_3gpuE2ELNS1_3repE0EEENS1_30default_config_static_selectorELNS0_4arch9wavefront6targetE1EEEvSF_.has_indirect_call, 0
	.section	.AMDGPU.csdata,"",@progbits
; Kernel info:
; codeLenInByte = 0
; TotalNumSgprs: 6
; NumVgprs: 0
; NumAgprs: 0
; TotalNumVgprs: 0
; ScratchSize: 0
; MemoryBound: 0
; FloatMode: 240
; IeeeMode: 1
; LDSByteSize: 0 bytes/workgroup (compile time only)
; SGPRBlocks: 0
; VGPRBlocks: 0
; NumSGPRsForWavesPerEU: 6
; NumVGPRsForWavesPerEU: 1
; AccumOffset: 4
; Occupancy: 8
; WaveLimiterHint : 0
; COMPUTE_PGM_RSRC2:SCRATCH_EN: 0
; COMPUTE_PGM_RSRC2:USER_SGPR: 2
; COMPUTE_PGM_RSRC2:TRAP_HANDLER: 0
; COMPUTE_PGM_RSRC2:TGID_X_EN: 1
; COMPUTE_PGM_RSRC2:TGID_Y_EN: 0
; COMPUTE_PGM_RSRC2:TGID_Z_EN: 0
; COMPUTE_PGM_RSRC2:TIDIG_COMP_CNT: 0
; COMPUTE_PGM_RSRC3_GFX90A:ACCUM_OFFSET: 0
; COMPUTE_PGM_RSRC3_GFX90A:TG_SPLIT: 0
	.section	.text._ZN7rocprim17ROCPRIM_400000_NS6detail17trampoline_kernelINS0_14default_configENS1_22reduce_config_selectorIiEEZNS1_11reduce_implILb1ES3_N6thrust23THRUST_200600_302600_NS6detail15normal_iteratorINS8_10device_ptrIiEEEEPiiNS8_4plusIiEEEE10hipError_tPvRmT1_T2_T3_mT4_P12ihipStream_tbEUlT_E0_NS1_11comp_targetILNS1_3genE0ELNS1_11target_archE4294967295ELNS1_3gpuE0ELNS1_3repE0EEENS1_30default_config_static_selectorELNS0_4arch9wavefront6targetE1EEEvSK_,"axG",@progbits,_ZN7rocprim17ROCPRIM_400000_NS6detail17trampoline_kernelINS0_14default_configENS1_22reduce_config_selectorIiEEZNS1_11reduce_implILb1ES3_N6thrust23THRUST_200600_302600_NS6detail15normal_iteratorINS8_10device_ptrIiEEEEPiiNS8_4plusIiEEEE10hipError_tPvRmT1_T2_T3_mT4_P12ihipStream_tbEUlT_E0_NS1_11comp_targetILNS1_3genE0ELNS1_11target_archE4294967295ELNS1_3gpuE0ELNS1_3repE0EEENS1_30default_config_static_selectorELNS0_4arch9wavefront6targetE1EEEvSK_,comdat
	.protected	_ZN7rocprim17ROCPRIM_400000_NS6detail17trampoline_kernelINS0_14default_configENS1_22reduce_config_selectorIiEEZNS1_11reduce_implILb1ES3_N6thrust23THRUST_200600_302600_NS6detail15normal_iteratorINS8_10device_ptrIiEEEEPiiNS8_4plusIiEEEE10hipError_tPvRmT1_T2_T3_mT4_P12ihipStream_tbEUlT_E0_NS1_11comp_targetILNS1_3genE0ELNS1_11target_archE4294967295ELNS1_3gpuE0ELNS1_3repE0EEENS1_30default_config_static_selectorELNS0_4arch9wavefront6targetE1EEEvSK_ ; -- Begin function _ZN7rocprim17ROCPRIM_400000_NS6detail17trampoline_kernelINS0_14default_configENS1_22reduce_config_selectorIiEEZNS1_11reduce_implILb1ES3_N6thrust23THRUST_200600_302600_NS6detail15normal_iteratorINS8_10device_ptrIiEEEEPiiNS8_4plusIiEEEE10hipError_tPvRmT1_T2_T3_mT4_P12ihipStream_tbEUlT_E0_NS1_11comp_targetILNS1_3genE0ELNS1_11target_archE4294967295ELNS1_3gpuE0ELNS1_3repE0EEENS1_30default_config_static_selectorELNS0_4arch9wavefront6targetE1EEEvSK_
	.globl	_ZN7rocprim17ROCPRIM_400000_NS6detail17trampoline_kernelINS0_14default_configENS1_22reduce_config_selectorIiEEZNS1_11reduce_implILb1ES3_N6thrust23THRUST_200600_302600_NS6detail15normal_iteratorINS8_10device_ptrIiEEEEPiiNS8_4plusIiEEEE10hipError_tPvRmT1_T2_T3_mT4_P12ihipStream_tbEUlT_E0_NS1_11comp_targetILNS1_3genE0ELNS1_11target_archE4294967295ELNS1_3gpuE0ELNS1_3repE0EEENS1_30default_config_static_selectorELNS0_4arch9wavefront6targetE1EEEvSK_
	.p2align	8
	.type	_ZN7rocprim17ROCPRIM_400000_NS6detail17trampoline_kernelINS0_14default_configENS1_22reduce_config_selectorIiEEZNS1_11reduce_implILb1ES3_N6thrust23THRUST_200600_302600_NS6detail15normal_iteratorINS8_10device_ptrIiEEEEPiiNS8_4plusIiEEEE10hipError_tPvRmT1_T2_T3_mT4_P12ihipStream_tbEUlT_E0_NS1_11comp_targetILNS1_3genE0ELNS1_11target_archE4294967295ELNS1_3gpuE0ELNS1_3repE0EEENS1_30default_config_static_selectorELNS0_4arch9wavefront6targetE1EEEvSK_,@function
_ZN7rocprim17ROCPRIM_400000_NS6detail17trampoline_kernelINS0_14default_configENS1_22reduce_config_selectorIiEEZNS1_11reduce_implILb1ES3_N6thrust23THRUST_200600_302600_NS6detail15normal_iteratorINS8_10device_ptrIiEEEEPiiNS8_4plusIiEEEE10hipError_tPvRmT1_T2_T3_mT4_P12ihipStream_tbEUlT_E0_NS1_11comp_targetILNS1_3genE0ELNS1_11target_archE4294967295ELNS1_3gpuE0ELNS1_3repE0EEENS1_30default_config_static_selectorELNS0_4arch9wavefront6targetE1EEEvSK_: ; @_ZN7rocprim17ROCPRIM_400000_NS6detail17trampoline_kernelINS0_14default_configENS1_22reduce_config_selectorIiEEZNS1_11reduce_implILb1ES3_N6thrust23THRUST_200600_302600_NS6detail15normal_iteratorINS8_10device_ptrIiEEEEPiiNS8_4plusIiEEEE10hipError_tPvRmT1_T2_T3_mT4_P12ihipStream_tbEUlT_E0_NS1_11comp_targetILNS1_3genE0ELNS1_11target_archE4294967295ELNS1_3gpuE0ELNS1_3repE0EEENS1_30default_config_static_selectorELNS0_4arch9wavefront6targetE1EEEvSK_
; %bb.0:
	s_load_dwordx8 s[4:11], s[0:1], 0x0
	s_load_dwordx4 s[12:15], s[0:1], 0x20
	v_lshlrev_b32_e32 v6, 2, v0
	v_mbcnt_lo_u32_b32 v1, -1, 0
	s_waitcnt lgkmcnt(0)
	s_lshl_b64 s[6:7], s[6:7], 2
	s_add_u32 s18, s4, s6
	s_addc_u32 s19, s5, s7
	s_lshl_b32 s4, s2, 10
	s_mov_b32 s5, 0
	s_lshr_b64 s[16:17], s[8:9], 10
	s_lshl_b64 s[6:7], s[4:5], 2
	s_add_u32 s6, s18, s6
	s_mov_b32 s3, s5
	s_addc_u32 s7, s19, s7
	s_cmp_lg_u64 s[16:17], s[2:3]
	s_cbranch_scc0 .LBB242_6
; %bb.1:
	v_mov_b32_e32 v7, 0
	v_lshl_add_u64 v[2:3], s[6:7], 0, v[6:7]
	flat_load_dword v5, v[2:3]
	flat_load_dword v7, v[2:3] offset:1024
	flat_load_dword v8, v[2:3] offset:2048
	;; [unrolled: 1-line block ×3, first 2 shown]
	v_mbcnt_hi_u32_b32 v3, -1, v1
	v_lshlrev_b32_e32 v4, 2, v3
	v_cmp_eq_u32_e32 vcc, 0, v3
	s_waitcnt vmcnt(0) lgkmcnt(0)
	v_add_u32_e32 v2, v7, v5
	v_or_b32_e32 v5, 0xfc, v4
	v_add3_u32 v2, v2, v8, v9
	s_nop 1
	v_add_u32_dpp v2, v2, v2 quad_perm:[1,0,3,2] row_mask:0xf bank_mask:0xf bound_ctrl:1
	s_nop 1
	v_add_u32_dpp v2, v2, v2 quad_perm:[2,3,0,1] row_mask:0xf bank_mask:0xf bound_ctrl:1
	s_nop 1
	v_add_u32_dpp v2, v2, v2 row_ror:4 row_mask:0xf bank_mask:0xf bound_ctrl:1
	s_nop 1
	v_add_u32_dpp v2, v2, v2 row_ror:8 row_mask:0xf bank_mask:0xf bound_ctrl:1
	s_nop 1
	v_add_u32_dpp v2, v2, v2 row_bcast:15 row_mask:0xf bank_mask:0xf bound_ctrl:1
	s_nop 1
	v_add_u32_dpp v2, v2, v2 row_bcast:31 row_mask:0xf bank_mask:0xf bound_ctrl:1
	ds_bpermute_b32 v2, v5, v2
	s_and_saveexec_b64 s[16:17], vcc
	s_cbranch_execz .LBB242_3
; %bb.2:
	v_lshrrev_b32_e32 v5, 4, v0
	v_and_b32_e32 v5, 12, v5
	s_waitcnt lgkmcnt(0)
	ds_write_b32 v5, v2
.LBB242_3:
	s_or_b64 exec, exec, s[16:17]
	v_cmp_gt_u32_e32 vcc, 64, v0
	s_waitcnt lgkmcnt(0)
	s_barrier
	s_and_saveexec_b64 s[16:17], vcc
	s_cbranch_execz .LBB242_5
; %bb.4:
	v_and_b32_e32 v2, 3, v3
	v_lshlrev_b32_e32 v5, 2, v2
	ds_read_b32 v5, v5
	v_cmp_ne_u32_e32 vcc, 3, v2
	s_nop 1
	v_addc_co_u32_e32 v2, vcc, 0, v3, vcc
	v_lshlrev_b32_e32 v2, 2, v2
	s_waitcnt lgkmcnt(0)
	ds_bpermute_b32 v2, v2, v5
	v_or_b32_e32 v3, 8, v4
	s_waitcnt lgkmcnt(0)
	v_add_u32_e32 v2, v2, v5
	ds_bpermute_b32 v3, v3, v2
	s_waitcnt lgkmcnt(0)
	v_add_u32_e32 v2, v3, v2
.LBB242_5:
	s_or_b64 exec, exec, s[16:17]
	s_load_dword s18, s[0:1], 0x30
	s_branch .LBB242_20
.LBB242_6:
                                        ; implicit-def: $vgpr2
	s_load_dword s18, s[0:1], 0x30
	s_cbranch_execz .LBB242_20
; %bb.7:
	s_sub_i32 s19, s8, s4
	v_mov_b32_e32 v2, 0
	v_cmp_gt_u32_e32 vcc, s19, v0
	v_mov_b32_e32 v3, v2
	v_mov_b32_e32 v4, v2
	v_mov_b32_e32 v5, v2
	s_and_saveexec_b64 s[0:1], vcc
	s_cbranch_execz .LBB242_9
; %bb.8:
	v_mov_b32_e32 v7, v2
	v_lshl_add_u64 v[4:5], s[6:7], 0, v[6:7]
	flat_load_dword v8, v[4:5]
	v_mov_b32_e32 v9, v2
	v_mov_b32_e32 v10, v2
	;; [unrolled: 1-line block ×3, first 2 shown]
	s_waitcnt vmcnt(0) lgkmcnt(0)
	v_mov_b64_e32 v[2:3], v[8:9]
	v_mov_b64_e32 v[4:5], v[10:11]
.LBB242_9:
	s_or_b64 exec, exec, s[0:1]
	v_or_b32_e32 v7, 0x100, v0
	v_cmp_gt_u32_e32 vcc, s19, v7
	s_and_saveexec_b64 s[0:1], vcc
	s_cbranch_execz .LBB242_11
; %bb.10:
	v_mov_b32_e32 v7, 0
	v_lshl_add_u64 v[8:9], s[6:7], 0, v[6:7]
	flat_load_dword v3, v[8:9] offset:1024
.LBB242_11:
	s_or_b64 exec, exec, s[0:1]
	v_or_b32_e32 v7, 0x200, v0
	v_cmp_gt_u32_e64 s[0:1], s19, v7
	s_and_saveexec_b64 s[4:5], s[0:1]
	s_cbranch_execz .LBB242_13
; %bb.12:
	v_mov_b32_e32 v7, 0
	v_lshl_add_u64 v[8:9], s[6:7], 0, v[6:7]
	flat_load_dword v4, v[8:9] offset:2048
.LBB242_13:
	s_or_b64 exec, exec, s[4:5]
	v_or_b32_e32 v7, 0x300, v0
	v_cmp_gt_u32_e64 s[4:5], s19, v7
	s_and_saveexec_b64 s[16:17], s[4:5]
	s_cbranch_execz .LBB242_15
; %bb.14:
	v_mov_b32_e32 v7, 0
	v_lshl_add_u64 v[6:7], s[6:7], 0, v[6:7]
	flat_load_dword v5, v[6:7] offset:3072
.LBB242_15:
	s_or_b64 exec, exec, s[16:17]
	s_waitcnt vmcnt(0) lgkmcnt(0)
	v_cndmask_b32_e32 v3, 0, v3, vcc
	v_add_u32_e32 v2, v3, v2
	v_cndmask_b32_e64 v3, 0, v4, s[0:1]
	v_cndmask_b32_e64 v4, 0, v5, s[4:5]
	v_mbcnt_hi_u32_b32 v1, -1, v1
	v_add3_u32 v2, v2, v3, v4
	v_and_b32_e32 v4, 63, v1
	v_cmp_ne_u32_e32 vcc, 63, v4
	s_min_u32 s4, s19, 0x100
	v_and_b32_e32 v5, 0xc0, v0
	v_addc_co_u32_e32 v3, vcc, 0, v1, vcc
	v_lshlrev_b32_e32 v3, 2, v3
	ds_bpermute_b32 v3, v3, v2
	v_sub_u32_e64 v5, s4, v5 clamp
	v_add_u32_e32 v6, 1, v4
	v_cmp_lt_u32_e32 vcc, v6, v5
	v_add_u32_e32 v6, 2, v4
	s_waitcnt lgkmcnt(0)
	v_cndmask_b32_e32 v3, 0, v3, vcc
	v_cmp_gt_u32_e32 vcc, 62, v4
	v_add_u32_e32 v2, v3, v2
	s_nop 0
	v_cndmask_b32_e64 v3, 0, 2, vcc
	v_add_lshl_u32 v3, v3, v1, 2
	ds_bpermute_b32 v3, v3, v2
	v_cmp_lt_u32_e32 vcc, v6, v5
	v_add_u32_e32 v6, 4, v4
	s_waitcnt lgkmcnt(0)
	v_cndmask_b32_e32 v3, 0, v3, vcc
	v_cmp_gt_u32_e32 vcc, 60, v4
	v_add_u32_e32 v2, v2, v3
	s_nop 0
	v_cndmask_b32_e64 v3, 0, 4, vcc
	v_add_lshl_u32 v3, v3, v1, 2
	ds_bpermute_b32 v3, v3, v2
	;; [unrolled: 10-line block ×3, first 2 shown]
	v_cmp_lt_u32_e32 vcc, v6, v5
	v_add_u32_e32 v6, 16, v4
	s_waitcnt lgkmcnt(0)
	v_cndmask_b32_e32 v3, 0, v3, vcc
	v_cmp_gt_u32_e32 vcc, 48, v4
	v_add_u32_e32 v2, v2, v3
	v_add_u32_e32 v4, 32, v4
	v_cndmask_b32_e64 v3, 0, 16, vcc
	v_add_lshl_u32 v3, v3, v1, 2
	ds_bpermute_b32 v3, v3, v2
	v_cmp_lt_u32_e32 vcc, v6, v5
	s_waitcnt lgkmcnt(0)
	s_nop 0
	v_cndmask_b32_e32 v3, 0, v3, vcc
	v_add_u32_e32 v2, v2, v3
	v_lshlrev_b32_e32 v3, 2, v1
	v_or_b32_e32 v6, 0x80, v3
	ds_bpermute_b32 v6, v6, v2
	v_cmp_lt_u32_e32 vcc, v4, v5
	s_waitcnt lgkmcnt(0)
	s_nop 0
	v_cndmask_b32_e32 v4, 0, v6, vcc
	v_add_u32_e32 v2, v2, v4
	v_cmp_eq_u32_e32 vcc, 0, v1
	s_and_saveexec_b64 s[0:1], vcc
; %bb.16:
	v_lshrrev_b32_e32 v4, 4, v0
	v_and_b32_e32 v4, 12, v4
	ds_write_b32 v4, v2 offset:16
; %bb.17:
	s_or_b64 exec, exec, s[0:1]
	v_cmp_gt_u32_e32 vcc, 4, v0
	s_waitcnt lgkmcnt(0)
	s_barrier
	s_and_saveexec_b64 s[0:1], vcc
	s_cbranch_execz .LBB242_19
; %bb.18:
	ds_read_b32 v2, v3 offset:16
	v_and_b32_e32 v4, 3, v1
	v_cmp_ne_u32_e32 vcc, 3, v4
	s_add_i32 s4, s4, 63
	s_lshr_b32 s4, s4, 6
	v_addc_co_u32_e32 v1, vcc, 0, v1, vcc
	v_lshlrev_b32_e32 v1, 2, v1
	s_waitcnt lgkmcnt(0)
	ds_bpermute_b32 v1, v1, v2
	v_add_u32_e32 v5, 1, v4
	v_cmp_gt_u32_e32 vcc, s4, v5
	s_waitcnt lgkmcnt(0)
	s_nop 0
	v_cndmask_b32_e32 v1, 0, v1, vcc
	v_add_u32_e32 v1, v1, v2
	v_or_b32_e32 v2, 8, v3
	ds_bpermute_b32 v2, v2, v1
	v_add_u32_e32 v3, 2, v4
	v_cmp_gt_u32_e32 vcc, s4, v3
	s_waitcnt lgkmcnt(0)
	s_nop 0
	v_cndmask_b32_e32 v2, 0, v2, vcc
	v_add_u32_e32 v2, v1, v2
.LBB242_19:
	s_or_b64 exec, exec, s[0:1]
.LBB242_20:
	v_cmp_eq_u32_e32 vcc, 0, v0
	s_and_saveexec_b64 s[0:1], vcc
	s_cbranch_execnz .LBB242_22
; %bb.21:
	s_endpgm
.LBB242_22:
	s_mul_i32 s0, s14, s13
	s_mul_hi_u32 s1, s14, s12
	s_add_i32 s0, s1, s0
	s_mul_i32 s1, s15, s12
	s_add_i32 s1, s0, s1
	s_mul_i32 s0, s14, s12
	s_lshl_b64 s[0:1], s[0:1], 2
	s_add_u32 s4, s10, s0
	s_addc_u32 s5, s11, s1
	s_cmp_eq_u64 s[8:9], 0
	s_cselect_b64 vcc, -1, 0
	s_lshl_b64 s[0:1], s[2:3], 2
	s_waitcnt lgkmcnt(0)
	v_mov_b32_e32 v0, s18
	s_add_u32 s0, s4, s0
	v_cndmask_b32_e32 v0, v2, v0, vcc
	s_addc_u32 s1, s5, s1
	v_mov_b32_e32 v1, 0
	global_store_dword v1, v0, s[0:1]
	s_endpgm
	.section	.rodata,"a",@progbits
	.p2align	6, 0x0
	.amdhsa_kernel _ZN7rocprim17ROCPRIM_400000_NS6detail17trampoline_kernelINS0_14default_configENS1_22reduce_config_selectorIiEEZNS1_11reduce_implILb1ES3_N6thrust23THRUST_200600_302600_NS6detail15normal_iteratorINS8_10device_ptrIiEEEEPiiNS8_4plusIiEEEE10hipError_tPvRmT1_T2_T3_mT4_P12ihipStream_tbEUlT_E0_NS1_11comp_targetILNS1_3genE0ELNS1_11target_archE4294967295ELNS1_3gpuE0ELNS1_3repE0EEENS1_30default_config_static_selectorELNS0_4arch9wavefront6targetE1EEEvSK_
		.amdhsa_group_segment_fixed_size 32
		.amdhsa_private_segment_fixed_size 0
		.amdhsa_kernarg_size 56
		.amdhsa_user_sgpr_count 2
		.amdhsa_user_sgpr_dispatch_ptr 0
		.amdhsa_user_sgpr_queue_ptr 0
		.amdhsa_user_sgpr_kernarg_segment_ptr 1
		.amdhsa_user_sgpr_dispatch_id 0
		.amdhsa_user_sgpr_kernarg_preload_length 0
		.amdhsa_user_sgpr_kernarg_preload_offset 0
		.amdhsa_user_sgpr_private_segment_size 0
		.amdhsa_uses_dynamic_stack 0
		.amdhsa_enable_private_segment 0
		.amdhsa_system_sgpr_workgroup_id_x 1
		.amdhsa_system_sgpr_workgroup_id_y 0
		.amdhsa_system_sgpr_workgroup_id_z 0
		.amdhsa_system_sgpr_workgroup_info 0
		.amdhsa_system_vgpr_workitem_id 0
		.amdhsa_next_free_vgpr 12
		.amdhsa_next_free_sgpr 20
		.amdhsa_accum_offset 12
		.amdhsa_reserve_vcc 1
		.amdhsa_float_round_mode_32 0
		.amdhsa_float_round_mode_16_64 0
		.amdhsa_float_denorm_mode_32 3
		.amdhsa_float_denorm_mode_16_64 3
		.amdhsa_dx10_clamp 1
		.amdhsa_ieee_mode 1
		.amdhsa_fp16_overflow 0
		.amdhsa_tg_split 0
		.amdhsa_exception_fp_ieee_invalid_op 0
		.amdhsa_exception_fp_denorm_src 0
		.amdhsa_exception_fp_ieee_div_zero 0
		.amdhsa_exception_fp_ieee_overflow 0
		.amdhsa_exception_fp_ieee_underflow 0
		.amdhsa_exception_fp_ieee_inexact 0
		.amdhsa_exception_int_div_zero 0
	.end_amdhsa_kernel
	.section	.text._ZN7rocprim17ROCPRIM_400000_NS6detail17trampoline_kernelINS0_14default_configENS1_22reduce_config_selectorIiEEZNS1_11reduce_implILb1ES3_N6thrust23THRUST_200600_302600_NS6detail15normal_iteratorINS8_10device_ptrIiEEEEPiiNS8_4plusIiEEEE10hipError_tPvRmT1_T2_T3_mT4_P12ihipStream_tbEUlT_E0_NS1_11comp_targetILNS1_3genE0ELNS1_11target_archE4294967295ELNS1_3gpuE0ELNS1_3repE0EEENS1_30default_config_static_selectorELNS0_4arch9wavefront6targetE1EEEvSK_,"axG",@progbits,_ZN7rocprim17ROCPRIM_400000_NS6detail17trampoline_kernelINS0_14default_configENS1_22reduce_config_selectorIiEEZNS1_11reduce_implILb1ES3_N6thrust23THRUST_200600_302600_NS6detail15normal_iteratorINS8_10device_ptrIiEEEEPiiNS8_4plusIiEEEE10hipError_tPvRmT1_T2_T3_mT4_P12ihipStream_tbEUlT_E0_NS1_11comp_targetILNS1_3genE0ELNS1_11target_archE4294967295ELNS1_3gpuE0ELNS1_3repE0EEENS1_30default_config_static_selectorELNS0_4arch9wavefront6targetE1EEEvSK_,comdat
.Lfunc_end242:
	.size	_ZN7rocprim17ROCPRIM_400000_NS6detail17trampoline_kernelINS0_14default_configENS1_22reduce_config_selectorIiEEZNS1_11reduce_implILb1ES3_N6thrust23THRUST_200600_302600_NS6detail15normal_iteratorINS8_10device_ptrIiEEEEPiiNS8_4plusIiEEEE10hipError_tPvRmT1_T2_T3_mT4_P12ihipStream_tbEUlT_E0_NS1_11comp_targetILNS1_3genE0ELNS1_11target_archE4294967295ELNS1_3gpuE0ELNS1_3repE0EEENS1_30default_config_static_selectorELNS0_4arch9wavefront6targetE1EEEvSK_, .Lfunc_end242-_ZN7rocprim17ROCPRIM_400000_NS6detail17trampoline_kernelINS0_14default_configENS1_22reduce_config_selectorIiEEZNS1_11reduce_implILb1ES3_N6thrust23THRUST_200600_302600_NS6detail15normal_iteratorINS8_10device_ptrIiEEEEPiiNS8_4plusIiEEEE10hipError_tPvRmT1_T2_T3_mT4_P12ihipStream_tbEUlT_E0_NS1_11comp_targetILNS1_3genE0ELNS1_11target_archE4294967295ELNS1_3gpuE0ELNS1_3repE0EEENS1_30default_config_static_selectorELNS0_4arch9wavefront6targetE1EEEvSK_
                                        ; -- End function
	.set _ZN7rocprim17ROCPRIM_400000_NS6detail17trampoline_kernelINS0_14default_configENS1_22reduce_config_selectorIiEEZNS1_11reduce_implILb1ES3_N6thrust23THRUST_200600_302600_NS6detail15normal_iteratorINS8_10device_ptrIiEEEEPiiNS8_4plusIiEEEE10hipError_tPvRmT1_T2_T3_mT4_P12ihipStream_tbEUlT_E0_NS1_11comp_targetILNS1_3genE0ELNS1_11target_archE4294967295ELNS1_3gpuE0ELNS1_3repE0EEENS1_30default_config_static_selectorELNS0_4arch9wavefront6targetE1EEEvSK_.num_vgpr, 12
	.set _ZN7rocprim17ROCPRIM_400000_NS6detail17trampoline_kernelINS0_14default_configENS1_22reduce_config_selectorIiEEZNS1_11reduce_implILb1ES3_N6thrust23THRUST_200600_302600_NS6detail15normal_iteratorINS8_10device_ptrIiEEEEPiiNS8_4plusIiEEEE10hipError_tPvRmT1_T2_T3_mT4_P12ihipStream_tbEUlT_E0_NS1_11comp_targetILNS1_3genE0ELNS1_11target_archE4294967295ELNS1_3gpuE0ELNS1_3repE0EEENS1_30default_config_static_selectorELNS0_4arch9wavefront6targetE1EEEvSK_.num_agpr, 0
	.set _ZN7rocprim17ROCPRIM_400000_NS6detail17trampoline_kernelINS0_14default_configENS1_22reduce_config_selectorIiEEZNS1_11reduce_implILb1ES3_N6thrust23THRUST_200600_302600_NS6detail15normal_iteratorINS8_10device_ptrIiEEEEPiiNS8_4plusIiEEEE10hipError_tPvRmT1_T2_T3_mT4_P12ihipStream_tbEUlT_E0_NS1_11comp_targetILNS1_3genE0ELNS1_11target_archE4294967295ELNS1_3gpuE0ELNS1_3repE0EEENS1_30default_config_static_selectorELNS0_4arch9wavefront6targetE1EEEvSK_.numbered_sgpr, 20
	.set _ZN7rocprim17ROCPRIM_400000_NS6detail17trampoline_kernelINS0_14default_configENS1_22reduce_config_selectorIiEEZNS1_11reduce_implILb1ES3_N6thrust23THRUST_200600_302600_NS6detail15normal_iteratorINS8_10device_ptrIiEEEEPiiNS8_4plusIiEEEE10hipError_tPvRmT1_T2_T3_mT4_P12ihipStream_tbEUlT_E0_NS1_11comp_targetILNS1_3genE0ELNS1_11target_archE4294967295ELNS1_3gpuE0ELNS1_3repE0EEENS1_30default_config_static_selectorELNS0_4arch9wavefront6targetE1EEEvSK_.num_named_barrier, 0
	.set _ZN7rocprim17ROCPRIM_400000_NS6detail17trampoline_kernelINS0_14default_configENS1_22reduce_config_selectorIiEEZNS1_11reduce_implILb1ES3_N6thrust23THRUST_200600_302600_NS6detail15normal_iteratorINS8_10device_ptrIiEEEEPiiNS8_4plusIiEEEE10hipError_tPvRmT1_T2_T3_mT4_P12ihipStream_tbEUlT_E0_NS1_11comp_targetILNS1_3genE0ELNS1_11target_archE4294967295ELNS1_3gpuE0ELNS1_3repE0EEENS1_30default_config_static_selectorELNS0_4arch9wavefront6targetE1EEEvSK_.private_seg_size, 0
	.set _ZN7rocprim17ROCPRIM_400000_NS6detail17trampoline_kernelINS0_14default_configENS1_22reduce_config_selectorIiEEZNS1_11reduce_implILb1ES3_N6thrust23THRUST_200600_302600_NS6detail15normal_iteratorINS8_10device_ptrIiEEEEPiiNS8_4plusIiEEEE10hipError_tPvRmT1_T2_T3_mT4_P12ihipStream_tbEUlT_E0_NS1_11comp_targetILNS1_3genE0ELNS1_11target_archE4294967295ELNS1_3gpuE0ELNS1_3repE0EEENS1_30default_config_static_selectorELNS0_4arch9wavefront6targetE1EEEvSK_.uses_vcc, 1
	.set _ZN7rocprim17ROCPRIM_400000_NS6detail17trampoline_kernelINS0_14default_configENS1_22reduce_config_selectorIiEEZNS1_11reduce_implILb1ES3_N6thrust23THRUST_200600_302600_NS6detail15normal_iteratorINS8_10device_ptrIiEEEEPiiNS8_4plusIiEEEE10hipError_tPvRmT1_T2_T3_mT4_P12ihipStream_tbEUlT_E0_NS1_11comp_targetILNS1_3genE0ELNS1_11target_archE4294967295ELNS1_3gpuE0ELNS1_3repE0EEENS1_30default_config_static_selectorELNS0_4arch9wavefront6targetE1EEEvSK_.uses_flat_scratch, 0
	.set _ZN7rocprim17ROCPRIM_400000_NS6detail17trampoline_kernelINS0_14default_configENS1_22reduce_config_selectorIiEEZNS1_11reduce_implILb1ES3_N6thrust23THRUST_200600_302600_NS6detail15normal_iteratorINS8_10device_ptrIiEEEEPiiNS8_4plusIiEEEE10hipError_tPvRmT1_T2_T3_mT4_P12ihipStream_tbEUlT_E0_NS1_11comp_targetILNS1_3genE0ELNS1_11target_archE4294967295ELNS1_3gpuE0ELNS1_3repE0EEENS1_30default_config_static_selectorELNS0_4arch9wavefront6targetE1EEEvSK_.has_dyn_sized_stack, 0
	.set _ZN7rocprim17ROCPRIM_400000_NS6detail17trampoline_kernelINS0_14default_configENS1_22reduce_config_selectorIiEEZNS1_11reduce_implILb1ES3_N6thrust23THRUST_200600_302600_NS6detail15normal_iteratorINS8_10device_ptrIiEEEEPiiNS8_4plusIiEEEE10hipError_tPvRmT1_T2_T3_mT4_P12ihipStream_tbEUlT_E0_NS1_11comp_targetILNS1_3genE0ELNS1_11target_archE4294967295ELNS1_3gpuE0ELNS1_3repE0EEENS1_30default_config_static_selectorELNS0_4arch9wavefront6targetE1EEEvSK_.has_recursion, 0
	.set _ZN7rocprim17ROCPRIM_400000_NS6detail17trampoline_kernelINS0_14default_configENS1_22reduce_config_selectorIiEEZNS1_11reduce_implILb1ES3_N6thrust23THRUST_200600_302600_NS6detail15normal_iteratorINS8_10device_ptrIiEEEEPiiNS8_4plusIiEEEE10hipError_tPvRmT1_T2_T3_mT4_P12ihipStream_tbEUlT_E0_NS1_11comp_targetILNS1_3genE0ELNS1_11target_archE4294967295ELNS1_3gpuE0ELNS1_3repE0EEENS1_30default_config_static_selectorELNS0_4arch9wavefront6targetE1EEEvSK_.has_indirect_call, 0
	.section	.AMDGPU.csdata,"",@progbits
; Kernel info:
; codeLenInByte = 1236
; TotalNumSgprs: 26
; NumVgprs: 12
; NumAgprs: 0
; TotalNumVgprs: 12
; ScratchSize: 0
; MemoryBound: 0
; FloatMode: 240
; IeeeMode: 1
; LDSByteSize: 32 bytes/workgroup (compile time only)
; SGPRBlocks: 3
; VGPRBlocks: 1
; NumSGPRsForWavesPerEU: 26
; NumVGPRsForWavesPerEU: 12
; AccumOffset: 12
; Occupancy: 8
; WaveLimiterHint : 1
; COMPUTE_PGM_RSRC2:SCRATCH_EN: 0
; COMPUTE_PGM_RSRC2:USER_SGPR: 2
; COMPUTE_PGM_RSRC2:TRAP_HANDLER: 0
; COMPUTE_PGM_RSRC2:TGID_X_EN: 1
; COMPUTE_PGM_RSRC2:TGID_Y_EN: 0
; COMPUTE_PGM_RSRC2:TGID_Z_EN: 0
; COMPUTE_PGM_RSRC2:TIDIG_COMP_CNT: 0
; COMPUTE_PGM_RSRC3_GFX90A:ACCUM_OFFSET: 2
; COMPUTE_PGM_RSRC3_GFX90A:TG_SPLIT: 0
	.section	.text._ZN7rocprim17ROCPRIM_400000_NS6detail17trampoline_kernelINS0_14default_configENS1_22reduce_config_selectorIiEEZNS1_11reduce_implILb1ES3_N6thrust23THRUST_200600_302600_NS6detail15normal_iteratorINS8_10device_ptrIiEEEEPiiNS8_4plusIiEEEE10hipError_tPvRmT1_T2_T3_mT4_P12ihipStream_tbEUlT_E0_NS1_11comp_targetILNS1_3genE5ELNS1_11target_archE942ELNS1_3gpuE9ELNS1_3repE0EEENS1_30default_config_static_selectorELNS0_4arch9wavefront6targetE1EEEvSK_,"axG",@progbits,_ZN7rocprim17ROCPRIM_400000_NS6detail17trampoline_kernelINS0_14default_configENS1_22reduce_config_selectorIiEEZNS1_11reduce_implILb1ES3_N6thrust23THRUST_200600_302600_NS6detail15normal_iteratorINS8_10device_ptrIiEEEEPiiNS8_4plusIiEEEE10hipError_tPvRmT1_T2_T3_mT4_P12ihipStream_tbEUlT_E0_NS1_11comp_targetILNS1_3genE5ELNS1_11target_archE942ELNS1_3gpuE9ELNS1_3repE0EEENS1_30default_config_static_selectorELNS0_4arch9wavefront6targetE1EEEvSK_,comdat
	.protected	_ZN7rocprim17ROCPRIM_400000_NS6detail17trampoline_kernelINS0_14default_configENS1_22reduce_config_selectorIiEEZNS1_11reduce_implILb1ES3_N6thrust23THRUST_200600_302600_NS6detail15normal_iteratorINS8_10device_ptrIiEEEEPiiNS8_4plusIiEEEE10hipError_tPvRmT1_T2_T3_mT4_P12ihipStream_tbEUlT_E0_NS1_11comp_targetILNS1_3genE5ELNS1_11target_archE942ELNS1_3gpuE9ELNS1_3repE0EEENS1_30default_config_static_selectorELNS0_4arch9wavefront6targetE1EEEvSK_ ; -- Begin function _ZN7rocprim17ROCPRIM_400000_NS6detail17trampoline_kernelINS0_14default_configENS1_22reduce_config_selectorIiEEZNS1_11reduce_implILb1ES3_N6thrust23THRUST_200600_302600_NS6detail15normal_iteratorINS8_10device_ptrIiEEEEPiiNS8_4plusIiEEEE10hipError_tPvRmT1_T2_T3_mT4_P12ihipStream_tbEUlT_E0_NS1_11comp_targetILNS1_3genE5ELNS1_11target_archE942ELNS1_3gpuE9ELNS1_3repE0EEENS1_30default_config_static_selectorELNS0_4arch9wavefront6targetE1EEEvSK_
	.globl	_ZN7rocprim17ROCPRIM_400000_NS6detail17trampoline_kernelINS0_14default_configENS1_22reduce_config_selectorIiEEZNS1_11reduce_implILb1ES3_N6thrust23THRUST_200600_302600_NS6detail15normal_iteratorINS8_10device_ptrIiEEEEPiiNS8_4plusIiEEEE10hipError_tPvRmT1_T2_T3_mT4_P12ihipStream_tbEUlT_E0_NS1_11comp_targetILNS1_3genE5ELNS1_11target_archE942ELNS1_3gpuE9ELNS1_3repE0EEENS1_30default_config_static_selectorELNS0_4arch9wavefront6targetE1EEEvSK_
	.p2align	8
	.type	_ZN7rocprim17ROCPRIM_400000_NS6detail17trampoline_kernelINS0_14default_configENS1_22reduce_config_selectorIiEEZNS1_11reduce_implILb1ES3_N6thrust23THRUST_200600_302600_NS6detail15normal_iteratorINS8_10device_ptrIiEEEEPiiNS8_4plusIiEEEE10hipError_tPvRmT1_T2_T3_mT4_P12ihipStream_tbEUlT_E0_NS1_11comp_targetILNS1_3genE5ELNS1_11target_archE942ELNS1_3gpuE9ELNS1_3repE0EEENS1_30default_config_static_selectorELNS0_4arch9wavefront6targetE1EEEvSK_,@function
_ZN7rocprim17ROCPRIM_400000_NS6detail17trampoline_kernelINS0_14default_configENS1_22reduce_config_selectorIiEEZNS1_11reduce_implILb1ES3_N6thrust23THRUST_200600_302600_NS6detail15normal_iteratorINS8_10device_ptrIiEEEEPiiNS8_4plusIiEEEE10hipError_tPvRmT1_T2_T3_mT4_P12ihipStream_tbEUlT_E0_NS1_11comp_targetILNS1_3genE5ELNS1_11target_archE942ELNS1_3gpuE9ELNS1_3repE0EEENS1_30default_config_static_selectorELNS0_4arch9wavefront6targetE1EEEvSK_: ; @_ZN7rocprim17ROCPRIM_400000_NS6detail17trampoline_kernelINS0_14default_configENS1_22reduce_config_selectorIiEEZNS1_11reduce_implILb1ES3_N6thrust23THRUST_200600_302600_NS6detail15normal_iteratorINS8_10device_ptrIiEEEEPiiNS8_4plusIiEEEE10hipError_tPvRmT1_T2_T3_mT4_P12ihipStream_tbEUlT_E0_NS1_11comp_targetILNS1_3genE5ELNS1_11target_archE942ELNS1_3gpuE9ELNS1_3repE0EEENS1_30default_config_static_selectorELNS0_4arch9wavefront6targetE1EEEvSK_
; %bb.0:
	.section	.rodata,"a",@progbits
	.p2align	6, 0x0
	.amdhsa_kernel _ZN7rocprim17ROCPRIM_400000_NS6detail17trampoline_kernelINS0_14default_configENS1_22reduce_config_selectorIiEEZNS1_11reduce_implILb1ES3_N6thrust23THRUST_200600_302600_NS6detail15normal_iteratorINS8_10device_ptrIiEEEEPiiNS8_4plusIiEEEE10hipError_tPvRmT1_T2_T3_mT4_P12ihipStream_tbEUlT_E0_NS1_11comp_targetILNS1_3genE5ELNS1_11target_archE942ELNS1_3gpuE9ELNS1_3repE0EEENS1_30default_config_static_selectorELNS0_4arch9wavefront6targetE1EEEvSK_
		.amdhsa_group_segment_fixed_size 0
		.amdhsa_private_segment_fixed_size 0
		.amdhsa_kernarg_size 56
		.amdhsa_user_sgpr_count 2
		.amdhsa_user_sgpr_dispatch_ptr 0
		.amdhsa_user_sgpr_queue_ptr 0
		.amdhsa_user_sgpr_kernarg_segment_ptr 1
		.amdhsa_user_sgpr_dispatch_id 0
		.amdhsa_user_sgpr_kernarg_preload_length 0
		.amdhsa_user_sgpr_kernarg_preload_offset 0
		.amdhsa_user_sgpr_private_segment_size 0
		.amdhsa_uses_dynamic_stack 0
		.amdhsa_enable_private_segment 0
		.amdhsa_system_sgpr_workgroup_id_x 1
		.amdhsa_system_sgpr_workgroup_id_y 0
		.amdhsa_system_sgpr_workgroup_id_z 0
		.amdhsa_system_sgpr_workgroup_info 0
		.amdhsa_system_vgpr_workitem_id 0
		.amdhsa_next_free_vgpr 1
		.amdhsa_next_free_sgpr 0
		.amdhsa_accum_offset 4
		.amdhsa_reserve_vcc 0
		.amdhsa_float_round_mode_32 0
		.amdhsa_float_round_mode_16_64 0
		.amdhsa_float_denorm_mode_32 3
		.amdhsa_float_denorm_mode_16_64 3
		.amdhsa_dx10_clamp 1
		.amdhsa_ieee_mode 1
		.amdhsa_fp16_overflow 0
		.amdhsa_tg_split 0
		.amdhsa_exception_fp_ieee_invalid_op 0
		.amdhsa_exception_fp_denorm_src 0
		.amdhsa_exception_fp_ieee_div_zero 0
		.amdhsa_exception_fp_ieee_overflow 0
		.amdhsa_exception_fp_ieee_underflow 0
		.amdhsa_exception_fp_ieee_inexact 0
		.amdhsa_exception_int_div_zero 0
	.end_amdhsa_kernel
	.section	.text._ZN7rocprim17ROCPRIM_400000_NS6detail17trampoline_kernelINS0_14default_configENS1_22reduce_config_selectorIiEEZNS1_11reduce_implILb1ES3_N6thrust23THRUST_200600_302600_NS6detail15normal_iteratorINS8_10device_ptrIiEEEEPiiNS8_4plusIiEEEE10hipError_tPvRmT1_T2_T3_mT4_P12ihipStream_tbEUlT_E0_NS1_11comp_targetILNS1_3genE5ELNS1_11target_archE942ELNS1_3gpuE9ELNS1_3repE0EEENS1_30default_config_static_selectorELNS0_4arch9wavefront6targetE1EEEvSK_,"axG",@progbits,_ZN7rocprim17ROCPRIM_400000_NS6detail17trampoline_kernelINS0_14default_configENS1_22reduce_config_selectorIiEEZNS1_11reduce_implILb1ES3_N6thrust23THRUST_200600_302600_NS6detail15normal_iteratorINS8_10device_ptrIiEEEEPiiNS8_4plusIiEEEE10hipError_tPvRmT1_T2_T3_mT4_P12ihipStream_tbEUlT_E0_NS1_11comp_targetILNS1_3genE5ELNS1_11target_archE942ELNS1_3gpuE9ELNS1_3repE0EEENS1_30default_config_static_selectorELNS0_4arch9wavefront6targetE1EEEvSK_,comdat
.Lfunc_end243:
	.size	_ZN7rocprim17ROCPRIM_400000_NS6detail17trampoline_kernelINS0_14default_configENS1_22reduce_config_selectorIiEEZNS1_11reduce_implILb1ES3_N6thrust23THRUST_200600_302600_NS6detail15normal_iteratorINS8_10device_ptrIiEEEEPiiNS8_4plusIiEEEE10hipError_tPvRmT1_T2_T3_mT4_P12ihipStream_tbEUlT_E0_NS1_11comp_targetILNS1_3genE5ELNS1_11target_archE942ELNS1_3gpuE9ELNS1_3repE0EEENS1_30default_config_static_selectorELNS0_4arch9wavefront6targetE1EEEvSK_, .Lfunc_end243-_ZN7rocprim17ROCPRIM_400000_NS6detail17trampoline_kernelINS0_14default_configENS1_22reduce_config_selectorIiEEZNS1_11reduce_implILb1ES3_N6thrust23THRUST_200600_302600_NS6detail15normal_iteratorINS8_10device_ptrIiEEEEPiiNS8_4plusIiEEEE10hipError_tPvRmT1_T2_T3_mT4_P12ihipStream_tbEUlT_E0_NS1_11comp_targetILNS1_3genE5ELNS1_11target_archE942ELNS1_3gpuE9ELNS1_3repE0EEENS1_30default_config_static_selectorELNS0_4arch9wavefront6targetE1EEEvSK_
                                        ; -- End function
	.set _ZN7rocprim17ROCPRIM_400000_NS6detail17trampoline_kernelINS0_14default_configENS1_22reduce_config_selectorIiEEZNS1_11reduce_implILb1ES3_N6thrust23THRUST_200600_302600_NS6detail15normal_iteratorINS8_10device_ptrIiEEEEPiiNS8_4plusIiEEEE10hipError_tPvRmT1_T2_T3_mT4_P12ihipStream_tbEUlT_E0_NS1_11comp_targetILNS1_3genE5ELNS1_11target_archE942ELNS1_3gpuE9ELNS1_3repE0EEENS1_30default_config_static_selectorELNS0_4arch9wavefront6targetE1EEEvSK_.num_vgpr, 0
	.set _ZN7rocprim17ROCPRIM_400000_NS6detail17trampoline_kernelINS0_14default_configENS1_22reduce_config_selectorIiEEZNS1_11reduce_implILb1ES3_N6thrust23THRUST_200600_302600_NS6detail15normal_iteratorINS8_10device_ptrIiEEEEPiiNS8_4plusIiEEEE10hipError_tPvRmT1_T2_T3_mT4_P12ihipStream_tbEUlT_E0_NS1_11comp_targetILNS1_3genE5ELNS1_11target_archE942ELNS1_3gpuE9ELNS1_3repE0EEENS1_30default_config_static_selectorELNS0_4arch9wavefront6targetE1EEEvSK_.num_agpr, 0
	.set _ZN7rocprim17ROCPRIM_400000_NS6detail17trampoline_kernelINS0_14default_configENS1_22reduce_config_selectorIiEEZNS1_11reduce_implILb1ES3_N6thrust23THRUST_200600_302600_NS6detail15normal_iteratorINS8_10device_ptrIiEEEEPiiNS8_4plusIiEEEE10hipError_tPvRmT1_T2_T3_mT4_P12ihipStream_tbEUlT_E0_NS1_11comp_targetILNS1_3genE5ELNS1_11target_archE942ELNS1_3gpuE9ELNS1_3repE0EEENS1_30default_config_static_selectorELNS0_4arch9wavefront6targetE1EEEvSK_.numbered_sgpr, 0
	.set _ZN7rocprim17ROCPRIM_400000_NS6detail17trampoline_kernelINS0_14default_configENS1_22reduce_config_selectorIiEEZNS1_11reduce_implILb1ES3_N6thrust23THRUST_200600_302600_NS6detail15normal_iteratorINS8_10device_ptrIiEEEEPiiNS8_4plusIiEEEE10hipError_tPvRmT1_T2_T3_mT4_P12ihipStream_tbEUlT_E0_NS1_11comp_targetILNS1_3genE5ELNS1_11target_archE942ELNS1_3gpuE9ELNS1_3repE0EEENS1_30default_config_static_selectorELNS0_4arch9wavefront6targetE1EEEvSK_.num_named_barrier, 0
	.set _ZN7rocprim17ROCPRIM_400000_NS6detail17trampoline_kernelINS0_14default_configENS1_22reduce_config_selectorIiEEZNS1_11reduce_implILb1ES3_N6thrust23THRUST_200600_302600_NS6detail15normal_iteratorINS8_10device_ptrIiEEEEPiiNS8_4plusIiEEEE10hipError_tPvRmT1_T2_T3_mT4_P12ihipStream_tbEUlT_E0_NS1_11comp_targetILNS1_3genE5ELNS1_11target_archE942ELNS1_3gpuE9ELNS1_3repE0EEENS1_30default_config_static_selectorELNS0_4arch9wavefront6targetE1EEEvSK_.private_seg_size, 0
	.set _ZN7rocprim17ROCPRIM_400000_NS6detail17trampoline_kernelINS0_14default_configENS1_22reduce_config_selectorIiEEZNS1_11reduce_implILb1ES3_N6thrust23THRUST_200600_302600_NS6detail15normal_iteratorINS8_10device_ptrIiEEEEPiiNS8_4plusIiEEEE10hipError_tPvRmT1_T2_T3_mT4_P12ihipStream_tbEUlT_E0_NS1_11comp_targetILNS1_3genE5ELNS1_11target_archE942ELNS1_3gpuE9ELNS1_3repE0EEENS1_30default_config_static_selectorELNS0_4arch9wavefront6targetE1EEEvSK_.uses_vcc, 0
	.set _ZN7rocprim17ROCPRIM_400000_NS6detail17trampoline_kernelINS0_14default_configENS1_22reduce_config_selectorIiEEZNS1_11reduce_implILb1ES3_N6thrust23THRUST_200600_302600_NS6detail15normal_iteratorINS8_10device_ptrIiEEEEPiiNS8_4plusIiEEEE10hipError_tPvRmT1_T2_T3_mT4_P12ihipStream_tbEUlT_E0_NS1_11comp_targetILNS1_3genE5ELNS1_11target_archE942ELNS1_3gpuE9ELNS1_3repE0EEENS1_30default_config_static_selectorELNS0_4arch9wavefront6targetE1EEEvSK_.uses_flat_scratch, 0
	.set _ZN7rocprim17ROCPRIM_400000_NS6detail17trampoline_kernelINS0_14default_configENS1_22reduce_config_selectorIiEEZNS1_11reduce_implILb1ES3_N6thrust23THRUST_200600_302600_NS6detail15normal_iteratorINS8_10device_ptrIiEEEEPiiNS8_4plusIiEEEE10hipError_tPvRmT1_T2_T3_mT4_P12ihipStream_tbEUlT_E0_NS1_11comp_targetILNS1_3genE5ELNS1_11target_archE942ELNS1_3gpuE9ELNS1_3repE0EEENS1_30default_config_static_selectorELNS0_4arch9wavefront6targetE1EEEvSK_.has_dyn_sized_stack, 0
	.set _ZN7rocprim17ROCPRIM_400000_NS6detail17trampoline_kernelINS0_14default_configENS1_22reduce_config_selectorIiEEZNS1_11reduce_implILb1ES3_N6thrust23THRUST_200600_302600_NS6detail15normal_iteratorINS8_10device_ptrIiEEEEPiiNS8_4plusIiEEEE10hipError_tPvRmT1_T2_T3_mT4_P12ihipStream_tbEUlT_E0_NS1_11comp_targetILNS1_3genE5ELNS1_11target_archE942ELNS1_3gpuE9ELNS1_3repE0EEENS1_30default_config_static_selectorELNS0_4arch9wavefront6targetE1EEEvSK_.has_recursion, 0
	.set _ZN7rocprim17ROCPRIM_400000_NS6detail17trampoline_kernelINS0_14default_configENS1_22reduce_config_selectorIiEEZNS1_11reduce_implILb1ES3_N6thrust23THRUST_200600_302600_NS6detail15normal_iteratorINS8_10device_ptrIiEEEEPiiNS8_4plusIiEEEE10hipError_tPvRmT1_T2_T3_mT4_P12ihipStream_tbEUlT_E0_NS1_11comp_targetILNS1_3genE5ELNS1_11target_archE942ELNS1_3gpuE9ELNS1_3repE0EEENS1_30default_config_static_selectorELNS0_4arch9wavefront6targetE1EEEvSK_.has_indirect_call, 0
	.section	.AMDGPU.csdata,"",@progbits
; Kernel info:
; codeLenInByte = 0
; TotalNumSgprs: 6
; NumVgprs: 0
; NumAgprs: 0
; TotalNumVgprs: 0
; ScratchSize: 0
; MemoryBound: 0
; FloatMode: 240
; IeeeMode: 1
; LDSByteSize: 0 bytes/workgroup (compile time only)
; SGPRBlocks: 0
; VGPRBlocks: 0
; NumSGPRsForWavesPerEU: 6
; NumVGPRsForWavesPerEU: 1
; AccumOffset: 4
; Occupancy: 8
; WaveLimiterHint : 0
; COMPUTE_PGM_RSRC2:SCRATCH_EN: 0
; COMPUTE_PGM_RSRC2:USER_SGPR: 2
; COMPUTE_PGM_RSRC2:TRAP_HANDLER: 0
; COMPUTE_PGM_RSRC2:TGID_X_EN: 1
; COMPUTE_PGM_RSRC2:TGID_Y_EN: 0
; COMPUTE_PGM_RSRC2:TGID_Z_EN: 0
; COMPUTE_PGM_RSRC2:TIDIG_COMP_CNT: 0
; COMPUTE_PGM_RSRC3_GFX90A:ACCUM_OFFSET: 0
; COMPUTE_PGM_RSRC3_GFX90A:TG_SPLIT: 0
	.section	.text._ZN7rocprim17ROCPRIM_400000_NS6detail17trampoline_kernelINS0_14default_configENS1_22reduce_config_selectorIiEEZNS1_11reduce_implILb1ES3_N6thrust23THRUST_200600_302600_NS6detail15normal_iteratorINS8_10device_ptrIiEEEEPiiNS8_4plusIiEEEE10hipError_tPvRmT1_T2_T3_mT4_P12ihipStream_tbEUlT_E0_NS1_11comp_targetILNS1_3genE4ELNS1_11target_archE910ELNS1_3gpuE8ELNS1_3repE0EEENS1_30default_config_static_selectorELNS0_4arch9wavefront6targetE1EEEvSK_,"axG",@progbits,_ZN7rocprim17ROCPRIM_400000_NS6detail17trampoline_kernelINS0_14default_configENS1_22reduce_config_selectorIiEEZNS1_11reduce_implILb1ES3_N6thrust23THRUST_200600_302600_NS6detail15normal_iteratorINS8_10device_ptrIiEEEEPiiNS8_4plusIiEEEE10hipError_tPvRmT1_T2_T3_mT4_P12ihipStream_tbEUlT_E0_NS1_11comp_targetILNS1_3genE4ELNS1_11target_archE910ELNS1_3gpuE8ELNS1_3repE0EEENS1_30default_config_static_selectorELNS0_4arch9wavefront6targetE1EEEvSK_,comdat
	.protected	_ZN7rocprim17ROCPRIM_400000_NS6detail17trampoline_kernelINS0_14default_configENS1_22reduce_config_selectorIiEEZNS1_11reduce_implILb1ES3_N6thrust23THRUST_200600_302600_NS6detail15normal_iteratorINS8_10device_ptrIiEEEEPiiNS8_4plusIiEEEE10hipError_tPvRmT1_T2_T3_mT4_P12ihipStream_tbEUlT_E0_NS1_11comp_targetILNS1_3genE4ELNS1_11target_archE910ELNS1_3gpuE8ELNS1_3repE0EEENS1_30default_config_static_selectorELNS0_4arch9wavefront6targetE1EEEvSK_ ; -- Begin function _ZN7rocprim17ROCPRIM_400000_NS6detail17trampoline_kernelINS0_14default_configENS1_22reduce_config_selectorIiEEZNS1_11reduce_implILb1ES3_N6thrust23THRUST_200600_302600_NS6detail15normal_iteratorINS8_10device_ptrIiEEEEPiiNS8_4plusIiEEEE10hipError_tPvRmT1_T2_T3_mT4_P12ihipStream_tbEUlT_E0_NS1_11comp_targetILNS1_3genE4ELNS1_11target_archE910ELNS1_3gpuE8ELNS1_3repE0EEENS1_30default_config_static_selectorELNS0_4arch9wavefront6targetE1EEEvSK_
	.globl	_ZN7rocprim17ROCPRIM_400000_NS6detail17trampoline_kernelINS0_14default_configENS1_22reduce_config_selectorIiEEZNS1_11reduce_implILb1ES3_N6thrust23THRUST_200600_302600_NS6detail15normal_iteratorINS8_10device_ptrIiEEEEPiiNS8_4plusIiEEEE10hipError_tPvRmT1_T2_T3_mT4_P12ihipStream_tbEUlT_E0_NS1_11comp_targetILNS1_3genE4ELNS1_11target_archE910ELNS1_3gpuE8ELNS1_3repE0EEENS1_30default_config_static_selectorELNS0_4arch9wavefront6targetE1EEEvSK_
	.p2align	8
	.type	_ZN7rocprim17ROCPRIM_400000_NS6detail17trampoline_kernelINS0_14default_configENS1_22reduce_config_selectorIiEEZNS1_11reduce_implILb1ES3_N6thrust23THRUST_200600_302600_NS6detail15normal_iteratorINS8_10device_ptrIiEEEEPiiNS8_4plusIiEEEE10hipError_tPvRmT1_T2_T3_mT4_P12ihipStream_tbEUlT_E0_NS1_11comp_targetILNS1_3genE4ELNS1_11target_archE910ELNS1_3gpuE8ELNS1_3repE0EEENS1_30default_config_static_selectorELNS0_4arch9wavefront6targetE1EEEvSK_,@function
_ZN7rocprim17ROCPRIM_400000_NS6detail17trampoline_kernelINS0_14default_configENS1_22reduce_config_selectorIiEEZNS1_11reduce_implILb1ES3_N6thrust23THRUST_200600_302600_NS6detail15normal_iteratorINS8_10device_ptrIiEEEEPiiNS8_4plusIiEEEE10hipError_tPvRmT1_T2_T3_mT4_P12ihipStream_tbEUlT_E0_NS1_11comp_targetILNS1_3genE4ELNS1_11target_archE910ELNS1_3gpuE8ELNS1_3repE0EEENS1_30default_config_static_selectorELNS0_4arch9wavefront6targetE1EEEvSK_: ; @_ZN7rocprim17ROCPRIM_400000_NS6detail17trampoline_kernelINS0_14default_configENS1_22reduce_config_selectorIiEEZNS1_11reduce_implILb1ES3_N6thrust23THRUST_200600_302600_NS6detail15normal_iteratorINS8_10device_ptrIiEEEEPiiNS8_4plusIiEEEE10hipError_tPvRmT1_T2_T3_mT4_P12ihipStream_tbEUlT_E0_NS1_11comp_targetILNS1_3genE4ELNS1_11target_archE910ELNS1_3gpuE8ELNS1_3repE0EEENS1_30default_config_static_selectorELNS0_4arch9wavefront6targetE1EEEvSK_
; %bb.0:
	.section	.rodata,"a",@progbits
	.p2align	6, 0x0
	.amdhsa_kernel _ZN7rocprim17ROCPRIM_400000_NS6detail17trampoline_kernelINS0_14default_configENS1_22reduce_config_selectorIiEEZNS1_11reduce_implILb1ES3_N6thrust23THRUST_200600_302600_NS6detail15normal_iteratorINS8_10device_ptrIiEEEEPiiNS8_4plusIiEEEE10hipError_tPvRmT1_T2_T3_mT4_P12ihipStream_tbEUlT_E0_NS1_11comp_targetILNS1_3genE4ELNS1_11target_archE910ELNS1_3gpuE8ELNS1_3repE0EEENS1_30default_config_static_selectorELNS0_4arch9wavefront6targetE1EEEvSK_
		.amdhsa_group_segment_fixed_size 0
		.amdhsa_private_segment_fixed_size 0
		.amdhsa_kernarg_size 56
		.amdhsa_user_sgpr_count 2
		.amdhsa_user_sgpr_dispatch_ptr 0
		.amdhsa_user_sgpr_queue_ptr 0
		.amdhsa_user_sgpr_kernarg_segment_ptr 1
		.amdhsa_user_sgpr_dispatch_id 0
		.amdhsa_user_sgpr_kernarg_preload_length 0
		.amdhsa_user_sgpr_kernarg_preload_offset 0
		.amdhsa_user_sgpr_private_segment_size 0
		.amdhsa_uses_dynamic_stack 0
		.amdhsa_enable_private_segment 0
		.amdhsa_system_sgpr_workgroup_id_x 1
		.amdhsa_system_sgpr_workgroup_id_y 0
		.amdhsa_system_sgpr_workgroup_id_z 0
		.amdhsa_system_sgpr_workgroup_info 0
		.amdhsa_system_vgpr_workitem_id 0
		.amdhsa_next_free_vgpr 1
		.amdhsa_next_free_sgpr 0
		.amdhsa_accum_offset 4
		.amdhsa_reserve_vcc 0
		.amdhsa_float_round_mode_32 0
		.amdhsa_float_round_mode_16_64 0
		.amdhsa_float_denorm_mode_32 3
		.amdhsa_float_denorm_mode_16_64 3
		.amdhsa_dx10_clamp 1
		.amdhsa_ieee_mode 1
		.amdhsa_fp16_overflow 0
		.amdhsa_tg_split 0
		.amdhsa_exception_fp_ieee_invalid_op 0
		.amdhsa_exception_fp_denorm_src 0
		.amdhsa_exception_fp_ieee_div_zero 0
		.amdhsa_exception_fp_ieee_overflow 0
		.amdhsa_exception_fp_ieee_underflow 0
		.amdhsa_exception_fp_ieee_inexact 0
		.amdhsa_exception_int_div_zero 0
	.end_amdhsa_kernel
	.section	.text._ZN7rocprim17ROCPRIM_400000_NS6detail17trampoline_kernelINS0_14default_configENS1_22reduce_config_selectorIiEEZNS1_11reduce_implILb1ES3_N6thrust23THRUST_200600_302600_NS6detail15normal_iteratorINS8_10device_ptrIiEEEEPiiNS8_4plusIiEEEE10hipError_tPvRmT1_T2_T3_mT4_P12ihipStream_tbEUlT_E0_NS1_11comp_targetILNS1_3genE4ELNS1_11target_archE910ELNS1_3gpuE8ELNS1_3repE0EEENS1_30default_config_static_selectorELNS0_4arch9wavefront6targetE1EEEvSK_,"axG",@progbits,_ZN7rocprim17ROCPRIM_400000_NS6detail17trampoline_kernelINS0_14default_configENS1_22reduce_config_selectorIiEEZNS1_11reduce_implILb1ES3_N6thrust23THRUST_200600_302600_NS6detail15normal_iteratorINS8_10device_ptrIiEEEEPiiNS8_4plusIiEEEE10hipError_tPvRmT1_T2_T3_mT4_P12ihipStream_tbEUlT_E0_NS1_11comp_targetILNS1_3genE4ELNS1_11target_archE910ELNS1_3gpuE8ELNS1_3repE0EEENS1_30default_config_static_selectorELNS0_4arch9wavefront6targetE1EEEvSK_,comdat
.Lfunc_end244:
	.size	_ZN7rocprim17ROCPRIM_400000_NS6detail17trampoline_kernelINS0_14default_configENS1_22reduce_config_selectorIiEEZNS1_11reduce_implILb1ES3_N6thrust23THRUST_200600_302600_NS6detail15normal_iteratorINS8_10device_ptrIiEEEEPiiNS8_4plusIiEEEE10hipError_tPvRmT1_T2_T3_mT4_P12ihipStream_tbEUlT_E0_NS1_11comp_targetILNS1_3genE4ELNS1_11target_archE910ELNS1_3gpuE8ELNS1_3repE0EEENS1_30default_config_static_selectorELNS0_4arch9wavefront6targetE1EEEvSK_, .Lfunc_end244-_ZN7rocprim17ROCPRIM_400000_NS6detail17trampoline_kernelINS0_14default_configENS1_22reduce_config_selectorIiEEZNS1_11reduce_implILb1ES3_N6thrust23THRUST_200600_302600_NS6detail15normal_iteratorINS8_10device_ptrIiEEEEPiiNS8_4plusIiEEEE10hipError_tPvRmT1_T2_T3_mT4_P12ihipStream_tbEUlT_E0_NS1_11comp_targetILNS1_3genE4ELNS1_11target_archE910ELNS1_3gpuE8ELNS1_3repE0EEENS1_30default_config_static_selectorELNS0_4arch9wavefront6targetE1EEEvSK_
                                        ; -- End function
	.set _ZN7rocprim17ROCPRIM_400000_NS6detail17trampoline_kernelINS0_14default_configENS1_22reduce_config_selectorIiEEZNS1_11reduce_implILb1ES3_N6thrust23THRUST_200600_302600_NS6detail15normal_iteratorINS8_10device_ptrIiEEEEPiiNS8_4plusIiEEEE10hipError_tPvRmT1_T2_T3_mT4_P12ihipStream_tbEUlT_E0_NS1_11comp_targetILNS1_3genE4ELNS1_11target_archE910ELNS1_3gpuE8ELNS1_3repE0EEENS1_30default_config_static_selectorELNS0_4arch9wavefront6targetE1EEEvSK_.num_vgpr, 0
	.set _ZN7rocprim17ROCPRIM_400000_NS6detail17trampoline_kernelINS0_14default_configENS1_22reduce_config_selectorIiEEZNS1_11reduce_implILb1ES3_N6thrust23THRUST_200600_302600_NS6detail15normal_iteratorINS8_10device_ptrIiEEEEPiiNS8_4plusIiEEEE10hipError_tPvRmT1_T2_T3_mT4_P12ihipStream_tbEUlT_E0_NS1_11comp_targetILNS1_3genE4ELNS1_11target_archE910ELNS1_3gpuE8ELNS1_3repE0EEENS1_30default_config_static_selectorELNS0_4arch9wavefront6targetE1EEEvSK_.num_agpr, 0
	.set _ZN7rocprim17ROCPRIM_400000_NS6detail17trampoline_kernelINS0_14default_configENS1_22reduce_config_selectorIiEEZNS1_11reduce_implILb1ES3_N6thrust23THRUST_200600_302600_NS6detail15normal_iteratorINS8_10device_ptrIiEEEEPiiNS8_4plusIiEEEE10hipError_tPvRmT1_T2_T3_mT4_P12ihipStream_tbEUlT_E0_NS1_11comp_targetILNS1_3genE4ELNS1_11target_archE910ELNS1_3gpuE8ELNS1_3repE0EEENS1_30default_config_static_selectorELNS0_4arch9wavefront6targetE1EEEvSK_.numbered_sgpr, 0
	.set _ZN7rocprim17ROCPRIM_400000_NS6detail17trampoline_kernelINS0_14default_configENS1_22reduce_config_selectorIiEEZNS1_11reduce_implILb1ES3_N6thrust23THRUST_200600_302600_NS6detail15normal_iteratorINS8_10device_ptrIiEEEEPiiNS8_4plusIiEEEE10hipError_tPvRmT1_T2_T3_mT4_P12ihipStream_tbEUlT_E0_NS1_11comp_targetILNS1_3genE4ELNS1_11target_archE910ELNS1_3gpuE8ELNS1_3repE0EEENS1_30default_config_static_selectorELNS0_4arch9wavefront6targetE1EEEvSK_.num_named_barrier, 0
	.set _ZN7rocprim17ROCPRIM_400000_NS6detail17trampoline_kernelINS0_14default_configENS1_22reduce_config_selectorIiEEZNS1_11reduce_implILb1ES3_N6thrust23THRUST_200600_302600_NS6detail15normal_iteratorINS8_10device_ptrIiEEEEPiiNS8_4plusIiEEEE10hipError_tPvRmT1_T2_T3_mT4_P12ihipStream_tbEUlT_E0_NS1_11comp_targetILNS1_3genE4ELNS1_11target_archE910ELNS1_3gpuE8ELNS1_3repE0EEENS1_30default_config_static_selectorELNS0_4arch9wavefront6targetE1EEEvSK_.private_seg_size, 0
	.set _ZN7rocprim17ROCPRIM_400000_NS6detail17trampoline_kernelINS0_14default_configENS1_22reduce_config_selectorIiEEZNS1_11reduce_implILb1ES3_N6thrust23THRUST_200600_302600_NS6detail15normal_iteratorINS8_10device_ptrIiEEEEPiiNS8_4plusIiEEEE10hipError_tPvRmT1_T2_T3_mT4_P12ihipStream_tbEUlT_E0_NS1_11comp_targetILNS1_3genE4ELNS1_11target_archE910ELNS1_3gpuE8ELNS1_3repE0EEENS1_30default_config_static_selectorELNS0_4arch9wavefront6targetE1EEEvSK_.uses_vcc, 0
	.set _ZN7rocprim17ROCPRIM_400000_NS6detail17trampoline_kernelINS0_14default_configENS1_22reduce_config_selectorIiEEZNS1_11reduce_implILb1ES3_N6thrust23THRUST_200600_302600_NS6detail15normal_iteratorINS8_10device_ptrIiEEEEPiiNS8_4plusIiEEEE10hipError_tPvRmT1_T2_T3_mT4_P12ihipStream_tbEUlT_E0_NS1_11comp_targetILNS1_3genE4ELNS1_11target_archE910ELNS1_3gpuE8ELNS1_3repE0EEENS1_30default_config_static_selectorELNS0_4arch9wavefront6targetE1EEEvSK_.uses_flat_scratch, 0
	.set _ZN7rocprim17ROCPRIM_400000_NS6detail17trampoline_kernelINS0_14default_configENS1_22reduce_config_selectorIiEEZNS1_11reduce_implILb1ES3_N6thrust23THRUST_200600_302600_NS6detail15normal_iteratorINS8_10device_ptrIiEEEEPiiNS8_4plusIiEEEE10hipError_tPvRmT1_T2_T3_mT4_P12ihipStream_tbEUlT_E0_NS1_11comp_targetILNS1_3genE4ELNS1_11target_archE910ELNS1_3gpuE8ELNS1_3repE0EEENS1_30default_config_static_selectorELNS0_4arch9wavefront6targetE1EEEvSK_.has_dyn_sized_stack, 0
	.set _ZN7rocprim17ROCPRIM_400000_NS6detail17trampoline_kernelINS0_14default_configENS1_22reduce_config_selectorIiEEZNS1_11reduce_implILb1ES3_N6thrust23THRUST_200600_302600_NS6detail15normal_iteratorINS8_10device_ptrIiEEEEPiiNS8_4plusIiEEEE10hipError_tPvRmT1_T2_T3_mT4_P12ihipStream_tbEUlT_E0_NS1_11comp_targetILNS1_3genE4ELNS1_11target_archE910ELNS1_3gpuE8ELNS1_3repE0EEENS1_30default_config_static_selectorELNS0_4arch9wavefront6targetE1EEEvSK_.has_recursion, 0
	.set _ZN7rocprim17ROCPRIM_400000_NS6detail17trampoline_kernelINS0_14default_configENS1_22reduce_config_selectorIiEEZNS1_11reduce_implILb1ES3_N6thrust23THRUST_200600_302600_NS6detail15normal_iteratorINS8_10device_ptrIiEEEEPiiNS8_4plusIiEEEE10hipError_tPvRmT1_T2_T3_mT4_P12ihipStream_tbEUlT_E0_NS1_11comp_targetILNS1_3genE4ELNS1_11target_archE910ELNS1_3gpuE8ELNS1_3repE0EEENS1_30default_config_static_selectorELNS0_4arch9wavefront6targetE1EEEvSK_.has_indirect_call, 0
	.section	.AMDGPU.csdata,"",@progbits
; Kernel info:
; codeLenInByte = 0
; TotalNumSgprs: 6
; NumVgprs: 0
; NumAgprs: 0
; TotalNumVgprs: 0
; ScratchSize: 0
; MemoryBound: 0
; FloatMode: 240
; IeeeMode: 1
; LDSByteSize: 0 bytes/workgroup (compile time only)
; SGPRBlocks: 0
; VGPRBlocks: 0
; NumSGPRsForWavesPerEU: 6
; NumVGPRsForWavesPerEU: 1
; AccumOffset: 4
; Occupancy: 8
; WaveLimiterHint : 0
; COMPUTE_PGM_RSRC2:SCRATCH_EN: 0
; COMPUTE_PGM_RSRC2:USER_SGPR: 2
; COMPUTE_PGM_RSRC2:TRAP_HANDLER: 0
; COMPUTE_PGM_RSRC2:TGID_X_EN: 1
; COMPUTE_PGM_RSRC2:TGID_Y_EN: 0
; COMPUTE_PGM_RSRC2:TGID_Z_EN: 0
; COMPUTE_PGM_RSRC2:TIDIG_COMP_CNT: 0
; COMPUTE_PGM_RSRC3_GFX90A:ACCUM_OFFSET: 0
; COMPUTE_PGM_RSRC3_GFX90A:TG_SPLIT: 0
	.section	.text._ZN7rocprim17ROCPRIM_400000_NS6detail17trampoline_kernelINS0_14default_configENS1_22reduce_config_selectorIiEEZNS1_11reduce_implILb1ES3_N6thrust23THRUST_200600_302600_NS6detail15normal_iteratorINS8_10device_ptrIiEEEEPiiNS8_4plusIiEEEE10hipError_tPvRmT1_T2_T3_mT4_P12ihipStream_tbEUlT_E0_NS1_11comp_targetILNS1_3genE3ELNS1_11target_archE908ELNS1_3gpuE7ELNS1_3repE0EEENS1_30default_config_static_selectorELNS0_4arch9wavefront6targetE1EEEvSK_,"axG",@progbits,_ZN7rocprim17ROCPRIM_400000_NS6detail17trampoline_kernelINS0_14default_configENS1_22reduce_config_selectorIiEEZNS1_11reduce_implILb1ES3_N6thrust23THRUST_200600_302600_NS6detail15normal_iteratorINS8_10device_ptrIiEEEEPiiNS8_4plusIiEEEE10hipError_tPvRmT1_T2_T3_mT4_P12ihipStream_tbEUlT_E0_NS1_11comp_targetILNS1_3genE3ELNS1_11target_archE908ELNS1_3gpuE7ELNS1_3repE0EEENS1_30default_config_static_selectorELNS0_4arch9wavefront6targetE1EEEvSK_,comdat
	.protected	_ZN7rocprim17ROCPRIM_400000_NS6detail17trampoline_kernelINS0_14default_configENS1_22reduce_config_selectorIiEEZNS1_11reduce_implILb1ES3_N6thrust23THRUST_200600_302600_NS6detail15normal_iteratorINS8_10device_ptrIiEEEEPiiNS8_4plusIiEEEE10hipError_tPvRmT1_T2_T3_mT4_P12ihipStream_tbEUlT_E0_NS1_11comp_targetILNS1_3genE3ELNS1_11target_archE908ELNS1_3gpuE7ELNS1_3repE0EEENS1_30default_config_static_selectorELNS0_4arch9wavefront6targetE1EEEvSK_ ; -- Begin function _ZN7rocprim17ROCPRIM_400000_NS6detail17trampoline_kernelINS0_14default_configENS1_22reduce_config_selectorIiEEZNS1_11reduce_implILb1ES3_N6thrust23THRUST_200600_302600_NS6detail15normal_iteratorINS8_10device_ptrIiEEEEPiiNS8_4plusIiEEEE10hipError_tPvRmT1_T2_T3_mT4_P12ihipStream_tbEUlT_E0_NS1_11comp_targetILNS1_3genE3ELNS1_11target_archE908ELNS1_3gpuE7ELNS1_3repE0EEENS1_30default_config_static_selectorELNS0_4arch9wavefront6targetE1EEEvSK_
	.globl	_ZN7rocprim17ROCPRIM_400000_NS6detail17trampoline_kernelINS0_14default_configENS1_22reduce_config_selectorIiEEZNS1_11reduce_implILb1ES3_N6thrust23THRUST_200600_302600_NS6detail15normal_iteratorINS8_10device_ptrIiEEEEPiiNS8_4plusIiEEEE10hipError_tPvRmT1_T2_T3_mT4_P12ihipStream_tbEUlT_E0_NS1_11comp_targetILNS1_3genE3ELNS1_11target_archE908ELNS1_3gpuE7ELNS1_3repE0EEENS1_30default_config_static_selectorELNS0_4arch9wavefront6targetE1EEEvSK_
	.p2align	8
	.type	_ZN7rocprim17ROCPRIM_400000_NS6detail17trampoline_kernelINS0_14default_configENS1_22reduce_config_selectorIiEEZNS1_11reduce_implILb1ES3_N6thrust23THRUST_200600_302600_NS6detail15normal_iteratorINS8_10device_ptrIiEEEEPiiNS8_4plusIiEEEE10hipError_tPvRmT1_T2_T3_mT4_P12ihipStream_tbEUlT_E0_NS1_11comp_targetILNS1_3genE3ELNS1_11target_archE908ELNS1_3gpuE7ELNS1_3repE0EEENS1_30default_config_static_selectorELNS0_4arch9wavefront6targetE1EEEvSK_,@function
_ZN7rocprim17ROCPRIM_400000_NS6detail17trampoline_kernelINS0_14default_configENS1_22reduce_config_selectorIiEEZNS1_11reduce_implILb1ES3_N6thrust23THRUST_200600_302600_NS6detail15normal_iteratorINS8_10device_ptrIiEEEEPiiNS8_4plusIiEEEE10hipError_tPvRmT1_T2_T3_mT4_P12ihipStream_tbEUlT_E0_NS1_11comp_targetILNS1_3genE3ELNS1_11target_archE908ELNS1_3gpuE7ELNS1_3repE0EEENS1_30default_config_static_selectorELNS0_4arch9wavefront6targetE1EEEvSK_: ; @_ZN7rocprim17ROCPRIM_400000_NS6detail17trampoline_kernelINS0_14default_configENS1_22reduce_config_selectorIiEEZNS1_11reduce_implILb1ES3_N6thrust23THRUST_200600_302600_NS6detail15normal_iteratorINS8_10device_ptrIiEEEEPiiNS8_4plusIiEEEE10hipError_tPvRmT1_T2_T3_mT4_P12ihipStream_tbEUlT_E0_NS1_11comp_targetILNS1_3genE3ELNS1_11target_archE908ELNS1_3gpuE7ELNS1_3repE0EEENS1_30default_config_static_selectorELNS0_4arch9wavefront6targetE1EEEvSK_
; %bb.0:
	.section	.rodata,"a",@progbits
	.p2align	6, 0x0
	.amdhsa_kernel _ZN7rocprim17ROCPRIM_400000_NS6detail17trampoline_kernelINS0_14default_configENS1_22reduce_config_selectorIiEEZNS1_11reduce_implILb1ES3_N6thrust23THRUST_200600_302600_NS6detail15normal_iteratorINS8_10device_ptrIiEEEEPiiNS8_4plusIiEEEE10hipError_tPvRmT1_T2_T3_mT4_P12ihipStream_tbEUlT_E0_NS1_11comp_targetILNS1_3genE3ELNS1_11target_archE908ELNS1_3gpuE7ELNS1_3repE0EEENS1_30default_config_static_selectorELNS0_4arch9wavefront6targetE1EEEvSK_
		.amdhsa_group_segment_fixed_size 0
		.amdhsa_private_segment_fixed_size 0
		.amdhsa_kernarg_size 56
		.amdhsa_user_sgpr_count 2
		.amdhsa_user_sgpr_dispatch_ptr 0
		.amdhsa_user_sgpr_queue_ptr 0
		.amdhsa_user_sgpr_kernarg_segment_ptr 1
		.amdhsa_user_sgpr_dispatch_id 0
		.amdhsa_user_sgpr_kernarg_preload_length 0
		.amdhsa_user_sgpr_kernarg_preload_offset 0
		.amdhsa_user_sgpr_private_segment_size 0
		.amdhsa_uses_dynamic_stack 0
		.amdhsa_enable_private_segment 0
		.amdhsa_system_sgpr_workgroup_id_x 1
		.amdhsa_system_sgpr_workgroup_id_y 0
		.amdhsa_system_sgpr_workgroup_id_z 0
		.amdhsa_system_sgpr_workgroup_info 0
		.amdhsa_system_vgpr_workitem_id 0
		.amdhsa_next_free_vgpr 1
		.amdhsa_next_free_sgpr 0
		.amdhsa_accum_offset 4
		.amdhsa_reserve_vcc 0
		.amdhsa_float_round_mode_32 0
		.amdhsa_float_round_mode_16_64 0
		.amdhsa_float_denorm_mode_32 3
		.amdhsa_float_denorm_mode_16_64 3
		.amdhsa_dx10_clamp 1
		.amdhsa_ieee_mode 1
		.amdhsa_fp16_overflow 0
		.amdhsa_tg_split 0
		.amdhsa_exception_fp_ieee_invalid_op 0
		.amdhsa_exception_fp_denorm_src 0
		.amdhsa_exception_fp_ieee_div_zero 0
		.amdhsa_exception_fp_ieee_overflow 0
		.amdhsa_exception_fp_ieee_underflow 0
		.amdhsa_exception_fp_ieee_inexact 0
		.amdhsa_exception_int_div_zero 0
	.end_amdhsa_kernel
	.section	.text._ZN7rocprim17ROCPRIM_400000_NS6detail17trampoline_kernelINS0_14default_configENS1_22reduce_config_selectorIiEEZNS1_11reduce_implILb1ES3_N6thrust23THRUST_200600_302600_NS6detail15normal_iteratorINS8_10device_ptrIiEEEEPiiNS8_4plusIiEEEE10hipError_tPvRmT1_T2_T3_mT4_P12ihipStream_tbEUlT_E0_NS1_11comp_targetILNS1_3genE3ELNS1_11target_archE908ELNS1_3gpuE7ELNS1_3repE0EEENS1_30default_config_static_selectorELNS0_4arch9wavefront6targetE1EEEvSK_,"axG",@progbits,_ZN7rocprim17ROCPRIM_400000_NS6detail17trampoline_kernelINS0_14default_configENS1_22reduce_config_selectorIiEEZNS1_11reduce_implILb1ES3_N6thrust23THRUST_200600_302600_NS6detail15normal_iteratorINS8_10device_ptrIiEEEEPiiNS8_4plusIiEEEE10hipError_tPvRmT1_T2_T3_mT4_P12ihipStream_tbEUlT_E0_NS1_11comp_targetILNS1_3genE3ELNS1_11target_archE908ELNS1_3gpuE7ELNS1_3repE0EEENS1_30default_config_static_selectorELNS0_4arch9wavefront6targetE1EEEvSK_,comdat
.Lfunc_end245:
	.size	_ZN7rocprim17ROCPRIM_400000_NS6detail17trampoline_kernelINS0_14default_configENS1_22reduce_config_selectorIiEEZNS1_11reduce_implILb1ES3_N6thrust23THRUST_200600_302600_NS6detail15normal_iteratorINS8_10device_ptrIiEEEEPiiNS8_4plusIiEEEE10hipError_tPvRmT1_T2_T3_mT4_P12ihipStream_tbEUlT_E0_NS1_11comp_targetILNS1_3genE3ELNS1_11target_archE908ELNS1_3gpuE7ELNS1_3repE0EEENS1_30default_config_static_selectorELNS0_4arch9wavefront6targetE1EEEvSK_, .Lfunc_end245-_ZN7rocprim17ROCPRIM_400000_NS6detail17trampoline_kernelINS0_14default_configENS1_22reduce_config_selectorIiEEZNS1_11reduce_implILb1ES3_N6thrust23THRUST_200600_302600_NS6detail15normal_iteratorINS8_10device_ptrIiEEEEPiiNS8_4plusIiEEEE10hipError_tPvRmT1_T2_T3_mT4_P12ihipStream_tbEUlT_E0_NS1_11comp_targetILNS1_3genE3ELNS1_11target_archE908ELNS1_3gpuE7ELNS1_3repE0EEENS1_30default_config_static_selectorELNS0_4arch9wavefront6targetE1EEEvSK_
                                        ; -- End function
	.set _ZN7rocprim17ROCPRIM_400000_NS6detail17trampoline_kernelINS0_14default_configENS1_22reduce_config_selectorIiEEZNS1_11reduce_implILb1ES3_N6thrust23THRUST_200600_302600_NS6detail15normal_iteratorINS8_10device_ptrIiEEEEPiiNS8_4plusIiEEEE10hipError_tPvRmT1_T2_T3_mT4_P12ihipStream_tbEUlT_E0_NS1_11comp_targetILNS1_3genE3ELNS1_11target_archE908ELNS1_3gpuE7ELNS1_3repE0EEENS1_30default_config_static_selectorELNS0_4arch9wavefront6targetE1EEEvSK_.num_vgpr, 0
	.set _ZN7rocprim17ROCPRIM_400000_NS6detail17trampoline_kernelINS0_14default_configENS1_22reduce_config_selectorIiEEZNS1_11reduce_implILb1ES3_N6thrust23THRUST_200600_302600_NS6detail15normal_iteratorINS8_10device_ptrIiEEEEPiiNS8_4plusIiEEEE10hipError_tPvRmT1_T2_T3_mT4_P12ihipStream_tbEUlT_E0_NS1_11comp_targetILNS1_3genE3ELNS1_11target_archE908ELNS1_3gpuE7ELNS1_3repE0EEENS1_30default_config_static_selectorELNS0_4arch9wavefront6targetE1EEEvSK_.num_agpr, 0
	.set _ZN7rocprim17ROCPRIM_400000_NS6detail17trampoline_kernelINS0_14default_configENS1_22reduce_config_selectorIiEEZNS1_11reduce_implILb1ES3_N6thrust23THRUST_200600_302600_NS6detail15normal_iteratorINS8_10device_ptrIiEEEEPiiNS8_4plusIiEEEE10hipError_tPvRmT1_T2_T3_mT4_P12ihipStream_tbEUlT_E0_NS1_11comp_targetILNS1_3genE3ELNS1_11target_archE908ELNS1_3gpuE7ELNS1_3repE0EEENS1_30default_config_static_selectorELNS0_4arch9wavefront6targetE1EEEvSK_.numbered_sgpr, 0
	.set _ZN7rocprim17ROCPRIM_400000_NS6detail17trampoline_kernelINS0_14default_configENS1_22reduce_config_selectorIiEEZNS1_11reduce_implILb1ES3_N6thrust23THRUST_200600_302600_NS6detail15normal_iteratorINS8_10device_ptrIiEEEEPiiNS8_4plusIiEEEE10hipError_tPvRmT1_T2_T3_mT4_P12ihipStream_tbEUlT_E0_NS1_11comp_targetILNS1_3genE3ELNS1_11target_archE908ELNS1_3gpuE7ELNS1_3repE0EEENS1_30default_config_static_selectorELNS0_4arch9wavefront6targetE1EEEvSK_.num_named_barrier, 0
	.set _ZN7rocprim17ROCPRIM_400000_NS6detail17trampoline_kernelINS0_14default_configENS1_22reduce_config_selectorIiEEZNS1_11reduce_implILb1ES3_N6thrust23THRUST_200600_302600_NS6detail15normal_iteratorINS8_10device_ptrIiEEEEPiiNS8_4plusIiEEEE10hipError_tPvRmT1_T2_T3_mT4_P12ihipStream_tbEUlT_E0_NS1_11comp_targetILNS1_3genE3ELNS1_11target_archE908ELNS1_3gpuE7ELNS1_3repE0EEENS1_30default_config_static_selectorELNS0_4arch9wavefront6targetE1EEEvSK_.private_seg_size, 0
	.set _ZN7rocprim17ROCPRIM_400000_NS6detail17trampoline_kernelINS0_14default_configENS1_22reduce_config_selectorIiEEZNS1_11reduce_implILb1ES3_N6thrust23THRUST_200600_302600_NS6detail15normal_iteratorINS8_10device_ptrIiEEEEPiiNS8_4plusIiEEEE10hipError_tPvRmT1_T2_T3_mT4_P12ihipStream_tbEUlT_E0_NS1_11comp_targetILNS1_3genE3ELNS1_11target_archE908ELNS1_3gpuE7ELNS1_3repE0EEENS1_30default_config_static_selectorELNS0_4arch9wavefront6targetE1EEEvSK_.uses_vcc, 0
	.set _ZN7rocprim17ROCPRIM_400000_NS6detail17trampoline_kernelINS0_14default_configENS1_22reduce_config_selectorIiEEZNS1_11reduce_implILb1ES3_N6thrust23THRUST_200600_302600_NS6detail15normal_iteratorINS8_10device_ptrIiEEEEPiiNS8_4plusIiEEEE10hipError_tPvRmT1_T2_T3_mT4_P12ihipStream_tbEUlT_E0_NS1_11comp_targetILNS1_3genE3ELNS1_11target_archE908ELNS1_3gpuE7ELNS1_3repE0EEENS1_30default_config_static_selectorELNS0_4arch9wavefront6targetE1EEEvSK_.uses_flat_scratch, 0
	.set _ZN7rocprim17ROCPRIM_400000_NS6detail17trampoline_kernelINS0_14default_configENS1_22reduce_config_selectorIiEEZNS1_11reduce_implILb1ES3_N6thrust23THRUST_200600_302600_NS6detail15normal_iteratorINS8_10device_ptrIiEEEEPiiNS8_4plusIiEEEE10hipError_tPvRmT1_T2_T3_mT4_P12ihipStream_tbEUlT_E0_NS1_11comp_targetILNS1_3genE3ELNS1_11target_archE908ELNS1_3gpuE7ELNS1_3repE0EEENS1_30default_config_static_selectorELNS0_4arch9wavefront6targetE1EEEvSK_.has_dyn_sized_stack, 0
	.set _ZN7rocprim17ROCPRIM_400000_NS6detail17trampoline_kernelINS0_14default_configENS1_22reduce_config_selectorIiEEZNS1_11reduce_implILb1ES3_N6thrust23THRUST_200600_302600_NS6detail15normal_iteratorINS8_10device_ptrIiEEEEPiiNS8_4plusIiEEEE10hipError_tPvRmT1_T2_T3_mT4_P12ihipStream_tbEUlT_E0_NS1_11comp_targetILNS1_3genE3ELNS1_11target_archE908ELNS1_3gpuE7ELNS1_3repE0EEENS1_30default_config_static_selectorELNS0_4arch9wavefront6targetE1EEEvSK_.has_recursion, 0
	.set _ZN7rocprim17ROCPRIM_400000_NS6detail17trampoline_kernelINS0_14default_configENS1_22reduce_config_selectorIiEEZNS1_11reduce_implILb1ES3_N6thrust23THRUST_200600_302600_NS6detail15normal_iteratorINS8_10device_ptrIiEEEEPiiNS8_4plusIiEEEE10hipError_tPvRmT1_T2_T3_mT4_P12ihipStream_tbEUlT_E0_NS1_11comp_targetILNS1_3genE3ELNS1_11target_archE908ELNS1_3gpuE7ELNS1_3repE0EEENS1_30default_config_static_selectorELNS0_4arch9wavefront6targetE1EEEvSK_.has_indirect_call, 0
	.section	.AMDGPU.csdata,"",@progbits
; Kernel info:
; codeLenInByte = 0
; TotalNumSgprs: 6
; NumVgprs: 0
; NumAgprs: 0
; TotalNumVgprs: 0
; ScratchSize: 0
; MemoryBound: 0
; FloatMode: 240
; IeeeMode: 1
; LDSByteSize: 0 bytes/workgroup (compile time only)
; SGPRBlocks: 0
; VGPRBlocks: 0
; NumSGPRsForWavesPerEU: 6
; NumVGPRsForWavesPerEU: 1
; AccumOffset: 4
; Occupancy: 8
; WaveLimiterHint : 0
; COMPUTE_PGM_RSRC2:SCRATCH_EN: 0
; COMPUTE_PGM_RSRC2:USER_SGPR: 2
; COMPUTE_PGM_RSRC2:TRAP_HANDLER: 0
; COMPUTE_PGM_RSRC2:TGID_X_EN: 1
; COMPUTE_PGM_RSRC2:TGID_Y_EN: 0
; COMPUTE_PGM_RSRC2:TGID_Z_EN: 0
; COMPUTE_PGM_RSRC2:TIDIG_COMP_CNT: 0
; COMPUTE_PGM_RSRC3_GFX90A:ACCUM_OFFSET: 0
; COMPUTE_PGM_RSRC3_GFX90A:TG_SPLIT: 0
	.section	.text._ZN7rocprim17ROCPRIM_400000_NS6detail17trampoline_kernelINS0_14default_configENS1_22reduce_config_selectorIiEEZNS1_11reduce_implILb1ES3_N6thrust23THRUST_200600_302600_NS6detail15normal_iteratorINS8_10device_ptrIiEEEEPiiNS8_4plusIiEEEE10hipError_tPvRmT1_T2_T3_mT4_P12ihipStream_tbEUlT_E0_NS1_11comp_targetILNS1_3genE2ELNS1_11target_archE906ELNS1_3gpuE6ELNS1_3repE0EEENS1_30default_config_static_selectorELNS0_4arch9wavefront6targetE1EEEvSK_,"axG",@progbits,_ZN7rocprim17ROCPRIM_400000_NS6detail17trampoline_kernelINS0_14default_configENS1_22reduce_config_selectorIiEEZNS1_11reduce_implILb1ES3_N6thrust23THRUST_200600_302600_NS6detail15normal_iteratorINS8_10device_ptrIiEEEEPiiNS8_4plusIiEEEE10hipError_tPvRmT1_T2_T3_mT4_P12ihipStream_tbEUlT_E0_NS1_11comp_targetILNS1_3genE2ELNS1_11target_archE906ELNS1_3gpuE6ELNS1_3repE0EEENS1_30default_config_static_selectorELNS0_4arch9wavefront6targetE1EEEvSK_,comdat
	.protected	_ZN7rocprim17ROCPRIM_400000_NS6detail17trampoline_kernelINS0_14default_configENS1_22reduce_config_selectorIiEEZNS1_11reduce_implILb1ES3_N6thrust23THRUST_200600_302600_NS6detail15normal_iteratorINS8_10device_ptrIiEEEEPiiNS8_4plusIiEEEE10hipError_tPvRmT1_T2_T3_mT4_P12ihipStream_tbEUlT_E0_NS1_11comp_targetILNS1_3genE2ELNS1_11target_archE906ELNS1_3gpuE6ELNS1_3repE0EEENS1_30default_config_static_selectorELNS0_4arch9wavefront6targetE1EEEvSK_ ; -- Begin function _ZN7rocprim17ROCPRIM_400000_NS6detail17trampoline_kernelINS0_14default_configENS1_22reduce_config_selectorIiEEZNS1_11reduce_implILb1ES3_N6thrust23THRUST_200600_302600_NS6detail15normal_iteratorINS8_10device_ptrIiEEEEPiiNS8_4plusIiEEEE10hipError_tPvRmT1_T2_T3_mT4_P12ihipStream_tbEUlT_E0_NS1_11comp_targetILNS1_3genE2ELNS1_11target_archE906ELNS1_3gpuE6ELNS1_3repE0EEENS1_30default_config_static_selectorELNS0_4arch9wavefront6targetE1EEEvSK_
	.globl	_ZN7rocprim17ROCPRIM_400000_NS6detail17trampoline_kernelINS0_14default_configENS1_22reduce_config_selectorIiEEZNS1_11reduce_implILb1ES3_N6thrust23THRUST_200600_302600_NS6detail15normal_iteratorINS8_10device_ptrIiEEEEPiiNS8_4plusIiEEEE10hipError_tPvRmT1_T2_T3_mT4_P12ihipStream_tbEUlT_E0_NS1_11comp_targetILNS1_3genE2ELNS1_11target_archE906ELNS1_3gpuE6ELNS1_3repE0EEENS1_30default_config_static_selectorELNS0_4arch9wavefront6targetE1EEEvSK_
	.p2align	8
	.type	_ZN7rocprim17ROCPRIM_400000_NS6detail17trampoline_kernelINS0_14default_configENS1_22reduce_config_selectorIiEEZNS1_11reduce_implILb1ES3_N6thrust23THRUST_200600_302600_NS6detail15normal_iteratorINS8_10device_ptrIiEEEEPiiNS8_4plusIiEEEE10hipError_tPvRmT1_T2_T3_mT4_P12ihipStream_tbEUlT_E0_NS1_11comp_targetILNS1_3genE2ELNS1_11target_archE906ELNS1_3gpuE6ELNS1_3repE0EEENS1_30default_config_static_selectorELNS0_4arch9wavefront6targetE1EEEvSK_,@function
_ZN7rocprim17ROCPRIM_400000_NS6detail17trampoline_kernelINS0_14default_configENS1_22reduce_config_selectorIiEEZNS1_11reduce_implILb1ES3_N6thrust23THRUST_200600_302600_NS6detail15normal_iteratorINS8_10device_ptrIiEEEEPiiNS8_4plusIiEEEE10hipError_tPvRmT1_T2_T3_mT4_P12ihipStream_tbEUlT_E0_NS1_11comp_targetILNS1_3genE2ELNS1_11target_archE906ELNS1_3gpuE6ELNS1_3repE0EEENS1_30default_config_static_selectorELNS0_4arch9wavefront6targetE1EEEvSK_: ; @_ZN7rocprim17ROCPRIM_400000_NS6detail17trampoline_kernelINS0_14default_configENS1_22reduce_config_selectorIiEEZNS1_11reduce_implILb1ES3_N6thrust23THRUST_200600_302600_NS6detail15normal_iteratorINS8_10device_ptrIiEEEEPiiNS8_4plusIiEEEE10hipError_tPvRmT1_T2_T3_mT4_P12ihipStream_tbEUlT_E0_NS1_11comp_targetILNS1_3genE2ELNS1_11target_archE906ELNS1_3gpuE6ELNS1_3repE0EEENS1_30default_config_static_selectorELNS0_4arch9wavefront6targetE1EEEvSK_
; %bb.0:
	.section	.rodata,"a",@progbits
	.p2align	6, 0x0
	.amdhsa_kernel _ZN7rocprim17ROCPRIM_400000_NS6detail17trampoline_kernelINS0_14default_configENS1_22reduce_config_selectorIiEEZNS1_11reduce_implILb1ES3_N6thrust23THRUST_200600_302600_NS6detail15normal_iteratorINS8_10device_ptrIiEEEEPiiNS8_4plusIiEEEE10hipError_tPvRmT1_T2_T3_mT4_P12ihipStream_tbEUlT_E0_NS1_11comp_targetILNS1_3genE2ELNS1_11target_archE906ELNS1_3gpuE6ELNS1_3repE0EEENS1_30default_config_static_selectorELNS0_4arch9wavefront6targetE1EEEvSK_
		.amdhsa_group_segment_fixed_size 0
		.amdhsa_private_segment_fixed_size 0
		.amdhsa_kernarg_size 56
		.amdhsa_user_sgpr_count 2
		.amdhsa_user_sgpr_dispatch_ptr 0
		.amdhsa_user_sgpr_queue_ptr 0
		.amdhsa_user_sgpr_kernarg_segment_ptr 1
		.amdhsa_user_sgpr_dispatch_id 0
		.amdhsa_user_sgpr_kernarg_preload_length 0
		.amdhsa_user_sgpr_kernarg_preload_offset 0
		.amdhsa_user_sgpr_private_segment_size 0
		.amdhsa_uses_dynamic_stack 0
		.amdhsa_enable_private_segment 0
		.amdhsa_system_sgpr_workgroup_id_x 1
		.amdhsa_system_sgpr_workgroup_id_y 0
		.amdhsa_system_sgpr_workgroup_id_z 0
		.amdhsa_system_sgpr_workgroup_info 0
		.amdhsa_system_vgpr_workitem_id 0
		.amdhsa_next_free_vgpr 1
		.amdhsa_next_free_sgpr 0
		.amdhsa_accum_offset 4
		.amdhsa_reserve_vcc 0
		.amdhsa_float_round_mode_32 0
		.amdhsa_float_round_mode_16_64 0
		.amdhsa_float_denorm_mode_32 3
		.amdhsa_float_denorm_mode_16_64 3
		.amdhsa_dx10_clamp 1
		.amdhsa_ieee_mode 1
		.amdhsa_fp16_overflow 0
		.amdhsa_tg_split 0
		.amdhsa_exception_fp_ieee_invalid_op 0
		.amdhsa_exception_fp_denorm_src 0
		.amdhsa_exception_fp_ieee_div_zero 0
		.amdhsa_exception_fp_ieee_overflow 0
		.amdhsa_exception_fp_ieee_underflow 0
		.amdhsa_exception_fp_ieee_inexact 0
		.amdhsa_exception_int_div_zero 0
	.end_amdhsa_kernel
	.section	.text._ZN7rocprim17ROCPRIM_400000_NS6detail17trampoline_kernelINS0_14default_configENS1_22reduce_config_selectorIiEEZNS1_11reduce_implILb1ES3_N6thrust23THRUST_200600_302600_NS6detail15normal_iteratorINS8_10device_ptrIiEEEEPiiNS8_4plusIiEEEE10hipError_tPvRmT1_T2_T3_mT4_P12ihipStream_tbEUlT_E0_NS1_11comp_targetILNS1_3genE2ELNS1_11target_archE906ELNS1_3gpuE6ELNS1_3repE0EEENS1_30default_config_static_selectorELNS0_4arch9wavefront6targetE1EEEvSK_,"axG",@progbits,_ZN7rocprim17ROCPRIM_400000_NS6detail17trampoline_kernelINS0_14default_configENS1_22reduce_config_selectorIiEEZNS1_11reduce_implILb1ES3_N6thrust23THRUST_200600_302600_NS6detail15normal_iteratorINS8_10device_ptrIiEEEEPiiNS8_4plusIiEEEE10hipError_tPvRmT1_T2_T3_mT4_P12ihipStream_tbEUlT_E0_NS1_11comp_targetILNS1_3genE2ELNS1_11target_archE906ELNS1_3gpuE6ELNS1_3repE0EEENS1_30default_config_static_selectorELNS0_4arch9wavefront6targetE1EEEvSK_,comdat
.Lfunc_end246:
	.size	_ZN7rocprim17ROCPRIM_400000_NS6detail17trampoline_kernelINS0_14default_configENS1_22reduce_config_selectorIiEEZNS1_11reduce_implILb1ES3_N6thrust23THRUST_200600_302600_NS6detail15normal_iteratorINS8_10device_ptrIiEEEEPiiNS8_4plusIiEEEE10hipError_tPvRmT1_T2_T3_mT4_P12ihipStream_tbEUlT_E0_NS1_11comp_targetILNS1_3genE2ELNS1_11target_archE906ELNS1_3gpuE6ELNS1_3repE0EEENS1_30default_config_static_selectorELNS0_4arch9wavefront6targetE1EEEvSK_, .Lfunc_end246-_ZN7rocprim17ROCPRIM_400000_NS6detail17trampoline_kernelINS0_14default_configENS1_22reduce_config_selectorIiEEZNS1_11reduce_implILb1ES3_N6thrust23THRUST_200600_302600_NS6detail15normal_iteratorINS8_10device_ptrIiEEEEPiiNS8_4plusIiEEEE10hipError_tPvRmT1_T2_T3_mT4_P12ihipStream_tbEUlT_E0_NS1_11comp_targetILNS1_3genE2ELNS1_11target_archE906ELNS1_3gpuE6ELNS1_3repE0EEENS1_30default_config_static_selectorELNS0_4arch9wavefront6targetE1EEEvSK_
                                        ; -- End function
	.set _ZN7rocprim17ROCPRIM_400000_NS6detail17trampoline_kernelINS0_14default_configENS1_22reduce_config_selectorIiEEZNS1_11reduce_implILb1ES3_N6thrust23THRUST_200600_302600_NS6detail15normal_iteratorINS8_10device_ptrIiEEEEPiiNS8_4plusIiEEEE10hipError_tPvRmT1_T2_T3_mT4_P12ihipStream_tbEUlT_E0_NS1_11comp_targetILNS1_3genE2ELNS1_11target_archE906ELNS1_3gpuE6ELNS1_3repE0EEENS1_30default_config_static_selectorELNS0_4arch9wavefront6targetE1EEEvSK_.num_vgpr, 0
	.set _ZN7rocprim17ROCPRIM_400000_NS6detail17trampoline_kernelINS0_14default_configENS1_22reduce_config_selectorIiEEZNS1_11reduce_implILb1ES3_N6thrust23THRUST_200600_302600_NS6detail15normal_iteratorINS8_10device_ptrIiEEEEPiiNS8_4plusIiEEEE10hipError_tPvRmT1_T2_T3_mT4_P12ihipStream_tbEUlT_E0_NS1_11comp_targetILNS1_3genE2ELNS1_11target_archE906ELNS1_3gpuE6ELNS1_3repE0EEENS1_30default_config_static_selectorELNS0_4arch9wavefront6targetE1EEEvSK_.num_agpr, 0
	.set _ZN7rocprim17ROCPRIM_400000_NS6detail17trampoline_kernelINS0_14default_configENS1_22reduce_config_selectorIiEEZNS1_11reduce_implILb1ES3_N6thrust23THRUST_200600_302600_NS6detail15normal_iteratorINS8_10device_ptrIiEEEEPiiNS8_4plusIiEEEE10hipError_tPvRmT1_T2_T3_mT4_P12ihipStream_tbEUlT_E0_NS1_11comp_targetILNS1_3genE2ELNS1_11target_archE906ELNS1_3gpuE6ELNS1_3repE0EEENS1_30default_config_static_selectorELNS0_4arch9wavefront6targetE1EEEvSK_.numbered_sgpr, 0
	.set _ZN7rocprim17ROCPRIM_400000_NS6detail17trampoline_kernelINS0_14default_configENS1_22reduce_config_selectorIiEEZNS1_11reduce_implILb1ES3_N6thrust23THRUST_200600_302600_NS6detail15normal_iteratorINS8_10device_ptrIiEEEEPiiNS8_4plusIiEEEE10hipError_tPvRmT1_T2_T3_mT4_P12ihipStream_tbEUlT_E0_NS1_11comp_targetILNS1_3genE2ELNS1_11target_archE906ELNS1_3gpuE6ELNS1_3repE0EEENS1_30default_config_static_selectorELNS0_4arch9wavefront6targetE1EEEvSK_.num_named_barrier, 0
	.set _ZN7rocprim17ROCPRIM_400000_NS6detail17trampoline_kernelINS0_14default_configENS1_22reduce_config_selectorIiEEZNS1_11reduce_implILb1ES3_N6thrust23THRUST_200600_302600_NS6detail15normal_iteratorINS8_10device_ptrIiEEEEPiiNS8_4plusIiEEEE10hipError_tPvRmT1_T2_T3_mT4_P12ihipStream_tbEUlT_E0_NS1_11comp_targetILNS1_3genE2ELNS1_11target_archE906ELNS1_3gpuE6ELNS1_3repE0EEENS1_30default_config_static_selectorELNS0_4arch9wavefront6targetE1EEEvSK_.private_seg_size, 0
	.set _ZN7rocprim17ROCPRIM_400000_NS6detail17trampoline_kernelINS0_14default_configENS1_22reduce_config_selectorIiEEZNS1_11reduce_implILb1ES3_N6thrust23THRUST_200600_302600_NS6detail15normal_iteratorINS8_10device_ptrIiEEEEPiiNS8_4plusIiEEEE10hipError_tPvRmT1_T2_T3_mT4_P12ihipStream_tbEUlT_E0_NS1_11comp_targetILNS1_3genE2ELNS1_11target_archE906ELNS1_3gpuE6ELNS1_3repE0EEENS1_30default_config_static_selectorELNS0_4arch9wavefront6targetE1EEEvSK_.uses_vcc, 0
	.set _ZN7rocprim17ROCPRIM_400000_NS6detail17trampoline_kernelINS0_14default_configENS1_22reduce_config_selectorIiEEZNS1_11reduce_implILb1ES3_N6thrust23THRUST_200600_302600_NS6detail15normal_iteratorINS8_10device_ptrIiEEEEPiiNS8_4plusIiEEEE10hipError_tPvRmT1_T2_T3_mT4_P12ihipStream_tbEUlT_E0_NS1_11comp_targetILNS1_3genE2ELNS1_11target_archE906ELNS1_3gpuE6ELNS1_3repE0EEENS1_30default_config_static_selectorELNS0_4arch9wavefront6targetE1EEEvSK_.uses_flat_scratch, 0
	.set _ZN7rocprim17ROCPRIM_400000_NS6detail17trampoline_kernelINS0_14default_configENS1_22reduce_config_selectorIiEEZNS1_11reduce_implILb1ES3_N6thrust23THRUST_200600_302600_NS6detail15normal_iteratorINS8_10device_ptrIiEEEEPiiNS8_4plusIiEEEE10hipError_tPvRmT1_T2_T3_mT4_P12ihipStream_tbEUlT_E0_NS1_11comp_targetILNS1_3genE2ELNS1_11target_archE906ELNS1_3gpuE6ELNS1_3repE0EEENS1_30default_config_static_selectorELNS0_4arch9wavefront6targetE1EEEvSK_.has_dyn_sized_stack, 0
	.set _ZN7rocprim17ROCPRIM_400000_NS6detail17trampoline_kernelINS0_14default_configENS1_22reduce_config_selectorIiEEZNS1_11reduce_implILb1ES3_N6thrust23THRUST_200600_302600_NS6detail15normal_iteratorINS8_10device_ptrIiEEEEPiiNS8_4plusIiEEEE10hipError_tPvRmT1_T2_T3_mT4_P12ihipStream_tbEUlT_E0_NS1_11comp_targetILNS1_3genE2ELNS1_11target_archE906ELNS1_3gpuE6ELNS1_3repE0EEENS1_30default_config_static_selectorELNS0_4arch9wavefront6targetE1EEEvSK_.has_recursion, 0
	.set _ZN7rocprim17ROCPRIM_400000_NS6detail17trampoline_kernelINS0_14default_configENS1_22reduce_config_selectorIiEEZNS1_11reduce_implILb1ES3_N6thrust23THRUST_200600_302600_NS6detail15normal_iteratorINS8_10device_ptrIiEEEEPiiNS8_4plusIiEEEE10hipError_tPvRmT1_T2_T3_mT4_P12ihipStream_tbEUlT_E0_NS1_11comp_targetILNS1_3genE2ELNS1_11target_archE906ELNS1_3gpuE6ELNS1_3repE0EEENS1_30default_config_static_selectorELNS0_4arch9wavefront6targetE1EEEvSK_.has_indirect_call, 0
	.section	.AMDGPU.csdata,"",@progbits
; Kernel info:
; codeLenInByte = 0
; TotalNumSgprs: 6
; NumVgprs: 0
; NumAgprs: 0
; TotalNumVgprs: 0
; ScratchSize: 0
; MemoryBound: 0
; FloatMode: 240
; IeeeMode: 1
; LDSByteSize: 0 bytes/workgroup (compile time only)
; SGPRBlocks: 0
; VGPRBlocks: 0
; NumSGPRsForWavesPerEU: 6
; NumVGPRsForWavesPerEU: 1
; AccumOffset: 4
; Occupancy: 8
; WaveLimiterHint : 0
; COMPUTE_PGM_RSRC2:SCRATCH_EN: 0
; COMPUTE_PGM_RSRC2:USER_SGPR: 2
; COMPUTE_PGM_RSRC2:TRAP_HANDLER: 0
; COMPUTE_PGM_RSRC2:TGID_X_EN: 1
; COMPUTE_PGM_RSRC2:TGID_Y_EN: 0
; COMPUTE_PGM_RSRC2:TGID_Z_EN: 0
; COMPUTE_PGM_RSRC2:TIDIG_COMP_CNT: 0
; COMPUTE_PGM_RSRC3_GFX90A:ACCUM_OFFSET: 0
; COMPUTE_PGM_RSRC3_GFX90A:TG_SPLIT: 0
	.section	.text._ZN7rocprim17ROCPRIM_400000_NS6detail17trampoline_kernelINS0_14default_configENS1_22reduce_config_selectorIiEEZNS1_11reduce_implILb1ES3_N6thrust23THRUST_200600_302600_NS6detail15normal_iteratorINS8_10device_ptrIiEEEEPiiNS8_4plusIiEEEE10hipError_tPvRmT1_T2_T3_mT4_P12ihipStream_tbEUlT_E0_NS1_11comp_targetILNS1_3genE10ELNS1_11target_archE1201ELNS1_3gpuE5ELNS1_3repE0EEENS1_30default_config_static_selectorELNS0_4arch9wavefront6targetE1EEEvSK_,"axG",@progbits,_ZN7rocprim17ROCPRIM_400000_NS6detail17trampoline_kernelINS0_14default_configENS1_22reduce_config_selectorIiEEZNS1_11reduce_implILb1ES3_N6thrust23THRUST_200600_302600_NS6detail15normal_iteratorINS8_10device_ptrIiEEEEPiiNS8_4plusIiEEEE10hipError_tPvRmT1_T2_T3_mT4_P12ihipStream_tbEUlT_E0_NS1_11comp_targetILNS1_3genE10ELNS1_11target_archE1201ELNS1_3gpuE5ELNS1_3repE0EEENS1_30default_config_static_selectorELNS0_4arch9wavefront6targetE1EEEvSK_,comdat
	.protected	_ZN7rocprim17ROCPRIM_400000_NS6detail17trampoline_kernelINS0_14default_configENS1_22reduce_config_selectorIiEEZNS1_11reduce_implILb1ES3_N6thrust23THRUST_200600_302600_NS6detail15normal_iteratorINS8_10device_ptrIiEEEEPiiNS8_4plusIiEEEE10hipError_tPvRmT1_T2_T3_mT4_P12ihipStream_tbEUlT_E0_NS1_11comp_targetILNS1_3genE10ELNS1_11target_archE1201ELNS1_3gpuE5ELNS1_3repE0EEENS1_30default_config_static_selectorELNS0_4arch9wavefront6targetE1EEEvSK_ ; -- Begin function _ZN7rocprim17ROCPRIM_400000_NS6detail17trampoline_kernelINS0_14default_configENS1_22reduce_config_selectorIiEEZNS1_11reduce_implILb1ES3_N6thrust23THRUST_200600_302600_NS6detail15normal_iteratorINS8_10device_ptrIiEEEEPiiNS8_4plusIiEEEE10hipError_tPvRmT1_T2_T3_mT4_P12ihipStream_tbEUlT_E0_NS1_11comp_targetILNS1_3genE10ELNS1_11target_archE1201ELNS1_3gpuE5ELNS1_3repE0EEENS1_30default_config_static_selectorELNS0_4arch9wavefront6targetE1EEEvSK_
	.globl	_ZN7rocprim17ROCPRIM_400000_NS6detail17trampoline_kernelINS0_14default_configENS1_22reduce_config_selectorIiEEZNS1_11reduce_implILb1ES3_N6thrust23THRUST_200600_302600_NS6detail15normal_iteratorINS8_10device_ptrIiEEEEPiiNS8_4plusIiEEEE10hipError_tPvRmT1_T2_T3_mT4_P12ihipStream_tbEUlT_E0_NS1_11comp_targetILNS1_3genE10ELNS1_11target_archE1201ELNS1_3gpuE5ELNS1_3repE0EEENS1_30default_config_static_selectorELNS0_4arch9wavefront6targetE1EEEvSK_
	.p2align	8
	.type	_ZN7rocprim17ROCPRIM_400000_NS6detail17trampoline_kernelINS0_14default_configENS1_22reduce_config_selectorIiEEZNS1_11reduce_implILb1ES3_N6thrust23THRUST_200600_302600_NS6detail15normal_iteratorINS8_10device_ptrIiEEEEPiiNS8_4plusIiEEEE10hipError_tPvRmT1_T2_T3_mT4_P12ihipStream_tbEUlT_E0_NS1_11comp_targetILNS1_3genE10ELNS1_11target_archE1201ELNS1_3gpuE5ELNS1_3repE0EEENS1_30default_config_static_selectorELNS0_4arch9wavefront6targetE1EEEvSK_,@function
_ZN7rocprim17ROCPRIM_400000_NS6detail17trampoline_kernelINS0_14default_configENS1_22reduce_config_selectorIiEEZNS1_11reduce_implILb1ES3_N6thrust23THRUST_200600_302600_NS6detail15normal_iteratorINS8_10device_ptrIiEEEEPiiNS8_4plusIiEEEE10hipError_tPvRmT1_T2_T3_mT4_P12ihipStream_tbEUlT_E0_NS1_11comp_targetILNS1_3genE10ELNS1_11target_archE1201ELNS1_3gpuE5ELNS1_3repE0EEENS1_30default_config_static_selectorELNS0_4arch9wavefront6targetE1EEEvSK_: ; @_ZN7rocprim17ROCPRIM_400000_NS6detail17trampoline_kernelINS0_14default_configENS1_22reduce_config_selectorIiEEZNS1_11reduce_implILb1ES3_N6thrust23THRUST_200600_302600_NS6detail15normal_iteratorINS8_10device_ptrIiEEEEPiiNS8_4plusIiEEEE10hipError_tPvRmT1_T2_T3_mT4_P12ihipStream_tbEUlT_E0_NS1_11comp_targetILNS1_3genE10ELNS1_11target_archE1201ELNS1_3gpuE5ELNS1_3repE0EEENS1_30default_config_static_selectorELNS0_4arch9wavefront6targetE1EEEvSK_
; %bb.0:
	.section	.rodata,"a",@progbits
	.p2align	6, 0x0
	.amdhsa_kernel _ZN7rocprim17ROCPRIM_400000_NS6detail17trampoline_kernelINS0_14default_configENS1_22reduce_config_selectorIiEEZNS1_11reduce_implILb1ES3_N6thrust23THRUST_200600_302600_NS6detail15normal_iteratorINS8_10device_ptrIiEEEEPiiNS8_4plusIiEEEE10hipError_tPvRmT1_T2_T3_mT4_P12ihipStream_tbEUlT_E0_NS1_11comp_targetILNS1_3genE10ELNS1_11target_archE1201ELNS1_3gpuE5ELNS1_3repE0EEENS1_30default_config_static_selectorELNS0_4arch9wavefront6targetE1EEEvSK_
		.amdhsa_group_segment_fixed_size 0
		.amdhsa_private_segment_fixed_size 0
		.amdhsa_kernarg_size 56
		.amdhsa_user_sgpr_count 2
		.amdhsa_user_sgpr_dispatch_ptr 0
		.amdhsa_user_sgpr_queue_ptr 0
		.amdhsa_user_sgpr_kernarg_segment_ptr 1
		.amdhsa_user_sgpr_dispatch_id 0
		.amdhsa_user_sgpr_kernarg_preload_length 0
		.amdhsa_user_sgpr_kernarg_preload_offset 0
		.amdhsa_user_sgpr_private_segment_size 0
		.amdhsa_uses_dynamic_stack 0
		.amdhsa_enable_private_segment 0
		.amdhsa_system_sgpr_workgroup_id_x 1
		.amdhsa_system_sgpr_workgroup_id_y 0
		.amdhsa_system_sgpr_workgroup_id_z 0
		.amdhsa_system_sgpr_workgroup_info 0
		.amdhsa_system_vgpr_workitem_id 0
		.amdhsa_next_free_vgpr 1
		.amdhsa_next_free_sgpr 0
		.amdhsa_accum_offset 4
		.amdhsa_reserve_vcc 0
		.amdhsa_float_round_mode_32 0
		.amdhsa_float_round_mode_16_64 0
		.amdhsa_float_denorm_mode_32 3
		.amdhsa_float_denorm_mode_16_64 3
		.amdhsa_dx10_clamp 1
		.amdhsa_ieee_mode 1
		.amdhsa_fp16_overflow 0
		.amdhsa_tg_split 0
		.amdhsa_exception_fp_ieee_invalid_op 0
		.amdhsa_exception_fp_denorm_src 0
		.amdhsa_exception_fp_ieee_div_zero 0
		.amdhsa_exception_fp_ieee_overflow 0
		.amdhsa_exception_fp_ieee_underflow 0
		.amdhsa_exception_fp_ieee_inexact 0
		.amdhsa_exception_int_div_zero 0
	.end_amdhsa_kernel
	.section	.text._ZN7rocprim17ROCPRIM_400000_NS6detail17trampoline_kernelINS0_14default_configENS1_22reduce_config_selectorIiEEZNS1_11reduce_implILb1ES3_N6thrust23THRUST_200600_302600_NS6detail15normal_iteratorINS8_10device_ptrIiEEEEPiiNS8_4plusIiEEEE10hipError_tPvRmT1_T2_T3_mT4_P12ihipStream_tbEUlT_E0_NS1_11comp_targetILNS1_3genE10ELNS1_11target_archE1201ELNS1_3gpuE5ELNS1_3repE0EEENS1_30default_config_static_selectorELNS0_4arch9wavefront6targetE1EEEvSK_,"axG",@progbits,_ZN7rocprim17ROCPRIM_400000_NS6detail17trampoline_kernelINS0_14default_configENS1_22reduce_config_selectorIiEEZNS1_11reduce_implILb1ES3_N6thrust23THRUST_200600_302600_NS6detail15normal_iteratorINS8_10device_ptrIiEEEEPiiNS8_4plusIiEEEE10hipError_tPvRmT1_T2_T3_mT4_P12ihipStream_tbEUlT_E0_NS1_11comp_targetILNS1_3genE10ELNS1_11target_archE1201ELNS1_3gpuE5ELNS1_3repE0EEENS1_30default_config_static_selectorELNS0_4arch9wavefront6targetE1EEEvSK_,comdat
.Lfunc_end247:
	.size	_ZN7rocprim17ROCPRIM_400000_NS6detail17trampoline_kernelINS0_14default_configENS1_22reduce_config_selectorIiEEZNS1_11reduce_implILb1ES3_N6thrust23THRUST_200600_302600_NS6detail15normal_iteratorINS8_10device_ptrIiEEEEPiiNS8_4plusIiEEEE10hipError_tPvRmT1_T2_T3_mT4_P12ihipStream_tbEUlT_E0_NS1_11comp_targetILNS1_3genE10ELNS1_11target_archE1201ELNS1_3gpuE5ELNS1_3repE0EEENS1_30default_config_static_selectorELNS0_4arch9wavefront6targetE1EEEvSK_, .Lfunc_end247-_ZN7rocprim17ROCPRIM_400000_NS6detail17trampoline_kernelINS0_14default_configENS1_22reduce_config_selectorIiEEZNS1_11reduce_implILb1ES3_N6thrust23THRUST_200600_302600_NS6detail15normal_iteratorINS8_10device_ptrIiEEEEPiiNS8_4plusIiEEEE10hipError_tPvRmT1_T2_T3_mT4_P12ihipStream_tbEUlT_E0_NS1_11comp_targetILNS1_3genE10ELNS1_11target_archE1201ELNS1_3gpuE5ELNS1_3repE0EEENS1_30default_config_static_selectorELNS0_4arch9wavefront6targetE1EEEvSK_
                                        ; -- End function
	.set _ZN7rocprim17ROCPRIM_400000_NS6detail17trampoline_kernelINS0_14default_configENS1_22reduce_config_selectorIiEEZNS1_11reduce_implILb1ES3_N6thrust23THRUST_200600_302600_NS6detail15normal_iteratorINS8_10device_ptrIiEEEEPiiNS8_4plusIiEEEE10hipError_tPvRmT1_T2_T3_mT4_P12ihipStream_tbEUlT_E0_NS1_11comp_targetILNS1_3genE10ELNS1_11target_archE1201ELNS1_3gpuE5ELNS1_3repE0EEENS1_30default_config_static_selectorELNS0_4arch9wavefront6targetE1EEEvSK_.num_vgpr, 0
	.set _ZN7rocprim17ROCPRIM_400000_NS6detail17trampoline_kernelINS0_14default_configENS1_22reduce_config_selectorIiEEZNS1_11reduce_implILb1ES3_N6thrust23THRUST_200600_302600_NS6detail15normal_iteratorINS8_10device_ptrIiEEEEPiiNS8_4plusIiEEEE10hipError_tPvRmT1_T2_T3_mT4_P12ihipStream_tbEUlT_E0_NS1_11comp_targetILNS1_3genE10ELNS1_11target_archE1201ELNS1_3gpuE5ELNS1_3repE0EEENS1_30default_config_static_selectorELNS0_4arch9wavefront6targetE1EEEvSK_.num_agpr, 0
	.set _ZN7rocprim17ROCPRIM_400000_NS6detail17trampoline_kernelINS0_14default_configENS1_22reduce_config_selectorIiEEZNS1_11reduce_implILb1ES3_N6thrust23THRUST_200600_302600_NS6detail15normal_iteratorINS8_10device_ptrIiEEEEPiiNS8_4plusIiEEEE10hipError_tPvRmT1_T2_T3_mT4_P12ihipStream_tbEUlT_E0_NS1_11comp_targetILNS1_3genE10ELNS1_11target_archE1201ELNS1_3gpuE5ELNS1_3repE0EEENS1_30default_config_static_selectorELNS0_4arch9wavefront6targetE1EEEvSK_.numbered_sgpr, 0
	.set _ZN7rocprim17ROCPRIM_400000_NS6detail17trampoline_kernelINS0_14default_configENS1_22reduce_config_selectorIiEEZNS1_11reduce_implILb1ES3_N6thrust23THRUST_200600_302600_NS6detail15normal_iteratorINS8_10device_ptrIiEEEEPiiNS8_4plusIiEEEE10hipError_tPvRmT1_T2_T3_mT4_P12ihipStream_tbEUlT_E0_NS1_11comp_targetILNS1_3genE10ELNS1_11target_archE1201ELNS1_3gpuE5ELNS1_3repE0EEENS1_30default_config_static_selectorELNS0_4arch9wavefront6targetE1EEEvSK_.num_named_barrier, 0
	.set _ZN7rocprim17ROCPRIM_400000_NS6detail17trampoline_kernelINS0_14default_configENS1_22reduce_config_selectorIiEEZNS1_11reduce_implILb1ES3_N6thrust23THRUST_200600_302600_NS6detail15normal_iteratorINS8_10device_ptrIiEEEEPiiNS8_4plusIiEEEE10hipError_tPvRmT1_T2_T3_mT4_P12ihipStream_tbEUlT_E0_NS1_11comp_targetILNS1_3genE10ELNS1_11target_archE1201ELNS1_3gpuE5ELNS1_3repE0EEENS1_30default_config_static_selectorELNS0_4arch9wavefront6targetE1EEEvSK_.private_seg_size, 0
	.set _ZN7rocprim17ROCPRIM_400000_NS6detail17trampoline_kernelINS0_14default_configENS1_22reduce_config_selectorIiEEZNS1_11reduce_implILb1ES3_N6thrust23THRUST_200600_302600_NS6detail15normal_iteratorINS8_10device_ptrIiEEEEPiiNS8_4plusIiEEEE10hipError_tPvRmT1_T2_T3_mT4_P12ihipStream_tbEUlT_E0_NS1_11comp_targetILNS1_3genE10ELNS1_11target_archE1201ELNS1_3gpuE5ELNS1_3repE0EEENS1_30default_config_static_selectorELNS0_4arch9wavefront6targetE1EEEvSK_.uses_vcc, 0
	.set _ZN7rocprim17ROCPRIM_400000_NS6detail17trampoline_kernelINS0_14default_configENS1_22reduce_config_selectorIiEEZNS1_11reduce_implILb1ES3_N6thrust23THRUST_200600_302600_NS6detail15normal_iteratorINS8_10device_ptrIiEEEEPiiNS8_4plusIiEEEE10hipError_tPvRmT1_T2_T3_mT4_P12ihipStream_tbEUlT_E0_NS1_11comp_targetILNS1_3genE10ELNS1_11target_archE1201ELNS1_3gpuE5ELNS1_3repE0EEENS1_30default_config_static_selectorELNS0_4arch9wavefront6targetE1EEEvSK_.uses_flat_scratch, 0
	.set _ZN7rocprim17ROCPRIM_400000_NS6detail17trampoline_kernelINS0_14default_configENS1_22reduce_config_selectorIiEEZNS1_11reduce_implILb1ES3_N6thrust23THRUST_200600_302600_NS6detail15normal_iteratorINS8_10device_ptrIiEEEEPiiNS8_4plusIiEEEE10hipError_tPvRmT1_T2_T3_mT4_P12ihipStream_tbEUlT_E0_NS1_11comp_targetILNS1_3genE10ELNS1_11target_archE1201ELNS1_3gpuE5ELNS1_3repE0EEENS1_30default_config_static_selectorELNS0_4arch9wavefront6targetE1EEEvSK_.has_dyn_sized_stack, 0
	.set _ZN7rocprim17ROCPRIM_400000_NS6detail17trampoline_kernelINS0_14default_configENS1_22reduce_config_selectorIiEEZNS1_11reduce_implILb1ES3_N6thrust23THRUST_200600_302600_NS6detail15normal_iteratorINS8_10device_ptrIiEEEEPiiNS8_4plusIiEEEE10hipError_tPvRmT1_T2_T3_mT4_P12ihipStream_tbEUlT_E0_NS1_11comp_targetILNS1_3genE10ELNS1_11target_archE1201ELNS1_3gpuE5ELNS1_3repE0EEENS1_30default_config_static_selectorELNS0_4arch9wavefront6targetE1EEEvSK_.has_recursion, 0
	.set _ZN7rocprim17ROCPRIM_400000_NS6detail17trampoline_kernelINS0_14default_configENS1_22reduce_config_selectorIiEEZNS1_11reduce_implILb1ES3_N6thrust23THRUST_200600_302600_NS6detail15normal_iteratorINS8_10device_ptrIiEEEEPiiNS8_4plusIiEEEE10hipError_tPvRmT1_T2_T3_mT4_P12ihipStream_tbEUlT_E0_NS1_11comp_targetILNS1_3genE10ELNS1_11target_archE1201ELNS1_3gpuE5ELNS1_3repE0EEENS1_30default_config_static_selectorELNS0_4arch9wavefront6targetE1EEEvSK_.has_indirect_call, 0
	.section	.AMDGPU.csdata,"",@progbits
; Kernel info:
; codeLenInByte = 0
; TotalNumSgprs: 6
; NumVgprs: 0
; NumAgprs: 0
; TotalNumVgprs: 0
; ScratchSize: 0
; MemoryBound: 0
; FloatMode: 240
; IeeeMode: 1
; LDSByteSize: 0 bytes/workgroup (compile time only)
; SGPRBlocks: 0
; VGPRBlocks: 0
; NumSGPRsForWavesPerEU: 6
; NumVGPRsForWavesPerEU: 1
; AccumOffset: 4
; Occupancy: 8
; WaveLimiterHint : 0
; COMPUTE_PGM_RSRC2:SCRATCH_EN: 0
; COMPUTE_PGM_RSRC2:USER_SGPR: 2
; COMPUTE_PGM_RSRC2:TRAP_HANDLER: 0
; COMPUTE_PGM_RSRC2:TGID_X_EN: 1
; COMPUTE_PGM_RSRC2:TGID_Y_EN: 0
; COMPUTE_PGM_RSRC2:TGID_Z_EN: 0
; COMPUTE_PGM_RSRC2:TIDIG_COMP_CNT: 0
; COMPUTE_PGM_RSRC3_GFX90A:ACCUM_OFFSET: 0
; COMPUTE_PGM_RSRC3_GFX90A:TG_SPLIT: 0
	.section	.text._ZN7rocprim17ROCPRIM_400000_NS6detail17trampoline_kernelINS0_14default_configENS1_22reduce_config_selectorIiEEZNS1_11reduce_implILb1ES3_N6thrust23THRUST_200600_302600_NS6detail15normal_iteratorINS8_10device_ptrIiEEEEPiiNS8_4plusIiEEEE10hipError_tPvRmT1_T2_T3_mT4_P12ihipStream_tbEUlT_E0_NS1_11comp_targetILNS1_3genE10ELNS1_11target_archE1200ELNS1_3gpuE4ELNS1_3repE0EEENS1_30default_config_static_selectorELNS0_4arch9wavefront6targetE1EEEvSK_,"axG",@progbits,_ZN7rocprim17ROCPRIM_400000_NS6detail17trampoline_kernelINS0_14default_configENS1_22reduce_config_selectorIiEEZNS1_11reduce_implILb1ES3_N6thrust23THRUST_200600_302600_NS6detail15normal_iteratorINS8_10device_ptrIiEEEEPiiNS8_4plusIiEEEE10hipError_tPvRmT1_T2_T3_mT4_P12ihipStream_tbEUlT_E0_NS1_11comp_targetILNS1_3genE10ELNS1_11target_archE1200ELNS1_3gpuE4ELNS1_3repE0EEENS1_30default_config_static_selectorELNS0_4arch9wavefront6targetE1EEEvSK_,comdat
	.protected	_ZN7rocprim17ROCPRIM_400000_NS6detail17trampoline_kernelINS0_14default_configENS1_22reduce_config_selectorIiEEZNS1_11reduce_implILb1ES3_N6thrust23THRUST_200600_302600_NS6detail15normal_iteratorINS8_10device_ptrIiEEEEPiiNS8_4plusIiEEEE10hipError_tPvRmT1_T2_T3_mT4_P12ihipStream_tbEUlT_E0_NS1_11comp_targetILNS1_3genE10ELNS1_11target_archE1200ELNS1_3gpuE4ELNS1_3repE0EEENS1_30default_config_static_selectorELNS0_4arch9wavefront6targetE1EEEvSK_ ; -- Begin function _ZN7rocprim17ROCPRIM_400000_NS6detail17trampoline_kernelINS0_14default_configENS1_22reduce_config_selectorIiEEZNS1_11reduce_implILb1ES3_N6thrust23THRUST_200600_302600_NS6detail15normal_iteratorINS8_10device_ptrIiEEEEPiiNS8_4plusIiEEEE10hipError_tPvRmT1_T2_T3_mT4_P12ihipStream_tbEUlT_E0_NS1_11comp_targetILNS1_3genE10ELNS1_11target_archE1200ELNS1_3gpuE4ELNS1_3repE0EEENS1_30default_config_static_selectorELNS0_4arch9wavefront6targetE1EEEvSK_
	.globl	_ZN7rocprim17ROCPRIM_400000_NS6detail17trampoline_kernelINS0_14default_configENS1_22reduce_config_selectorIiEEZNS1_11reduce_implILb1ES3_N6thrust23THRUST_200600_302600_NS6detail15normal_iteratorINS8_10device_ptrIiEEEEPiiNS8_4plusIiEEEE10hipError_tPvRmT1_T2_T3_mT4_P12ihipStream_tbEUlT_E0_NS1_11comp_targetILNS1_3genE10ELNS1_11target_archE1200ELNS1_3gpuE4ELNS1_3repE0EEENS1_30default_config_static_selectorELNS0_4arch9wavefront6targetE1EEEvSK_
	.p2align	8
	.type	_ZN7rocprim17ROCPRIM_400000_NS6detail17trampoline_kernelINS0_14default_configENS1_22reduce_config_selectorIiEEZNS1_11reduce_implILb1ES3_N6thrust23THRUST_200600_302600_NS6detail15normal_iteratorINS8_10device_ptrIiEEEEPiiNS8_4plusIiEEEE10hipError_tPvRmT1_T2_T3_mT4_P12ihipStream_tbEUlT_E0_NS1_11comp_targetILNS1_3genE10ELNS1_11target_archE1200ELNS1_3gpuE4ELNS1_3repE0EEENS1_30default_config_static_selectorELNS0_4arch9wavefront6targetE1EEEvSK_,@function
_ZN7rocprim17ROCPRIM_400000_NS6detail17trampoline_kernelINS0_14default_configENS1_22reduce_config_selectorIiEEZNS1_11reduce_implILb1ES3_N6thrust23THRUST_200600_302600_NS6detail15normal_iteratorINS8_10device_ptrIiEEEEPiiNS8_4plusIiEEEE10hipError_tPvRmT1_T2_T3_mT4_P12ihipStream_tbEUlT_E0_NS1_11comp_targetILNS1_3genE10ELNS1_11target_archE1200ELNS1_3gpuE4ELNS1_3repE0EEENS1_30default_config_static_selectorELNS0_4arch9wavefront6targetE1EEEvSK_: ; @_ZN7rocprim17ROCPRIM_400000_NS6detail17trampoline_kernelINS0_14default_configENS1_22reduce_config_selectorIiEEZNS1_11reduce_implILb1ES3_N6thrust23THRUST_200600_302600_NS6detail15normal_iteratorINS8_10device_ptrIiEEEEPiiNS8_4plusIiEEEE10hipError_tPvRmT1_T2_T3_mT4_P12ihipStream_tbEUlT_E0_NS1_11comp_targetILNS1_3genE10ELNS1_11target_archE1200ELNS1_3gpuE4ELNS1_3repE0EEENS1_30default_config_static_selectorELNS0_4arch9wavefront6targetE1EEEvSK_
; %bb.0:
	.section	.rodata,"a",@progbits
	.p2align	6, 0x0
	.amdhsa_kernel _ZN7rocprim17ROCPRIM_400000_NS6detail17trampoline_kernelINS0_14default_configENS1_22reduce_config_selectorIiEEZNS1_11reduce_implILb1ES3_N6thrust23THRUST_200600_302600_NS6detail15normal_iteratorINS8_10device_ptrIiEEEEPiiNS8_4plusIiEEEE10hipError_tPvRmT1_T2_T3_mT4_P12ihipStream_tbEUlT_E0_NS1_11comp_targetILNS1_3genE10ELNS1_11target_archE1200ELNS1_3gpuE4ELNS1_3repE0EEENS1_30default_config_static_selectorELNS0_4arch9wavefront6targetE1EEEvSK_
		.amdhsa_group_segment_fixed_size 0
		.amdhsa_private_segment_fixed_size 0
		.amdhsa_kernarg_size 56
		.amdhsa_user_sgpr_count 2
		.amdhsa_user_sgpr_dispatch_ptr 0
		.amdhsa_user_sgpr_queue_ptr 0
		.amdhsa_user_sgpr_kernarg_segment_ptr 1
		.amdhsa_user_sgpr_dispatch_id 0
		.amdhsa_user_sgpr_kernarg_preload_length 0
		.amdhsa_user_sgpr_kernarg_preload_offset 0
		.amdhsa_user_sgpr_private_segment_size 0
		.amdhsa_uses_dynamic_stack 0
		.amdhsa_enable_private_segment 0
		.amdhsa_system_sgpr_workgroup_id_x 1
		.amdhsa_system_sgpr_workgroup_id_y 0
		.amdhsa_system_sgpr_workgroup_id_z 0
		.amdhsa_system_sgpr_workgroup_info 0
		.amdhsa_system_vgpr_workitem_id 0
		.amdhsa_next_free_vgpr 1
		.amdhsa_next_free_sgpr 0
		.amdhsa_accum_offset 4
		.amdhsa_reserve_vcc 0
		.amdhsa_float_round_mode_32 0
		.amdhsa_float_round_mode_16_64 0
		.amdhsa_float_denorm_mode_32 3
		.amdhsa_float_denorm_mode_16_64 3
		.amdhsa_dx10_clamp 1
		.amdhsa_ieee_mode 1
		.amdhsa_fp16_overflow 0
		.amdhsa_tg_split 0
		.amdhsa_exception_fp_ieee_invalid_op 0
		.amdhsa_exception_fp_denorm_src 0
		.amdhsa_exception_fp_ieee_div_zero 0
		.amdhsa_exception_fp_ieee_overflow 0
		.amdhsa_exception_fp_ieee_underflow 0
		.amdhsa_exception_fp_ieee_inexact 0
		.amdhsa_exception_int_div_zero 0
	.end_amdhsa_kernel
	.section	.text._ZN7rocprim17ROCPRIM_400000_NS6detail17trampoline_kernelINS0_14default_configENS1_22reduce_config_selectorIiEEZNS1_11reduce_implILb1ES3_N6thrust23THRUST_200600_302600_NS6detail15normal_iteratorINS8_10device_ptrIiEEEEPiiNS8_4plusIiEEEE10hipError_tPvRmT1_T2_T3_mT4_P12ihipStream_tbEUlT_E0_NS1_11comp_targetILNS1_3genE10ELNS1_11target_archE1200ELNS1_3gpuE4ELNS1_3repE0EEENS1_30default_config_static_selectorELNS0_4arch9wavefront6targetE1EEEvSK_,"axG",@progbits,_ZN7rocprim17ROCPRIM_400000_NS6detail17trampoline_kernelINS0_14default_configENS1_22reduce_config_selectorIiEEZNS1_11reduce_implILb1ES3_N6thrust23THRUST_200600_302600_NS6detail15normal_iteratorINS8_10device_ptrIiEEEEPiiNS8_4plusIiEEEE10hipError_tPvRmT1_T2_T3_mT4_P12ihipStream_tbEUlT_E0_NS1_11comp_targetILNS1_3genE10ELNS1_11target_archE1200ELNS1_3gpuE4ELNS1_3repE0EEENS1_30default_config_static_selectorELNS0_4arch9wavefront6targetE1EEEvSK_,comdat
.Lfunc_end248:
	.size	_ZN7rocprim17ROCPRIM_400000_NS6detail17trampoline_kernelINS0_14default_configENS1_22reduce_config_selectorIiEEZNS1_11reduce_implILb1ES3_N6thrust23THRUST_200600_302600_NS6detail15normal_iteratorINS8_10device_ptrIiEEEEPiiNS8_4plusIiEEEE10hipError_tPvRmT1_T2_T3_mT4_P12ihipStream_tbEUlT_E0_NS1_11comp_targetILNS1_3genE10ELNS1_11target_archE1200ELNS1_3gpuE4ELNS1_3repE0EEENS1_30default_config_static_selectorELNS0_4arch9wavefront6targetE1EEEvSK_, .Lfunc_end248-_ZN7rocprim17ROCPRIM_400000_NS6detail17trampoline_kernelINS0_14default_configENS1_22reduce_config_selectorIiEEZNS1_11reduce_implILb1ES3_N6thrust23THRUST_200600_302600_NS6detail15normal_iteratorINS8_10device_ptrIiEEEEPiiNS8_4plusIiEEEE10hipError_tPvRmT1_T2_T3_mT4_P12ihipStream_tbEUlT_E0_NS1_11comp_targetILNS1_3genE10ELNS1_11target_archE1200ELNS1_3gpuE4ELNS1_3repE0EEENS1_30default_config_static_selectorELNS0_4arch9wavefront6targetE1EEEvSK_
                                        ; -- End function
	.set _ZN7rocprim17ROCPRIM_400000_NS6detail17trampoline_kernelINS0_14default_configENS1_22reduce_config_selectorIiEEZNS1_11reduce_implILb1ES3_N6thrust23THRUST_200600_302600_NS6detail15normal_iteratorINS8_10device_ptrIiEEEEPiiNS8_4plusIiEEEE10hipError_tPvRmT1_T2_T3_mT4_P12ihipStream_tbEUlT_E0_NS1_11comp_targetILNS1_3genE10ELNS1_11target_archE1200ELNS1_3gpuE4ELNS1_3repE0EEENS1_30default_config_static_selectorELNS0_4arch9wavefront6targetE1EEEvSK_.num_vgpr, 0
	.set _ZN7rocprim17ROCPRIM_400000_NS6detail17trampoline_kernelINS0_14default_configENS1_22reduce_config_selectorIiEEZNS1_11reduce_implILb1ES3_N6thrust23THRUST_200600_302600_NS6detail15normal_iteratorINS8_10device_ptrIiEEEEPiiNS8_4plusIiEEEE10hipError_tPvRmT1_T2_T3_mT4_P12ihipStream_tbEUlT_E0_NS1_11comp_targetILNS1_3genE10ELNS1_11target_archE1200ELNS1_3gpuE4ELNS1_3repE0EEENS1_30default_config_static_selectorELNS0_4arch9wavefront6targetE1EEEvSK_.num_agpr, 0
	.set _ZN7rocprim17ROCPRIM_400000_NS6detail17trampoline_kernelINS0_14default_configENS1_22reduce_config_selectorIiEEZNS1_11reduce_implILb1ES3_N6thrust23THRUST_200600_302600_NS6detail15normal_iteratorINS8_10device_ptrIiEEEEPiiNS8_4plusIiEEEE10hipError_tPvRmT1_T2_T3_mT4_P12ihipStream_tbEUlT_E0_NS1_11comp_targetILNS1_3genE10ELNS1_11target_archE1200ELNS1_3gpuE4ELNS1_3repE0EEENS1_30default_config_static_selectorELNS0_4arch9wavefront6targetE1EEEvSK_.numbered_sgpr, 0
	.set _ZN7rocprim17ROCPRIM_400000_NS6detail17trampoline_kernelINS0_14default_configENS1_22reduce_config_selectorIiEEZNS1_11reduce_implILb1ES3_N6thrust23THRUST_200600_302600_NS6detail15normal_iteratorINS8_10device_ptrIiEEEEPiiNS8_4plusIiEEEE10hipError_tPvRmT1_T2_T3_mT4_P12ihipStream_tbEUlT_E0_NS1_11comp_targetILNS1_3genE10ELNS1_11target_archE1200ELNS1_3gpuE4ELNS1_3repE0EEENS1_30default_config_static_selectorELNS0_4arch9wavefront6targetE1EEEvSK_.num_named_barrier, 0
	.set _ZN7rocprim17ROCPRIM_400000_NS6detail17trampoline_kernelINS0_14default_configENS1_22reduce_config_selectorIiEEZNS1_11reduce_implILb1ES3_N6thrust23THRUST_200600_302600_NS6detail15normal_iteratorINS8_10device_ptrIiEEEEPiiNS8_4plusIiEEEE10hipError_tPvRmT1_T2_T3_mT4_P12ihipStream_tbEUlT_E0_NS1_11comp_targetILNS1_3genE10ELNS1_11target_archE1200ELNS1_3gpuE4ELNS1_3repE0EEENS1_30default_config_static_selectorELNS0_4arch9wavefront6targetE1EEEvSK_.private_seg_size, 0
	.set _ZN7rocprim17ROCPRIM_400000_NS6detail17trampoline_kernelINS0_14default_configENS1_22reduce_config_selectorIiEEZNS1_11reduce_implILb1ES3_N6thrust23THRUST_200600_302600_NS6detail15normal_iteratorINS8_10device_ptrIiEEEEPiiNS8_4plusIiEEEE10hipError_tPvRmT1_T2_T3_mT4_P12ihipStream_tbEUlT_E0_NS1_11comp_targetILNS1_3genE10ELNS1_11target_archE1200ELNS1_3gpuE4ELNS1_3repE0EEENS1_30default_config_static_selectorELNS0_4arch9wavefront6targetE1EEEvSK_.uses_vcc, 0
	.set _ZN7rocprim17ROCPRIM_400000_NS6detail17trampoline_kernelINS0_14default_configENS1_22reduce_config_selectorIiEEZNS1_11reduce_implILb1ES3_N6thrust23THRUST_200600_302600_NS6detail15normal_iteratorINS8_10device_ptrIiEEEEPiiNS8_4plusIiEEEE10hipError_tPvRmT1_T2_T3_mT4_P12ihipStream_tbEUlT_E0_NS1_11comp_targetILNS1_3genE10ELNS1_11target_archE1200ELNS1_3gpuE4ELNS1_3repE0EEENS1_30default_config_static_selectorELNS0_4arch9wavefront6targetE1EEEvSK_.uses_flat_scratch, 0
	.set _ZN7rocprim17ROCPRIM_400000_NS6detail17trampoline_kernelINS0_14default_configENS1_22reduce_config_selectorIiEEZNS1_11reduce_implILb1ES3_N6thrust23THRUST_200600_302600_NS6detail15normal_iteratorINS8_10device_ptrIiEEEEPiiNS8_4plusIiEEEE10hipError_tPvRmT1_T2_T3_mT4_P12ihipStream_tbEUlT_E0_NS1_11comp_targetILNS1_3genE10ELNS1_11target_archE1200ELNS1_3gpuE4ELNS1_3repE0EEENS1_30default_config_static_selectorELNS0_4arch9wavefront6targetE1EEEvSK_.has_dyn_sized_stack, 0
	.set _ZN7rocprim17ROCPRIM_400000_NS6detail17trampoline_kernelINS0_14default_configENS1_22reduce_config_selectorIiEEZNS1_11reduce_implILb1ES3_N6thrust23THRUST_200600_302600_NS6detail15normal_iteratorINS8_10device_ptrIiEEEEPiiNS8_4plusIiEEEE10hipError_tPvRmT1_T2_T3_mT4_P12ihipStream_tbEUlT_E0_NS1_11comp_targetILNS1_3genE10ELNS1_11target_archE1200ELNS1_3gpuE4ELNS1_3repE0EEENS1_30default_config_static_selectorELNS0_4arch9wavefront6targetE1EEEvSK_.has_recursion, 0
	.set _ZN7rocprim17ROCPRIM_400000_NS6detail17trampoline_kernelINS0_14default_configENS1_22reduce_config_selectorIiEEZNS1_11reduce_implILb1ES3_N6thrust23THRUST_200600_302600_NS6detail15normal_iteratorINS8_10device_ptrIiEEEEPiiNS8_4plusIiEEEE10hipError_tPvRmT1_T2_T3_mT4_P12ihipStream_tbEUlT_E0_NS1_11comp_targetILNS1_3genE10ELNS1_11target_archE1200ELNS1_3gpuE4ELNS1_3repE0EEENS1_30default_config_static_selectorELNS0_4arch9wavefront6targetE1EEEvSK_.has_indirect_call, 0
	.section	.AMDGPU.csdata,"",@progbits
; Kernel info:
; codeLenInByte = 0
; TotalNumSgprs: 6
; NumVgprs: 0
; NumAgprs: 0
; TotalNumVgprs: 0
; ScratchSize: 0
; MemoryBound: 0
; FloatMode: 240
; IeeeMode: 1
; LDSByteSize: 0 bytes/workgroup (compile time only)
; SGPRBlocks: 0
; VGPRBlocks: 0
; NumSGPRsForWavesPerEU: 6
; NumVGPRsForWavesPerEU: 1
; AccumOffset: 4
; Occupancy: 8
; WaveLimiterHint : 0
; COMPUTE_PGM_RSRC2:SCRATCH_EN: 0
; COMPUTE_PGM_RSRC2:USER_SGPR: 2
; COMPUTE_PGM_RSRC2:TRAP_HANDLER: 0
; COMPUTE_PGM_RSRC2:TGID_X_EN: 1
; COMPUTE_PGM_RSRC2:TGID_Y_EN: 0
; COMPUTE_PGM_RSRC2:TGID_Z_EN: 0
; COMPUTE_PGM_RSRC2:TIDIG_COMP_CNT: 0
; COMPUTE_PGM_RSRC3_GFX90A:ACCUM_OFFSET: 0
; COMPUTE_PGM_RSRC3_GFX90A:TG_SPLIT: 0
	.section	.text._ZN7rocprim17ROCPRIM_400000_NS6detail17trampoline_kernelINS0_14default_configENS1_22reduce_config_selectorIiEEZNS1_11reduce_implILb1ES3_N6thrust23THRUST_200600_302600_NS6detail15normal_iteratorINS8_10device_ptrIiEEEEPiiNS8_4plusIiEEEE10hipError_tPvRmT1_T2_T3_mT4_P12ihipStream_tbEUlT_E0_NS1_11comp_targetILNS1_3genE9ELNS1_11target_archE1100ELNS1_3gpuE3ELNS1_3repE0EEENS1_30default_config_static_selectorELNS0_4arch9wavefront6targetE1EEEvSK_,"axG",@progbits,_ZN7rocprim17ROCPRIM_400000_NS6detail17trampoline_kernelINS0_14default_configENS1_22reduce_config_selectorIiEEZNS1_11reduce_implILb1ES3_N6thrust23THRUST_200600_302600_NS6detail15normal_iteratorINS8_10device_ptrIiEEEEPiiNS8_4plusIiEEEE10hipError_tPvRmT1_T2_T3_mT4_P12ihipStream_tbEUlT_E0_NS1_11comp_targetILNS1_3genE9ELNS1_11target_archE1100ELNS1_3gpuE3ELNS1_3repE0EEENS1_30default_config_static_selectorELNS0_4arch9wavefront6targetE1EEEvSK_,comdat
	.protected	_ZN7rocprim17ROCPRIM_400000_NS6detail17trampoline_kernelINS0_14default_configENS1_22reduce_config_selectorIiEEZNS1_11reduce_implILb1ES3_N6thrust23THRUST_200600_302600_NS6detail15normal_iteratorINS8_10device_ptrIiEEEEPiiNS8_4plusIiEEEE10hipError_tPvRmT1_T2_T3_mT4_P12ihipStream_tbEUlT_E0_NS1_11comp_targetILNS1_3genE9ELNS1_11target_archE1100ELNS1_3gpuE3ELNS1_3repE0EEENS1_30default_config_static_selectorELNS0_4arch9wavefront6targetE1EEEvSK_ ; -- Begin function _ZN7rocprim17ROCPRIM_400000_NS6detail17trampoline_kernelINS0_14default_configENS1_22reduce_config_selectorIiEEZNS1_11reduce_implILb1ES3_N6thrust23THRUST_200600_302600_NS6detail15normal_iteratorINS8_10device_ptrIiEEEEPiiNS8_4plusIiEEEE10hipError_tPvRmT1_T2_T3_mT4_P12ihipStream_tbEUlT_E0_NS1_11comp_targetILNS1_3genE9ELNS1_11target_archE1100ELNS1_3gpuE3ELNS1_3repE0EEENS1_30default_config_static_selectorELNS0_4arch9wavefront6targetE1EEEvSK_
	.globl	_ZN7rocprim17ROCPRIM_400000_NS6detail17trampoline_kernelINS0_14default_configENS1_22reduce_config_selectorIiEEZNS1_11reduce_implILb1ES3_N6thrust23THRUST_200600_302600_NS6detail15normal_iteratorINS8_10device_ptrIiEEEEPiiNS8_4plusIiEEEE10hipError_tPvRmT1_T2_T3_mT4_P12ihipStream_tbEUlT_E0_NS1_11comp_targetILNS1_3genE9ELNS1_11target_archE1100ELNS1_3gpuE3ELNS1_3repE0EEENS1_30default_config_static_selectorELNS0_4arch9wavefront6targetE1EEEvSK_
	.p2align	8
	.type	_ZN7rocprim17ROCPRIM_400000_NS6detail17trampoline_kernelINS0_14default_configENS1_22reduce_config_selectorIiEEZNS1_11reduce_implILb1ES3_N6thrust23THRUST_200600_302600_NS6detail15normal_iteratorINS8_10device_ptrIiEEEEPiiNS8_4plusIiEEEE10hipError_tPvRmT1_T2_T3_mT4_P12ihipStream_tbEUlT_E0_NS1_11comp_targetILNS1_3genE9ELNS1_11target_archE1100ELNS1_3gpuE3ELNS1_3repE0EEENS1_30default_config_static_selectorELNS0_4arch9wavefront6targetE1EEEvSK_,@function
_ZN7rocprim17ROCPRIM_400000_NS6detail17trampoline_kernelINS0_14default_configENS1_22reduce_config_selectorIiEEZNS1_11reduce_implILb1ES3_N6thrust23THRUST_200600_302600_NS6detail15normal_iteratorINS8_10device_ptrIiEEEEPiiNS8_4plusIiEEEE10hipError_tPvRmT1_T2_T3_mT4_P12ihipStream_tbEUlT_E0_NS1_11comp_targetILNS1_3genE9ELNS1_11target_archE1100ELNS1_3gpuE3ELNS1_3repE0EEENS1_30default_config_static_selectorELNS0_4arch9wavefront6targetE1EEEvSK_: ; @_ZN7rocprim17ROCPRIM_400000_NS6detail17trampoline_kernelINS0_14default_configENS1_22reduce_config_selectorIiEEZNS1_11reduce_implILb1ES3_N6thrust23THRUST_200600_302600_NS6detail15normal_iteratorINS8_10device_ptrIiEEEEPiiNS8_4plusIiEEEE10hipError_tPvRmT1_T2_T3_mT4_P12ihipStream_tbEUlT_E0_NS1_11comp_targetILNS1_3genE9ELNS1_11target_archE1100ELNS1_3gpuE3ELNS1_3repE0EEENS1_30default_config_static_selectorELNS0_4arch9wavefront6targetE1EEEvSK_
; %bb.0:
	.section	.rodata,"a",@progbits
	.p2align	6, 0x0
	.amdhsa_kernel _ZN7rocprim17ROCPRIM_400000_NS6detail17trampoline_kernelINS0_14default_configENS1_22reduce_config_selectorIiEEZNS1_11reduce_implILb1ES3_N6thrust23THRUST_200600_302600_NS6detail15normal_iteratorINS8_10device_ptrIiEEEEPiiNS8_4plusIiEEEE10hipError_tPvRmT1_T2_T3_mT4_P12ihipStream_tbEUlT_E0_NS1_11comp_targetILNS1_3genE9ELNS1_11target_archE1100ELNS1_3gpuE3ELNS1_3repE0EEENS1_30default_config_static_selectorELNS0_4arch9wavefront6targetE1EEEvSK_
		.amdhsa_group_segment_fixed_size 0
		.amdhsa_private_segment_fixed_size 0
		.amdhsa_kernarg_size 56
		.amdhsa_user_sgpr_count 2
		.amdhsa_user_sgpr_dispatch_ptr 0
		.amdhsa_user_sgpr_queue_ptr 0
		.amdhsa_user_sgpr_kernarg_segment_ptr 1
		.amdhsa_user_sgpr_dispatch_id 0
		.amdhsa_user_sgpr_kernarg_preload_length 0
		.amdhsa_user_sgpr_kernarg_preload_offset 0
		.amdhsa_user_sgpr_private_segment_size 0
		.amdhsa_uses_dynamic_stack 0
		.amdhsa_enable_private_segment 0
		.amdhsa_system_sgpr_workgroup_id_x 1
		.amdhsa_system_sgpr_workgroup_id_y 0
		.amdhsa_system_sgpr_workgroup_id_z 0
		.amdhsa_system_sgpr_workgroup_info 0
		.amdhsa_system_vgpr_workitem_id 0
		.amdhsa_next_free_vgpr 1
		.amdhsa_next_free_sgpr 0
		.amdhsa_accum_offset 4
		.amdhsa_reserve_vcc 0
		.amdhsa_float_round_mode_32 0
		.amdhsa_float_round_mode_16_64 0
		.amdhsa_float_denorm_mode_32 3
		.amdhsa_float_denorm_mode_16_64 3
		.amdhsa_dx10_clamp 1
		.amdhsa_ieee_mode 1
		.amdhsa_fp16_overflow 0
		.amdhsa_tg_split 0
		.amdhsa_exception_fp_ieee_invalid_op 0
		.amdhsa_exception_fp_denorm_src 0
		.amdhsa_exception_fp_ieee_div_zero 0
		.amdhsa_exception_fp_ieee_overflow 0
		.amdhsa_exception_fp_ieee_underflow 0
		.amdhsa_exception_fp_ieee_inexact 0
		.amdhsa_exception_int_div_zero 0
	.end_amdhsa_kernel
	.section	.text._ZN7rocprim17ROCPRIM_400000_NS6detail17trampoline_kernelINS0_14default_configENS1_22reduce_config_selectorIiEEZNS1_11reduce_implILb1ES3_N6thrust23THRUST_200600_302600_NS6detail15normal_iteratorINS8_10device_ptrIiEEEEPiiNS8_4plusIiEEEE10hipError_tPvRmT1_T2_T3_mT4_P12ihipStream_tbEUlT_E0_NS1_11comp_targetILNS1_3genE9ELNS1_11target_archE1100ELNS1_3gpuE3ELNS1_3repE0EEENS1_30default_config_static_selectorELNS0_4arch9wavefront6targetE1EEEvSK_,"axG",@progbits,_ZN7rocprim17ROCPRIM_400000_NS6detail17trampoline_kernelINS0_14default_configENS1_22reduce_config_selectorIiEEZNS1_11reduce_implILb1ES3_N6thrust23THRUST_200600_302600_NS6detail15normal_iteratorINS8_10device_ptrIiEEEEPiiNS8_4plusIiEEEE10hipError_tPvRmT1_T2_T3_mT4_P12ihipStream_tbEUlT_E0_NS1_11comp_targetILNS1_3genE9ELNS1_11target_archE1100ELNS1_3gpuE3ELNS1_3repE0EEENS1_30default_config_static_selectorELNS0_4arch9wavefront6targetE1EEEvSK_,comdat
.Lfunc_end249:
	.size	_ZN7rocprim17ROCPRIM_400000_NS6detail17trampoline_kernelINS0_14default_configENS1_22reduce_config_selectorIiEEZNS1_11reduce_implILb1ES3_N6thrust23THRUST_200600_302600_NS6detail15normal_iteratorINS8_10device_ptrIiEEEEPiiNS8_4plusIiEEEE10hipError_tPvRmT1_T2_T3_mT4_P12ihipStream_tbEUlT_E0_NS1_11comp_targetILNS1_3genE9ELNS1_11target_archE1100ELNS1_3gpuE3ELNS1_3repE0EEENS1_30default_config_static_selectorELNS0_4arch9wavefront6targetE1EEEvSK_, .Lfunc_end249-_ZN7rocprim17ROCPRIM_400000_NS6detail17trampoline_kernelINS0_14default_configENS1_22reduce_config_selectorIiEEZNS1_11reduce_implILb1ES3_N6thrust23THRUST_200600_302600_NS6detail15normal_iteratorINS8_10device_ptrIiEEEEPiiNS8_4plusIiEEEE10hipError_tPvRmT1_T2_T3_mT4_P12ihipStream_tbEUlT_E0_NS1_11comp_targetILNS1_3genE9ELNS1_11target_archE1100ELNS1_3gpuE3ELNS1_3repE0EEENS1_30default_config_static_selectorELNS0_4arch9wavefront6targetE1EEEvSK_
                                        ; -- End function
	.set _ZN7rocprim17ROCPRIM_400000_NS6detail17trampoline_kernelINS0_14default_configENS1_22reduce_config_selectorIiEEZNS1_11reduce_implILb1ES3_N6thrust23THRUST_200600_302600_NS6detail15normal_iteratorINS8_10device_ptrIiEEEEPiiNS8_4plusIiEEEE10hipError_tPvRmT1_T2_T3_mT4_P12ihipStream_tbEUlT_E0_NS1_11comp_targetILNS1_3genE9ELNS1_11target_archE1100ELNS1_3gpuE3ELNS1_3repE0EEENS1_30default_config_static_selectorELNS0_4arch9wavefront6targetE1EEEvSK_.num_vgpr, 0
	.set _ZN7rocprim17ROCPRIM_400000_NS6detail17trampoline_kernelINS0_14default_configENS1_22reduce_config_selectorIiEEZNS1_11reduce_implILb1ES3_N6thrust23THRUST_200600_302600_NS6detail15normal_iteratorINS8_10device_ptrIiEEEEPiiNS8_4plusIiEEEE10hipError_tPvRmT1_T2_T3_mT4_P12ihipStream_tbEUlT_E0_NS1_11comp_targetILNS1_3genE9ELNS1_11target_archE1100ELNS1_3gpuE3ELNS1_3repE0EEENS1_30default_config_static_selectorELNS0_4arch9wavefront6targetE1EEEvSK_.num_agpr, 0
	.set _ZN7rocprim17ROCPRIM_400000_NS6detail17trampoline_kernelINS0_14default_configENS1_22reduce_config_selectorIiEEZNS1_11reduce_implILb1ES3_N6thrust23THRUST_200600_302600_NS6detail15normal_iteratorINS8_10device_ptrIiEEEEPiiNS8_4plusIiEEEE10hipError_tPvRmT1_T2_T3_mT4_P12ihipStream_tbEUlT_E0_NS1_11comp_targetILNS1_3genE9ELNS1_11target_archE1100ELNS1_3gpuE3ELNS1_3repE0EEENS1_30default_config_static_selectorELNS0_4arch9wavefront6targetE1EEEvSK_.numbered_sgpr, 0
	.set _ZN7rocprim17ROCPRIM_400000_NS6detail17trampoline_kernelINS0_14default_configENS1_22reduce_config_selectorIiEEZNS1_11reduce_implILb1ES3_N6thrust23THRUST_200600_302600_NS6detail15normal_iteratorINS8_10device_ptrIiEEEEPiiNS8_4plusIiEEEE10hipError_tPvRmT1_T2_T3_mT4_P12ihipStream_tbEUlT_E0_NS1_11comp_targetILNS1_3genE9ELNS1_11target_archE1100ELNS1_3gpuE3ELNS1_3repE0EEENS1_30default_config_static_selectorELNS0_4arch9wavefront6targetE1EEEvSK_.num_named_barrier, 0
	.set _ZN7rocprim17ROCPRIM_400000_NS6detail17trampoline_kernelINS0_14default_configENS1_22reduce_config_selectorIiEEZNS1_11reduce_implILb1ES3_N6thrust23THRUST_200600_302600_NS6detail15normal_iteratorINS8_10device_ptrIiEEEEPiiNS8_4plusIiEEEE10hipError_tPvRmT1_T2_T3_mT4_P12ihipStream_tbEUlT_E0_NS1_11comp_targetILNS1_3genE9ELNS1_11target_archE1100ELNS1_3gpuE3ELNS1_3repE0EEENS1_30default_config_static_selectorELNS0_4arch9wavefront6targetE1EEEvSK_.private_seg_size, 0
	.set _ZN7rocprim17ROCPRIM_400000_NS6detail17trampoline_kernelINS0_14default_configENS1_22reduce_config_selectorIiEEZNS1_11reduce_implILb1ES3_N6thrust23THRUST_200600_302600_NS6detail15normal_iteratorINS8_10device_ptrIiEEEEPiiNS8_4plusIiEEEE10hipError_tPvRmT1_T2_T3_mT4_P12ihipStream_tbEUlT_E0_NS1_11comp_targetILNS1_3genE9ELNS1_11target_archE1100ELNS1_3gpuE3ELNS1_3repE0EEENS1_30default_config_static_selectorELNS0_4arch9wavefront6targetE1EEEvSK_.uses_vcc, 0
	.set _ZN7rocprim17ROCPRIM_400000_NS6detail17trampoline_kernelINS0_14default_configENS1_22reduce_config_selectorIiEEZNS1_11reduce_implILb1ES3_N6thrust23THRUST_200600_302600_NS6detail15normal_iteratorINS8_10device_ptrIiEEEEPiiNS8_4plusIiEEEE10hipError_tPvRmT1_T2_T3_mT4_P12ihipStream_tbEUlT_E0_NS1_11comp_targetILNS1_3genE9ELNS1_11target_archE1100ELNS1_3gpuE3ELNS1_3repE0EEENS1_30default_config_static_selectorELNS0_4arch9wavefront6targetE1EEEvSK_.uses_flat_scratch, 0
	.set _ZN7rocprim17ROCPRIM_400000_NS6detail17trampoline_kernelINS0_14default_configENS1_22reduce_config_selectorIiEEZNS1_11reduce_implILb1ES3_N6thrust23THRUST_200600_302600_NS6detail15normal_iteratorINS8_10device_ptrIiEEEEPiiNS8_4plusIiEEEE10hipError_tPvRmT1_T2_T3_mT4_P12ihipStream_tbEUlT_E0_NS1_11comp_targetILNS1_3genE9ELNS1_11target_archE1100ELNS1_3gpuE3ELNS1_3repE0EEENS1_30default_config_static_selectorELNS0_4arch9wavefront6targetE1EEEvSK_.has_dyn_sized_stack, 0
	.set _ZN7rocprim17ROCPRIM_400000_NS6detail17trampoline_kernelINS0_14default_configENS1_22reduce_config_selectorIiEEZNS1_11reduce_implILb1ES3_N6thrust23THRUST_200600_302600_NS6detail15normal_iteratorINS8_10device_ptrIiEEEEPiiNS8_4plusIiEEEE10hipError_tPvRmT1_T2_T3_mT4_P12ihipStream_tbEUlT_E0_NS1_11comp_targetILNS1_3genE9ELNS1_11target_archE1100ELNS1_3gpuE3ELNS1_3repE0EEENS1_30default_config_static_selectorELNS0_4arch9wavefront6targetE1EEEvSK_.has_recursion, 0
	.set _ZN7rocprim17ROCPRIM_400000_NS6detail17trampoline_kernelINS0_14default_configENS1_22reduce_config_selectorIiEEZNS1_11reduce_implILb1ES3_N6thrust23THRUST_200600_302600_NS6detail15normal_iteratorINS8_10device_ptrIiEEEEPiiNS8_4plusIiEEEE10hipError_tPvRmT1_T2_T3_mT4_P12ihipStream_tbEUlT_E0_NS1_11comp_targetILNS1_3genE9ELNS1_11target_archE1100ELNS1_3gpuE3ELNS1_3repE0EEENS1_30default_config_static_selectorELNS0_4arch9wavefront6targetE1EEEvSK_.has_indirect_call, 0
	.section	.AMDGPU.csdata,"",@progbits
; Kernel info:
; codeLenInByte = 0
; TotalNumSgprs: 6
; NumVgprs: 0
; NumAgprs: 0
; TotalNumVgprs: 0
; ScratchSize: 0
; MemoryBound: 0
; FloatMode: 240
; IeeeMode: 1
; LDSByteSize: 0 bytes/workgroup (compile time only)
; SGPRBlocks: 0
; VGPRBlocks: 0
; NumSGPRsForWavesPerEU: 6
; NumVGPRsForWavesPerEU: 1
; AccumOffset: 4
; Occupancy: 8
; WaveLimiterHint : 0
; COMPUTE_PGM_RSRC2:SCRATCH_EN: 0
; COMPUTE_PGM_RSRC2:USER_SGPR: 2
; COMPUTE_PGM_RSRC2:TRAP_HANDLER: 0
; COMPUTE_PGM_RSRC2:TGID_X_EN: 1
; COMPUTE_PGM_RSRC2:TGID_Y_EN: 0
; COMPUTE_PGM_RSRC2:TGID_Z_EN: 0
; COMPUTE_PGM_RSRC2:TIDIG_COMP_CNT: 0
; COMPUTE_PGM_RSRC3_GFX90A:ACCUM_OFFSET: 0
; COMPUTE_PGM_RSRC3_GFX90A:TG_SPLIT: 0
	.section	.text._ZN7rocprim17ROCPRIM_400000_NS6detail17trampoline_kernelINS0_14default_configENS1_22reduce_config_selectorIiEEZNS1_11reduce_implILb1ES3_N6thrust23THRUST_200600_302600_NS6detail15normal_iteratorINS8_10device_ptrIiEEEEPiiNS8_4plusIiEEEE10hipError_tPvRmT1_T2_T3_mT4_P12ihipStream_tbEUlT_E0_NS1_11comp_targetILNS1_3genE8ELNS1_11target_archE1030ELNS1_3gpuE2ELNS1_3repE0EEENS1_30default_config_static_selectorELNS0_4arch9wavefront6targetE1EEEvSK_,"axG",@progbits,_ZN7rocprim17ROCPRIM_400000_NS6detail17trampoline_kernelINS0_14default_configENS1_22reduce_config_selectorIiEEZNS1_11reduce_implILb1ES3_N6thrust23THRUST_200600_302600_NS6detail15normal_iteratorINS8_10device_ptrIiEEEEPiiNS8_4plusIiEEEE10hipError_tPvRmT1_T2_T3_mT4_P12ihipStream_tbEUlT_E0_NS1_11comp_targetILNS1_3genE8ELNS1_11target_archE1030ELNS1_3gpuE2ELNS1_3repE0EEENS1_30default_config_static_selectorELNS0_4arch9wavefront6targetE1EEEvSK_,comdat
	.protected	_ZN7rocprim17ROCPRIM_400000_NS6detail17trampoline_kernelINS0_14default_configENS1_22reduce_config_selectorIiEEZNS1_11reduce_implILb1ES3_N6thrust23THRUST_200600_302600_NS6detail15normal_iteratorINS8_10device_ptrIiEEEEPiiNS8_4plusIiEEEE10hipError_tPvRmT1_T2_T3_mT4_P12ihipStream_tbEUlT_E0_NS1_11comp_targetILNS1_3genE8ELNS1_11target_archE1030ELNS1_3gpuE2ELNS1_3repE0EEENS1_30default_config_static_selectorELNS0_4arch9wavefront6targetE1EEEvSK_ ; -- Begin function _ZN7rocprim17ROCPRIM_400000_NS6detail17trampoline_kernelINS0_14default_configENS1_22reduce_config_selectorIiEEZNS1_11reduce_implILb1ES3_N6thrust23THRUST_200600_302600_NS6detail15normal_iteratorINS8_10device_ptrIiEEEEPiiNS8_4plusIiEEEE10hipError_tPvRmT1_T2_T3_mT4_P12ihipStream_tbEUlT_E0_NS1_11comp_targetILNS1_3genE8ELNS1_11target_archE1030ELNS1_3gpuE2ELNS1_3repE0EEENS1_30default_config_static_selectorELNS0_4arch9wavefront6targetE1EEEvSK_
	.globl	_ZN7rocprim17ROCPRIM_400000_NS6detail17trampoline_kernelINS0_14default_configENS1_22reduce_config_selectorIiEEZNS1_11reduce_implILb1ES3_N6thrust23THRUST_200600_302600_NS6detail15normal_iteratorINS8_10device_ptrIiEEEEPiiNS8_4plusIiEEEE10hipError_tPvRmT1_T2_T3_mT4_P12ihipStream_tbEUlT_E0_NS1_11comp_targetILNS1_3genE8ELNS1_11target_archE1030ELNS1_3gpuE2ELNS1_3repE0EEENS1_30default_config_static_selectorELNS0_4arch9wavefront6targetE1EEEvSK_
	.p2align	8
	.type	_ZN7rocprim17ROCPRIM_400000_NS6detail17trampoline_kernelINS0_14default_configENS1_22reduce_config_selectorIiEEZNS1_11reduce_implILb1ES3_N6thrust23THRUST_200600_302600_NS6detail15normal_iteratorINS8_10device_ptrIiEEEEPiiNS8_4plusIiEEEE10hipError_tPvRmT1_T2_T3_mT4_P12ihipStream_tbEUlT_E0_NS1_11comp_targetILNS1_3genE8ELNS1_11target_archE1030ELNS1_3gpuE2ELNS1_3repE0EEENS1_30default_config_static_selectorELNS0_4arch9wavefront6targetE1EEEvSK_,@function
_ZN7rocprim17ROCPRIM_400000_NS6detail17trampoline_kernelINS0_14default_configENS1_22reduce_config_selectorIiEEZNS1_11reduce_implILb1ES3_N6thrust23THRUST_200600_302600_NS6detail15normal_iteratorINS8_10device_ptrIiEEEEPiiNS8_4plusIiEEEE10hipError_tPvRmT1_T2_T3_mT4_P12ihipStream_tbEUlT_E0_NS1_11comp_targetILNS1_3genE8ELNS1_11target_archE1030ELNS1_3gpuE2ELNS1_3repE0EEENS1_30default_config_static_selectorELNS0_4arch9wavefront6targetE1EEEvSK_: ; @_ZN7rocprim17ROCPRIM_400000_NS6detail17trampoline_kernelINS0_14default_configENS1_22reduce_config_selectorIiEEZNS1_11reduce_implILb1ES3_N6thrust23THRUST_200600_302600_NS6detail15normal_iteratorINS8_10device_ptrIiEEEEPiiNS8_4plusIiEEEE10hipError_tPvRmT1_T2_T3_mT4_P12ihipStream_tbEUlT_E0_NS1_11comp_targetILNS1_3genE8ELNS1_11target_archE1030ELNS1_3gpuE2ELNS1_3repE0EEENS1_30default_config_static_selectorELNS0_4arch9wavefront6targetE1EEEvSK_
; %bb.0:
	.section	.rodata,"a",@progbits
	.p2align	6, 0x0
	.amdhsa_kernel _ZN7rocprim17ROCPRIM_400000_NS6detail17trampoline_kernelINS0_14default_configENS1_22reduce_config_selectorIiEEZNS1_11reduce_implILb1ES3_N6thrust23THRUST_200600_302600_NS6detail15normal_iteratorINS8_10device_ptrIiEEEEPiiNS8_4plusIiEEEE10hipError_tPvRmT1_T2_T3_mT4_P12ihipStream_tbEUlT_E0_NS1_11comp_targetILNS1_3genE8ELNS1_11target_archE1030ELNS1_3gpuE2ELNS1_3repE0EEENS1_30default_config_static_selectorELNS0_4arch9wavefront6targetE1EEEvSK_
		.amdhsa_group_segment_fixed_size 0
		.amdhsa_private_segment_fixed_size 0
		.amdhsa_kernarg_size 56
		.amdhsa_user_sgpr_count 2
		.amdhsa_user_sgpr_dispatch_ptr 0
		.amdhsa_user_sgpr_queue_ptr 0
		.amdhsa_user_sgpr_kernarg_segment_ptr 1
		.amdhsa_user_sgpr_dispatch_id 0
		.amdhsa_user_sgpr_kernarg_preload_length 0
		.amdhsa_user_sgpr_kernarg_preload_offset 0
		.amdhsa_user_sgpr_private_segment_size 0
		.amdhsa_uses_dynamic_stack 0
		.amdhsa_enable_private_segment 0
		.amdhsa_system_sgpr_workgroup_id_x 1
		.amdhsa_system_sgpr_workgroup_id_y 0
		.amdhsa_system_sgpr_workgroup_id_z 0
		.amdhsa_system_sgpr_workgroup_info 0
		.amdhsa_system_vgpr_workitem_id 0
		.amdhsa_next_free_vgpr 1
		.amdhsa_next_free_sgpr 0
		.amdhsa_accum_offset 4
		.amdhsa_reserve_vcc 0
		.amdhsa_float_round_mode_32 0
		.amdhsa_float_round_mode_16_64 0
		.amdhsa_float_denorm_mode_32 3
		.amdhsa_float_denorm_mode_16_64 3
		.amdhsa_dx10_clamp 1
		.amdhsa_ieee_mode 1
		.amdhsa_fp16_overflow 0
		.amdhsa_tg_split 0
		.amdhsa_exception_fp_ieee_invalid_op 0
		.amdhsa_exception_fp_denorm_src 0
		.amdhsa_exception_fp_ieee_div_zero 0
		.amdhsa_exception_fp_ieee_overflow 0
		.amdhsa_exception_fp_ieee_underflow 0
		.amdhsa_exception_fp_ieee_inexact 0
		.amdhsa_exception_int_div_zero 0
	.end_amdhsa_kernel
	.section	.text._ZN7rocprim17ROCPRIM_400000_NS6detail17trampoline_kernelINS0_14default_configENS1_22reduce_config_selectorIiEEZNS1_11reduce_implILb1ES3_N6thrust23THRUST_200600_302600_NS6detail15normal_iteratorINS8_10device_ptrIiEEEEPiiNS8_4plusIiEEEE10hipError_tPvRmT1_T2_T3_mT4_P12ihipStream_tbEUlT_E0_NS1_11comp_targetILNS1_3genE8ELNS1_11target_archE1030ELNS1_3gpuE2ELNS1_3repE0EEENS1_30default_config_static_selectorELNS0_4arch9wavefront6targetE1EEEvSK_,"axG",@progbits,_ZN7rocprim17ROCPRIM_400000_NS6detail17trampoline_kernelINS0_14default_configENS1_22reduce_config_selectorIiEEZNS1_11reduce_implILb1ES3_N6thrust23THRUST_200600_302600_NS6detail15normal_iteratorINS8_10device_ptrIiEEEEPiiNS8_4plusIiEEEE10hipError_tPvRmT1_T2_T3_mT4_P12ihipStream_tbEUlT_E0_NS1_11comp_targetILNS1_3genE8ELNS1_11target_archE1030ELNS1_3gpuE2ELNS1_3repE0EEENS1_30default_config_static_selectorELNS0_4arch9wavefront6targetE1EEEvSK_,comdat
.Lfunc_end250:
	.size	_ZN7rocprim17ROCPRIM_400000_NS6detail17trampoline_kernelINS0_14default_configENS1_22reduce_config_selectorIiEEZNS1_11reduce_implILb1ES3_N6thrust23THRUST_200600_302600_NS6detail15normal_iteratorINS8_10device_ptrIiEEEEPiiNS8_4plusIiEEEE10hipError_tPvRmT1_T2_T3_mT4_P12ihipStream_tbEUlT_E0_NS1_11comp_targetILNS1_3genE8ELNS1_11target_archE1030ELNS1_3gpuE2ELNS1_3repE0EEENS1_30default_config_static_selectorELNS0_4arch9wavefront6targetE1EEEvSK_, .Lfunc_end250-_ZN7rocprim17ROCPRIM_400000_NS6detail17trampoline_kernelINS0_14default_configENS1_22reduce_config_selectorIiEEZNS1_11reduce_implILb1ES3_N6thrust23THRUST_200600_302600_NS6detail15normal_iteratorINS8_10device_ptrIiEEEEPiiNS8_4plusIiEEEE10hipError_tPvRmT1_T2_T3_mT4_P12ihipStream_tbEUlT_E0_NS1_11comp_targetILNS1_3genE8ELNS1_11target_archE1030ELNS1_3gpuE2ELNS1_3repE0EEENS1_30default_config_static_selectorELNS0_4arch9wavefront6targetE1EEEvSK_
                                        ; -- End function
	.set _ZN7rocprim17ROCPRIM_400000_NS6detail17trampoline_kernelINS0_14default_configENS1_22reduce_config_selectorIiEEZNS1_11reduce_implILb1ES3_N6thrust23THRUST_200600_302600_NS6detail15normal_iteratorINS8_10device_ptrIiEEEEPiiNS8_4plusIiEEEE10hipError_tPvRmT1_T2_T3_mT4_P12ihipStream_tbEUlT_E0_NS1_11comp_targetILNS1_3genE8ELNS1_11target_archE1030ELNS1_3gpuE2ELNS1_3repE0EEENS1_30default_config_static_selectorELNS0_4arch9wavefront6targetE1EEEvSK_.num_vgpr, 0
	.set _ZN7rocprim17ROCPRIM_400000_NS6detail17trampoline_kernelINS0_14default_configENS1_22reduce_config_selectorIiEEZNS1_11reduce_implILb1ES3_N6thrust23THRUST_200600_302600_NS6detail15normal_iteratorINS8_10device_ptrIiEEEEPiiNS8_4plusIiEEEE10hipError_tPvRmT1_T2_T3_mT4_P12ihipStream_tbEUlT_E0_NS1_11comp_targetILNS1_3genE8ELNS1_11target_archE1030ELNS1_3gpuE2ELNS1_3repE0EEENS1_30default_config_static_selectorELNS0_4arch9wavefront6targetE1EEEvSK_.num_agpr, 0
	.set _ZN7rocprim17ROCPRIM_400000_NS6detail17trampoline_kernelINS0_14default_configENS1_22reduce_config_selectorIiEEZNS1_11reduce_implILb1ES3_N6thrust23THRUST_200600_302600_NS6detail15normal_iteratorINS8_10device_ptrIiEEEEPiiNS8_4plusIiEEEE10hipError_tPvRmT1_T2_T3_mT4_P12ihipStream_tbEUlT_E0_NS1_11comp_targetILNS1_3genE8ELNS1_11target_archE1030ELNS1_3gpuE2ELNS1_3repE0EEENS1_30default_config_static_selectorELNS0_4arch9wavefront6targetE1EEEvSK_.numbered_sgpr, 0
	.set _ZN7rocprim17ROCPRIM_400000_NS6detail17trampoline_kernelINS0_14default_configENS1_22reduce_config_selectorIiEEZNS1_11reduce_implILb1ES3_N6thrust23THRUST_200600_302600_NS6detail15normal_iteratorINS8_10device_ptrIiEEEEPiiNS8_4plusIiEEEE10hipError_tPvRmT1_T2_T3_mT4_P12ihipStream_tbEUlT_E0_NS1_11comp_targetILNS1_3genE8ELNS1_11target_archE1030ELNS1_3gpuE2ELNS1_3repE0EEENS1_30default_config_static_selectorELNS0_4arch9wavefront6targetE1EEEvSK_.num_named_barrier, 0
	.set _ZN7rocprim17ROCPRIM_400000_NS6detail17trampoline_kernelINS0_14default_configENS1_22reduce_config_selectorIiEEZNS1_11reduce_implILb1ES3_N6thrust23THRUST_200600_302600_NS6detail15normal_iteratorINS8_10device_ptrIiEEEEPiiNS8_4plusIiEEEE10hipError_tPvRmT1_T2_T3_mT4_P12ihipStream_tbEUlT_E0_NS1_11comp_targetILNS1_3genE8ELNS1_11target_archE1030ELNS1_3gpuE2ELNS1_3repE0EEENS1_30default_config_static_selectorELNS0_4arch9wavefront6targetE1EEEvSK_.private_seg_size, 0
	.set _ZN7rocprim17ROCPRIM_400000_NS6detail17trampoline_kernelINS0_14default_configENS1_22reduce_config_selectorIiEEZNS1_11reduce_implILb1ES3_N6thrust23THRUST_200600_302600_NS6detail15normal_iteratorINS8_10device_ptrIiEEEEPiiNS8_4plusIiEEEE10hipError_tPvRmT1_T2_T3_mT4_P12ihipStream_tbEUlT_E0_NS1_11comp_targetILNS1_3genE8ELNS1_11target_archE1030ELNS1_3gpuE2ELNS1_3repE0EEENS1_30default_config_static_selectorELNS0_4arch9wavefront6targetE1EEEvSK_.uses_vcc, 0
	.set _ZN7rocprim17ROCPRIM_400000_NS6detail17trampoline_kernelINS0_14default_configENS1_22reduce_config_selectorIiEEZNS1_11reduce_implILb1ES3_N6thrust23THRUST_200600_302600_NS6detail15normal_iteratorINS8_10device_ptrIiEEEEPiiNS8_4plusIiEEEE10hipError_tPvRmT1_T2_T3_mT4_P12ihipStream_tbEUlT_E0_NS1_11comp_targetILNS1_3genE8ELNS1_11target_archE1030ELNS1_3gpuE2ELNS1_3repE0EEENS1_30default_config_static_selectorELNS0_4arch9wavefront6targetE1EEEvSK_.uses_flat_scratch, 0
	.set _ZN7rocprim17ROCPRIM_400000_NS6detail17trampoline_kernelINS0_14default_configENS1_22reduce_config_selectorIiEEZNS1_11reduce_implILb1ES3_N6thrust23THRUST_200600_302600_NS6detail15normal_iteratorINS8_10device_ptrIiEEEEPiiNS8_4plusIiEEEE10hipError_tPvRmT1_T2_T3_mT4_P12ihipStream_tbEUlT_E0_NS1_11comp_targetILNS1_3genE8ELNS1_11target_archE1030ELNS1_3gpuE2ELNS1_3repE0EEENS1_30default_config_static_selectorELNS0_4arch9wavefront6targetE1EEEvSK_.has_dyn_sized_stack, 0
	.set _ZN7rocprim17ROCPRIM_400000_NS6detail17trampoline_kernelINS0_14default_configENS1_22reduce_config_selectorIiEEZNS1_11reduce_implILb1ES3_N6thrust23THRUST_200600_302600_NS6detail15normal_iteratorINS8_10device_ptrIiEEEEPiiNS8_4plusIiEEEE10hipError_tPvRmT1_T2_T3_mT4_P12ihipStream_tbEUlT_E0_NS1_11comp_targetILNS1_3genE8ELNS1_11target_archE1030ELNS1_3gpuE2ELNS1_3repE0EEENS1_30default_config_static_selectorELNS0_4arch9wavefront6targetE1EEEvSK_.has_recursion, 0
	.set _ZN7rocprim17ROCPRIM_400000_NS6detail17trampoline_kernelINS0_14default_configENS1_22reduce_config_selectorIiEEZNS1_11reduce_implILb1ES3_N6thrust23THRUST_200600_302600_NS6detail15normal_iteratorINS8_10device_ptrIiEEEEPiiNS8_4plusIiEEEE10hipError_tPvRmT1_T2_T3_mT4_P12ihipStream_tbEUlT_E0_NS1_11comp_targetILNS1_3genE8ELNS1_11target_archE1030ELNS1_3gpuE2ELNS1_3repE0EEENS1_30default_config_static_selectorELNS0_4arch9wavefront6targetE1EEEvSK_.has_indirect_call, 0
	.section	.AMDGPU.csdata,"",@progbits
; Kernel info:
; codeLenInByte = 0
; TotalNumSgprs: 6
; NumVgprs: 0
; NumAgprs: 0
; TotalNumVgprs: 0
; ScratchSize: 0
; MemoryBound: 0
; FloatMode: 240
; IeeeMode: 1
; LDSByteSize: 0 bytes/workgroup (compile time only)
; SGPRBlocks: 0
; VGPRBlocks: 0
; NumSGPRsForWavesPerEU: 6
; NumVGPRsForWavesPerEU: 1
; AccumOffset: 4
; Occupancy: 8
; WaveLimiterHint : 0
; COMPUTE_PGM_RSRC2:SCRATCH_EN: 0
; COMPUTE_PGM_RSRC2:USER_SGPR: 2
; COMPUTE_PGM_RSRC2:TRAP_HANDLER: 0
; COMPUTE_PGM_RSRC2:TGID_X_EN: 1
; COMPUTE_PGM_RSRC2:TGID_Y_EN: 0
; COMPUTE_PGM_RSRC2:TGID_Z_EN: 0
; COMPUTE_PGM_RSRC2:TIDIG_COMP_CNT: 0
; COMPUTE_PGM_RSRC3_GFX90A:ACCUM_OFFSET: 0
; COMPUTE_PGM_RSRC3_GFX90A:TG_SPLIT: 0
	.section	.text._ZN7rocprim17ROCPRIM_400000_NS6detail17trampoline_kernelINS0_14default_configENS1_22reduce_config_selectorIiEEZNS1_11reduce_implILb1ES3_N6thrust23THRUST_200600_302600_NS6detail15normal_iteratorINS8_10device_ptrIiEEEEPiiNS8_4plusIiEEEE10hipError_tPvRmT1_T2_T3_mT4_P12ihipStream_tbEUlT_E1_NS1_11comp_targetILNS1_3genE0ELNS1_11target_archE4294967295ELNS1_3gpuE0ELNS1_3repE0EEENS1_30default_config_static_selectorELNS0_4arch9wavefront6targetE1EEEvSK_,"axG",@progbits,_ZN7rocprim17ROCPRIM_400000_NS6detail17trampoline_kernelINS0_14default_configENS1_22reduce_config_selectorIiEEZNS1_11reduce_implILb1ES3_N6thrust23THRUST_200600_302600_NS6detail15normal_iteratorINS8_10device_ptrIiEEEEPiiNS8_4plusIiEEEE10hipError_tPvRmT1_T2_T3_mT4_P12ihipStream_tbEUlT_E1_NS1_11comp_targetILNS1_3genE0ELNS1_11target_archE4294967295ELNS1_3gpuE0ELNS1_3repE0EEENS1_30default_config_static_selectorELNS0_4arch9wavefront6targetE1EEEvSK_,comdat
	.protected	_ZN7rocprim17ROCPRIM_400000_NS6detail17trampoline_kernelINS0_14default_configENS1_22reduce_config_selectorIiEEZNS1_11reduce_implILb1ES3_N6thrust23THRUST_200600_302600_NS6detail15normal_iteratorINS8_10device_ptrIiEEEEPiiNS8_4plusIiEEEE10hipError_tPvRmT1_T2_T3_mT4_P12ihipStream_tbEUlT_E1_NS1_11comp_targetILNS1_3genE0ELNS1_11target_archE4294967295ELNS1_3gpuE0ELNS1_3repE0EEENS1_30default_config_static_selectorELNS0_4arch9wavefront6targetE1EEEvSK_ ; -- Begin function _ZN7rocprim17ROCPRIM_400000_NS6detail17trampoline_kernelINS0_14default_configENS1_22reduce_config_selectorIiEEZNS1_11reduce_implILb1ES3_N6thrust23THRUST_200600_302600_NS6detail15normal_iteratorINS8_10device_ptrIiEEEEPiiNS8_4plusIiEEEE10hipError_tPvRmT1_T2_T3_mT4_P12ihipStream_tbEUlT_E1_NS1_11comp_targetILNS1_3genE0ELNS1_11target_archE4294967295ELNS1_3gpuE0ELNS1_3repE0EEENS1_30default_config_static_selectorELNS0_4arch9wavefront6targetE1EEEvSK_
	.globl	_ZN7rocprim17ROCPRIM_400000_NS6detail17trampoline_kernelINS0_14default_configENS1_22reduce_config_selectorIiEEZNS1_11reduce_implILb1ES3_N6thrust23THRUST_200600_302600_NS6detail15normal_iteratorINS8_10device_ptrIiEEEEPiiNS8_4plusIiEEEE10hipError_tPvRmT1_T2_T3_mT4_P12ihipStream_tbEUlT_E1_NS1_11comp_targetILNS1_3genE0ELNS1_11target_archE4294967295ELNS1_3gpuE0ELNS1_3repE0EEENS1_30default_config_static_selectorELNS0_4arch9wavefront6targetE1EEEvSK_
	.p2align	8
	.type	_ZN7rocprim17ROCPRIM_400000_NS6detail17trampoline_kernelINS0_14default_configENS1_22reduce_config_selectorIiEEZNS1_11reduce_implILb1ES3_N6thrust23THRUST_200600_302600_NS6detail15normal_iteratorINS8_10device_ptrIiEEEEPiiNS8_4plusIiEEEE10hipError_tPvRmT1_T2_T3_mT4_P12ihipStream_tbEUlT_E1_NS1_11comp_targetILNS1_3genE0ELNS1_11target_archE4294967295ELNS1_3gpuE0ELNS1_3repE0EEENS1_30default_config_static_selectorELNS0_4arch9wavefront6targetE1EEEvSK_,@function
_ZN7rocprim17ROCPRIM_400000_NS6detail17trampoline_kernelINS0_14default_configENS1_22reduce_config_selectorIiEEZNS1_11reduce_implILb1ES3_N6thrust23THRUST_200600_302600_NS6detail15normal_iteratorINS8_10device_ptrIiEEEEPiiNS8_4plusIiEEEE10hipError_tPvRmT1_T2_T3_mT4_P12ihipStream_tbEUlT_E1_NS1_11comp_targetILNS1_3genE0ELNS1_11target_archE4294967295ELNS1_3gpuE0ELNS1_3repE0EEENS1_30default_config_static_selectorELNS0_4arch9wavefront6targetE1EEEvSK_: ; @_ZN7rocprim17ROCPRIM_400000_NS6detail17trampoline_kernelINS0_14default_configENS1_22reduce_config_selectorIiEEZNS1_11reduce_implILb1ES3_N6thrust23THRUST_200600_302600_NS6detail15normal_iteratorINS8_10device_ptrIiEEEEPiiNS8_4plusIiEEEE10hipError_tPvRmT1_T2_T3_mT4_P12ihipStream_tbEUlT_E1_NS1_11comp_targetILNS1_3genE0ELNS1_11target_archE4294967295ELNS1_3gpuE0ELNS1_3repE0EEENS1_30default_config_static_selectorELNS0_4arch9wavefront6targetE1EEEvSK_
; %bb.0:
	s_load_dword s33, s[0:1], 0x4
	s_load_dwordx4 s[68:71], s[0:1], 0x8
	s_waitcnt lgkmcnt(0)
	s_cmp_lt_i32 s33, 8
	s_cbranch_scc1 .LBB251_11
; %bb.1:
	s_cmp_gt_i32 s33, 15
	s_cbranch_scc0 .LBB251_12
; %bb.2:
	s_cmp_gt_i32 s33, 31
	s_cbranch_scc0 .LBB251_13
; %bb.3:
	s_cmp_eq_u32 s33, 32
	s_mov_b64 s[66:67], 0
	s_cbranch_scc0 .LBB251_14
; %bb.4:
	s_mov_b32 s3, 0
	s_lshl_b32 s4, s2, 13
	s_mov_b32 s5, s3
	s_lshr_b64 s[6:7], s[70:71], 13
	s_lshl_b64 s[8:9], s[4:5], 2
	s_add_u32 s72, s68, s8
	s_addc_u32 s73, s69, s9
	s_cmp_lg_u64 s[6:7], s[2:3]
	s_cbranch_scc0 .LBB251_23
; %bb.5:
	v_lshlrev_b32_e32 v2, 2, v0
	v_mov_b32_e32 v3, 0
	v_lshl_add_u64 v[4:5], s[72:73], 0, v[2:3]
	global_load_dword v1, v2, s[72:73]
	global_load_dword v8, v2, s[72:73] offset:1024
	global_load_dword v9, v2, s[72:73] offset:2048
	;; [unrolled: 1-line block ×3, first 2 shown]
	v_add_co_u32_e32 v2, vcc, 0x1000, v4
	s_waitcnt vmcnt(2)
	v_add_u32_e32 v1, v8, v1
	v_addc_co_u32_e32 v3, vcc, 0, v5, vcc
	v_add_co_u32_e32 v6, vcc, 0x2000, v4
	s_waitcnt vmcnt(0)
	v_add3_u32 v1, v1, v9, v10
	v_addc_co_u32_e32 v7, vcc, 0, v5, vcc
	global_load_dword v11, v[2:3], off
	global_load_dword v12, v[2:3], off offset:1024
	global_load_dword v13, v[2:3], off offset:2048
	global_load_dword v14, v[2:3], off offset:3072
	global_load_dword v15, v[6:7], off
	global_load_dword v16, v[6:7], off offset:1024
	global_load_dword v17, v[6:7], off offset:2048
	global_load_dword v18, v[6:7], off offset:3072
	v_add_co_u32_e32 v2, vcc, 0x3000, v4
	s_waitcnt vmcnt(6)
	v_add3_u32 v1, v1, v11, v12
	v_addc_co_u32_e32 v3, vcc, 0, v5, vcc
	v_add_co_u32_e32 v6, vcc, 0x4000, v4
	s_waitcnt vmcnt(4)
	v_add3_u32 v1, v1, v13, v14
	v_addc_co_u32_e32 v7, vcc, 0, v5, vcc
	global_load_dword v19, v[2:3], off
	global_load_dword v20, v[2:3], off offset:1024
	global_load_dword v21, v[2:3], off offset:2048
	global_load_dword v22, v[2:3], off offset:3072
	global_load_dword v23, v[6:7], off
	global_load_dword v24, v[6:7], off offset:1024
	global_load_dword v25, v[6:7], off offset:2048
	global_load_dword v26, v[6:7], off offset:3072
	v_add_co_u32_e32 v2, vcc, 0x5000, v4
	s_waitcnt vmcnt(10)
	v_add3_u32 v1, v1, v15, v16
	;; [unrolled: 16-line block ×3, first 2 shown]
	v_addc_co_u32_e32 v3, vcc, 0, v5, vcc
	global_load_dword v4, v[2:3], off
	global_load_dword v5, v[2:3], off offset:1024
	global_load_dword v6, v[2:3], off offset:2048
	;; [unrolled: 1-line block ×3, first 2 shown]
	s_waitcnt vmcnt(16)
	v_add3_u32 v1, v1, v21, v22
	s_waitcnt vmcnt(14)
	v_add3_u32 v1, v1, v23, v24
	;; [unrolled: 2-line block ×3, first 2 shown]
	v_mbcnt_lo_u32_b32 v2, -1, 0
	v_mbcnt_hi_u32_b32 v2, -1, v2
	v_lshlrev_b32_e32 v3, 2, v2
	v_cmp_eq_u32_e32 vcc, 0, v2
	s_waitcnt vmcnt(10)
	v_add3_u32 v1, v1, v27, v28
	s_waitcnt vmcnt(8)
	v_add3_u32 v1, v1, v29, v30
	;; [unrolled: 2-line block ×5, first 2 shown]
	v_or_b32_e32 v4, 0xfc, v3
	s_waitcnt vmcnt(0)
	v_add3_u32 v1, v1, v6, v7
	s_nop 1
	v_add_u32_dpp v1, v1, v1 quad_perm:[1,0,3,2] row_mask:0xf bank_mask:0xf bound_ctrl:1
	s_nop 1
	v_add_u32_dpp v1, v1, v1 quad_perm:[2,3,0,1] row_mask:0xf bank_mask:0xf bound_ctrl:1
	s_nop 1
	v_add_u32_dpp v1, v1, v1 row_ror:4 row_mask:0xf bank_mask:0xf bound_ctrl:1
	s_nop 1
	v_add_u32_dpp v1, v1, v1 row_ror:8 row_mask:0xf bank_mask:0xf bound_ctrl:1
	s_nop 1
	v_add_u32_dpp v1, v1, v1 row_bcast:15 row_mask:0xf bank_mask:0xf bound_ctrl:1
	s_nop 1
	v_add_u32_dpp v1, v1, v1 row_bcast:31 row_mask:0xf bank_mask:0xf bound_ctrl:1
	ds_bpermute_b32 v1, v4, v1
	s_and_saveexec_b64 s[6:7], vcc
	s_cbranch_execz .LBB251_7
; %bb.6:
	v_lshrrev_b32_e32 v4, 4, v0
	v_and_b32_e32 v4, 12, v4
	s_waitcnt lgkmcnt(0)
	ds_write_b32 v4, v1 offset:48
.LBB251_7:
	s_or_b64 exec, exec, s[6:7]
	v_cmp_gt_u32_e32 vcc, 64, v0
	s_waitcnt lgkmcnt(0)
	s_barrier
	s_and_saveexec_b64 s[6:7], vcc
	s_cbranch_execz .LBB251_9
; %bb.8:
	v_and_b32_e32 v1, 3, v2
	v_lshlrev_b32_e32 v4, 2, v1
	ds_read_b32 v4, v4 offset:48
	v_cmp_ne_u32_e32 vcc, 3, v1
	s_nop 1
	v_addc_co_u32_e32 v1, vcc, 0, v2, vcc
	v_lshlrev_b32_e32 v1, 2, v1
	s_waitcnt lgkmcnt(0)
	ds_bpermute_b32 v1, v1, v4
	v_or_b32_e32 v2, 8, v3
	s_waitcnt lgkmcnt(0)
	v_add_u32_e32 v1, v1, v4
	ds_bpermute_b32 v2, v2, v1
	s_waitcnt lgkmcnt(0)
	v_add_u32_e32 v1, v2, v1
.LBB251_9:
	s_or_b64 exec, exec, s[6:7]
.LBB251_10:
	v_cmp_eq_u32_e64 s[4:5], 0, v0
	s_and_b64 vcc, exec, s[66:67]
	s_cbranch_vccnz .LBB251_15
	s_branch .LBB251_93
.LBB251_11:
	s_mov_b64 s[4:5], 0
                                        ; implicit-def: $vgpr1
	s_cbranch_execnz .LBB251_166
	s_branch .LBB251_224
.LBB251_12:
	s_mov_b64 s[4:5], 0
                                        ; implicit-def: $vgpr1
	s_cbranch_execnz .LBB251_134
	s_branch .LBB251_142
.LBB251_13:
	s_mov_b64 s[66:67], -1
.LBB251_14:
	s_mov_b64 s[4:5], 0
                                        ; implicit-def: $vgpr1
	s_and_b64 vcc, exec, s[66:67]
	s_cbranch_vccz .LBB251_93
.LBB251_15:
	s_cmp_eq_u32 s33, 16
	s_cbranch_scc0 .LBB251_22
; %bb.16:
	s_mov_b32 s3, 0
	s_lshl_b32 s4, s2, 12
	s_mov_b32 s5, s3
	s_lshr_b64 s[6:7], s[70:71], 12
	s_lshl_b64 s[8:9], s[4:5], 2
	s_add_u32 s34, s68, s8
	s_addc_u32 s35, s69, s9
	s_cmp_lg_u64 s[6:7], s[2:3]
	s_cbranch_scc0 .LBB251_94
; %bb.17:
	v_lshlrev_b32_e32 v2, 2, v0
	v_mov_b32_e32 v3, 0
	v_lshl_add_u64 v[4:5], s[34:35], 0, v[2:3]
	global_load_dword v1, v2, s[34:35]
	global_load_dword v8, v2, s[34:35] offset:1024
	global_load_dword v9, v2, s[34:35] offset:2048
	;; [unrolled: 1-line block ×3, first 2 shown]
	v_add_co_u32_e32 v2, vcc, 0x1000, v4
	s_waitcnt vmcnt(2)
	v_add_u32_e32 v1, v8, v1
	v_addc_co_u32_e32 v3, vcc, 0, v5, vcc
	v_add_co_u32_e32 v6, vcc, 0x2000, v4
	s_waitcnt vmcnt(0)
	v_add3_u32 v1, v1, v9, v10
	v_addc_co_u32_e32 v7, vcc, 0, v5, vcc
	global_load_dword v11, v[2:3], off
	global_load_dword v12, v[2:3], off offset:1024
	global_load_dword v13, v[2:3], off offset:2048
	;; [unrolled: 1-line block ×3, first 2 shown]
	global_load_dword v15, v[6:7], off
	global_load_dword v16, v[6:7], off offset:1024
	global_load_dword v17, v[6:7], off offset:2048
	global_load_dword v18, v[6:7], off offset:3072
	v_add_co_u32_e32 v2, vcc, 0x3000, v4
	s_waitcnt vmcnt(6)
	v_add3_u32 v1, v1, v11, v12
	v_addc_co_u32_e32 v3, vcc, 0, v5, vcc
	global_load_dword v4, v[2:3], off
	global_load_dword v5, v[2:3], off offset:1024
	global_load_dword v6, v[2:3], off offset:2048
	;; [unrolled: 1-line block ×3, first 2 shown]
	s_waitcnt vmcnt(8)
	v_add3_u32 v1, v1, v13, v14
	s_waitcnt vmcnt(6)
	v_add3_u32 v1, v1, v15, v16
	;; [unrolled: 2-line block ×3, first 2 shown]
	v_mbcnt_lo_u32_b32 v2, -1, 0
	v_mbcnt_hi_u32_b32 v2, -1, v2
	v_lshlrev_b32_e32 v3, 2, v2
	v_cmp_eq_u32_e32 vcc, 0, v2
	s_waitcnt vmcnt(2)
	v_add3_u32 v1, v1, v4, v5
	v_or_b32_e32 v4, 0xfc, v3
	s_waitcnt vmcnt(0)
	v_add3_u32 v1, v1, v6, v7
	s_nop 1
	v_add_u32_dpp v1, v1, v1 quad_perm:[1,0,3,2] row_mask:0xf bank_mask:0xf bound_ctrl:1
	s_nop 1
	v_add_u32_dpp v1, v1, v1 quad_perm:[2,3,0,1] row_mask:0xf bank_mask:0xf bound_ctrl:1
	s_nop 1
	v_add_u32_dpp v1, v1, v1 row_ror:4 row_mask:0xf bank_mask:0xf bound_ctrl:1
	s_nop 1
	v_add_u32_dpp v1, v1, v1 row_ror:8 row_mask:0xf bank_mask:0xf bound_ctrl:1
	s_nop 1
	v_add_u32_dpp v1, v1, v1 row_bcast:15 row_mask:0xf bank_mask:0xf bound_ctrl:1
	s_nop 1
	v_add_u32_dpp v1, v1, v1 row_bcast:31 row_mask:0xf bank_mask:0xf bound_ctrl:1
	ds_bpermute_b32 v1, v4, v1
	s_and_saveexec_b64 s[6:7], vcc
	s_cbranch_execz .LBB251_19
; %bb.18:
	v_lshrrev_b32_e32 v4, 4, v0
	v_and_b32_e32 v4, 12, v4
	s_waitcnt lgkmcnt(0)
	ds_write_b32 v4, v1
.LBB251_19:
	s_or_b64 exec, exec, s[6:7]
	v_cmp_gt_u32_e32 vcc, 64, v0
	s_waitcnt lgkmcnt(0)
	s_barrier
	s_and_saveexec_b64 s[6:7], vcc
	s_cbranch_execz .LBB251_21
; %bb.20:
	v_and_b32_e32 v1, 3, v2
	v_lshlrev_b32_e32 v4, 2, v1
	ds_read_b32 v4, v4
	v_cmp_ne_u32_e32 vcc, 3, v1
	s_nop 1
	v_addc_co_u32_e32 v1, vcc, 0, v2, vcc
	v_lshlrev_b32_e32 v1, 2, v1
	s_waitcnt lgkmcnt(0)
	ds_bpermute_b32 v1, v1, v4
	v_or_b32_e32 v2, 8, v3
	s_waitcnt lgkmcnt(0)
	v_add_u32_e32 v1, v1, v4
	ds_bpermute_b32 v2, v2, v1
	s_waitcnt lgkmcnt(0)
	v_add_u32_e32 v1, v2, v1
.LBB251_21:
	s_or_b64 exec, exec, s[6:7]
	s_mov_b64 s[6:7], 0
	s_branch .LBB251_95
.LBB251_22:
                                        ; implicit-def: $vgpr1
	s_branch .LBB251_142
.LBB251_23:
                                        ; implicit-def: $vgpr1
	s_cbranch_execz .LBB251_10
; %bb.24:
	s_sub_i32 s76, s70, s4
	v_mov_b32_e32 v2, 0
	v_cmp_gt_u32_e32 vcc, s76, v0
	v_mov_b32_e32 v3, v2
	v_mov_b32_e32 v4, v2
	;; [unrolled: 1-line block ×31, first 2 shown]
	s_and_saveexec_b64 s[4:5], vcc
	s_cbranch_execz .LBB251_26
; %bb.25:
	v_lshlrev_b32_e32 v1, 2, v0
	global_load_dword v4, v1, s[72:73]
	v_mov_b32_e32 v5, v2
	v_mov_b32_e32 v6, v2
	;; [unrolled: 1-line block ×31, first 2 shown]
	s_waitcnt vmcnt(0)
	v_mov_b64_e32 v[2:3], v[4:5]
	v_mov_b64_e32 v[4:5], v[6:7]
	;; [unrolled: 1-line block ×16, first 2 shown]
.LBB251_26:
	s_or_b64 exec, exec, s[4:5]
	v_or_b32_e32 v1, 0x100, v0
	v_cmp_gt_u32_e32 vcc, s76, v1
	s_and_saveexec_b64 s[4:5], vcc
	s_cbranch_execz .LBB251_28
; %bb.27:
	v_lshlrev_b32_e32 v1, 2, v0
	global_load_dword v3, v1, s[72:73] offset:1024
.LBB251_28:
	s_or_b64 exec, exec, s[4:5]
	v_or_b32_e32 v1, 0x200, v0
	v_cmp_gt_u32_e64 s[4:5], s76, v1
	s_and_saveexec_b64 s[6:7], s[4:5]
	s_cbranch_execz .LBB251_30
; %bb.29:
	v_lshlrev_b32_e32 v1, 2, v0
	global_load_dword v4, v1, s[72:73] offset:2048
.LBB251_30:
	s_or_b64 exec, exec, s[6:7]
	v_or_b32_e32 v1, 0x300, v0
	v_cmp_gt_u32_e64 s[6:7], s76, v1
	s_and_saveexec_b64 s[8:9], s[6:7]
	s_cbranch_execz .LBB251_32
; %bb.31:
	v_lshlrev_b32_e32 v1, 2, v0
	global_load_dword v5, v1, s[72:73] offset:3072
.LBB251_32:
	s_or_b64 exec, exec, s[8:9]
	v_or_b32_e32 v1, 0x400, v0
	v_cmp_gt_u32_e64 s[8:9], s76, v1
	s_and_saveexec_b64 s[10:11], s[8:9]
	s_cbranch_execz .LBB251_34
; %bb.33:
	v_lshlrev_b32_e32 v1, 2, v1
	global_load_dword v6, v1, s[72:73]
.LBB251_34:
	s_or_b64 exec, exec, s[10:11]
	v_or_b32_e32 v1, 0x500, v0
	v_cmp_gt_u32_e64 s[10:11], s76, v1
	s_and_saveexec_b64 s[12:13], s[10:11]
	s_cbranch_execz .LBB251_36
; %bb.35:
	v_lshlrev_b32_e32 v1, 2, v1
	global_load_dword v7, v1, s[72:73]
.LBB251_36:
	s_or_b64 exec, exec, s[12:13]
	v_or_b32_e32 v1, 0x600, v0
	v_cmp_gt_u32_e64 s[12:13], s76, v1
	s_and_saveexec_b64 s[14:15], s[12:13]
	;; [unrolled: 9-line block ×27, first 2 shown]
	s_cbranch_execz .LBB251_88
; %bb.87:
	v_lshlrev_b32_e32 v1, 2, v1
	global_load_dword v33, v1, s[72:73]
.LBB251_88:
	s_or_b64 exec, exec, s[74:75]
	s_waitcnt vmcnt(0)
	v_cndmask_b32_e32 v1, 0, v3, vcc
	v_add_u32_e32 v1, v1, v2
	v_cndmask_b32_e64 v2, 0, v4, s[4:5]
	v_cndmask_b32_e64 v3, 0, v5, s[6:7]
	v_add3_u32 v1, v1, v2, v3
	v_cndmask_b32_e64 v2, 0, v6, s[8:9]
	v_cndmask_b32_e64 v3, 0, v7, s[10:11]
	v_add3_u32 v1, v1, v2, v3
	;; [unrolled: 3-line block ×15, first 2 shown]
	v_mbcnt_lo_u32_b32 v2, -1, 0
	v_mbcnt_hi_u32_b32 v2, -1, v2
	v_and_b32_e32 v4, 63, v2
	v_cmp_ne_u32_e32 vcc, 63, v4
	s_min_u32 s6, s76, 0x100
	v_and_b32_e32 v5, 0xc0, v0
	v_addc_co_u32_e32 v3, vcc, 0, v2, vcc
	v_lshlrev_b32_e32 v3, 2, v3
	ds_bpermute_b32 v3, v3, v1
	v_sub_u32_e64 v5, s6, v5 clamp
	v_add_u32_e32 v6, 1, v4
	v_cmp_lt_u32_e32 vcc, v6, v5
	v_add_u32_e32 v6, 2, v4
	s_waitcnt lgkmcnt(0)
	v_cndmask_b32_e32 v3, 0, v3, vcc
	v_cmp_gt_u32_e32 vcc, 62, v4
	v_add_u32_e32 v1, v1, v3
	s_nop 0
	v_cndmask_b32_e64 v3, 0, 2, vcc
	v_add_lshl_u32 v3, v3, v2, 2
	ds_bpermute_b32 v3, v3, v1
	v_cmp_lt_u32_e32 vcc, v6, v5
	v_add_u32_e32 v6, 4, v4
	s_waitcnt lgkmcnt(0)
	v_cndmask_b32_e32 v3, 0, v3, vcc
	v_cmp_gt_u32_e32 vcc, 60, v4
	v_add_u32_e32 v1, v1, v3
	s_nop 0
	v_cndmask_b32_e64 v3, 0, 4, vcc
	v_add_lshl_u32 v3, v3, v2, 2
	ds_bpermute_b32 v3, v3, v1
	;; [unrolled: 10-line block ×3, first 2 shown]
	v_cmp_lt_u32_e32 vcc, v6, v5
	v_add_u32_e32 v6, 16, v4
	s_waitcnt lgkmcnt(0)
	v_cndmask_b32_e32 v3, 0, v3, vcc
	v_cmp_gt_u32_e32 vcc, 48, v4
	v_add_u32_e32 v1, v1, v3
	v_add_u32_e32 v4, 32, v4
	v_cndmask_b32_e64 v3, 0, 16, vcc
	v_add_lshl_u32 v3, v3, v2, 2
	ds_bpermute_b32 v3, v3, v1
	v_cmp_lt_u32_e32 vcc, v6, v5
	s_waitcnt lgkmcnt(0)
	s_nop 0
	v_cndmask_b32_e32 v3, 0, v3, vcc
	v_add_u32_e32 v1, v1, v3
	v_lshlrev_b32_e32 v3, 2, v2
	v_or_b32_e32 v6, 0x80, v3
	ds_bpermute_b32 v6, v6, v1
	v_cmp_lt_u32_e32 vcc, v4, v5
	s_waitcnt lgkmcnt(0)
	s_nop 0
	v_cndmask_b32_e32 v4, 0, v6, vcc
	v_add_u32_e32 v1, v1, v4
	v_cmp_eq_u32_e32 vcc, 0, v2
	s_and_saveexec_b64 s[4:5], vcc
; %bb.89:
	v_lshrrev_b32_e32 v4, 4, v0
	v_and_b32_e32 v4, 12, v4
	ds_write_b32 v4, v1 offset:96
; %bb.90:
	s_or_b64 exec, exec, s[4:5]
	v_cmp_gt_u32_e32 vcc, 4, v0
	s_waitcnt lgkmcnt(0)
	s_barrier
	s_and_saveexec_b64 s[4:5], vcc
	s_cbranch_execz .LBB251_92
; %bb.91:
	ds_read_b32 v1, v3 offset:96
	v_and_b32_e32 v4, 3, v2
	v_cmp_ne_u32_e32 vcc, 3, v4
	s_add_i32 s6, s6, 63
	s_lshr_b32 s6, s6, 6
	v_addc_co_u32_e32 v2, vcc, 0, v2, vcc
	v_lshlrev_b32_e32 v2, 2, v2
	s_waitcnt lgkmcnt(0)
	ds_bpermute_b32 v2, v2, v1
	v_add_u32_e32 v5, 1, v4
	v_cmp_gt_u32_e32 vcc, s6, v5
	s_waitcnt lgkmcnt(0)
	s_nop 0
	v_cndmask_b32_e32 v2, 0, v2, vcc
	v_add_u32_e32 v1, v2, v1
	v_or_b32_e32 v2, 8, v3
	ds_bpermute_b32 v2, v2, v1
	v_add_u32_e32 v3, 2, v4
	v_cmp_gt_u32_e32 vcc, s6, v3
	s_waitcnt lgkmcnt(0)
	s_nop 0
	v_cndmask_b32_e32 v2, 0, v2, vcc
	v_add_u32_e32 v1, v1, v2
.LBB251_92:
	s_or_b64 exec, exec, s[4:5]
	v_cmp_eq_u32_e64 s[4:5], 0, v0
	s_and_b64 vcc, exec, s[66:67]
	s_cbranch_vccnz .LBB251_15
.LBB251_93:
	s_branch .LBB251_142
.LBB251_94:
	s_mov_b64 s[6:7], -1
                                        ; implicit-def: $vgpr1
.LBB251_95:
	s_and_b64 vcc, exec, s[6:7]
	s_cbranch_vccz .LBB251_133
; %bb.96:
	s_sub_i32 s38, s70, s4
	v_mov_b32_e32 v2, 0
	v_cmp_gt_u32_e32 vcc, s38, v0
	v_mov_b32_e32 v3, v2
	v_mov_b32_e32 v4, v2
	;; [unrolled: 1-line block ×15, first 2 shown]
	s_and_saveexec_b64 s[4:5], vcc
	s_cbranch_execz .LBB251_98
; %bb.97:
	v_lshlrev_b32_e32 v1, 2, v0
	global_load_dword v4, v1, s[34:35]
	v_mov_b32_e32 v5, v2
	v_mov_b32_e32 v6, v2
	v_mov_b32_e32 v7, v2
	v_mov_b32_e32 v8, v2
	v_mov_b32_e32 v9, v2
	v_mov_b32_e32 v10, v2
	v_mov_b32_e32 v11, v2
	v_mov_b32_e32 v12, v2
	v_mov_b32_e32 v13, v2
	v_mov_b32_e32 v14, v2
	v_mov_b32_e32 v15, v2
	v_mov_b32_e32 v16, v2
	v_mov_b32_e32 v17, v2
	v_mov_b32_e32 v18, v2
	v_mov_b32_e32 v19, v2
	s_waitcnt vmcnt(0)
	v_mov_b64_e32 v[2:3], v[4:5]
	v_mov_b64_e32 v[4:5], v[6:7]
	;; [unrolled: 1-line block ×8, first 2 shown]
.LBB251_98:
	s_or_b64 exec, exec, s[4:5]
	v_or_b32_e32 v1, 0x100, v0
	v_cmp_gt_u32_e32 vcc, s38, v1
	s_and_saveexec_b64 s[4:5], vcc
	s_cbranch_execz .LBB251_100
; %bb.99:
	v_lshlrev_b32_e32 v1, 2, v0
	global_load_dword v3, v1, s[34:35] offset:1024
.LBB251_100:
	s_or_b64 exec, exec, s[4:5]
	v_or_b32_e32 v1, 0x200, v0
	v_cmp_gt_u32_e64 s[4:5], s38, v1
	s_and_saveexec_b64 s[6:7], s[4:5]
	s_cbranch_execz .LBB251_102
; %bb.101:
	v_lshlrev_b32_e32 v1, 2, v0
	global_load_dword v4, v1, s[34:35] offset:2048
.LBB251_102:
	s_or_b64 exec, exec, s[6:7]
	v_or_b32_e32 v1, 0x300, v0
	v_cmp_gt_u32_e64 s[6:7], s38, v1
	s_and_saveexec_b64 s[8:9], s[6:7]
	;; [unrolled: 9-line block ×3, first 2 shown]
	s_cbranch_execz .LBB251_106
; %bb.105:
	v_lshlrev_b32_e32 v1, 2, v1
	global_load_dword v6, v1, s[34:35]
.LBB251_106:
	s_or_b64 exec, exec, s[10:11]
	v_or_b32_e32 v1, 0x500, v0
	v_cmp_gt_u32_e64 s[10:11], s38, v1
	s_and_saveexec_b64 s[12:13], s[10:11]
	s_cbranch_execz .LBB251_108
; %bb.107:
	v_lshlrev_b32_e32 v1, 2, v1
	global_load_dword v7, v1, s[34:35]
.LBB251_108:
	s_or_b64 exec, exec, s[12:13]
	v_or_b32_e32 v1, 0x600, v0
	v_cmp_gt_u32_e64 s[12:13], s38, v1
	s_and_saveexec_b64 s[14:15], s[12:13]
	;; [unrolled: 9-line block ×11, first 2 shown]
	s_cbranch_execz .LBB251_128
; %bb.127:
	v_lshlrev_b32_e32 v1, 2, v1
	global_load_dword v17, v1, s[34:35]
.LBB251_128:
	s_or_b64 exec, exec, s[36:37]
	s_waitcnt vmcnt(0)
	v_cndmask_b32_e32 v1, 0, v3, vcc
	v_add_u32_e32 v1, v1, v2
	v_cndmask_b32_e64 v2, 0, v4, s[4:5]
	v_cndmask_b32_e64 v3, 0, v5, s[6:7]
	v_add3_u32 v1, v1, v2, v3
	v_cndmask_b32_e64 v2, 0, v6, s[8:9]
	v_cndmask_b32_e64 v3, 0, v7, s[10:11]
	v_add3_u32 v1, v1, v2, v3
	;; [unrolled: 3-line block ×7, first 2 shown]
	v_mbcnt_lo_u32_b32 v2, -1, 0
	v_mbcnt_hi_u32_b32 v2, -1, v2
	v_and_b32_e32 v4, 63, v2
	v_cmp_ne_u32_e32 vcc, 63, v4
	s_min_u32 s6, s38, 0x100
	v_and_b32_e32 v5, 0xc0, v0
	v_addc_co_u32_e32 v3, vcc, 0, v2, vcc
	v_lshlrev_b32_e32 v3, 2, v3
	ds_bpermute_b32 v3, v3, v1
	v_sub_u32_e64 v5, s6, v5 clamp
	v_add_u32_e32 v6, 1, v4
	v_cmp_lt_u32_e32 vcc, v6, v5
	v_add_u32_e32 v6, 2, v4
	s_waitcnt lgkmcnt(0)
	v_cndmask_b32_e32 v3, 0, v3, vcc
	v_cmp_gt_u32_e32 vcc, 62, v4
	v_add_u32_e32 v1, v1, v3
	s_nop 0
	v_cndmask_b32_e64 v3, 0, 2, vcc
	v_add_lshl_u32 v3, v3, v2, 2
	ds_bpermute_b32 v3, v3, v1
	v_cmp_lt_u32_e32 vcc, v6, v5
	v_add_u32_e32 v6, 4, v4
	s_waitcnt lgkmcnt(0)
	v_cndmask_b32_e32 v3, 0, v3, vcc
	v_cmp_gt_u32_e32 vcc, 60, v4
	v_add_u32_e32 v1, v1, v3
	s_nop 0
	v_cndmask_b32_e64 v3, 0, 4, vcc
	v_add_lshl_u32 v3, v3, v2, 2
	ds_bpermute_b32 v3, v3, v1
	;; [unrolled: 10-line block ×3, first 2 shown]
	v_cmp_lt_u32_e32 vcc, v6, v5
	v_add_u32_e32 v6, 16, v4
	s_waitcnt lgkmcnt(0)
	v_cndmask_b32_e32 v3, 0, v3, vcc
	v_cmp_gt_u32_e32 vcc, 48, v4
	v_add_u32_e32 v1, v1, v3
	v_add_u32_e32 v4, 32, v4
	v_cndmask_b32_e64 v3, 0, 16, vcc
	v_add_lshl_u32 v3, v3, v2, 2
	ds_bpermute_b32 v3, v3, v1
	v_cmp_lt_u32_e32 vcc, v6, v5
	s_waitcnt lgkmcnt(0)
	s_nop 0
	v_cndmask_b32_e32 v3, 0, v3, vcc
	v_add_u32_e32 v1, v1, v3
	v_lshlrev_b32_e32 v3, 2, v2
	v_or_b32_e32 v6, 0x80, v3
	ds_bpermute_b32 v6, v6, v1
	v_cmp_lt_u32_e32 vcc, v4, v5
	s_waitcnt lgkmcnt(0)
	s_nop 0
	v_cndmask_b32_e32 v4, 0, v6, vcc
	v_add_u32_e32 v1, v1, v4
	v_cmp_eq_u32_e32 vcc, 0, v2
	s_and_saveexec_b64 s[4:5], vcc
; %bb.129:
	v_lshrrev_b32_e32 v4, 4, v0
	v_and_b32_e32 v4, 12, v4
	ds_write_b32 v4, v1 offset:96
; %bb.130:
	s_or_b64 exec, exec, s[4:5]
	v_cmp_gt_u32_e32 vcc, 4, v0
	s_waitcnt lgkmcnt(0)
	s_barrier
	s_and_saveexec_b64 s[4:5], vcc
	s_cbranch_execz .LBB251_132
; %bb.131:
	ds_read_b32 v1, v3 offset:96
	v_and_b32_e32 v4, 3, v2
	v_cmp_ne_u32_e32 vcc, 3, v4
	s_add_i32 s6, s6, 63
	s_lshr_b32 s6, s6, 6
	v_addc_co_u32_e32 v2, vcc, 0, v2, vcc
	v_lshlrev_b32_e32 v2, 2, v2
	s_waitcnt lgkmcnt(0)
	ds_bpermute_b32 v2, v2, v1
	v_add_u32_e32 v5, 1, v4
	v_cmp_gt_u32_e32 vcc, s6, v5
	s_waitcnt lgkmcnt(0)
	s_nop 0
	v_cndmask_b32_e32 v2, 0, v2, vcc
	v_add_u32_e32 v1, v2, v1
	v_or_b32_e32 v2, 8, v3
	ds_bpermute_b32 v2, v2, v1
	v_add_u32_e32 v3, 2, v4
	v_cmp_gt_u32_e32 vcc, s6, v3
	s_waitcnt lgkmcnt(0)
	s_nop 0
	v_cndmask_b32_e32 v2, 0, v2, vcc
	v_add_u32_e32 v1, v1, v2
.LBB251_132:
	s_or_b64 exec, exec, s[4:5]
.LBB251_133:
	v_cmp_eq_u32_e64 s[4:5], 0, v0
	s_branch .LBB251_142
.LBB251_134:
	s_cmp_eq_u32 s33, 8
	s_cbranch_scc0 .LBB251_141
; %bb.135:
	s_mov_b32 s3, 0
	s_lshl_b32 s4, s2, 11
	s_mov_b32 s5, s3
	s_lshr_b64 s[6:7], s[70:71], 11
	s_lshl_b64 s[8:9], s[4:5], 2
	s_add_u32 s16, s68, s8
	s_addc_u32 s17, s69, s9
	s_cmp_lg_u64 s[6:7], s[2:3]
	s_cbranch_scc0 .LBB251_143
; %bb.136:
	v_lshlrev_b32_e32 v2, 2, v0
	v_mov_b32_e32 v3, 0
	v_lshl_add_u64 v[4:5], s[16:17], 0, v[2:3]
	v_add_co_u32_e32 v4, vcc, 0x1000, v4
	s_nop 1
	v_addc_co_u32_e32 v5, vcc, 0, v5, vcc
	global_load_dword v1, v2, s[16:17]
	global_load_dword v6, v2, s[16:17] offset:1024
	global_load_dword v7, v2, s[16:17] offset:2048
	;; [unrolled: 1-line block ×3, first 2 shown]
	global_load_dword v9, v[4:5], off
	global_load_dword v10, v[4:5], off offset:1024
	global_load_dword v11, v[4:5], off offset:2048
	;; [unrolled: 1-line block ×3, first 2 shown]
	v_mbcnt_lo_u32_b32 v2, -1, 0
	v_mbcnt_hi_u32_b32 v2, -1, v2
	v_lshlrev_b32_e32 v3, 2, v2
	v_or_b32_e32 v4, 0xfc, v3
	v_cmp_eq_u32_e32 vcc, 0, v2
	s_waitcnt vmcnt(6)
	v_add_u32_e32 v1, v6, v1
	s_waitcnt vmcnt(4)
	v_add3_u32 v1, v1, v7, v8
	s_waitcnt vmcnt(2)
	v_add3_u32 v1, v1, v9, v10
	;; [unrolled: 2-line block ×3, first 2 shown]
	s_nop 1
	v_add_u32_dpp v1, v1, v1 quad_perm:[1,0,3,2] row_mask:0xf bank_mask:0xf bound_ctrl:1
	s_nop 1
	v_add_u32_dpp v1, v1, v1 quad_perm:[2,3,0,1] row_mask:0xf bank_mask:0xf bound_ctrl:1
	s_nop 1
	v_add_u32_dpp v1, v1, v1 row_ror:4 row_mask:0xf bank_mask:0xf bound_ctrl:1
	s_nop 1
	v_add_u32_dpp v1, v1, v1 row_ror:8 row_mask:0xf bank_mask:0xf bound_ctrl:1
	s_nop 1
	v_add_u32_dpp v1, v1, v1 row_bcast:15 row_mask:0xf bank_mask:0xf bound_ctrl:1
	s_nop 1
	v_add_u32_dpp v1, v1, v1 row_bcast:31 row_mask:0xf bank_mask:0xf bound_ctrl:1
	ds_bpermute_b32 v1, v4, v1
	s_and_saveexec_b64 s[6:7], vcc
	s_cbranch_execz .LBB251_138
; %bb.137:
	v_lshrrev_b32_e32 v4, 4, v0
	v_and_b32_e32 v4, 12, v4
	s_waitcnt lgkmcnt(0)
	ds_write_b32 v4, v1 offset:80
.LBB251_138:
	s_or_b64 exec, exec, s[6:7]
	v_cmp_gt_u32_e32 vcc, 64, v0
	s_waitcnt lgkmcnt(0)
	s_barrier
	s_and_saveexec_b64 s[6:7], vcc
	s_cbranch_execz .LBB251_140
; %bb.139:
	v_and_b32_e32 v1, 3, v2
	v_lshlrev_b32_e32 v4, 2, v1
	ds_read_b32 v4, v4 offset:80
	v_cmp_ne_u32_e32 vcc, 3, v1
	s_nop 1
	v_addc_co_u32_e32 v1, vcc, 0, v2, vcc
	v_lshlrev_b32_e32 v1, 2, v1
	s_waitcnt lgkmcnt(0)
	ds_bpermute_b32 v1, v1, v4
	v_or_b32_e32 v2, 8, v3
	s_waitcnt lgkmcnt(0)
	v_add_u32_e32 v1, v1, v4
	ds_bpermute_b32 v2, v2, v1
	s_waitcnt lgkmcnt(0)
	v_add_u32_e32 v1, v2, v1
.LBB251_140:
	s_or_b64 exec, exec, s[6:7]
	s_branch .LBB251_165
.LBB251_141:
                                        ; implicit-def: $vgpr1
.LBB251_142:
	s_branch .LBB251_224
.LBB251_143:
                                        ; implicit-def: $vgpr1
	s_cbranch_execz .LBB251_165
; %bb.144:
	s_sub_i32 s20, s70, s4
	v_mov_b32_e32 v2, 0
	v_cmp_gt_u32_e32 vcc, s20, v0
	v_mov_b32_e32 v3, v2
	v_mov_b32_e32 v4, v2
	;; [unrolled: 1-line block ×7, first 2 shown]
	s_and_saveexec_b64 s[4:5], vcc
	s_cbranch_execz .LBB251_146
; %bb.145:
	v_lshlrev_b32_e32 v1, 2, v0
	global_load_dword v4, v1, s[16:17]
	v_mov_b32_e32 v5, v2
	v_mov_b32_e32 v6, v2
	;; [unrolled: 1-line block ×7, first 2 shown]
	s_waitcnt vmcnt(0)
	v_mov_b64_e32 v[2:3], v[4:5]
	v_mov_b64_e32 v[4:5], v[6:7]
	;; [unrolled: 1-line block ×4, first 2 shown]
.LBB251_146:
	s_or_b64 exec, exec, s[4:5]
	v_or_b32_e32 v1, 0x100, v0
	v_cmp_gt_u32_e32 vcc, s20, v1
	s_and_saveexec_b64 s[4:5], vcc
	s_cbranch_execz .LBB251_148
; %bb.147:
	v_lshlrev_b32_e32 v1, 2, v0
	global_load_dword v3, v1, s[16:17] offset:1024
.LBB251_148:
	s_or_b64 exec, exec, s[4:5]
	v_or_b32_e32 v1, 0x200, v0
	v_cmp_gt_u32_e64 s[4:5], s20, v1
	s_and_saveexec_b64 s[6:7], s[4:5]
	s_cbranch_execz .LBB251_150
; %bb.149:
	v_lshlrev_b32_e32 v1, 2, v0
	global_load_dword v4, v1, s[16:17] offset:2048
.LBB251_150:
	s_or_b64 exec, exec, s[6:7]
	v_or_b32_e32 v1, 0x300, v0
	v_cmp_gt_u32_e64 s[6:7], s20, v1
	s_and_saveexec_b64 s[8:9], s[6:7]
	;; [unrolled: 9-line block ×3, first 2 shown]
	s_cbranch_execz .LBB251_154
; %bb.153:
	v_lshlrev_b32_e32 v1, 2, v1
	global_load_dword v6, v1, s[16:17]
.LBB251_154:
	s_or_b64 exec, exec, s[10:11]
	v_or_b32_e32 v1, 0x500, v0
	v_cmp_gt_u32_e64 s[10:11], s20, v1
	s_and_saveexec_b64 s[12:13], s[10:11]
	s_cbranch_execz .LBB251_156
; %bb.155:
	v_lshlrev_b32_e32 v1, 2, v1
	global_load_dword v7, v1, s[16:17]
.LBB251_156:
	s_or_b64 exec, exec, s[12:13]
	v_or_b32_e32 v1, 0x600, v0
	v_cmp_gt_u32_e64 s[12:13], s20, v1
	s_and_saveexec_b64 s[14:15], s[12:13]
	;; [unrolled: 9-line block ×3, first 2 shown]
	s_cbranch_execz .LBB251_160
; %bb.159:
	v_lshlrev_b32_e32 v1, 2, v1
	global_load_dword v9, v1, s[16:17]
.LBB251_160:
	s_or_b64 exec, exec, s[18:19]
	s_waitcnt vmcnt(0)
	v_cndmask_b32_e32 v1, 0, v3, vcc
	v_add_u32_e32 v1, v1, v2
	v_cndmask_b32_e64 v2, 0, v4, s[4:5]
	v_cndmask_b32_e64 v3, 0, v5, s[6:7]
	v_add3_u32 v1, v1, v2, v3
	v_cndmask_b32_e64 v2, 0, v6, s[8:9]
	v_cndmask_b32_e64 v3, 0, v7, s[10:11]
	v_add3_u32 v1, v1, v2, v3
	v_cndmask_b32_e64 v2, 0, v8, s[12:13]
	v_cndmask_b32_e64 v3, 0, v9, s[14:15]
	v_add3_u32 v1, v1, v2, v3
	v_mbcnt_lo_u32_b32 v2, -1, 0
	v_mbcnt_hi_u32_b32 v2, -1, v2
	v_and_b32_e32 v4, 63, v2
	v_cmp_ne_u32_e32 vcc, 63, v4
	s_min_u32 s6, s20, 0x100
	v_and_b32_e32 v5, 0xc0, v0
	v_addc_co_u32_e32 v3, vcc, 0, v2, vcc
	v_lshlrev_b32_e32 v3, 2, v3
	ds_bpermute_b32 v3, v3, v1
	v_sub_u32_e64 v5, s6, v5 clamp
	v_add_u32_e32 v6, 1, v4
	v_cmp_lt_u32_e32 vcc, v6, v5
	v_add_u32_e32 v6, 2, v4
	s_waitcnt lgkmcnt(0)
	v_cndmask_b32_e32 v3, 0, v3, vcc
	v_cmp_gt_u32_e32 vcc, 62, v4
	v_add_u32_e32 v1, v1, v3
	s_nop 0
	v_cndmask_b32_e64 v3, 0, 2, vcc
	v_add_lshl_u32 v3, v3, v2, 2
	ds_bpermute_b32 v3, v3, v1
	v_cmp_lt_u32_e32 vcc, v6, v5
	v_add_u32_e32 v6, 4, v4
	s_waitcnt lgkmcnt(0)
	v_cndmask_b32_e32 v3, 0, v3, vcc
	v_cmp_gt_u32_e32 vcc, 60, v4
	v_add_u32_e32 v1, v1, v3
	s_nop 0
	v_cndmask_b32_e64 v3, 0, 4, vcc
	v_add_lshl_u32 v3, v3, v2, 2
	ds_bpermute_b32 v3, v3, v1
	;; [unrolled: 10-line block ×3, first 2 shown]
	v_cmp_lt_u32_e32 vcc, v6, v5
	v_add_u32_e32 v6, 16, v4
	s_waitcnt lgkmcnt(0)
	v_cndmask_b32_e32 v3, 0, v3, vcc
	v_cmp_gt_u32_e32 vcc, 48, v4
	v_add_u32_e32 v1, v1, v3
	v_add_u32_e32 v4, 32, v4
	v_cndmask_b32_e64 v3, 0, 16, vcc
	v_add_lshl_u32 v3, v3, v2, 2
	ds_bpermute_b32 v3, v3, v1
	v_cmp_lt_u32_e32 vcc, v6, v5
	s_waitcnt lgkmcnt(0)
	s_nop 0
	v_cndmask_b32_e32 v3, 0, v3, vcc
	v_add_u32_e32 v1, v1, v3
	v_lshlrev_b32_e32 v3, 2, v2
	v_or_b32_e32 v6, 0x80, v3
	ds_bpermute_b32 v6, v6, v1
	v_cmp_lt_u32_e32 vcc, v4, v5
	s_waitcnt lgkmcnt(0)
	s_nop 0
	v_cndmask_b32_e32 v4, 0, v6, vcc
	v_add_u32_e32 v1, v1, v4
	v_cmp_eq_u32_e32 vcc, 0, v2
	s_and_saveexec_b64 s[4:5], vcc
; %bb.161:
	v_lshrrev_b32_e32 v4, 4, v0
	v_and_b32_e32 v4, 12, v4
	ds_write_b32 v4, v1 offset:96
; %bb.162:
	s_or_b64 exec, exec, s[4:5]
	v_cmp_gt_u32_e32 vcc, 4, v0
	s_waitcnt lgkmcnt(0)
	s_barrier
	s_and_saveexec_b64 s[4:5], vcc
	s_cbranch_execz .LBB251_164
; %bb.163:
	ds_read_b32 v1, v3 offset:96
	v_and_b32_e32 v4, 3, v2
	v_cmp_ne_u32_e32 vcc, 3, v4
	s_add_i32 s6, s6, 63
	s_lshr_b32 s6, s6, 6
	v_addc_co_u32_e32 v2, vcc, 0, v2, vcc
	v_lshlrev_b32_e32 v2, 2, v2
	s_waitcnt lgkmcnt(0)
	ds_bpermute_b32 v2, v2, v1
	v_add_u32_e32 v5, 1, v4
	v_cmp_gt_u32_e32 vcc, s6, v5
	s_waitcnt lgkmcnt(0)
	s_nop 0
	v_cndmask_b32_e32 v2, 0, v2, vcc
	v_add_u32_e32 v1, v2, v1
	v_or_b32_e32 v2, 8, v3
	ds_bpermute_b32 v2, v2, v1
	v_add_u32_e32 v3, 2, v4
	v_cmp_gt_u32_e32 vcc, s6, v3
	s_waitcnt lgkmcnt(0)
	s_nop 0
	v_cndmask_b32_e32 v2, 0, v2, vcc
	v_add_u32_e32 v1, v1, v2
.LBB251_164:
	s_or_b64 exec, exec, s[4:5]
.LBB251_165:
	v_cmp_eq_u32_e64 s[4:5], 0, v0
	s_branch .LBB251_224
.LBB251_166:
	s_cmp_gt_i32 s33, 1
	s_cbranch_scc0 .LBB251_175
; %bb.167:
	s_cmp_gt_i32 s33, 3
	s_cbranch_scc0 .LBB251_176
; %bb.168:
	s_cmp_eq_u32 s33, 4
	s_cbranch_scc0 .LBB251_177
; %bb.169:
	s_mov_b32 s3, 0
	s_lshl_b32 s4, s2, 10
	s_mov_b32 s5, s3
	s_lshr_b64 s[6:7], s[70:71], 10
	s_lshl_b64 s[8:9], s[4:5], 2
	s_add_u32 s8, s68, s8
	s_addc_u32 s9, s69, s9
	s_cmp_lg_u64 s[6:7], s[2:3]
	s_cbranch_scc0 .LBB251_179
; %bb.170:
	v_lshlrev_b32_e32 v1, 2, v0
	global_load_dword v4, v1, s[8:9]
	global_load_dword v5, v1, s[8:9] offset:1024
	global_load_dword v6, v1, s[8:9] offset:2048
	;; [unrolled: 1-line block ×3, first 2 shown]
	v_mbcnt_lo_u32_b32 v1, -1, 0
	v_mbcnt_hi_u32_b32 v2, -1, v1
	v_lshlrev_b32_e32 v3, 2, v2
	v_cmp_eq_u32_e32 vcc, 0, v2
	s_waitcnt vmcnt(2)
	v_add_u32_e32 v1, v5, v4
	v_or_b32_e32 v4, 0xfc, v3
	s_waitcnt vmcnt(0)
	v_add3_u32 v1, v1, v6, v7
	s_nop 1
	v_add_u32_dpp v1, v1, v1 quad_perm:[1,0,3,2] row_mask:0xf bank_mask:0xf bound_ctrl:1
	s_nop 1
	v_add_u32_dpp v1, v1, v1 quad_perm:[2,3,0,1] row_mask:0xf bank_mask:0xf bound_ctrl:1
	s_nop 1
	v_add_u32_dpp v1, v1, v1 row_ror:4 row_mask:0xf bank_mask:0xf bound_ctrl:1
	s_nop 1
	v_add_u32_dpp v1, v1, v1 row_ror:8 row_mask:0xf bank_mask:0xf bound_ctrl:1
	s_nop 1
	v_add_u32_dpp v1, v1, v1 row_bcast:15 row_mask:0xf bank_mask:0xf bound_ctrl:1
	s_nop 1
	v_add_u32_dpp v1, v1, v1 row_bcast:31 row_mask:0xf bank_mask:0xf bound_ctrl:1
	ds_bpermute_b32 v1, v4, v1
	s_and_saveexec_b64 s[6:7], vcc
	s_cbranch_execz .LBB251_172
; %bb.171:
	v_lshrrev_b32_e32 v4, 4, v0
	v_and_b32_e32 v4, 12, v4
	s_waitcnt lgkmcnt(0)
	ds_write_b32 v4, v1 offset:64
.LBB251_172:
	s_or_b64 exec, exec, s[6:7]
	v_cmp_gt_u32_e32 vcc, 64, v0
	s_waitcnt lgkmcnt(0)
	s_barrier
	s_and_saveexec_b64 s[6:7], vcc
	s_cbranch_execz .LBB251_174
; %bb.173:
	v_and_b32_e32 v1, 3, v2
	v_lshlrev_b32_e32 v4, 2, v1
	ds_read_b32 v4, v4 offset:64
	v_cmp_ne_u32_e32 vcc, 3, v1
	s_nop 1
	v_addc_co_u32_e32 v1, vcc, 0, v2, vcc
	v_lshlrev_b32_e32 v1, 2, v1
	s_waitcnt lgkmcnt(0)
	ds_bpermute_b32 v1, v1, v4
	v_or_b32_e32 v2, 8, v3
	s_waitcnt lgkmcnt(0)
	v_add_u32_e32 v1, v1, v4
	ds_bpermute_b32 v2, v2, v1
	s_waitcnt lgkmcnt(0)
	v_add_u32_e32 v1, v2, v1
.LBB251_174:
	s_or_b64 exec, exec, s[6:7]
	s_mov_b64 s[6:7], 0
	s_branch .LBB251_180
.LBB251_175:
                                        ; implicit-def: $vgpr1
	s_cbranch_execnz .LBB251_215
	s_branch .LBB251_224
.LBB251_176:
                                        ; implicit-def: $vgpr1
	s_cbranch_execz .LBB251_178
	s_branch .LBB251_195
.LBB251_177:
                                        ; implicit-def: $vgpr1
.LBB251_178:
	s_branch .LBB251_224
.LBB251_179:
	s_mov_b64 s[6:7], -1
                                        ; implicit-def: $vgpr1
.LBB251_180:
	s_and_b64 vcc, exec, s[6:7]
	s_cbranch_vccz .LBB251_194
; %bb.181:
	s_sub_i32 s12, s70, s4
	v_mov_b32_e32 v2, 0
	v_cmp_gt_u32_e32 vcc, s12, v0
	v_mov_b32_e32 v3, v2
	v_mov_b32_e32 v4, v2
	;; [unrolled: 1-line block ×3, first 2 shown]
	s_and_saveexec_b64 s[4:5], vcc
	s_cbranch_execz .LBB251_183
; %bb.182:
	v_lshlrev_b32_e32 v1, 2, v0
	global_load_dword v4, v1, s[8:9]
	v_mov_b32_e32 v5, v2
	v_mov_b32_e32 v6, v2
	v_mov_b32_e32 v7, v2
	s_waitcnt vmcnt(0)
	v_mov_b64_e32 v[2:3], v[4:5]
	v_mov_b64_e32 v[4:5], v[6:7]
.LBB251_183:
	s_or_b64 exec, exec, s[4:5]
	v_or_b32_e32 v1, 0x100, v0
	v_cmp_gt_u32_e32 vcc, s12, v1
	s_and_saveexec_b64 s[4:5], vcc
	s_cbranch_execz .LBB251_185
; %bb.184:
	v_lshlrev_b32_e32 v1, 2, v0
	global_load_dword v3, v1, s[8:9] offset:1024
.LBB251_185:
	s_or_b64 exec, exec, s[4:5]
	v_or_b32_e32 v1, 0x200, v0
	v_cmp_gt_u32_e64 s[4:5], s12, v1
	s_and_saveexec_b64 s[6:7], s[4:5]
	s_cbranch_execz .LBB251_187
; %bb.186:
	v_lshlrev_b32_e32 v1, 2, v0
	global_load_dword v4, v1, s[8:9] offset:2048
.LBB251_187:
	s_or_b64 exec, exec, s[6:7]
	v_or_b32_e32 v1, 0x300, v0
	v_cmp_gt_u32_e64 s[6:7], s12, v1
	s_and_saveexec_b64 s[10:11], s[6:7]
	s_cbranch_execz .LBB251_189
; %bb.188:
	v_lshlrev_b32_e32 v1, 2, v0
	global_load_dword v5, v1, s[8:9] offset:3072
.LBB251_189:
	s_or_b64 exec, exec, s[10:11]
	s_waitcnt vmcnt(0)
	v_cndmask_b32_e32 v1, 0, v3, vcc
	v_add_u32_e32 v1, v1, v2
	v_cndmask_b32_e64 v2, 0, v4, s[4:5]
	v_cndmask_b32_e64 v3, 0, v5, s[6:7]
	v_add3_u32 v1, v1, v2, v3
	v_mbcnt_lo_u32_b32 v2, -1, 0
	v_mbcnt_hi_u32_b32 v2, -1, v2
	v_and_b32_e32 v4, 63, v2
	v_cmp_ne_u32_e32 vcc, 63, v4
	s_min_u32 s6, s12, 0x100
	v_and_b32_e32 v5, 0xc0, v0
	v_addc_co_u32_e32 v3, vcc, 0, v2, vcc
	v_lshlrev_b32_e32 v3, 2, v3
	ds_bpermute_b32 v3, v3, v1
	v_sub_u32_e64 v5, s6, v5 clamp
	v_add_u32_e32 v6, 1, v4
	v_cmp_lt_u32_e32 vcc, v6, v5
	v_add_u32_e32 v6, 2, v4
	s_waitcnt lgkmcnt(0)
	v_cndmask_b32_e32 v3, 0, v3, vcc
	v_cmp_gt_u32_e32 vcc, 62, v4
	v_add_u32_e32 v1, v3, v1
	s_nop 0
	v_cndmask_b32_e64 v3, 0, 2, vcc
	v_add_lshl_u32 v3, v3, v2, 2
	ds_bpermute_b32 v3, v3, v1
	v_cmp_lt_u32_e32 vcc, v6, v5
	v_add_u32_e32 v6, 4, v4
	s_waitcnt lgkmcnt(0)
	v_cndmask_b32_e32 v3, 0, v3, vcc
	v_cmp_gt_u32_e32 vcc, 60, v4
	v_add_u32_e32 v1, v1, v3
	s_nop 0
	v_cndmask_b32_e64 v3, 0, 4, vcc
	v_add_lshl_u32 v3, v3, v2, 2
	ds_bpermute_b32 v3, v3, v1
	;; [unrolled: 10-line block ×3, first 2 shown]
	v_cmp_lt_u32_e32 vcc, v6, v5
	v_add_u32_e32 v6, 16, v4
	s_waitcnt lgkmcnt(0)
	v_cndmask_b32_e32 v3, 0, v3, vcc
	v_cmp_gt_u32_e32 vcc, 48, v4
	v_add_u32_e32 v1, v1, v3
	v_add_u32_e32 v4, 32, v4
	v_cndmask_b32_e64 v3, 0, 16, vcc
	v_add_lshl_u32 v3, v3, v2, 2
	ds_bpermute_b32 v3, v3, v1
	v_cmp_lt_u32_e32 vcc, v6, v5
	s_waitcnt lgkmcnt(0)
	s_nop 0
	v_cndmask_b32_e32 v3, 0, v3, vcc
	v_add_u32_e32 v1, v1, v3
	v_lshlrev_b32_e32 v3, 2, v2
	v_or_b32_e32 v6, 0x80, v3
	ds_bpermute_b32 v6, v6, v1
	v_cmp_lt_u32_e32 vcc, v4, v5
	s_waitcnt lgkmcnt(0)
	s_nop 0
	v_cndmask_b32_e32 v4, 0, v6, vcc
	v_add_u32_e32 v1, v1, v4
	v_cmp_eq_u32_e32 vcc, 0, v2
	s_and_saveexec_b64 s[4:5], vcc
; %bb.190:
	v_lshrrev_b32_e32 v4, 4, v0
	v_and_b32_e32 v4, 12, v4
	ds_write_b32 v4, v1 offset:96
; %bb.191:
	s_or_b64 exec, exec, s[4:5]
	v_cmp_gt_u32_e32 vcc, 4, v0
	s_waitcnt lgkmcnt(0)
	s_barrier
	s_and_saveexec_b64 s[4:5], vcc
	s_cbranch_execz .LBB251_193
; %bb.192:
	ds_read_b32 v1, v3 offset:96
	v_and_b32_e32 v4, 3, v2
	v_cmp_ne_u32_e32 vcc, 3, v4
	s_add_i32 s6, s6, 63
	s_lshr_b32 s6, s6, 6
	v_addc_co_u32_e32 v2, vcc, 0, v2, vcc
	v_lshlrev_b32_e32 v2, 2, v2
	s_waitcnt lgkmcnt(0)
	ds_bpermute_b32 v2, v2, v1
	v_add_u32_e32 v5, 1, v4
	v_cmp_gt_u32_e32 vcc, s6, v5
	s_waitcnt lgkmcnt(0)
	s_nop 0
	v_cndmask_b32_e32 v2, 0, v2, vcc
	v_add_u32_e32 v1, v2, v1
	v_or_b32_e32 v2, 8, v3
	ds_bpermute_b32 v2, v2, v1
	v_add_u32_e32 v3, 2, v4
	v_cmp_gt_u32_e32 vcc, s6, v3
	s_waitcnt lgkmcnt(0)
	s_nop 0
	v_cndmask_b32_e32 v2, 0, v2, vcc
	v_add_u32_e32 v1, v1, v2
.LBB251_193:
	s_or_b64 exec, exec, s[4:5]
.LBB251_194:
	v_cmp_eq_u32_e64 s[4:5], 0, v0
	s_branch .LBB251_178
.LBB251_195:
	s_cmp_eq_u32 s33, 2
	s_cbranch_scc0 .LBB251_202
; %bb.196:
	s_mov_b32 s3, 0
	s_lshl_b32 s6, s2, 9
	s_mov_b32 s7, s3
	s_lshr_b64 s[8:9], s[70:71], 9
	s_lshl_b64 s[4:5], s[6:7], 2
	s_add_u32 s4, s68, s4
	s_addc_u32 s5, s69, s5
	s_cmp_lg_u64 s[8:9], s[2:3]
	s_cbranch_scc0 .LBB251_203
; %bb.197:
	v_lshlrev_b32_e32 v1, 2, v0
	global_load_dword v4, v1, s[4:5]
	global_load_dword v5, v1, s[4:5] offset:1024
	v_mbcnt_lo_u32_b32 v1, -1, 0
	v_mbcnt_hi_u32_b32 v2, -1, v1
	v_lshlrev_b32_e32 v3, 2, v2
	v_cmp_eq_u32_e32 vcc, 0, v2
	s_waitcnt vmcnt(0)
	v_add_u32_e32 v1, v5, v4
	s_nop 1
	v_add_u32_dpp v1, v1, v1 quad_perm:[1,0,3,2] row_mask:0xf bank_mask:0xf bound_ctrl:1
	v_or_b32_e32 v4, 0xfc, v3
	s_nop 0
	v_add_u32_dpp v1, v1, v1 quad_perm:[2,3,0,1] row_mask:0xf bank_mask:0xf bound_ctrl:1
	s_nop 1
	v_add_u32_dpp v1, v1, v1 row_ror:4 row_mask:0xf bank_mask:0xf bound_ctrl:1
	s_nop 1
	v_add_u32_dpp v1, v1, v1 row_ror:8 row_mask:0xf bank_mask:0xf bound_ctrl:1
	s_nop 1
	v_add_u32_dpp v1, v1, v1 row_bcast:15 row_mask:0xf bank_mask:0xf bound_ctrl:1
	s_nop 1
	v_add_u32_dpp v1, v1, v1 row_bcast:31 row_mask:0xf bank_mask:0xf bound_ctrl:1
	ds_bpermute_b32 v1, v4, v1
	s_and_saveexec_b64 s[8:9], vcc
	s_cbranch_execz .LBB251_199
; %bb.198:
	v_lshrrev_b32_e32 v4, 4, v0
	v_and_b32_e32 v4, 12, v4
	s_waitcnt lgkmcnt(0)
	ds_write_b32 v4, v1 offset:32
.LBB251_199:
	s_or_b64 exec, exec, s[8:9]
	v_cmp_gt_u32_e32 vcc, 64, v0
	s_waitcnt lgkmcnt(0)
	s_barrier
	s_and_saveexec_b64 s[8:9], vcc
	s_cbranch_execz .LBB251_201
; %bb.200:
	v_and_b32_e32 v1, 3, v2
	v_lshlrev_b32_e32 v4, 2, v1
	ds_read_b32 v4, v4 offset:32
	v_cmp_ne_u32_e32 vcc, 3, v1
	s_nop 1
	v_addc_co_u32_e32 v1, vcc, 0, v2, vcc
	v_lshlrev_b32_e32 v1, 2, v1
	s_waitcnt lgkmcnt(0)
	ds_bpermute_b32 v1, v1, v4
	v_or_b32_e32 v2, 8, v3
	s_waitcnt lgkmcnt(0)
	v_add_u32_e32 v1, v1, v4
	ds_bpermute_b32 v2, v2, v1
	s_waitcnt lgkmcnt(0)
	v_add_u32_e32 v1, v2, v1
.LBB251_201:
	s_or_b64 exec, exec, s[8:9]
	s_mov_b64 s[8:9], 0
	s_branch .LBB251_204
.LBB251_202:
                                        ; implicit-def: $vgpr1
	s_branch .LBB251_224
.LBB251_203:
	s_mov_b64 s[8:9], -1
                                        ; implicit-def: $vgpr1
.LBB251_204:
	s_and_b64 vcc, exec, s[8:9]
	s_cbranch_vccz .LBB251_214
; %bb.205:
	s_sub_i32 s8, s70, s6
	v_mov_b32_e32 v2, 0
	v_cmp_gt_u32_e32 vcc, s8, v0
	v_mov_b32_e32 v3, v2
	s_and_saveexec_b64 s[6:7], vcc
	s_cbranch_execz .LBB251_207
; %bb.206:
	v_lshlrev_b32_e32 v1, 2, v0
	global_load_dword v4, v1, s[4:5]
	v_mov_b32_e32 v5, v2
	s_waitcnt vmcnt(0)
	v_mov_b64_e32 v[2:3], v[4:5]
.LBB251_207:
	s_or_b64 exec, exec, s[6:7]
	v_or_b32_e32 v1, 0x100, v0
	v_cmp_gt_u32_e32 vcc, s8, v1
	s_and_saveexec_b64 s[6:7], vcc
	s_cbranch_execz .LBB251_209
; %bb.208:
	v_lshlrev_b32_e32 v1, 2, v0
	global_load_dword v3, v1, s[4:5] offset:1024
.LBB251_209:
	s_or_b64 exec, exec, s[6:7]
	s_waitcnt vmcnt(0)
	v_cndmask_b32_e32 v1, 0, v3, vcc
	v_add_u32_e32 v1, v1, v2
	v_mbcnt_lo_u32_b32 v2, -1, 0
	v_mbcnt_hi_u32_b32 v2, -1, v2
	v_and_b32_e32 v4, 63, v2
	v_cmp_ne_u32_e32 vcc, 63, v4
	s_min_u32 s6, s8, 0x100
	v_and_b32_e32 v5, 0xc0, v0
	v_addc_co_u32_e32 v3, vcc, 0, v2, vcc
	v_lshlrev_b32_e32 v3, 2, v3
	ds_bpermute_b32 v3, v3, v1
	v_sub_u32_e64 v5, s6, v5 clamp
	v_add_u32_e32 v6, 1, v4
	v_cmp_lt_u32_e32 vcc, v6, v5
	v_add_u32_e32 v6, 2, v4
	s_waitcnt lgkmcnt(0)
	v_cndmask_b32_e32 v3, 0, v3, vcc
	v_cmp_gt_u32_e32 vcc, 62, v4
	v_add_u32_e32 v1, v3, v1
	s_nop 0
	v_cndmask_b32_e64 v3, 0, 2, vcc
	v_add_lshl_u32 v3, v3, v2, 2
	ds_bpermute_b32 v3, v3, v1
	v_cmp_lt_u32_e32 vcc, v6, v5
	v_add_u32_e32 v6, 4, v4
	s_waitcnt lgkmcnt(0)
	v_cndmask_b32_e32 v3, 0, v3, vcc
	v_cmp_gt_u32_e32 vcc, 60, v4
	v_add_u32_e32 v1, v1, v3
	s_nop 0
	v_cndmask_b32_e64 v3, 0, 4, vcc
	v_add_lshl_u32 v3, v3, v2, 2
	ds_bpermute_b32 v3, v3, v1
	;; [unrolled: 10-line block ×3, first 2 shown]
	v_cmp_lt_u32_e32 vcc, v6, v5
	v_add_u32_e32 v6, 16, v4
	s_waitcnt lgkmcnt(0)
	v_cndmask_b32_e32 v3, 0, v3, vcc
	v_cmp_gt_u32_e32 vcc, 48, v4
	v_add_u32_e32 v1, v1, v3
	v_add_u32_e32 v4, 32, v4
	v_cndmask_b32_e64 v3, 0, 16, vcc
	v_add_lshl_u32 v3, v3, v2, 2
	ds_bpermute_b32 v3, v3, v1
	v_cmp_lt_u32_e32 vcc, v6, v5
	s_waitcnt lgkmcnt(0)
	s_nop 0
	v_cndmask_b32_e32 v3, 0, v3, vcc
	v_add_u32_e32 v1, v1, v3
	v_lshlrev_b32_e32 v3, 2, v2
	v_or_b32_e32 v6, 0x80, v3
	ds_bpermute_b32 v6, v6, v1
	v_cmp_lt_u32_e32 vcc, v4, v5
	s_waitcnt lgkmcnt(0)
	s_nop 0
	v_cndmask_b32_e32 v4, 0, v6, vcc
	v_add_u32_e32 v1, v1, v4
	v_cmp_eq_u32_e32 vcc, 0, v2
	s_and_saveexec_b64 s[4:5], vcc
; %bb.210:
	v_lshrrev_b32_e32 v4, 4, v0
	v_and_b32_e32 v4, 12, v4
	ds_write_b32 v4, v1 offset:96
; %bb.211:
	s_or_b64 exec, exec, s[4:5]
	v_cmp_gt_u32_e32 vcc, 4, v0
	s_waitcnt lgkmcnt(0)
	s_barrier
	s_and_saveexec_b64 s[4:5], vcc
	s_cbranch_execz .LBB251_213
; %bb.212:
	ds_read_b32 v1, v3 offset:96
	v_and_b32_e32 v4, 3, v2
	v_cmp_ne_u32_e32 vcc, 3, v4
	s_add_i32 s6, s6, 63
	s_lshr_b32 s6, s6, 6
	v_addc_co_u32_e32 v2, vcc, 0, v2, vcc
	v_lshlrev_b32_e32 v2, 2, v2
	s_waitcnt lgkmcnt(0)
	ds_bpermute_b32 v2, v2, v1
	v_add_u32_e32 v5, 1, v4
	v_cmp_gt_u32_e32 vcc, s6, v5
	s_waitcnt lgkmcnt(0)
	s_nop 0
	v_cndmask_b32_e32 v2, 0, v2, vcc
	v_add_u32_e32 v1, v2, v1
	v_or_b32_e32 v2, 8, v3
	ds_bpermute_b32 v2, v2, v1
	v_add_u32_e32 v3, 2, v4
	v_cmp_gt_u32_e32 vcc, s6, v3
	s_waitcnt lgkmcnt(0)
	s_nop 0
	v_cndmask_b32_e32 v2, 0, v2, vcc
	v_add_u32_e32 v1, v1, v2
.LBB251_213:
	s_or_b64 exec, exec, s[4:5]
.LBB251_214:
	v_cmp_eq_u32_e64 s[4:5], 0, v0
	s_branch .LBB251_224
.LBB251_215:
	s_cmp_eq_u32 s33, 1
	s_cbranch_scc0 .LBB251_223
; %bb.216:
	s_mov_b32 s5, 0
	s_lshl_b32 s4, s2, 8
	s_mov_b32 s3, s5
	s_lshr_b64 s[6:7], s[70:71], 8
	s_cmp_lg_u64 s[6:7], s[2:3]
	v_mbcnt_lo_u32_b32 v2, -1, 0
	s_cbranch_scc0 .LBB251_227
; %bb.217:
	s_lshl_b64 s[6:7], s[4:5], 2
	s_add_u32 s6, s68, s6
	s_addc_u32 s7, s69, s7
	v_lshlrev_b32_e32 v1, 2, v0
	global_load_dword v1, v1, s[6:7]
	v_mbcnt_hi_u32_b32 v3, -1, v2
	v_lshlrev_b32_e32 v4, 2, v3
	v_or_b32_e32 v5, 0xfc, v4
	v_cmp_eq_u32_e32 vcc, 0, v3
	s_waitcnt vmcnt(0)
	v_add_u32_dpp v1, v1, v1 quad_perm:[1,0,3,2] row_mask:0xf bank_mask:0xf bound_ctrl:1
	s_nop 1
	v_add_u32_dpp v1, v1, v1 quad_perm:[2,3,0,1] row_mask:0xf bank_mask:0xf bound_ctrl:1
	s_nop 1
	v_add_u32_dpp v1, v1, v1 row_ror:4 row_mask:0xf bank_mask:0xf bound_ctrl:1
	s_nop 1
	v_add_u32_dpp v1, v1, v1 row_ror:8 row_mask:0xf bank_mask:0xf bound_ctrl:1
	s_nop 1
	v_add_u32_dpp v1, v1, v1 row_bcast:15 row_mask:0xf bank_mask:0xf bound_ctrl:1
	s_nop 1
	v_add_u32_dpp v1, v1, v1 row_bcast:31 row_mask:0xf bank_mask:0xf bound_ctrl:1
	ds_bpermute_b32 v1, v5, v1
	s_and_saveexec_b64 s[6:7], vcc
	s_cbranch_execz .LBB251_219
; %bb.218:
	v_lshrrev_b32_e32 v5, 4, v0
	v_and_b32_e32 v5, 12, v5
	s_waitcnt lgkmcnt(0)
	ds_write_b32 v5, v1 offset:16
.LBB251_219:
	s_or_b64 exec, exec, s[6:7]
	v_cmp_gt_u32_e32 vcc, 64, v0
	s_waitcnt lgkmcnt(0)
	s_barrier
	s_and_saveexec_b64 s[6:7], vcc
	s_cbranch_execz .LBB251_221
; %bb.220:
	v_and_b32_e32 v1, 3, v3
	v_lshlrev_b32_e32 v5, 2, v1
	ds_read_b32 v5, v5 offset:16
	v_cmp_ne_u32_e32 vcc, 3, v1
	s_nop 1
	v_addc_co_u32_e32 v1, vcc, 0, v3, vcc
	v_lshlrev_b32_e32 v1, 2, v1
	s_waitcnt lgkmcnt(0)
	ds_bpermute_b32 v1, v1, v5
	v_or_b32_e32 v3, 8, v4
	s_waitcnt lgkmcnt(0)
	v_add_u32_e32 v1, v1, v5
	ds_bpermute_b32 v3, v3, v1
	s_waitcnt lgkmcnt(0)
	v_add_u32_e32 v1, v3, v1
.LBB251_221:
	s_or_b64 exec, exec, s[6:7]
.LBB251_222:
	v_cmp_eq_u32_e64 s[4:5], 0, v0
	s_and_saveexec_b64 s[6:7], s[4:5]
	s_cbranch_execnz .LBB251_225
	s_branch .LBB251_226
.LBB251_223:
                                        ; implicit-def: $vgpr1
                                        ; implicit-def: $sgpr2_sgpr3
.LBB251_224:
	s_and_saveexec_b64 s[6:7], s[4:5]
	s_cbranch_execz .LBB251_226
.LBB251_225:
	s_load_dwordx2 s[4:5], s[0:1], 0x18
	s_load_dword s6, s[0:1], 0x20
	s_lshl_b64 s[0:1], s[2:3], 2
	v_mov_b32_e32 v0, 0
	s_waitcnt lgkmcnt(0)
	s_add_u32 s0, s4, s0
	s_addc_u32 s1, s5, s1
	s_cmp_lg_u64 s[70:71], 0
	s_cselect_b64 vcc, -1, 0
	v_cndmask_b32_e32 v1, 0, v1, vcc
	v_add_u32_e32 v1, s6, v1
	global_store_dword v0, v1, s[0:1]
.LBB251_226:
	s_endpgm
.LBB251_227:
                                        ; implicit-def: $vgpr1
	s_cbranch_execz .LBB251_222
; %bb.228:
	s_sub_i32 s8, s70, s4
	v_cmp_gt_u32_e32 vcc, s8, v0
                                        ; implicit-def: $vgpr1
	s_and_saveexec_b64 s[6:7], vcc
	s_cbranch_execz .LBB251_230
; %bb.229:
	s_lshl_b64 s[4:5], s[4:5], 2
	s_add_u32 s4, s68, s4
	s_addc_u32 s5, s69, s5
	v_lshlrev_b32_e32 v1, 2, v0
	global_load_dword v1, v1, s[4:5]
.LBB251_230:
	s_or_b64 exec, exec, s[6:7]
	v_mbcnt_hi_u32_b32 v2, -1, v2
	v_and_b32_e32 v4, 63, v2
	v_cmp_ne_u32_e32 vcc, 63, v4
	s_min_u32 s6, s8, 0x100
	v_and_b32_e32 v5, 0xc0, v0
	v_addc_co_u32_e32 v3, vcc, 0, v2, vcc
	v_lshlrev_b32_e32 v3, 2, v3
	s_waitcnt vmcnt(0)
	ds_bpermute_b32 v3, v3, v1
	v_sub_u32_e64 v5, s6, v5 clamp
	v_add_u32_e32 v6, 1, v4
	v_cmp_lt_u32_e32 vcc, v6, v5
	v_add_u32_e32 v6, 2, v4
	s_waitcnt lgkmcnt(0)
	v_cndmask_b32_e32 v3, 0, v3, vcc
	v_cmp_gt_u32_e32 vcc, 62, v4
	v_add_u32_e32 v1, v3, v1
	s_nop 0
	v_cndmask_b32_e64 v3, 0, 2, vcc
	v_add_lshl_u32 v3, v3, v2, 2
	ds_bpermute_b32 v3, v3, v1
	v_cmp_lt_u32_e32 vcc, v6, v5
	v_add_u32_e32 v6, 4, v4
	s_waitcnt lgkmcnt(0)
	v_cndmask_b32_e32 v3, 0, v3, vcc
	v_cmp_gt_u32_e32 vcc, 60, v4
	v_add_u32_e32 v1, v1, v3
	s_nop 0
	v_cndmask_b32_e64 v3, 0, 4, vcc
	v_add_lshl_u32 v3, v3, v2, 2
	ds_bpermute_b32 v3, v3, v1
	;; [unrolled: 10-line block ×3, first 2 shown]
	v_cmp_lt_u32_e32 vcc, v6, v5
	v_add_u32_e32 v6, 16, v4
	s_waitcnt lgkmcnt(0)
	v_cndmask_b32_e32 v3, 0, v3, vcc
	v_cmp_gt_u32_e32 vcc, 48, v4
	v_add_u32_e32 v1, v1, v3
	v_add_u32_e32 v4, 32, v4
	v_cndmask_b32_e64 v3, 0, 16, vcc
	v_add_lshl_u32 v3, v3, v2, 2
	ds_bpermute_b32 v3, v3, v1
	v_cmp_lt_u32_e32 vcc, v6, v5
	s_waitcnt lgkmcnt(0)
	s_nop 0
	v_cndmask_b32_e32 v3, 0, v3, vcc
	v_add_u32_e32 v1, v1, v3
	v_lshlrev_b32_e32 v3, 2, v2
	v_or_b32_e32 v6, 0x80, v3
	ds_bpermute_b32 v6, v6, v1
	v_cmp_lt_u32_e32 vcc, v4, v5
	s_waitcnt lgkmcnt(0)
	s_nop 0
	v_cndmask_b32_e32 v4, 0, v6, vcc
	v_add_u32_e32 v1, v1, v4
	v_cmp_eq_u32_e32 vcc, 0, v2
	s_and_saveexec_b64 s[4:5], vcc
; %bb.231:
	v_lshrrev_b32_e32 v4, 4, v0
	v_and_b32_e32 v4, 12, v4
	ds_write_b32 v4, v1 offset:96
; %bb.232:
	s_or_b64 exec, exec, s[4:5]
	v_cmp_gt_u32_e32 vcc, 4, v0
	s_waitcnt lgkmcnt(0)
	s_barrier
	s_and_saveexec_b64 s[4:5], vcc
	s_cbranch_execz .LBB251_234
; %bb.233:
	ds_read_b32 v1, v3 offset:96
	v_and_b32_e32 v4, 3, v2
	v_cmp_ne_u32_e32 vcc, 3, v4
	s_add_i32 s6, s6, 63
	s_lshr_b32 s6, s6, 6
	v_addc_co_u32_e32 v2, vcc, 0, v2, vcc
	v_lshlrev_b32_e32 v2, 2, v2
	s_waitcnt lgkmcnt(0)
	ds_bpermute_b32 v2, v2, v1
	v_add_u32_e32 v5, 1, v4
	v_cmp_gt_u32_e32 vcc, s6, v5
	s_waitcnt lgkmcnt(0)
	s_nop 0
	v_cndmask_b32_e32 v2, 0, v2, vcc
	v_add_u32_e32 v1, v2, v1
	v_or_b32_e32 v2, 8, v3
	ds_bpermute_b32 v2, v2, v1
	v_add_u32_e32 v3, 2, v4
	v_cmp_gt_u32_e32 vcc, s6, v3
	s_waitcnt lgkmcnt(0)
	s_nop 0
	v_cndmask_b32_e32 v2, 0, v2, vcc
	v_add_u32_e32 v1, v1, v2
.LBB251_234:
	s_or_b64 exec, exec, s[4:5]
	v_cmp_eq_u32_e64 s[4:5], 0, v0
	s_and_saveexec_b64 s[6:7], s[4:5]
	s_cbranch_execnz .LBB251_225
	s_branch .LBB251_226
	.section	.rodata,"a",@progbits
	.p2align	6, 0x0
	.amdhsa_kernel _ZN7rocprim17ROCPRIM_400000_NS6detail17trampoline_kernelINS0_14default_configENS1_22reduce_config_selectorIiEEZNS1_11reduce_implILb1ES3_N6thrust23THRUST_200600_302600_NS6detail15normal_iteratorINS8_10device_ptrIiEEEEPiiNS8_4plusIiEEEE10hipError_tPvRmT1_T2_T3_mT4_P12ihipStream_tbEUlT_E1_NS1_11comp_targetILNS1_3genE0ELNS1_11target_archE4294967295ELNS1_3gpuE0ELNS1_3repE0EEENS1_30default_config_static_selectorELNS0_4arch9wavefront6targetE1EEEvSK_
		.amdhsa_group_segment_fixed_size 112
		.amdhsa_private_segment_fixed_size 0
		.amdhsa_kernarg_size 40
		.amdhsa_user_sgpr_count 2
		.amdhsa_user_sgpr_dispatch_ptr 0
		.amdhsa_user_sgpr_queue_ptr 0
		.amdhsa_user_sgpr_kernarg_segment_ptr 1
		.amdhsa_user_sgpr_dispatch_id 0
		.amdhsa_user_sgpr_kernarg_preload_length 0
		.amdhsa_user_sgpr_kernarg_preload_offset 0
		.amdhsa_user_sgpr_private_segment_size 0
		.amdhsa_uses_dynamic_stack 0
		.amdhsa_enable_private_segment 0
		.amdhsa_system_sgpr_workgroup_id_x 1
		.amdhsa_system_sgpr_workgroup_id_y 0
		.amdhsa_system_sgpr_workgroup_id_z 0
		.amdhsa_system_sgpr_workgroup_info 0
		.amdhsa_system_vgpr_workitem_id 0
		.amdhsa_next_free_vgpr 36
		.amdhsa_next_free_sgpr 77
		.amdhsa_accum_offset 36
		.amdhsa_reserve_vcc 1
		.amdhsa_float_round_mode_32 0
		.amdhsa_float_round_mode_16_64 0
		.amdhsa_float_denorm_mode_32 3
		.amdhsa_float_denorm_mode_16_64 3
		.amdhsa_dx10_clamp 1
		.amdhsa_ieee_mode 1
		.amdhsa_fp16_overflow 0
		.amdhsa_tg_split 0
		.amdhsa_exception_fp_ieee_invalid_op 0
		.amdhsa_exception_fp_denorm_src 0
		.amdhsa_exception_fp_ieee_div_zero 0
		.amdhsa_exception_fp_ieee_overflow 0
		.amdhsa_exception_fp_ieee_underflow 0
		.amdhsa_exception_fp_ieee_inexact 0
		.amdhsa_exception_int_div_zero 0
	.end_amdhsa_kernel
	.section	.text._ZN7rocprim17ROCPRIM_400000_NS6detail17trampoline_kernelINS0_14default_configENS1_22reduce_config_selectorIiEEZNS1_11reduce_implILb1ES3_N6thrust23THRUST_200600_302600_NS6detail15normal_iteratorINS8_10device_ptrIiEEEEPiiNS8_4plusIiEEEE10hipError_tPvRmT1_T2_T3_mT4_P12ihipStream_tbEUlT_E1_NS1_11comp_targetILNS1_3genE0ELNS1_11target_archE4294967295ELNS1_3gpuE0ELNS1_3repE0EEENS1_30default_config_static_selectorELNS0_4arch9wavefront6targetE1EEEvSK_,"axG",@progbits,_ZN7rocprim17ROCPRIM_400000_NS6detail17trampoline_kernelINS0_14default_configENS1_22reduce_config_selectorIiEEZNS1_11reduce_implILb1ES3_N6thrust23THRUST_200600_302600_NS6detail15normal_iteratorINS8_10device_ptrIiEEEEPiiNS8_4plusIiEEEE10hipError_tPvRmT1_T2_T3_mT4_P12ihipStream_tbEUlT_E1_NS1_11comp_targetILNS1_3genE0ELNS1_11target_archE4294967295ELNS1_3gpuE0ELNS1_3repE0EEENS1_30default_config_static_selectorELNS0_4arch9wavefront6targetE1EEEvSK_,comdat
.Lfunc_end251:
	.size	_ZN7rocprim17ROCPRIM_400000_NS6detail17trampoline_kernelINS0_14default_configENS1_22reduce_config_selectorIiEEZNS1_11reduce_implILb1ES3_N6thrust23THRUST_200600_302600_NS6detail15normal_iteratorINS8_10device_ptrIiEEEEPiiNS8_4plusIiEEEE10hipError_tPvRmT1_T2_T3_mT4_P12ihipStream_tbEUlT_E1_NS1_11comp_targetILNS1_3genE0ELNS1_11target_archE4294967295ELNS1_3gpuE0ELNS1_3repE0EEENS1_30default_config_static_selectorELNS0_4arch9wavefront6targetE1EEEvSK_, .Lfunc_end251-_ZN7rocprim17ROCPRIM_400000_NS6detail17trampoline_kernelINS0_14default_configENS1_22reduce_config_selectorIiEEZNS1_11reduce_implILb1ES3_N6thrust23THRUST_200600_302600_NS6detail15normal_iteratorINS8_10device_ptrIiEEEEPiiNS8_4plusIiEEEE10hipError_tPvRmT1_T2_T3_mT4_P12ihipStream_tbEUlT_E1_NS1_11comp_targetILNS1_3genE0ELNS1_11target_archE4294967295ELNS1_3gpuE0ELNS1_3repE0EEENS1_30default_config_static_selectorELNS0_4arch9wavefront6targetE1EEEvSK_
                                        ; -- End function
	.set _ZN7rocprim17ROCPRIM_400000_NS6detail17trampoline_kernelINS0_14default_configENS1_22reduce_config_selectorIiEEZNS1_11reduce_implILb1ES3_N6thrust23THRUST_200600_302600_NS6detail15normal_iteratorINS8_10device_ptrIiEEEEPiiNS8_4plusIiEEEE10hipError_tPvRmT1_T2_T3_mT4_P12ihipStream_tbEUlT_E1_NS1_11comp_targetILNS1_3genE0ELNS1_11target_archE4294967295ELNS1_3gpuE0ELNS1_3repE0EEENS1_30default_config_static_selectorELNS0_4arch9wavefront6targetE1EEEvSK_.num_vgpr, 36
	.set _ZN7rocprim17ROCPRIM_400000_NS6detail17trampoline_kernelINS0_14default_configENS1_22reduce_config_selectorIiEEZNS1_11reduce_implILb1ES3_N6thrust23THRUST_200600_302600_NS6detail15normal_iteratorINS8_10device_ptrIiEEEEPiiNS8_4plusIiEEEE10hipError_tPvRmT1_T2_T3_mT4_P12ihipStream_tbEUlT_E1_NS1_11comp_targetILNS1_3genE0ELNS1_11target_archE4294967295ELNS1_3gpuE0ELNS1_3repE0EEENS1_30default_config_static_selectorELNS0_4arch9wavefront6targetE1EEEvSK_.num_agpr, 0
	.set _ZN7rocprim17ROCPRIM_400000_NS6detail17trampoline_kernelINS0_14default_configENS1_22reduce_config_selectorIiEEZNS1_11reduce_implILb1ES3_N6thrust23THRUST_200600_302600_NS6detail15normal_iteratorINS8_10device_ptrIiEEEEPiiNS8_4plusIiEEEE10hipError_tPvRmT1_T2_T3_mT4_P12ihipStream_tbEUlT_E1_NS1_11comp_targetILNS1_3genE0ELNS1_11target_archE4294967295ELNS1_3gpuE0ELNS1_3repE0EEENS1_30default_config_static_selectorELNS0_4arch9wavefront6targetE1EEEvSK_.numbered_sgpr, 77
	.set _ZN7rocprim17ROCPRIM_400000_NS6detail17trampoline_kernelINS0_14default_configENS1_22reduce_config_selectorIiEEZNS1_11reduce_implILb1ES3_N6thrust23THRUST_200600_302600_NS6detail15normal_iteratorINS8_10device_ptrIiEEEEPiiNS8_4plusIiEEEE10hipError_tPvRmT1_T2_T3_mT4_P12ihipStream_tbEUlT_E1_NS1_11comp_targetILNS1_3genE0ELNS1_11target_archE4294967295ELNS1_3gpuE0ELNS1_3repE0EEENS1_30default_config_static_selectorELNS0_4arch9wavefront6targetE1EEEvSK_.num_named_barrier, 0
	.set _ZN7rocprim17ROCPRIM_400000_NS6detail17trampoline_kernelINS0_14default_configENS1_22reduce_config_selectorIiEEZNS1_11reduce_implILb1ES3_N6thrust23THRUST_200600_302600_NS6detail15normal_iteratorINS8_10device_ptrIiEEEEPiiNS8_4plusIiEEEE10hipError_tPvRmT1_T2_T3_mT4_P12ihipStream_tbEUlT_E1_NS1_11comp_targetILNS1_3genE0ELNS1_11target_archE4294967295ELNS1_3gpuE0ELNS1_3repE0EEENS1_30default_config_static_selectorELNS0_4arch9wavefront6targetE1EEEvSK_.private_seg_size, 0
	.set _ZN7rocprim17ROCPRIM_400000_NS6detail17trampoline_kernelINS0_14default_configENS1_22reduce_config_selectorIiEEZNS1_11reduce_implILb1ES3_N6thrust23THRUST_200600_302600_NS6detail15normal_iteratorINS8_10device_ptrIiEEEEPiiNS8_4plusIiEEEE10hipError_tPvRmT1_T2_T3_mT4_P12ihipStream_tbEUlT_E1_NS1_11comp_targetILNS1_3genE0ELNS1_11target_archE4294967295ELNS1_3gpuE0ELNS1_3repE0EEENS1_30default_config_static_selectorELNS0_4arch9wavefront6targetE1EEEvSK_.uses_vcc, 1
	.set _ZN7rocprim17ROCPRIM_400000_NS6detail17trampoline_kernelINS0_14default_configENS1_22reduce_config_selectorIiEEZNS1_11reduce_implILb1ES3_N6thrust23THRUST_200600_302600_NS6detail15normal_iteratorINS8_10device_ptrIiEEEEPiiNS8_4plusIiEEEE10hipError_tPvRmT1_T2_T3_mT4_P12ihipStream_tbEUlT_E1_NS1_11comp_targetILNS1_3genE0ELNS1_11target_archE4294967295ELNS1_3gpuE0ELNS1_3repE0EEENS1_30default_config_static_selectorELNS0_4arch9wavefront6targetE1EEEvSK_.uses_flat_scratch, 0
	.set _ZN7rocprim17ROCPRIM_400000_NS6detail17trampoline_kernelINS0_14default_configENS1_22reduce_config_selectorIiEEZNS1_11reduce_implILb1ES3_N6thrust23THRUST_200600_302600_NS6detail15normal_iteratorINS8_10device_ptrIiEEEEPiiNS8_4plusIiEEEE10hipError_tPvRmT1_T2_T3_mT4_P12ihipStream_tbEUlT_E1_NS1_11comp_targetILNS1_3genE0ELNS1_11target_archE4294967295ELNS1_3gpuE0ELNS1_3repE0EEENS1_30default_config_static_selectorELNS0_4arch9wavefront6targetE1EEEvSK_.has_dyn_sized_stack, 0
	.set _ZN7rocprim17ROCPRIM_400000_NS6detail17trampoline_kernelINS0_14default_configENS1_22reduce_config_selectorIiEEZNS1_11reduce_implILb1ES3_N6thrust23THRUST_200600_302600_NS6detail15normal_iteratorINS8_10device_ptrIiEEEEPiiNS8_4plusIiEEEE10hipError_tPvRmT1_T2_T3_mT4_P12ihipStream_tbEUlT_E1_NS1_11comp_targetILNS1_3genE0ELNS1_11target_archE4294967295ELNS1_3gpuE0ELNS1_3repE0EEENS1_30default_config_static_selectorELNS0_4arch9wavefront6targetE1EEEvSK_.has_recursion, 0
	.set _ZN7rocprim17ROCPRIM_400000_NS6detail17trampoline_kernelINS0_14default_configENS1_22reduce_config_selectorIiEEZNS1_11reduce_implILb1ES3_N6thrust23THRUST_200600_302600_NS6detail15normal_iteratorINS8_10device_ptrIiEEEEPiiNS8_4plusIiEEEE10hipError_tPvRmT1_T2_T3_mT4_P12ihipStream_tbEUlT_E1_NS1_11comp_targetILNS1_3genE0ELNS1_11target_archE4294967295ELNS1_3gpuE0ELNS1_3repE0EEENS1_30default_config_static_selectorELNS0_4arch9wavefront6targetE1EEEvSK_.has_indirect_call, 0
	.section	.AMDGPU.csdata,"",@progbits
; Kernel info:
; codeLenInByte = 9884
; TotalNumSgprs: 83
; NumVgprs: 36
; NumAgprs: 0
; TotalNumVgprs: 36
; ScratchSize: 0
; MemoryBound: 0
; FloatMode: 240
; IeeeMode: 1
; LDSByteSize: 112 bytes/workgroup (compile time only)
; SGPRBlocks: 10
; VGPRBlocks: 4
; NumSGPRsForWavesPerEU: 83
; NumVGPRsForWavesPerEU: 36
; AccumOffset: 36
; Occupancy: 8
; WaveLimiterHint : 1
; COMPUTE_PGM_RSRC2:SCRATCH_EN: 0
; COMPUTE_PGM_RSRC2:USER_SGPR: 2
; COMPUTE_PGM_RSRC2:TRAP_HANDLER: 0
; COMPUTE_PGM_RSRC2:TGID_X_EN: 1
; COMPUTE_PGM_RSRC2:TGID_Y_EN: 0
; COMPUTE_PGM_RSRC2:TGID_Z_EN: 0
; COMPUTE_PGM_RSRC2:TIDIG_COMP_CNT: 0
; COMPUTE_PGM_RSRC3_GFX90A:ACCUM_OFFSET: 8
; COMPUTE_PGM_RSRC3_GFX90A:TG_SPLIT: 0
	.section	.text._ZN7rocprim17ROCPRIM_400000_NS6detail17trampoline_kernelINS0_14default_configENS1_22reduce_config_selectorIiEEZNS1_11reduce_implILb1ES3_N6thrust23THRUST_200600_302600_NS6detail15normal_iteratorINS8_10device_ptrIiEEEEPiiNS8_4plusIiEEEE10hipError_tPvRmT1_T2_T3_mT4_P12ihipStream_tbEUlT_E1_NS1_11comp_targetILNS1_3genE5ELNS1_11target_archE942ELNS1_3gpuE9ELNS1_3repE0EEENS1_30default_config_static_selectorELNS0_4arch9wavefront6targetE1EEEvSK_,"axG",@progbits,_ZN7rocprim17ROCPRIM_400000_NS6detail17trampoline_kernelINS0_14default_configENS1_22reduce_config_selectorIiEEZNS1_11reduce_implILb1ES3_N6thrust23THRUST_200600_302600_NS6detail15normal_iteratorINS8_10device_ptrIiEEEEPiiNS8_4plusIiEEEE10hipError_tPvRmT1_T2_T3_mT4_P12ihipStream_tbEUlT_E1_NS1_11comp_targetILNS1_3genE5ELNS1_11target_archE942ELNS1_3gpuE9ELNS1_3repE0EEENS1_30default_config_static_selectorELNS0_4arch9wavefront6targetE1EEEvSK_,comdat
	.protected	_ZN7rocprim17ROCPRIM_400000_NS6detail17trampoline_kernelINS0_14default_configENS1_22reduce_config_selectorIiEEZNS1_11reduce_implILb1ES3_N6thrust23THRUST_200600_302600_NS6detail15normal_iteratorINS8_10device_ptrIiEEEEPiiNS8_4plusIiEEEE10hipError_tPvRmT1_T2_T3_mT4_P12ihipStream_tbEUlT_E1_NS1_11comp_targetILNS1_3genE5ELNS1_11target_archE942ELNS1_3gpuE9ELNS1_3repE0EEENS1_30default_config_static_selectorELNS0_4arch9wavefront6targetE1EEEvSK_ ; -- Begin function _ZN7rocprim17ROCPRIM_400000_NS6detail17trampoline_kernelINS0_14default_configENS1_22reduce_config_selectorIiEEZNS1_11reduce_implILb1ES3_N6thrust23THRUST_200600_302600_NS6detail15normal_iteratorINS8_10device_ptrIiEEEEPiiNS8_4plusIiEEEE10hipError_tPvRmT1_T2_T3_mT4_P12ihipStream_tbEUlT_E1_NS1_11comp_targetILNS1_3genE5ELNS1_11target_archE942ELNS1_3gpuE9ELNS1_3repE0EEENS1_30default_config_static_selectorELNS0_4arch9wavefront6targetE1EEEvSK_
	.globl	_ZN7rocprim17ROCPRIM_400000_NS6detail17trampoline_kernelINS0_14default_configENS1_22reduce_config_selectorIiEEZNS1_11reduce_implILb1ES3_N6thrust23THRUST_200600_302600_NS6detail15normal_iteratorINS8_10device_ptrIiEEEEPiiNS8_4plusIiEEEE10hipError_tPvRmT1_T2_T3_mT4_P12ihipStream_tbEUlT_E1_NS1_11comp_targetILNS1_3genE5ELNS1_11target_archE942ELNS1_3gpuE9ELNS1_3repE0EEENS1_30default_config_static_selectorELNS0_4arch9wavefront6targetE1EEEvSK_
	.p2align	8
	.type	_ZN7rocprim17ROCPRIM_400000_NS6detail17trampoline_kernelINS0_14default_configENS1_22reduce_config_selectorIiEEZNS1_11reduce_implILb1ES3_N6thrust23THRUST_200600_302600_NS6detail15normal_iteratorINS8_10device_ptrIiEEEEPiiNS8_4plusIiEEEE10hipError_tPvRmT1_T2_T3_mT4_P12ihipStream_tbEUlT_E1_NS1_11comp_targetILNS1_3genE5ELNS1_11target_archE942ELNS1_3gpuE9ELNS1_3repE0EEENS1_30default_config_static_selectorELNS0_4arch9wavefront6targetE1EEEvSK_,@function
_ZN7rocprim17ROCPRIM_400000_NS6detail17trampoline_kernelINS0_14default_configENS1_22reduce_config_selectorIiEEZNS1_11reduce_implILb1ES3_N6thrust23THRUST_200600_302600_NS6detail15normal_iteratorINS8_10device_ptrIiEEEEPiiNS8_4plusIiEEEE10hipError_tPvRmT1_T2_T3_mT4_P12ihipStream_tbEUlT_E1_NS1_11comp_targetILNS1_3genE5ELNS1_11target_archE942ELNS1_3gpuE9ELNS1_3repE0EEENS1_30default_config_static_selectorELNS0_4arch9wavefront6targetE1EEEvSK_: ; @_ZN7rocprim17ROCPRIM_400000_NS6detail17trampoline_kernelINS0_14default_configENS1_22reduce_config_selectorIiEEZNS1_11reduce_implILb1ES3_N6thrust23THRUST_200600_302600_NS6detail15normal_iteratorINS8_10device_ptrIiEEEEPiiNS8_4plusIiEEEE10hipError_tPvRmT1_T2_T3_mT4_P12ihipStream_tbEUlT_E1_NS1_11comp_targetILNS1_3genE5ELNS1_11target_archE942ELNS1_3gpuE9ELNS1_3repE0EEENS1_30default_config_static_selectorELNS0_4arch9wavefront6targetE1EEEvSK_
; %bb.0:
	.section	.rodata,"a",@progbits
	.p2align	6, 0x0
	.amdhsa_kernel _ZN7rocprim17ROCPRIM_400000_NS6detail17trampoline_kernelINS0_14default_configENS1_22reduce_config_selectorIiEEZNS1_11reduce_implILb1ES3_N6thrust23THRUST_200600_302600_NS6detail15normal_iteratorINS8_10device_ptrIiEEEEPiiNS8_4plusIiEEEE10hipError_tPvRmT1_T2_T3_mT4_P12ihipStream_tbEUlT_E1_NS1_11comp_targetILNS1_3genE5ELNS1_11target_archE942ELNS1_3gpuE9ELNS1_3repE0EEENS1_30default_config_static_selectorELNS0_4arch9wavefront6targetE1EEEvSK_
		.amdhsa_group_segment_fixed_size 0
		.amdhsa_private_segment_fixed_size 0
		.amdhsa_kernarg_size 40
		.amdhsa_user_sgpr_count 2
		.amdhsa_user_sgpr_dispatch_ptr 0
		.amdhsa_user_sgpr_queue_ptr 0
		.amdhsa_user_sgpr_kernarg_segment_ptr 1
		.amdhsa_user_sgpr_dispatch_id 0
		.amdhsa_user_sgpr_kernarg_preload_length 0
		.amdhsa_user_sgpr_kernarg_preload_offset 0
		.amdhsa_user_sgpr_private_segment_size 0
		.amdhsa_uses_dynamic_stack 0
		.amdhsa_enable_private_segment 0
		.amdhsa_system_sgpr_workgroup_id_x 1
		.amdhsa_system_sgpr_workgroup_id_y 0
		.amdhsa_system_sgpr_workgroup_id_z 0
		.amdhsa_system_sgpr_workgroup_info 0
		.amdhsa_system_vgpr_workitem_id 0
		.amdhsa_next_free_vgpr 1
		.amdhsa_next_free_sgpr 0
		.amdhsa_accum_offset 4
		.amdhsa_reserve_vcc 0
		.amdhsa_float_round_mode_32 0
		.amdhsa_float_round_mode_16_64 0
		.amdhsa_float_denorm_mode_32 3
		.amdhsa_float_denorm_mode_16_64 3
		.amdhsa_dx10_clamp 1
		.amdhsa_ieee_mode 1
		.amdhsa_fp16_overflow 0
		.amdhsa_tg_split 0
		.amdhsa_exception_fp_ieee_invalid_op 0
		.amdhsa_exception_fp_denorm_src 0
		.amdhsa_exception_fp_ieee_div_zero 0
		.amdhsa_exception_fp_ieee_overflow 0
		.amdhsa_exception_fp_ieee_underflow 0
		.amdhsa_exception_fp_ieee_inexact 0
		.amdhsa_exception_int_div_zero 0
	.end_amdhsa_kernel
	.section	.text._ZN7rocprim17ROCPRIM_400000_NS6detail17trampoline_kernelINS0_14default_configENS1_22reduce_config_selectorIiEEZNS1_11reduce_implILb1ES3_N6thrust23THRUST_200600_302600_NS6detail15normal_iteratorINS8_10device_ptrIiEEEEPiiNS8_4plusIiEEEE10hipError_tPvRmT1_T2_T3_mT4_P12ihipStream_tbEUlT_E1_NS1_11comp_targetILNS1_3genE5ELNS1_11target_archE942ELNS1_3gpuE9ELNS1_3repE0EEENS1_30default_config_static_selectorELNS0_4arch9wavefront6targetE1EEEvSK_,"axG",@progbits,_ZN7rocprim17ROCPRIM_400000_NS6detail17trampoline_kernelINS0_14default_configENS1_22reduce_config_selectorIiEEZNS1_11reduce_implILb1ES3_N6thrust23THRUST_200600_302600_NS6detail15normal_iteratorINS8_10device_ptrIiEEEEPiiNS8_4plusIiEEEE10hipError_tPvRmT1_T2_T3_mT4_P12ihipStream_tbEUlT_E1_NS1_11comp_targetILNS1_3genE5ELNS1_11target_archE942ELNS1_3gpuE9ELNS1_3repE0EEENS1_30default_config_static_selectorELNS0_4arch9wavefront6targetE1EEEvSK_,comdat
.Lfunc_end252:
	.size	_ZN7rocprim17ROCPRIM_400000_NS6detail17trampoline_kernelINS0_14default_configENS1_22reduce_config_selectorIiEEZNS1_11reduce_implILb1ES3_N6thrust23THRUST_200600_302600_NS6detail15normal_iteratorINS8_10device_ptrIiEEEEPiiNS8_4plusIiEEEE10hipError_tPvRmT1_T2_T3_mT4_P12ihipStream_tbEUlT_E1_NS1_11comp_targetILNS1_3genE5ELNS1_11target_archE942ELNS1_3gpuE9ELNS1_3repE0EEENS1_30default_config_static_selectorELNS0_4arch9wavefront6targetE1EEEvSK_, .Lfunc_end252-_ZN7rocprim17ROCPRIM_400000_NS6detail17trampoline_kernelINS0_14default_configENS1_22reduce_config_selectorIiEEZNS1_11reduce_implILb1ES3_N6thrust23THRUST_200600_302600_NS6detail15normal_iteratorINS8_10device_ptrIiEEEEPiiNS8_4plusIiEEEE10hipError_tPvRmT1_T2_T3_mT4_P12ihipStream_tbEUlT_E1_NS1_11comp_targetILNS1_3genE5ELNS1_11target_archE942ELNS1_3gpuE9ELNS1_3repE0EEENS1_30default_config_static_selectorELNS0_4arch9wavefront6targetE1EEEvSK_
                                        ; -- End function
	.set _ZN7rocprim17ROCPRIM_400000_NS6detail17trampoline_kernelINS0_14default_configENS1_22reduce_config_selectorIiEEZNS1_11reduce_implILb1ES3_N6thrust23THRUST_200600_302600_NS6detail15normal_iteratorINS8_10device_ptrIiEEEEPiiNS8_4plusIiEEEE10hipError_tPvRmT1_T2_T3_mT4_P12ihipStream_tbEUlT_E1_NS1_11comp_targetILNS1_3genE5ELNS1_11target_archE942ELNS1_3gpuE9ELNS1_3repE0EEENS1_30default_config_static_selectorELNS0_4arch9wavefront6targetE1EEEvSK_.num_vgpr, 0
	.set _ZN7rocprim17ROCPRIM_400000_NS6detail17trampoline_kernelINS0_14default_configENS1_22reduce_config_selectorIiEEZNS1_11reduce_implILb1ES3_N6thrust23THRUST_200600_302600_NS6detail15normal_iteratorINS8_10device_ptrIiEEEEPiiNS8_4plusIiEEEE10hipError_tPvRmT1_T2_T3_mT4_P12ihipStream_tbEUlT_E1_NS1_11comp_targetILNS1_3genE5ELNS1_11target_archE942ELNS1_3gpuE9ELNS1_3repE0EEENS1_30default_config_static_selectorELNS0_4arch9wavefront6targetE1EEEvSK_.num_agpr, 0
	.set _ZN7rocprim17ROCPRIM_400000_NS6detail17trampoline_kernelINS0_14default_configENS1_22reduce_config_selectorIiEEZNS1_11reduce_implILb1ES3_N6thrust23THRUST_200600_302600_NS6detail15normal_iteratorINS8_10device_ptrIiEEEEPiiNS8_4plusIiEEEE10hipError_tPvRmT1_T2_T3_mT4_P12ihipStream_tbEUlT_E1_NS1_11comp_targetILNS1_3genE5ELNS1_11target_archE942ELNS1_3gpuE9ELNS1_3repE0EEENS1_30default_config_static_selectorELNS0_4arch9wavefront6targetE1EEEvSK_.numbered_sgpr, 0
	.set _ZN7rocprim17ROCPRIM_400000_NS6detail17trampoline_kernelINS0_14default_configENS1_22reduce_config_selectorIiEEZNS1_11reduce_implILb1ES3_N6thrust23THRUST_200600_302600_NS6detail15normal_iteratorINS8_10device_ptrIiEEEEPiiNS8_4plusIiEEEE10hipError_tPvRmT1_T2_T3_mT4_P12ihipStream_tbEUlT_E1_NS1_11comp_targetILNS1_3genE5ELNS1_11target_archE942ELNS1_3gpuE9ELNS1_3repE0EEENS1_30default_config_static_selectorELNS0_4arch9wavefront6targetE1EEEvSK_.num_named_barrier, 0
	.set _ZN7rocprim17ROCPRIM_400000_NS6detail17trampoline_kernelINS0_14default_configENS1_22reduce_config_selectorIiEEZNS1_11reduce_implILb1ES3_N6thrust23THRUST_200600_302600_NS6detail15normal_iteratorINS8_10device_ptrIiEEEEPiiNS8_4plusIiEEEE10hipError_tPvRmT1_T2_T3_mT4_P12ihipStream_tbEUlT_E1_NS1_11comp_targetILNS1_3genE5ELNS1_11target_archE942ELNS1_3gpuE9ELNS1_3repE0EEENS1_30default_config_static_selectorELNS0_4arch9wavefront6targetE1EEEvSK_.private_seg_size, 0
	.set _ZN7rocprim17ROCPRIM_400000_NS6detail17trampoline_kernelINS0_14default_configENS1_22reduce_config_selectorIiEEZNS1_11reduce_implILb1ES3_N6thrust23THRUST_200600_302600_NS6detail15normal_iteratorINS8_10device_ptrIiEEEEPiiNS8_4plusIiEEEE10hipError_tPvRmT1_T2_T3_mT4_P12ihipStream_tbEUlT_E1_NS1_11comp_targetILNS1_3genE5ELNS1_11target_archE942ELNS1_3gpuE9ELNS1_3repE0EEENS1_30default_config_static_selectorELNS0_4arch9wavefront6targetE1EEEvSK_.uses_vcc, 0
	.set _ZN7rocprim17ROCPRIM_400000_NS6detail17trampoline_kernelINS0_14default_configENS1_22reduce_config_selectorIiEEZNS1_11reduce_implILb1ES3_N6thrust23THRUST_200600_302600_NS6detail15normal_iteratorINS8_10device_ptrIiEEEEPiiNS8_4plusIiEEEE10hipError_tPvRmT1_T2_T3_mT4_P12ihipStream_tbEUlT_E1_NS1_11comp_targetILNS1_3genE5ELNS1_11target_archE942ELNS1_3gpuE9ELNS1_3repE0EEENS1_30default_config_static_selectorELNS0_4arch9wavefront6targetE1EEEvSK_.uses_flat_scratch, 0
	.set _ZN7rocprim17ROCPRIM_400000_NS6detail17trampoline_kernelINS0_14default_configENS1_22reduce_config_selectorIiEEZNS1_11reduce_implILb1ES3_N6thrust23THRUST_200600_302600_NS6detail15normal_iteratorINS8_10device_ptrIiEEEEPiiNS8_4plusIiEEEE10hipError_tPvRmT1_T2_T3_mT4_P12ihipStream_tbEUlT_E1_NS1_11comp_targetILNS1_3genE5ELNS1_11target_archE942ELNS1_3gpuE9ELNS1_3repE0EEENS1_30default_config_static_selectorELNS0_4arch9wavefront6targetE1EEEvSK_.has_dyn_sized_stack, 0
	.set _ZN7rocprim17ROCPRIM_400000_NS6detail17trampoline_kernelINS0_14default_configENS1_22reduce_config_selectorIiEEZNS1_11reduce_implILb1ES3_N6thrust23THRUST_200600_302600_NS6detail15normal_iteratorINS8_10device_ptrIiEEEEPiiNS8_4plusIiEEEE10hipError_tPvRmT1_T2_T3_mT4_P12ihipStream_tbEUlT_E1_NS1_11comp_targetILNS1_3genE5ELNS1_11target_archE942ELNS1_3gpuE9ELNS1_3repE0EEENS1_30default_config_static_selectorELNS0_4arch9wavefront6targetE1EEEvSK_.has_recursion, 0
	.set _ZN7rocprim17ROCPRIM_400000_NS6detail17trampoline_kernelINS0_14default_configENS1_22reduce_config_selectorIiEEZNS1_11reduce_implILb1ES3_N6thrust23THRUST_200600_302600_NS6detail15normal_iteratorINS8_10device_ptrIiEEEEPiiNS8_4plusIiEEEE10hipError_tPvRmT1_T2_T3_mT4_P12ihipStream_tbEUlT_E1_NS1_11comp_targetILNS1_3genE5ELNS1_11target_archE942ELNS1_3gpuE9ELNS1_3repE0EEENS1_30default_config_static_selectorELNS0_4arch9wavefront6targetE1EEEvSK_.has_indirect_call, 0
	.section	.AMDGPU.csdata,"",@progbits
; Kernel info:
; codeLenInByte = 0
; TotalNumSgprs: 6
; NumVgprs: 0
; NumAgprs: 0
; TotalNumVgprs: 0
; ScratchSize: 0
; MemoryBound: 0
; FloatMode: 240
; IeeeMode: 1
; LDSByteSize: 0 bytes/workgroup (compile time only)
; SGPRBlocks: 0
; VGPRBlocks: 0
; NumSGPRsForWavesPerEU: 6
; NumVGPRsForWavesPerEU: 1
; AccumOffset: 4
; Occupancy: 8
; WaveLimiterHint : 0
; COMPUTE_PGM_RSRC2:SCRATCH_EN: 0
; COMPUTE_PGM_RSRC2:USER_SGPR: 2
; COMPUTE_PGM_RSRC2:TRAP_HANDLER: 0
; COMPUTE_PGM_RSRC2:TGID_X_EN: 1
; COMPUTE_PGM_RSRC2:TGID_Y_EN: 0
; COMPUTE_PGM_RSRC2:TGID_Z_EN: 0
; COMPUTE_PGM_RSRC2:TIDIG_COMP_CNT: 0
; COMPUTE_PGM_RSRC3_GFX90A:ACCUM_OFFSET: 0
; COMPUTE_PGM_RSRC3_GFX90A:TG_SPLIT: 0
	.section	.text._ZN7rocprim17ROCPRIM_400000_NS6detail17trampoline_kernelINS0_14default_configENS1_22reduce_config_selectorIiEEZNS1_11reduce_implILb1ES3_N6thrust23THRUST_200600_302600_NS6detail15normal_iteratorINS8_10device_ptrIiEEEEPiiNS8_4plusIiEEEE10hipError_tPvRmT1_T2_T3_mT4_P12ihipStream_tbEUlT_E1_NS1_11comp_targetILNS1_3genE4ELNS1_11target_archE910ELNS1_3gpuE8ELNS1_3repE0EEENS1_30default_config_static_selectorELNS0_4arch9wavefront6targetE1EEEvSK_,"axG",@progbits,_ZN7rocprim17ROCPRIM_400000_NS6detail17trampoline_kernelINS0_14default_configENS1_22reduce_config_selectorIiEEZNS1_11reduce_implILb1ES3_N6thrust23THRUST_200600_302600_NS6detail15normal_iteratorINS8_10device_ptrIiEEEEPiiNS8_4plusIiEEEE10hipError_tPvRmT1_T2_T3_mT4_P12ihipStream_tbEUlT_E1_NS1_11comp_targetILNS1_3genE4ELNS1_11target_archE910ELNS1_3gpuE8ELNS1_3repE0EEENS1_30default_config_static_selectorELNS0_4arch9wavefront6targetE1EEEvSK_,comdat
	.protected	_ZN7rocprim17ROCPRIM_400000_NS6detail17trampoline_kernelINS0_14default_configENS1_22reduce_config_selectorIiEEZNS1_11reduce_implILb1ES3_N6thrust23THRUST_200600_302600_NS6detail15normal_iteratorINS8_10device_ptrIiEEEEPiiNS8_4plusIiEEEE10hipError_tPvRmT1_T2_T3_mT4_P12ihipStream_tbEUlT_E1_NS1_11comp_targetILNS1_3genE4ELNS1_11target_archE910ELNS1_3gpuE8ELNS1_3repE0EEENS1_30default_config_static_selectorELNS0_4arch9wavefront6targetE1EEEvSK_ ; -- Begin function _ZN7rocprim17ROCPRIM_400000_NS6detail17trampoline_kernelINS0_14default_configENS1_22reduce_config_selectorIiEEZNS1_11reduce_implILb1ES3_N6thrust23THRUST_200600_302600_NS6detail15normal_iteratorINS8_10device_ptrIiEEEEPiiNS8_4plusIiEEEE10hipError_tPvRmT1_T2_T3_mT4_P12ihipStream_tbEUlT_E1_NS1_11comp_targetILNS1_3genE4ELNS1_11target_archE910ELNS1_3gpuE8ELNS1_3repE0EEENS1_30default_config_static_selectorELNS0_4arch9wavefront6targetE1EEEvSK_
	.globl	_ZN7rocprim17ROCPRIM_400000_NS6detail17trampoline_kernelINS0_14default_configENS1_22reduce_config_selectorIiEEZNS1_11reduce_implILb1ES3_N6thrust23THRUST_200600_302600_NS6detail15normal_iteratorINS8_10device_ptrIiEEEEPiiNS8_4plusIiEEEE10hipError_tPvRmT1_T2_T3_mT4_P12ihipStream_tbEUlT_E1_NS1_11comp_targetILNS1_3genE4ELNS1_11target_archE910ELNS1_3gpuE8ELNS1_3repE0EEENS1_30default_config_static_selectorELNS0_4arch9wavefront6targetE1EEEvSK_
	.p2align	8
	.type	_ZN7rocprim17ROCPRIM_400000_NS6detail17trampoline_kernelINS0_14default_configENS1_22reduce_config_selectorIiEEZNS1_11reduce_implILb1ES3_N6thrust23THRUST_200600_302600_NS6detail15normal_iteratorINS8_10device_ptrIiEEEEPiiNS8_4plusIiEEEE10hipError_tPvRmT1_T2_T3_mT4_P12ihipStream_tbEUlT_E1_NS1_11comp_targetILNS1_3genE4ELNS1_11target_archE910ELNS1_3gpuE8ELNS1_3repE0EEENS1_30default_config_static_selectorELNS0_4arch9wavefront6targetE1EEEvSK_,@function
_ZN7rocprim17ROCPRIM_400000_NS6detail17trampoline_kernelINS0_14default_configENS1_22reduce_config_selectorIiEEZNS1_11reduce_implILb1ES3_N6thrust23THRUST_200600_302600_NS6detail15normal_iteratorINS8_10device_ptrIiEEEEPiiNS8_4plusIiEEEE10hipError_tPvRmT1_T2_T3_mT4_P12ihipStream_tbEUlT_E1_NS1_11comp_targetILNS1_3genE4ELNS1_11target_archE910ELNS1_3gpuE8ELNS1_3repE0EEENS1_30default_config_static_selectorELNS0_4arch9wavefront6targetE1EEEvSK_: ; @_ZN7rocprim17ROCPRIM_400000_NS6detail17trampoline_kernelINS0_14default_configENS1_22reduce_config_selectorIiEEZNS1_11reduce_implILb1ES3_N6thrust23THRUST_200600_302600_NS6detail15normal_iteratorINS8_10device_ptrIiEEEEPiiNS8_4plusIiEEEE10hipError_tPvRmT1_T2_T3_mT4_P12ihipStream_tbEUlT_E1_NS1_11comp_targetILNS1_3genE4ELNS1_11target_archE910ELNS1_3gpuE8ELNS1_3repE0EEENS1_30default_config_static_selectorELNS0_4arch9wavefront6targetE1EEEvSK_
; %bb.0:
	.section	.rodata,"a",@progbits
	.p2align	6, 0x0
	.amdhsa_kernel _ZN7rocprim17ROCPRIM_400000_NS6detail17trampoline_kernelINS0_14default_configENS1_22reduce_config_selectorIiEEZNS1_11reduce_implILb1ES3_N6thrust23THRUST_200600_302600_NS6detail15normal_iteratorINS8_10device_ptrIiEEEEPiiNS8_4plusIiEEEE10hipError_tPvRmT1_T2_T3_mT4_P12ihipStream_tbEUlT_E1_NS1_11comp_targetILNS1_3genE4ELNS1_11target_archE910ELNS1_3gpuE8ELNS1_3repE0EEENS1_30default_config_static_selectorELNS0_4arch9wavefront6targetE1EEEvSK_
		.amdhsa_group_segment_fixed_size 0
		.amdhsa_private_segment_fixed_size 0
		.amdhsa_kernarg_size 40
		.amdhsa_user_sgpr_count 2
		.amdhsa_user_sgpr_dispatch_ptr 0
		.amdhsa_user_sgpr_queue_ptr 0
		.amdhsa_user_sgpr_kernarg_segment_ptr 1
		.amdhsa_user_sgpr_dispatch_id 0
		.amdhsa_user_sgpr_kernarg_preload_length 0
		.amdhsa_user_sgpr_kernarg_preload_offset 0
		.amdhsa_user_sgpr_private_segment_size 0
		.amdhsa_uses_dynamic_stack 0
		.amdhsa_enable_private_segment 0
		.amdhsa_system_sgpr_workgroup_id_x 1
		.amdhsa_system_sgpr_workgroup_id_y 0
		.amdhsa_system_sgpr_workgroup_id_z 0
		.amdhsa_system_sgpr_workgroup_info 0
		.amdhsa_system_vgpr_workitem_id 0
		.amdhsa_next_free_vgpr 1
		.amdhsa_next_free_sgpr 0
		.amdhsa_accum_offset 4
		.amdhsa_reserve_vcc 0
		.amdhsa_float_round_mode_32 0
		.amdhsa_float_round_mode_16_64 0
		.amdhsa_float_denorm_mode_32 3
		.amdhsa_float_denorm_mode_16_64 3
		.amdhsa_dx10_clamp 1
		.amdhsa_ieee_mode 1
		.amdhsa_fp16_overflow 0
		.amdhsa_tg_split 0
		.amdhsa_exception_fp_ieee_invalid_op 0
		.amdhsa_exception_fp_denorm_src 0
		.amdhsa_exception_fp_ieee_div_zero 0
		.amdhsa_exception_fp_ieee_overflow 0
		.amdhsa_exception_fp_ieee_underflow 0
		.amdhsa_exception_fp_ieee_inexact 0
		.amdhsa_exception_int_div_zero 0
	.end_amdhsa_kernel
	.section	.text._ZN7rocprim17ROCPRIM_400000_NS6detail17trampoline_kernelINS0_14default_configENS1_22reduce_config_selectorIiEEZNS1_11reduce_implILb1ES3_N6thrust23THRUST_200600_302600_NS6detail15normal_iteratorINS8_10device_ptrIiEEEEPiiNS8_4plusIiEEEE10hipError_tPvRmT1_T2_T3_mT4_P12ihipStream_tbEUlT_E1_NS1_11comp_targetILNS1_3genE4ELNS1_11target_archE910ELNS1_3gpuE8ELNS1_3repE0EEENS1_30default_config_static_selectorELNS0_4arch9wavefront6targetE1EEEvSK_,"axG",@progbits,_ZN7rocprim17ROCPRIM_400000_NS6detail17trampoline_kernelINS0_14default_configENS1_22reduce_config_selectorIiEEZNS1_11reduce_implILb1ES3_N6thrust23THRUST_200600_302600_NS6detail15normal_iteratorINS8_10device_ptrIiEEEEPiiNS8_4plusIiEEEE10hipError_tPvRmT1_T2_T3_mT4_P12ihipStream_tbEUlT_E1_NS1_11comp_targetILNS1_3genE4ELNS1_11target_archE910ELNS1_3gpuE8ELNS1_3repE0EEENS1_30default_config_static_selectorELNS0_4arch9wavefront6targetE1EEEvSK_,comdat
.Lfunc_end253:
	.size	_ZN7rocprim17ROCPRIM_400000_NS6detail17trampoline_kernelINS0_14default_configENS1_22reduce_config_selectorIiEEZNS1_11reduce_implILb1ES3_N6thrust23THRUST_200600_302600_NS6detail15normal_iteratorINS8_10device_ptrIiEEEEPiiNS8_4plusIiEEEE10hipError_tPvRmT1_T2_T3_mT4_P12ihipStream_tbEUlT_E1_NS1_11comp_targetILNS1_3genE4ELNS1_11target_archE910ELNS1_3gpuE8ELNS1_3repE0EEENS1_30default_config_static_selectorELNS0_4arch9wavefront6targetE1EEEvSK_, .Lfunc_end253-_ZN7rocprim17ROCPRIM_400000_NS6detail17trampoline_kernelINS0_14default_configENS1_22reduce_config_selectorIiEEZNS1_11reduce_implILb1ES3_N6thrust23THRUST_200600_302600_NS6detail15normal_iteratorINS8_10device_ptrIiEEEEPiiNS8_4plusIiEEEE10hipError_tPvRmT1_T2_T3_mT4_P12ihipStream_tbEUlT_E1_NS1_11comp_targetILNS1_3genE4ELNS1_11target_archE910ELNS1_3gpuE8ELNS1_3repE0EEENS1_30default_config_static_selectorELNS0_4arch9wavefront6targetE1EEEvSK_
                                        ; -- End function
	.set _ZN7rocprim17ROCPRIM_400000_NS6detail17trampoline_kernelINS0_14default_configENS1_22reduce_config_selectorIiEEZNS1_11reduce_implILb1ES3_N6thrust23THRUST_200600_302600_NS6detail15normal_iteratorINS8_10device_ptrIiEEEEPiiNS8_4plusIiEEEE10hipError_tPvRmT1_T2_T3_mT4_P12ihipStream_tbEUlT_E1_NS1_11comp_targetILNS1_3genE4ELNS1_11target_archE910ELNS1_3gpuE8ELNS1_3repE0EEENS1_30default_config_static_selectorELNS0_4arch9wavefront6targetE1EEEvSK_.num_vgpr, 0
	.set _ZN7rocprim17ROCPRIM_400000_NS6detail17trampoline_kernelINS0_14default_configENS1_22reduce_config_selectorIiEEZNS1_11reduce_implILb1ES3_N6thrust23THRUST_200600_302600_NS6detail15normal_iteratorINS8_10device_ptrIiEEEEPiiNS8_4plusIiEEEE10hipError_tPvRmT1_T2_T3_mT4_P12ihipStream_tbEUlT_E1_NS1_11comp_targetILNS1_3genE4ELNS1_11target_archE910ELNS1_3gpuE8ELNS1_3repE0EEENS1_30default_config_static_selectorELNS0_4arch9wavefront6targetE1EEEvSK_.num_agpr, 0
	.set _ZN7rocprim17ROCPRIM_400000_NS6detail17trampoline_kernelINS0_14default_configENS1_22reduce_config_selectorIiEEZNS1_11reduce_implILb1ES3_N6thrust23THRUST_200600_302600_NS6detail15normal_iteratorINS8_10device_ptrIiEEEEPiiNS8_4plusIiEEEE10hipError_tPvRmT1_T2_T3_mT4_P12ihipStream_tbEUlT_E1_NS1_11comp_targetILNS1_3genE4ELNS1_11target_archE910ELNS1_3gpuE8ELNS1_3repE0EEENS1_30default_config_static_selectorELNS0_4arch9wavefront6targetE1EEEvSK_.numbered_sgpr, 0
	.set _ZN7rocprim17ROCPRIM_400000_NS6detail17trampoline_kernelINS0_14default_configENS1_22reduce_config_selectorIiEEZNS1_11reduce_implILb1ES3_N6thrust23THRUST_200600_302600_NS6detail15normal_iteratorINS8_10device_ptrIiEEEEPiiNS8_4plusIiEEEE10hipError_tPvRmT1_T2_T3_mT4_P12ihipStream_tbEUlT_E1_NS1_11comp_targetILNS1_3genE4ELNS1_11target_archE910ELNS1_3gpuE8ELNS1_3repE0EEENS1_30default_config_static_selectorELNS0_4arch9wavefront6targetE1EEEvSK_.num_named_barrier, 0
	.set _ZN7rocprim17ROCPRIM_400000_NS6detail17trampoline_kernelINS0_14default_configENS1_22reduce_config_selectorIiEEZNS1_11reduce_implILb1ES3_N6thrust23THRUST_200600_302600_NS6detail15normal_iteratorINS8_10device_ptrIiEEEEPiiNS8_4plusIiEEEE10hipError_tPvRmT1_T2_T3_mT4_P12ihipStream_tbEUlT_E1_NS1_11comp_targetILNS1_3genE4ELNS1_11target_archE910ELNS1_3gpuE8ELNS1_3repE0EEENS1_30default_config_static_selectorELNS0_4arch9wavefront6targetE1EEEvSK_.private_seg_size, 0
	.set _ZN7rocprim17ROCPRIM_400000_NS6detail17trampoline_kernelINS0_14default_configENS1_22reduce_config_selectorIiEEZNS1_11reduce_implILb1ES3_N6thrust23THRUST_200600_302600_NS6detail15normal_iteratorINS8_10device_ptrIiEEEEPiiNS8_4plusIiEEEE10hipError_tPvRmT1_T2_T3_mT4_P12ihipStream_tbEUlT_E1_NS1_11comp_targetILNS1_3genE4ELNS1_11target_archE910ELNS1_3gpuE8ELNS1_3repE0EEENS1_30default_config_static_selectorELNS0_4arch9wavefront6targetE1EEEvSK_.uses_vcc, 0
	.set _ZN7rocprim17ROCPRIM_400000_NS6detail17trampoline_kernelINS0_14default_configENS1_22reduce_config_selectorIiEEZNS1_11reduce_implILb1ES3_N6thrust23THRUST_200600_302600_NS6detail15normal_iteratorINS8_10device_ptrIiEEEEPiiNS8_4plusIiEEEE10hipError_tPvRmT1_T2_T3_mT4_P12ihipStream_tbEUlT_E1_NS1_11comp_targetILNS1_3genE4ELNS1_11target_archE910ELNS1_3gpuE8ELNS1_3repE0EEENS1_30default_config_static_selectorELNS0_4arch9wavefront6targetE1EEEvSK_.uses_flat_scratch, 0
	.set _ZN7rocprim17ROCPRIM_400000_NS6detail17trampoline_kernelINS0_14default_configENS1_22reduce_config_selectorIiEEZNS1_11reduce_implILb1ES3_N6thrust23THRUST_200600_302600_NS6detail15normal_iteratorINS8_10device_ptrIiEEEEPiiNS8_4plusIiEEEE10hipError_tPvRmT1_T2_T3_mT4_P12ihipStream_tbEUlT_E1_NS1_11comp_targetILNS1_3genE4ELNS1_11target_archE910ELNS1_3gpuE8ELNS1_3repE0EEENS1_30default_config_static_selectorELNS0_4arch9wavefront6targetE1EEEvSK_.has_dyn_sized_stack, 0
	.set _ZN7rocprim17ROCPRIM_400000_NS6detail17trampoline_kernelINS0_14default_configENS1_22reduce_config_selectorIiEEZNS1_11reduce_implILb1ES3_N6thrust23THRUST_200600_302600_NS6detail15normal_iteratorINS8_10device_ptrIiEEEEPiiNS8_4plusIiEEEE10hipError_tPvRmT1_T2_T3_mT4_P12ihipStream_tbEUlT_E1_NS1_11comp_targetILNS1_3genE4ELNS1_11target_archE910ELNS1_3gpuE8ELNS1_3repE0EEENS1_30default_config_static_selectorELNS0_4arch9wavefront6targetE1EEEvSK_.has_recursion, 0
	.set _ZN7rocprim17ROCPRIM_400000_NS6detail17trampoline_kernelINS0_14default_configENS1_22reduce_config_selectorIiEEZNS1_11reduce_implILb1ES3_N6thrust23THRUST_200600_302600_NS6detail15normal_iteratorINS8_10device_ptrIiEEEEPiiNS8_4plusIiEEEE10hipError_tPvRmT1_T2_T3_mT4_P12ihipStream_tbEUlT_E1_NS1_11comp_targetILNS1_3genE4ELNS1_11target_archE910ELNS1_3gpuE8ELNS1_3repE0EEENS1_30default_config_static_selectorELNS0_4arch9wavefront6targetE1EEEvSK_.has_indirect_call, 0
	.section	.AMDGPU.csdata,"",@progbits
; Kernel info:
; codeLenInByte = 0
; TotalNumSgprs: 6
; NumVgprs: 0
; NumAgprs: 0
; TotalNumVgprs: 0
; ScratchSize: 0
; MemoryBound: 0
; FloatMode: 240
; IeeeMode: 1
; LDSByteSize: 0 bytes/workgroup (compile time only)
; SGPRBlocks: 0
; VGPRBlocks: 0
; NumSGPRsForWavesPerEU: 6
; NumVGPRsForWavesPerEU: 1
; AccumOffset: 4
; Occupancy: 8
; WaveLimiterHint : 0
; COMPUTE_PGM_RSRC2:SCRATCH_EN: 0
; COMPUTE_PGM_RSRC2:USER_SGPR: 2
; COMPUTE_PGM_RSRC2:TRAP_HANDLER: 0
; COMPUTE_PGM_RSRC2:TGID_X_EN: 1
; COMPUTE_PGM_RSRC2:TGID_Y_EN: 0
; COMPUTE_PGM_RSRC2:TGID_Z_EN: 0
; COMPUTE_PGM_RSRC2:TIDIG_COMP_CNT: 0
; COMPUTE_PGM_RSRC3_GFX90A:ACCUM_OFFSET: 0
; COMPUTE_PGM_RSRC3_GFX90A:TG_SPLIT: 0
	.section	.text._ZN7rocprim17ROCPRIM_400000_NS6detail17trampoline_kernelINS0_14default_configENS1_22reduce_config_selectorIiEEZNS1_11reduce_implILb1ES3_N6thrust23THRUST_200600_302600_NS6detail15normal_iteratorINS8_10device_ptrIiEEEEPiiNS8_4plusIiEEEE10hipError_tPvRmT1_T2_T3_mT4_P12ihipStream_tbEUlT_E1_NS1_11comp_targetILNS1_3genE3ELNS1_11target_archE908ELNS1_3gpuE7ELNS1_3repE0EEENS1_30default_config_static_selectorELNS0_4arch9wavefront6targetE1EEEvSK_,"axG",@progbits,_ZN7rocprim17ROCPRIM_400000_NS6detail17trampoline_kernelINS0_14default_configENS1_22reduce_config_selectorIiEEZNS1_11reduce_implILb1ES3_N6thrust23THRUST_200600_302600_NS6detail15normal_iteratorINS8_10device_ptrIiEEEEPiiNS8_4plusIiEEEE10hipError_tPvRmT1_T2_T3_mT4_P12ihipStream_tbEUlT_E1_NS1_11comp_targetILNS1_3genE3ELNS1_11target_archE908ELNS1_3gpuE7ELNS1_3repE0EEENS1_30default_config_static_selectorELNS0_4arch9wavefront6targetE1EEEvSK_,comdat
	.protected	_ZN7rocprim17ROCPRIM_400000_NS6detail17trampoline_kernelINS0_14default_configENS1_22reduce_config_selectorIiEEZNS1_11reduce_implILb1ES3_N6thrust23THRUST_200600_302600_NS6detail15normal_iteratorINS8_10device_ptrIiEEEEPiiNS8_4plusIiEEEE10hipError_tPvRmT1_T2_T3_mT4_P12ihipStream_tbEUlT_E1_NS1_11comp_targetILNS1_3genE3ELNS1_11target_archE908ELNS1_3gpuE7ELNS1_3repE0EEENS1_30default_config_static_selectorELNS0_4arch9wavefront6targetE1EEEvSK_ ; -- Begin function _ZN7rocprim17ROCPRIM_400000_NS6detail17trampoline_kernelINS0_14default_configENS1_22reduce_config_selectorIiEEZNS1_11reduce_implILb1ES3_N6thrust23THRUST_200600_302600_NS6detail15normal_iteratorINS8_10device_ptrIiEEEEPiiNS8_4plusIiEEEE10hipError_tPvRmT1_T2_T3_mT4_P12ihipStream_tbEUlT_E1_NS1_11comp_targetILNS1_3genE3ELNS1_11target_archE908ELNS1_3gpuE7ELNS1_3repE0EEENS1_30default_config_static_selectorELNS0_4arch9wavefront6targetE1EEEvSK_
	.globl	_ZN7rocprim17ROCPRIM_400000_NS6detail17trampoline_kernelINS0_14default_configENS1_22reduce_config_selectorIiEEZNS1_11reduce_implILb1ES3_N6thrust23THRUST_200600_302600_NS6detail15normal_iteratorINS8_10device_ptrIiEEEEPiiNS8_4plusIiEEEE10hipError_tPvRmT1_T2_T3_mT4_P12ihipStream_tbEUlT_E1_NS1_11comp_targetILNS1_3genE3ELNS1_11target_archE908ELNS1_3gpuE7ELNS1_3repE0EEENS1_30default_config_static_selectorELNS0_4arch9wavefront6targetE1EEEvSK_
	.p2align	8
	.type	_ZN7rocprim17ROCPRIM_400000_NS6detail17trampoline_kernelINS0_14default_configENS1_22reduce_config_selectorIiEEZNS1_11reduce_implILb1ES3_N6thrust23THRUST_200600_302600_NS6detail15normal_iteratorINS8_10device_ptrIiEEEEPiiNS8_4plusIiEEEE10hipError_tPvRmT1_T2_T3_mT4_P12ihipStream_tbEUlT_E1_NS1_11comp_targetILNS1_3genE3ELNS1_11target_archE908ELNS1_3gpuE7ELNS1_3repE0EEENS1_30default_config_static_selectorELNS0_4arch9wavefront6targetE1EEEvSK_,@function
_ZN7rocprim17ROCPRIM_400000_NS6detail17trampoline_kernelINS0_14default_configENS1_22reduce_config_selectorIiEEZNS1_11reduce_implILb1ES3_N6thrust23THRUST_200600_302600_NS6detail15normal_iteratorINS8_10device_ptrIiEEEEPiiNS8_4plusIiEEEE10hipError_tPvRmT1_T2_T3_mT4_P12ihipStream_tbEUlT_E1_NS1_11comp_targetILNS1_3genE3ELNS1_11target_archE908ELNS1_3gpuE7ELNS1_3repE0EEENS1_30default_config_static_selectorELNS0_4arch9wavefront6targetE1EEEvSK_: ; @_ZN7rocprim17ROCPRIM_400000_NS6detail17trampoline_kernelINS0_14default_configENS1_22reduce_config_selectorIiEEZNS1_11reduce_implILb1ES3_N6thrust23THRUST_200600_302600_NS6detail15normal_iteratorINS8_10device_ptrIiEEEEPiiNS8_4plusIiEEEE10hipError_tPvRmT1_T2_T3_mT4_P12ihipStream_tbEUlT_E1_NS1_11comp_targetILNS1_3genE3ELNS1_11target_archE908ELNS1_3gpuE7ELNS1_3repE0EEENS1_30default_config_static_selectorELNS0_4arch9wavefront6targetE1EEEvSK_
; %bb.0:
	.section	.rodata,"a",@progbits
	.p2align	6, 0x0
	.amdhsa_kernel _ZN7rocprim17ROCPRIM_400000_NS6detail17trampoline_kernelINS0_14default_configENS1_22reduce_config_selectorIiEEZNS1_11reduce_implILb1ES3_N6thrust23THRUST_200600_302600_NS6detail15normal_iteratorINS8_10device_ptrIiEEEEPiiNS8_4plusIiEEEE10hipError_tPvRmT1_T2_T3_mT4_P12ihipStream_tbEUlT_E1_NS1_11comp_targetILNS1_3genE3ELNS1_11target_archE908ELNS1_3gpuE7ELNS1_3repE0EEENS1_30default_config_static_selectorELNS0_4arch9wavefront6targetE1EEEvSK_
		.amdhsa_group_segment_fixed_size 0
		.amdhsa_private_segment_fixed_size 0
		.amdhsa_kernarg_size 40
		.amdhsa_user_sgpr_count 2
		.amdhsa_user_sgpr_dispatch_ptr 0
		.amdhsa_user_sgpr_queue_ptr 0
		.amdhsa_user_sgpr_kernarg_segment_ptr 1
		.amdhsa_user_sgpr_dispatch_id 0
		.amdhsa_user_sgpr_kernarg_preload_length 0
		.amdhsa_user_sgpr_kernarg_preload_offset 0
		.amdhsa_user_sgpr_private_segment_size 0
		.amdhsa_uses_dynamic_stack 0
		.amdhsa_enable_private_segment 0
		.amdhsa_system_sgpr_workgroup_id_x 1
		.amdhsa_system_sgpr_workgroup_id_y 0
		.amdhsa_system_sgpr_workgroup_id_z 0
		.amdhsa_system_sgpr_workgroup_info 0
		.amdhsa_system_vgpr_workitem_id 0
		.amdhsa_next_free_vgpr 1
		.amdhsa_next_free_sgpr 0
		.amdhsa_accum_offset 4
		.amdhsa_reserve_vcc 0
		.amdhsa_float_round_mode_32 0
		.amdhsa_float_round_mode_16_64 0
		.amdhsa_float_denorm_mode_32 3
		.amdhsa_float_denorm_mode_16_64 3
		.amdhsa_dx10_clamp 1
		.amdhsa_ieee_mode 1
		.amdhsa_fp16_overflow 0
		.amdhsa_tg_split 0
		.amdhsa_exception_fp_ieee_invalid_op 0
		.amdhsa_exception_fp_denorm_src 0
		.amdhsa_exception_fp_ieee_div_zero 0
		.amdhsa_exception_fp_ieee_overflow 0
		.amdhsa_exception_fp_ieee_underflow 0
		.amdhsa_exception_fp_ieee_inexact 0
		.amdhsa_exception_int_div_zero 0
	.end_amdhsa_kernel
	.section	.text._ZN7rocprim17ROCPRIM_400000_NS6detail17trampoline_kernelINS0_14default_configENS1_22reduce_config_selectorIiEEZNS1_11reduce_implILb1ES3_N6thrust23THRUST_200600_302600_NS6detail15normal_iteratorINS8_10device_ptrIiEEEEPiiNS8_4plusIiEEEE10hipError_tPvRmT1_T2_T3_mT4_P12ihipStream_tbEUlT_E1_NS1_11comp_targetILNS1_3genE3ELNS1_11target_archE908ELNS1_3gpuE7ELNS1_3repE0EEENS1_30default_config_static_selectorELNS0_4arch9wavefront6targetE1EEEvSK_,"axG",@progbits,_ZN7rocprim17ROCPRIM_400000_NS6detail17trampoline_kernelINS0_14default_configENS1_22reduce_config_selectorIiEEZNS1_11reduce_implILb1ES3_N6thrust23THRUST_200600_302600_NS6detail15normal_iteratorINS8_10device_ptrIiEEEEPiiNS8_4plusIiEEEE10hipError_tPvRmT1_T2_T3_mT4_P12ihipStream_tbEUlT_E1_NS1_11comp_targetILNS1_3genE3ELNS1_11target_archE908ELNS1_3gpuE7ELNS1_3repE0EEENS1_30default_config_static_selectorELNS0_4arch9wavefront6targetE1EEEvSK_,comdat
.Lfunc_end254:
	.size	_ZN7rocprim17ROCPRIM_400000_NS6detail17trampoline_kernelINS0_14default_configENS1_22reduce_config_selectorIiEEZNS1_11reduce_implILb1ES3_N6thrust23THRUST_200600_302600_NS6detail15normal_iteratorINS8_10device_ptrIiEEEEPiiNS8_4plusIiEEEE10hipError_tPvRmT1_T2_T3_mT4_P12ihipStream_tbEUlT_E1_NS1_11comp_targetILNS1_3genE3ELNS1_11target_archE908ELNS1_3gpuE7ELNS1_3repE0EEENS1_30default_config_static_selectorELNS0_4arch9wavefront6targetE1EEEvSK_, .Lfunc_end254-_ZN7rocprim17ROCPRIM_400000_NS6detail17trampoline_kernelINS0_14default_configENS1_22reduce_config_selectorIiEEZNS1_11reduce_implILb1ES3_N6thrust23THRUST_200600_302600_NS6detail15normal_iteratorINS8_10device_ptrIiEEEEPiiNS8_4plusIiEEEE10hipError_tPvRmT1_T2_T3_mT4_P12ihipStream_tbEUlT_E1_NS1_11comp_targetILNS1_3genE3ELNS1_11target_archE908ELNS1_3gpuE7ELNS1_3repE0EEENS1_30default_config_static_selectorELNS0_4arch9wavefront6targetE1EEEvSK_
                                        ; -- End function
	.set _ZN7rocprim17ROCPRIM_400000_NS6detail17trampoline_kernelINS0_14default_configENS1_22reduce_config_selectorIiEEZNS1_11reduce_implILb1ES3_N6thrust23THRUST_200600_302600_NS6detail15normal_iteratorINS8_10device_ptrIiEEEEPiiNS8_4plusIiEEEE10hipError_tPvRmT1_T2_T3_mT4_P12ihipStream_tbEUlT_E1_NS1_11comp_targetILNS1_3genE3ELNS1_11target_archE908ELNS1_3gpuE7ELNS1_3repE0EEENS1_30default_config_static_selectorELNS0_4arch9wavefront6targetE1EEEvSK_.num_vgpr, 0
	.set _ZN7rocprim17ROCPRIM_400000_NS6detail17trampoline_kernelINS0_14default_configENS1_22reduce_config_selectorIiEEZNS1_11reduce_implILb1ES3_N6thrust23THRUST_200600_302600_NS6detail15normal_iteratorINS8_10device_ptrIiEEEEPiiNS8_4plusIiEEEE10hipError_tPvRmT1_T2_T3_mT4_P12ihipStream_tbEUlT_E1_NS1_11comp_targetILNS1_3genE3ELNS1_11target_archE908ELNS1_3gpuE7ELNS1_3repE0EEENS1_30default_config_static_selectorELNS0_4arch9wavefront6targetE1EEEvSK_.num_agpr, 0
	.set _ZN7rocprim17ROCPRIM_400000_NS6detail17trampoline_kernelINS0_14default_configENS1_22reduce_config_selectorIiEEZNS1_11reduce_implILb1ES3_N6thrust23THRUST_200600_302600_NS6detail15normal_iteratorINS8_10device_ptrIiEEEEPiiNS8_4plusIiEEEE10hipError_tPvRmT1_T2_T3_mT4_P12ihipStream_tbEUlT_E1_NS1_11comp_targetILNS1_3genE3ELNS1_11target_archE908ELNS1_3gpuE7ELNS1_3repE0EEENS1_30default_config_static_selectorELNS0_4arch9wavefront6targetE1EEEvSK_.numbered_sgpr, 0
	.set _ZN7rocprim17ROCPRIM_400000_NS6detail17trampoline_kernelINS0_14default_configENS1_22reduce_config_selectorIiEEZNS1_11reduce_implILb1ES3_N6thrust23THRUST_200600_302600_NS6detail15normal_iteratorINS8_10device_ptrIiEEEEPiiNS8_4plusIiEEEE10hipError_tPvRmT1_T2_T3_mT4_P12ihipStream_tbEUlT_E1_NS1_11comp_targetILNS1_3genE3ELNS1_11target_archE908ELNS1_3gpuE7ELNS1_3repE0EEENS1_30default_config_static_selectorELNS0_4arch9wavefront6targetE1EEEvSK_.num_named_barrier, 0
	.set _ZN7rocprim17ROCPRIM_400000_NS6detail17trampoline_kernelINS0_14default_configENS1_22reduce_config_selectorIiEEZNS1_11reduce_implILb1ES3_N6thrust23THRUST_200600_302600_NS6detail15normal_iteratorINS8_10device_ptrIiEEEEPiiNS8_4plusIiEEEE10hipError_tPvRmT1_T2_T3_mT4_P12ihipStream_tbEUlT_E1_NS1_11comp_targetILNS1_3genE3ELNS1_11target_archE908ELNS1_3gpuE7ELNS1_3repE0EEENS1_30default_config_static_selectorELNS0_4arch9wavefront6targetE1EEEvSK_.private_seg_size, 0
	.set _ZN7rocprim17ROCPRIM_400000_NS6detail17trampoline_kernelINS0_14default_configENS1_22reduce_config_selectorIiEEZNS1_11reduce_implILb1ES3_N6thrust23THRUST_200600_302600_NS6detail15normal_iteratorINS8_10device_ptrIiEEEEPiiNS8_4plusIiEEEE10hipError_tPvRmT1_T2_T3_mT4_P12ihipStream_tbEUlT_E1_NS1_11comp_targetILNS1_3genE3ELNS1_11target_archE908ELNS1_3gpuE7ELNS1_3repE0EEENS1_30default_config_static_selectorELNS0_4arch9wavefront6targetE1EEEvSK_.uses_vcc, 0
	.set _ZN7rocprim17ROCPRIM_400000_NS6detail17trampoline_kernelINS0_14default_configENS1_22reduce_config_selectorIiEEZNS1_11reduce_implILb1ES3_N6thrust23THRUST_200600_302600_NS6detail15normal_iteratorINS8_10device_ptrIiEEEEPiiNS8_4plusIiEEEE10hipError_tPvRmT1_T2_T3_mT4_P12ihipStream_tbEUlT_E1_NS1_11comp_targetILNS1_3genE3ELNS1_11target_archE908ELNS1_3gpuE7ELNS1_3repE0EEENS1_30default_config_static_selectorELNS0_4arch9wavefront6targetE1EEEvSK_.uses_flat_scratch, 0
	.set _ZN7rocprim17ROCPRIM_400000_NS6detail17trampoline_kernelINS0_14default_configENS1_22reduce_config_selectorIiEEZNS1_11reduce_implILb1ES3_N6thrust23THRUST_200600_302600_NS6detail15normal_iteratorINS8_10device_ptrIiEEEEPiiNS8_4plusIiEEEE10hipError_tPvRmT1_T2_T3_mT4_P12ihipStream_tbEUlT_E1_NS1_11comp_targetILNS1_3genE3ELNS1_11target_archE908ELNS1_3gpuE7ELNS1_3repE0EEENS1_30default_config_static_selectorELNS0_4arch9wavefront6targetE1EEEvSK_.has_dyn_sized_stack, 0
	.set _ZN7rocprim17ROCPRIM_400000_NS6detail17trampoline_kernelINS0_14default_configENS1_22reduce_config_selectorIiEEZNS1_11reduce_implILb1ES3_N6thrust23THRUST_200600_302600_NS6detail15normal_iteratorINS8_10device_ptrIiEEEEPiiNS8_4plusIiEEEE10hipError_tPvRmT1_T2_T3_mT4_P12ihipStream_tbEUlT_E1_NS1_11comp_targetILNS1_3genE3ELNS1_11target_archE908ELNS1_3gpuE7ELNS1_3repE0EEENS1_30default_config_static_selectorELNS0_4arch9wavefront6targetE1EEEvSK_.has_recursion, 0
	.set _ZN7rocprim17ROCPRIM_400000_NS6detail17trampoline_kernelINS0_14default_configENS1_22reduce_config_selectorIiEEZNS1_11reduce_implILb1ES3_N6thrust23THRUST_200600_302600_NS6detail15normal_iteratorINS8_10device_ptrIiEEEEPiiNS8_4plusIiEEEE10hipError_tPvRmT1_T2_T3_mT4_P12ihipStream_tbEUlT_E1_NS1_11comp_targetILNS1_3genE3ELNS1_11target_archE908ELNS1_3gpuE7ELNS1_3repE0EEENS1_30default_config_static_selectorELNS0_4arch9wavefront6targetE1EEEvSK_.has_indirect_call, 0
	.section	.AMDGPU.csdata,"",@progbits
; Kernel info:
; codeLenInByte = 0
; TotalNumSgprs: 6
; NumVgprs: 0
; NumAgprs: 0
; TotalNumVgprs: 0
; ScratchSize: 0
; MemoryBound: 0
; FloatMode: 240
; IeeeMode: 1
; LDSByteSize: 0 bytes/workgroup (compile time only)
; SGPRBlocks: 0
; VGPRBlocks: 0
; NumSGPRsForWavesPerEU: 6
; NumVGPRsForWavesPerEU: 1
; AccumOffset: 4
; Occupancy: 8
; WaveLimiterHint : 0
; COMPUTE_PGM_RSRC2:SCRATCH_EN: 0
; COMPUTE_PGM_RSRC2:USER_SGPR: 2
; COMPUTE_PGM_RSRC2:TRAP_HANDLER: 0
; COMPUTE_PGM_RSRC2:TGID_X_EN: 1
; COMPUTE_PGM_RSRC2:TGID_Y_EN: 0
; COMPUTE_PGM_RSRC2:TGID_Z_EN: 0
; COMPUTE_PGM_RSRC2:TIDIG_COMP_CNT: 0
; COMPUTE_PGM_RSRC3_GFX90A:ACCUM_OFFSET: 0
; COMPUTE_PGM_RSRC3_GFX90A:TG_SPLIT: 0
	.section	.text._ZN7rocprim17ROCPRIM_400000_NS6detail17trampoline_kernelINS0_14default_configENS1_22reduce_config_selectorIiEEZNS1_11reduce_implILb1ES3_N6thrust23THRUST_200600_302600_NS6detail15normal_iteratorINS8_10device_ptrIiEEEEPiiNS8_4plusIiEEEE10hipError_tPvRmT1_T2_T3_mT4_P12ihipStream_tbEUlT_E1_NS1_11comp_targetILNS1_3genE2ELNS1_11target_archE906ELNS1_3gpuE6ELNS1_3repE0EEENS1_30default_config_static_selectorELNS0_4arch9wavefront6targetE1EEEvSK_,"axG",@progbits,_ZN7rocprim17ROCPRIM_400000_NS6detail17trampoline_kernelINS0_14default_configENS1_22reduce_config_selectorIiEEZNS1_11reduce_implILb1ES3_N6thrust23THRUST_200600_302600_NS6detail15normal_iteratorINS8_10device_ptrIiEEEEPiiNS8_4plusIiEEEE10hipError_tPvRmT1_T2_T3_mT4_P12ihipStream_tbEUlT_E1_NS1_11comp_targetILNS1_3genE2ELNS1_11target_archE906ELNS1_3gpuE6ELNS1_3repE0EEENS1_30default_config_static_selectorELNS0_4arch9wavefront6targetE1EEEvSK_,comdat
	.protected	_ZN7rocprim17ROCPRIM_400000_NS6detail17trampoline_kernelINS0_14default_configENS1_22reduce_config_selectorIiEEZNS1_11reduce_implILb1ES3_N6thrust23THRUST_200600_302600_NS6detail15normal_iteratorINS8_10device_ptrIiEEEEPiiNS8_4plusIiEEEE10hipError_tPvRmT1_T2_T3_mT4_P12ihipStream_tbEUlT_E1_NS1_11comp_targetILNS1_3genE2ELNS1_11target_archE906ELNS1_3gpuE6ELNS1_3repE0EEENS1_30default_config_static_selectorELNS0_4arch9wavefront6targetE1EEEvSK_ ; -- Begin function _ZN7rocprim17ROCPRIM_400000_NS6detail17trampoline_kernelINS0_14default_configENS1_22reduce_config_selectorIiEEZNS1_11reduce_implILb1ES3_N6thrust23THRUST_200600_302600_NS6detail15normal_iteratorINS8_10device_ptrIiEEEEPiiNS8_4plusIiEEEE10hipError_tPvRmT1_T2_T3_mT4_P12ihipStream_tbEUlT_E1_NS1_11comp_targetILNS1_3genE2ELNS1_11target_archE906ELNS1_3gpuE6ELNS1_3repE0EEENS1_30default_config_static_selectorELNS0_4arch9wavefront6targetE1EEEvSK_
	.globl	_ZN7rocprim17ROCPRIM_400000_NS6detail17trampoline_kernelINS0_14default_configENS1_22reduce_config_selectorIiEEZNS1_11reduce_implILb1ES3_N6thrust23THRUST_200600_302600_NS6detail15normal_iteratorINS8_10device_ptrIiEEEEPiiNS8_4plusIiEEEE10hipError_tPvRmT1_T2_T3_mT4_P12ihipStream_tbEUlT_E1_NS1_11comp_targetILNS1_3genE2ELNS1_11target_archE906ELNS1_3gpuE6ELNS1_3repE0EEENS1_30default_config_static_selectorELNS0_4arch9wavefront6targetE1EEEvSK_
	.p2align	8
	.type	_ZN7rocprim17ROCPRIM_400000_NS6detail17trampoline_kernelINS0_14default_configENS1_22reduce_config_selectorIiEEZNS1_11reduce_implILb1ES3_N6thrust23THRUST_200600_302600_NS6detail15normal_iteratorINS8_10device_ptrIiEEEEPiiNS8_4plusIiEEEE10hipError_tPvRmT1_T2_T3_mT4_P12ihipStream_tbEUlT_E1_NS1_11comp_targetILNS1_3genE2ELNS1_11target_archE906ELNS1_3gpuE6ELNS1_3repE0EEENS1_30default_config_static_selectorELNS0_4arch9wavefront6targetE1EEEvSK_,@function
_ZN7rocprim17ROCPRIM_400000_NS6detail17trampoline_kernelINS0_14default_configENS1_22reduce_config_selectorIiEEZNS1_11reduce_implILb1ES3_N6thrust23THRUST_200600_302600_NS6detail15normal_iteratorINS8_10device_ptrIiEEEEPiiNS8_4plusIiEEEE10hipError_tPvRmT1_T2_T3_mT4_P12ihipStream_tbEUlT_E1_NS1_11comp_targetILNS1_3genE2ELNS1_11target_archE906ELNS1_3gpuE6ELNS1_3repE0EEENS1_30default_config_static_selectorELNS0_4arch9wavefront6targetE1EEEvSK_: ; @_ZN7rocprim17ROCPRIM_400000_NS6detail17trampoline_kernelINS0_14default_configENS1_22reduce_config_selectorIiEEZNS1_11reduce_implILb1ES3_N6thrust23THRUST_200600_302600_NS6detail15normal_iteratorINS8_10device_ptrIiEEEEPiiNS8_4plusIiEEEE10hipError_tPvRmT1_T2_T3_mT4_P12ihipStream_tbEUlT_E1_NS1_11comp_targetILNS1_3genE2ELNS1_11target_archE906ELNS1_3gpuE6ELNS1_3repE0EEENS1_30default_config_static_selectorELNS0_4arch9wavefront6targetE1EEEvSK_
; %bb.0:
	.section	.rodata,"a",@progbits
	.p2align	6, 0x0
	.amdhsa_kernel _ZN7rocprim17ROCPRIM_400000_NS6detail17trampoline_kernelINS0_14default_configENS1_22reduce_config_selectorIiEEZNS1_11reduce_implILb1ES3_N6thrust23THRUST_200600_302600_NS6detail15normal_iteratorINS8_10device_ptrIiEEEEPiiNS8_4plusIiEEEE10hipError_tPvRmT1_T2_T3_mT4_P12ihipStream_tbEUlT_E1_NS1_11comp_targetILNS1_3genE2ELNS1_11target_archE906ELNS1_3gpuE6ELNS1_3repE0EEENS1_30default_config_static_selectorELNS0_4arch9wavefront6targetE1EEEvSK_
		.amdhsa_group_segment_fixed_size 0
		.amdhsa_private_segment_fixed_size 0
		.amdhsa_kernarg_size 40
		.amdhsa_user_sgpr_count 2
		.amdhsa_user_sgpr_dispatch_ptr 0
		.amdhsa_user_sgpr_queue_ptr 0
		.amdhsa_user_sgpr_kernarg_segment_ptr 1
		.amdhsa_user_sgpr_dispatch_id 0
		.amdhsa_user_sgpr_kernarg_preload_length 0
		.amdhsa_user_sgpr_kernarg_preload_offset 0
		.amdhsa_user_sgpr_private_segment_size 0
		.amdhsa_uses_dynamic_stack 0
		.amdhsa_enable_private_segment 0
		.amdhsa_system_sgpr_workgroup_id_x 1
		.amdhsa_system_sgpr_workgroup_id_y 0
		.amdhsa_system_sgpr_workgroup_id_z 0
		.amdhsa_system_sgpr_workgroup_info 0
		.amdhsa_system_vgpr_workitem_id 0
		.amdhsa_next_free_vgpr 1
		.amdhsa_next_free_sgpr 0
		.amdhsa_accum_offset 4
		.amdhsa_reserve_vcc 0
		.amdhsa_float_round_mode_32 0
		.amdhsa_float_round_mode_16_64 0
		.amdhsa_float_denorm_mode_32 3
		.amdhsa_float_denorm_mode_16_64 3
		.amdhsa_dx10_clamp 1
		.amdhsa_ieee_mode 1
		.amdhsa_fp16_overflow 0
		.amdhsa_tg_split 0
		.amdhsa_exception_fp_ieee_invalid_op 0
		.amdhsa_exception_fp_denorm_src 0
		.amdhsa_exception_fp_ieee_div_zero 0
		.amdhsa_exception_fp_ieee_overflow 0
		.amdhsa_exception_fp_ieee_underflow 0
		.amdhsa_exception_fp_ieee_inexact 0
		.amdhsa_exception_int_div_zero 0
	.end_amdhsa_kernel
	.section	.text._ZN7rocprim17ROCPRIM_400000_NS6detail17trampoline_kernelINS0_14default_configENS1_22reduce_config_selectorIiEEZNS1_11reduce_implILb1ES3_N6thrust23THRUST_200600_302600_NS6detail15normal_iteratorINS8_10device_ptrIiEEEEPiiNS8_4plusIiEEEE10hipError_tPvRmT1_T2_T3_mT4_P12ihipStream_tbEUlT_E1_NS1_11comp_targetILNS1_3genE2ELNS1_11target_archE906ELNS1_3gpuE6ELNS1_3repE0EEENS1_30default_config_static_selectorELNS0_4arch9wavefront6targetE1EEEvSK_,"axG",@progbits,_ZN7rocprim17ROCPRIM_400000_NS6detail17trampoline_kernelINS0_14default_configENS1_22reduce_config_selectorIiEEZNS1_11reduce_implILb1ES3_N6thrust23THRUST_200600_302600_NS6detail15normal_iteratorINS8_10device_ptrIiEEEEPiiNS8_4plusIiEEEE10hipError_tPvRmT1_T2_T3_mT4_P12ihipStream_tbEUlT_E1_NS1_11comp_targetILNS1_3genE2ELNS1_11target_archE906ELNS1_3gpuE6ELNS1_3repE0EEENS1_30default_config_static_selectorELNS0_4arch9wavefront6targetE1EEEvSK_,comdat
.Lfunc_end255:
	.size	_ZN7rocprim17ROCPRIM_400000_NS6detail17trampoline_kernelINS0_14default_configENS1_22reduce_config_selectorIiEEZNS1_11reduce_implILb1ES3_N6thrust23THRUST_200600_302600_NS6detail15normal_iteratorINS8_10device_ptrIiEEEEPiiNS8_4plusIiEEEE10hipError_tPvRmT1_T2_T3_mT4_P12ihipStream_tbEUlT_E1_NS1_11comp_targetILNS1_3genE2ELNS1_11target_archE906ELNS1_3gpuE6ELNS1_3repE0EEENS1_30default_config_static_selectorELNS0_4arch9wavefront6targetE1EEEvSK_, .Lfunc_end255-_ZN7rocprim17ROCPRIM_400000_NS6detail17trampoline_kernelINS0_14default_configENS1_22reduce_config_selectorIiEEZNS1_11reduce_implILb1ES3_N6thrust23THRUST_200600_302600_NS6detail15normal_iteratorINS8_10device_ptrIiEEEEPiiNS8_4plusIiEEEE10hipError_tPvRmT1_T2_T3_mT4_P12ihipStream_tbEUlT_E1_NS1_11comp_targetILNS1_3genE2ELNS1_11target_archE906ELNS1_3gpuE6ELNS1_3repE0EEENS1_30default_config_static_selectorELNS0_4arch9wavefront6targetE1EEEvSK_
                                        ; -- End function
	.set _ZN7rocprim17ROCPRIM_400000_NS6detail17trampoline_kernelINS0_14default_configENS1_22reduce_config_selectorIiEEZNS1_11reduce_implILb1ES3_N6thrust23THRUST_200600_302600_NS6detail15normal_iteratorINS8_10device_ptrIiEEEEPiiNS8_4plusIiEEEE10hipError_tPvRmT1_T2_T3_mT4_P12ihipStream_tbEUlT_E1_NS1_11comp_targetILNS1_3genE2ELNS1_11target_archE906ELNS1_3gpuE6ELNS1_3repE0EEENS1_30default_config_static_selectorELNS0_4arch9wavefront6targetE1EEEvSK_.num_vgpr, 0
	.set _ZN7rocprim17ROCPRIM_400000_NS6detail17trampoline_kernelINS0_14default_configENS1_22reduce_config_selectorIiEEZNS1_11reduce_implILb1ES3_N6thrust23THRUST_200600_302600_NS6detail15normal_iteratorINS8_10device_ptrIiEEEEPiiNS8_4plusIiEEEE10hipError_tPvRmT1_T2_T3_mT4_P12ihipStream_tbEUlT_E1_NS1_11comp_targetILNS1_3genE2ELNS1_11target_archE906ELNS1_3gpuE6ELNS1_3repE0EEENS1_30default_config_static_selectorELNS0_4arch9wavefront6targetE1EEEvSK_.num_agpr, 0
	.set _ZN7rocprim17ROCPRIM_400000_NS6detail17trampoline_kernelINS0_14default_configENS1_22reduce_config_selectorIiEEZNS1_11reduce_implILb1ES3_N6thrust23THRUST_200600_302600_NS6detail15normal_iteratorINS8_10device_ptrIiEEEEPiiNS8_4plusIiEEEE10hipError_tPvRmT1_T2_T3_mT4_P12ihipStream_tbEUlT_E1_NS1_11comp_targetILNS1_3genE2ELNS1_11target_archE906ELNS1_3gpuE6ELNS1_3repE0EEENS1_30default_config_static_selectorELNS0_4arch9wavefront6targetE1EEEvSK_.numbered_sgpr, 0
	.set _ZN7rocprim17ROCPRIM_400000_NS6detail17trampoline_kernelINS0_14default_configENS1_22reduce_config_selectorIiEEZNS1_11reduce_implILb1ES3_N6thrust23THRUST_200600_302600_NS6detail15normal_iteratorINS8_10device_ptrIiEEEEPiiNS8_4plusIiEEEE10hipError_tPvRmT1_T2_T3_mT4_P12ihipStream_tbEUlT_E1_NS1_11comp_targetILNS1_3genE2ELNS1_11target_archE906ELNS1_3gpuE6ELNS1_3repE0EEENS1_30default_config_static_selectorELNS0_4arch9wavefront6targetE1EEEvSK_.num_named_barrier, 0
	.set _ZN7rocprim17ROCPRIM_400000_NS6detail17trampoline_kernelINS0_14default_configENS1_22reduce_config_selectorIiEEZNS1_11reduce_implILb1ES3_N6thrust23THRUST_200600_302600_NS6detail15normal_iteratorINS8_10device_ptrIiEEEEPiiNS8_4plusIiEEEE10hipError_tPvRmT1_T2_T3_mT4_P12ihipStream_tbEUlT_E1_NS1_11comp_targetILNS1_3genE2ELNS1_11target_archE906ELNS1_3gpuE6ELNS1_3repE0EEENS1_30default_config_static_selectorELNS0_4arch9wavefront6targetE1EEEvSK_.private_seg_size, 0
	.set _ZN7rocprim17ROCPRIM_400000_NS6detail17trampoline_kernelINS0_14default_configENS1_22reduce_config_selectorIiEEZNS1_11reduce_implILb1ES3_N6thrust23THRUST_200600_302600_NS6detail15normal_iteratorINS8_10device_ptrIiEEEEPiiNS8_4plusIiEEEE10hipError_tPvRmT1_T2_T3_mT4_P12ihipStream_tbEUlT_E1_NS1_11comp_targetILNS1_3genE2ELNS1_11target_archE906ELNS1_3gpuE6ELNS1_3repE0EEENS1_30default_config_static_selectorELNS0_4arch9wavefront6targetE1EEEvSK_.uses_vcc, 0
	.set _ZN7rocprim17ROCPRIM_400000_NS6detail17trampoline_kernelINS0_14default_configENS1_22reduce_config_selectorIiEEZNS1_11reduce_implILb1ES3_N6thrust23THRUST_200600_302600_NS6detail15normal_iteratorINS8_10device_ptrIiEEEEPiiNS8_4plusIiEEEE10hipError_tPvRmT1_T2_T3_mT4_P12ihipStream_tbEUlT_E1_NS1_11comp_targetILNS1_3genE2ELNS1_11target_archE906ELNS1_3gpuE6ELNS1_3repE0EEENS1_30default_config_static_selectorELNS0_4arch9wavefront6targetE1EEEvSK_.uses_flat_scratch, 0
	.set _ZN7rocprim17ROCPRIM_400000_NS6detail17trampoline_kernelINS0_14default_configENS1_22reduce_config_selectorIiEEZNS1_11reduce_implILb1ES3_N6thrust23THRUST_200600_302600_NS6detail15normal_iteratorINS8_10device_ptrIiEEEEPiiNS8_4plusIiEEEE10hipError_tPvRmT1_T2_T3_mT4_P12ihipStream_tbEUlT_E1_NS1_11comp_targetILNS1_3genE2ELNS1_11target_archE906ELNS1_3gpuE6ELNS1_3repE0EEENS1_30default_config_static_selectorELNS0_4arch9wavefront6targetE1EEEvSK_.has_dyn_sized_stack, 0
	.set _ZN7rocprim17ROCPRIM_400000_NS6detail17trampoline_kernelINS0_14default_configENS1_22reduce_config_selectorIiEEZNS1_11reduce_implILb1ES3_N6thrust23THRUST_200600_302600_NS6detail15normal_iteratorINS8_10device_ptrIiEEEEPiiNS8_4plusIiEEEE10hipError_tPvRmT1_T2_T3_mT4_P12ihipStream_tbEUlT_E1_NS1_11comp_targetILNS1_3genE2ELNS1_11target_archE906ELNS1_3gpuE6ELNS1_3repE0EEENS1_30default_config_static_selectorELNS0_4arch9wavefront6targetE1EEEvSK_.has_recursion, 0
	.set _ZN7rocprim17ROCPRIM_400000_NS6detail17trampoline_kernelINS0_14default_configENS1_22reduce_config_selectorIiEEZNS1_11reduce_implILb1ES3_N6thrust23THRUST_200600_302600_NS6detail15normal_iteratorINS8_10device_ptrIiEEEEPiiNS8_4plusIiEEEE10hipError_tPvRmT1_T2_T3_mT4_P12ihipStream_tbEUlT_E1_NS1_11comp_targetILNS1_3genE2ELNS1_11target_archE906ELNS1_3gpuE6ELNS1_3repE0EEENS1_30default_config_static_selectorELNS0_4arch9wavefront6targetE1EEEvSK_.has_indirect_call, 0
	.section	.AMDGPU.csdata,"",@progbits
; Kernel info:
; codeLenInByte = 0
; TotalNumSgprs: 6
; NumVgprs: 0
; NumAgprs: 0
; TotalNumVgprs: 0
; ScratchSize: 0
; MemoryBound: 0
; FloatMode: 240
; IeeeMode: 1
; LDSByteSize: 0 bytes/workgroup (compile time only)
; SGPRBlocks: 0
; VGPRBlocks: 0
; NumSGPRsForWavesPerEU: 6
; NumVGPRsForWavesPerEU: 1
; AccumOffset: 4
; Occupancy: 8
; WaveLimiterHint : 0
; COMPUTE_PGM_RSRC2:SCRATCH_EN: 0
; COMPUTE_PGM_RSRC2:USER_SGPR: 2
; COMPUTE_PGM_RSRC2:TRAP_HANDLER: 0
; COMPUTE_PGM_RSRC2:TGID_X_EN: 1
; COMPUTE_PGM_RSRC2:TGID_Y_EN: 0
; COMPUTE_PGM_RSRC2:TGID_Z_EN: 0
; COMPUTE_PGM_RSRC2:TIDIG_COMP_CNT: 0
; COMPUTE_PGM_RSRC3_GFX90A:ACCUM_OFFSET: 0
; COMPUTE_PGM_RSRC3_GFX90A:TG_SPLIT: 0
	.section	.text._ZN7rocprim17ROCPRIM_400000_NS6detail17trampoline_kernelINS0_14default_configENS1_22reduce_config_selectorIiEEZNS1_11reduce_implILb1ES3_N6thrust23THRUST_200600_302600_NS6detail15normal_iteratorINS8_10device_ptrIiEEEEPiiNS8_4plusIiEEEE10hipError_tPvRmT1_T2_T3_mT4_P12ihipStream_tbEUlT_E1_NS1_11comp_targetILNS1_3genE10ELNS1_11target_archE1201ELNS1_3gpuE5ELNS1_3repE0EEENS1_30default_config_static_selectorELNS0_4arch9wavefront6targetE1EEEvSK_,"axG",@progbits,_ZN7rocprim17ROCPRIM_400000_NS6detail17trampoline_kernelINS0_14default_configENS1_22reduce_config_selectorIiEEZNS1_11reduce_implILb1ES3_N6thrust23THRUST_200600_302600_NS6detail15normal_iteratorINS8_10device_ptrIiEEEEPiiNS8_4plusIiEEEE10hipError_tPvRmT1_T2_T3_mT4_P12ihipStream_tbEUlT_E1_NS1_11comp_targetILNS1_3genE10ELNS1_11target_archE1201ELNS1_3gpuE5ELNS1_3repE0EEENS1_30default_config_static_selectorELNS0_4arch9wavefront6targetE1EEEvSK_,comdat
	.protected	_ZN7rocprim17ROCPRIM_400000_NS6detail17trampoline_kernelINS0_14default_configENS1_22reduce_config_selectorIiEEZNS1_11reduce_implILb1ES3_N6thrust23THRUST_200600_302600_NS6detail15normal_iteratorINS8_10device_ptrIiEEEEPiiNS8_4plusIiEEEE10hipError_tPvRmT1_T2_T3_mT4_P12ihipStream_tbEUlT_E1_NS1_11comp_targetILNS1_3genE10ELNS1_11target_archE1201ELNS1_3gpuE5ELNS1_3repE0EEENS1_30default_config_static_selectorELNS0_4arch9wavefront6targetE1EEEvSK_ ; -- Begin function _ZN7rocprim17ROCPRIM_400000_NS6detail17trampoline_kernelINS0_14default_configENS1_22reduce_config_selectorIiEEZNS1_11reduce_implILb1ES3_N6thrust23THRUST_200600_302600_NS6detail15normal_iteratorINS8_10device_ptrIiEEEEPiiNS8_4plusIiEEEE10hipError_tPvRmT1_T2_T3_mT4_P12ihipStream_tbEUlT_E1_NS1_11comp_targetILNS1_3genE10ELNS1_11target_archE1201ELNS1_3gpuE5ELNS1_3repE0EEENS1_30default_config_static_selectorELNS0_4arch9wavefront6targetE1EEEvSK_
	.globl	_ZN7rocprim17ROCPRIM_400000_NS6detail17trampoline_kernelINS0_14default_configENS1_22reduce_config_selectorIiEEZNS1_11reduce_implILb1ES3_N6thrust23THRUST_200600_302600_NS6detail15normal_iteratorINS8_10device_ptrIiEEEEPiiNS8_4plusIiEEEE10hipError_tPvRmT1_T2_T3_mT4_P12ihipStream_tbEUlT_E1_NS1_11comp_targetILNS1_3genE10ELNS1_11target_archE1201ELNS1_3gpuE5ELNS1_3repE0EEENS1_30default_config_static_selectorELNS0_4arch9wavefront6targetE1EEEvSK_
	.p2align	8
	.type	_ZN7rocprim17ROCPRIM_400000_NS6detail17trampoline_kernelINS0_14default_configENS1_22reduce_config_selectorIiEEZNS1_11reduce_implILb1ES3_N6thrust23THRUST_200600_302600_NS6detail15normal_iteratorINS8_10device_ptrIiEEEEPiiNS8_4plusIiEEEE10hipError_tPvRmT1_T2_T3_mT4_P12ihipStream_tbEUlT_E1_NS1_11comp_targetILNS1_3genE10ELNS1_11target_archE1201ELNS1_3gpuE5ELNS1_3repE0EEENS1_30default_config_static_selectorELNS0_4arch9wavefront6targetE1EEEvSK_,@function
_ZN7rocprim17ROCPRIM_400000_NS6detail17trampoline_kernelINS0_14default_configENS1_22reduce_config_selectorIiEEZNS1_11reduce_implILb1ES3_N6thrust23THRUST_200600_302600_NS6detail15normal_iteratorINS8_10device_ptrIiEEEEPiiNS8_4plusIiEEEE10hipError_tPvRmT1_T2_T3_mT4_P12ihipStream_tbEUlT_E1_NS1_11comp_targetILNS1_3genE10ELNS1_11target_archE1201ELNS1_3gpuE5ELNS1_3repE0EEENS1_30default_config_static_selectorELNS0_4arch9wavefront6targetE1EEEvSK_: ; @_ZN7rocprim17ROCPRIM_400000_NS6detail17trampoline_kernelINS0_14default_configENS1_22reduce_config_selectorIiEEZNS1_11reduce_implILb1ES3_N6thrust23THRUST_200600_302600_NS6detail15normal_iteratorINS8_10device_ptrIiEEEEPiiNS8_4plusIiEEEE10hipError_tPvRmT1_T2_T3_mT4_P12ihipStream_tbEUlT_E1_NS1_11comp_targetILNS1_3genE10ELNS1_11target_archE1201ELNS1_3gpuE5ELNS1_3repE0EEENS1_30default_config_static_selectorELNS0_4arch9wavefront6targetE1EEEvSK_
; %bb.0:
	.section	.rodata,"a",@progbits
	.p2align	6, 0x0
	.amdhsa_kernel _ZN7rocprim17ROCPRIM_400000_NS6detail17trampoline_kernelINS0_14default_configENS1_22reduce_config_selectorIiEEZNS1_11reduce_implILb1ES3_N6thrust23THRUST_200600_302600_NS6detail15normal_iteratorINS8_10device_ptrIiEEEEPiiNS8_4plusIiEEEE10hipError_tPvRmT1_T2_T3_mT4_P12ihipStream_tbEUlT_E1_NS1_11comp_targetILNS1_3genE10ELNS1_11target_archE1201ELNS1_3gpuE5ELNS1_3repE0EEENS1_30default_config_static_selectorELNS0_4arch9wavefront6targetE1EEEvSK_
		.amdhsa_group_segment_fixed_size 0
		.amdhsa_private_segment_fixed_size 0
		.amdhsa_kernarg_size 40
		.amdhsa_user_sgpr_count 2
		.amdhsa_user_sgpr_dispatch_ptr 0
		.amdhsa_user_sgpr_queue_ptr 0
		.amdhsa_user_sgpr_kernarg_segment_ptr 1
		.amdhsa_user_sgpr_dispatch_id 0
		.amdhsa_user_sgpr_kernarg_preload_length 0
		.amdhsa_user_sgpr_kernarg_preload_offset 0
		.amdhsa_user_sgpr_private_segment_size 0
		.amdhsa_uses_dynamic_stack 0
		.amdhsa_enable_private_segment 0
		.amdhsa_system_sgpr_workgroup_id_x 1
		.amdhsa_system_sgpr_workgroup_id_y 0
		.amdhsa_system_sgpr_workgroup_id_z 0
		.amdhsa_system_sgpr_workgroup_info 0
		.amdhsa_system_vgpr_workitem_id 0
		.amdhsa_next_free_vgpr 1
		.amdhsa_next_free_sgpr 0
		.amdhsa_accum_offset 4
		.amdhsa_reserve_vcc 0
		.amdhsa_float_round_mode_32 0
		.amdhsa_float_round_mode_16_64 0
		.amdhsa_float_denorm_mode_32 3
		.amdhsa_float_denorm_mode_16_64 3
		.amdhsa_dx10_clamp 1
		.amdhsa_ieee_mode 1
		.amdhsa_fp16_overflow 0
		.amdhsa_tg_split 0
		.amdhsa_exception_fp_ieee_invalid_op 0
		.amdhsa_exception_fp_denorm_src 0
		.amdhsa_exception_fp_ieee_div_zero 0
		.amdhsa_exception_fp_ieee_overflow 0
		.amdhsa_exception_fp_ieee_underflow 0
		.amdhsa_exception_fp_ieee_inexact 0
		.amdhsa_exception_int_div_zero 0
	.end_amdhsa_kernel
	.section	.text._ZN7rocprim17ROCPRIM_400000_NS6detail17trampoline_kernelINS0_14default_configENS1_22reduce_config_selectorIiEEZNS1_11reduce_implILb1ES3_N6thrust23THRUST_200600_302600_NS6detail15normal_iteratorINS8_10device_ptrIiEEEEPiiNS8_4plusIiEEEE10hipError_tPvRmT1_T2_T3_mT4_P12ihipStream_tbEUlT_E1_NS1_11comp_targetILNS1_3genE10ELNS1_11target_archE1201ELNS1_3gpuE5ELNS1_3repE0EEENS1_30default_config_static_selectorELNS0_4arch9wavefront6targetE1EEEvSK_,"axG",@progbits,_ZN7rocprim17ROCPRIM_400000_NS6detail17trampoline_kernelINS0_14default_configENS1_22reduce_config_selectorIiEEZNS1_11reduce_implILb1ES3_N6thrust23THRUST_200600_302600_NS6detail15normal_iteratorINS8_10device_ptrIiEEEEPiiNS8_4plusIiEEEE10hipError_tPvRmT1_T2_T3_mT4_P12ihipStream_tbEUlT_E1_NS1_11comp_targetILNS1_3genE10ELNS1_11target_archE1201ELNS1_3gpuE5ELNS1_3repE0EEENS1_30default_config_static_selectorELNS0_4arch9wavefront6targetE1EEEvSK_,comdat
.Lfunc_end256:
	.size	_ZN7rocprim17ROCPRIM_400000_NS6detail17trampoline_kernelINS0_14default_configENS1_22reduce_config_selectorIiEEZNS1_11reduce_implILb1ES3_N6thrust23THRUST_200600_302600_NS6detail15normal_iteratorINS8_10device_ptrIiEEEEPiiNS8_4plusIiEEEE10hipError_tPvRmT1_T2_T3_mT4_P12ihipStream_tbEUlT_E1_NS1_11comp_targetILNS1_3genE10ELNS1_11target_archE1201ELNS1_3gpuE5ELNS1_3repE0EEENS1_30default_config_static_selectorELNS0_4arch9wavefront6targetE1EEEvSK_, .Lfunc_end256-_ZN7rocprim17ROCPRIM_400000_NS6detail17trampoline_kernelINS0_14default_configENS1_22reduce_config_selectorIiEEZNS1_11reduce_implILb1ES3_N6thrust23THRUST_200600_302600_NS6detail15normal_iteratorINS8_10device_ptrIiEEEEPiiNS8_4plusIiEEEE10hipError_tPvRmT1_T2_T3_mT4_P12ihipStream_tbEUlT_E1_NS1_11comp_targetILNS1_3genE10ELNS1_11target_archE1201ELNS1_3gpuE5ELNS1_3repE0EEENS1_30default_config_static_selectorELNS0_4arch9wavefront6targetE1EEEvSK_
                                        ; -- End function
	.set _ZN7rocprim17ROCPRIM_400000_NS6detail17trampoline_kernelINS0_14default_configENS1_22reduce_config_selectorIiEEZNS1_11reduce_implILb1ES3_N6thrust23THRUST_200600_302600_NS6detail15normal_iteratorINS8_10device_ptrIiEEEEPiiNS8_4plusIiEEEE10hipError_tPvRmT1_T2_T3_mT4_P12ihipStream_tbEUlT_E1_NS1_11comp_targetILNS1_3genE10ELNS1_11target_archE1201ELNS1_3gpuE5ELNS1_3repE0EEENS1_30default_config_static_selectorELNS0_4arch9wavefront6targetE1EEEvSK_.num_vgpr, 0
	.set _ZN7rocprim17ROCPRIM_400000_NS6detail17trampoline_kernelINS0_14default_configENS1_22reduce_config_selectorIiEEZNS1_11reduce_implILb1ES3_N6thrust23THRUST_200600_302600_NS6detail15normal_iteratorINS8_10device_ptrIiEEEEPiiNS8_4plusIiEEEE10hipError_tPvRmT1_T2_T3_mT4_P12ihipStream_tbEUlT_E1_NS1_11comp_targetILNS1_3genE10ELNS1_11target_archE1201ELNS1_3gpuE5ELNS1_3repE0EEENS1_30default_config_static_selectorELNS0_4arch9wavefront6targetE1EEEvSK_.num_agpr, 0
	.set _ZN7rocprim17ROCPRIM_400000_NS6detail17trampoline_kernelINS0_14default_configENS1_22reduce_config_selectorIiEEZNS1_11reduce_implILb1ES3_N6thrust23THRUST_200600_302600_NS6detail15normal_iteratorINS8_10device_ptrIiEEEEPiiNS8_4plusIiEEEE10hipError_tPvRmT1_T2_T3_mT4_P12ihipStream_tbEUlT_E1_NS1_11comp_targetILNS1_3genE10ELNS1_11target_archE1201ELNS1_3gpuE5ELNS1_3repE0EEENS1_30default_config_static_selectorELNS0_4arch9wavefront6targetE1EEEvSK_.numbered_sgpr, 0
	.set _ZN7rocprim17ROCPRIM_400000_NS6detail17trampoline_kernelINS0_14default_configENS1_22reduce_config_selectorIiEEZNS1_11reduce_implILb1ES3_N6thrust23THRUST_200600_302600_NS6detail15normal_iteratorINS8_10device_ptrIiEEEEPiiNS8_4plusIiEEEE10hipError_tPvRmT1_T2_T3_mT4_P12ihipStream_tbEUlT_E1_NS1_11comp_targetILNS1_3genE10ELNS1_11target_archE1201ELNS1_3gpuE5ELNS1_3repE0EEENS1_30default_config_static_selectorELNS0_4arch9wavefront6targetE1EEEvSK_.num_named_barrier, 0
	.set _ZN7rocprim17ROCPRIM_400000_NS6detail17trampoline_kernelINS0_14default_configENS1_22reduce_config_selectorIiEEZNS1_11reduce_implILb1ES3_N6thrust23THRUST_200600_302600_NS6detail15normal_iteratorINS8_10device_ptrIiEEEEPiiNS8_4plusIiEEEE10hipError_tPvRmT1_T2_T3_mT4_P12ihipStream_tbEUlT_E1_NS1_11comp_targetILNS1_3genE10ELNS1_11target_archE1201ELNS1_3gpuE5ELNS1_3repE0EEENS1_30default_config_static_selectorELNS0_4arch9wavefront6targetE1EEEvSK_.private_seg_size, 0
	.set _ZN7rocprim17ROCPRIM_400000_NS6detail17trampoline_kernelINS0_14default_configENS1_22reduce_config_selectorIiEEZNS1_11reduce_implILb1ES3_N6thrust23THRUST_200600_302600_NS6detail15normal_iteratorINS8_10device_ptrIiEEEEPiiNS8_4plusIiEEEE10hipError_tPvRmT1_T2_T3_mT4_P12ihipStream_tbEUlT_E1_NS1_11comp_targetILNS1_3genE10ELNS1_11target_archE1201ELNS1_3gpuE5ELNS1_3repE0EEENS1_30default_config_static_selectorELNS0_4arch9wavefront6targetE1EEEvSK_.uses_vcc, 0
	.set _ZN7rocprim17ROCPRIM_400000_NS6detail17trampoline_kernelINS0_14default_configENS1_22reduce_config_selectorIiEEZNS1_11reduce_implILb1ES3_N6thrust23THRUST_200600_302600_NS6detail15normal_iteratorINS8_10device_ptrIiEEEEPiiNS8_4plusIiEEEE10hipError_tPvRmT1_T2_T3_mT4_P12ihipStream_tbEUlT_E1_NS1_11comp_targetILNS1_3genE10ELNS1_11target_archE1201ELNS1_3gpuE5ELNS1_3repE0EEENS1_30default_config_static_selectorELNS0_4arch9wavefront6targetE1EEEvSK_.uses_flat_scratch, 0
	.set _ZN7rocprim17ROCPRIM_400000_NS6detail17trampoline_kernelINS0_14default_configENS1_22reduce_config_selectorIiEEZNS1_11reduce_implILb1ES3_N6thrust23THRUST_200600_302600_NS6detail15normal_iteratorINS8_10device_ptrIiEEEEPiiNS8_4plusIiEEEE10hipError_tPvRmT1_T2_T3_mT4_P12ihipStream_tbEUlT_E1_NS1_11comp_targetILNS1_3genE10ELNS1_11target_archE1201ELNS1_3gpuE5ELNS1_3repE0EEENS1_30default_config_static_selectorELNS0_4arch9wavefront6targetE1EEEvSK_.has_dyn_sized_stack, 0
	.set _ZN7rocprim17ROCPRIM_400000_NS6detail17trampoline_kernelINS0_14default_configENS1_22reduce_config_selectorIiEEZNS1_11reduce_implILb1ES3_N6thrust23THRUST_200600_302600_NS6detail15normal_iteratorINS8_10device_ptrIiEEEEPiiNS8_4plusIiEEEE10hipError_tPvRmT1_T2_T3_mT4_P12ihipStream_tbEUlT_E1_NS1_11comp_targetILNS1_3genE10ELNS1_11target_archE1201ELNS1_3gpuE5ELNS1_3repE0EEENS1_30default_config_static_selectorELNS0_4arch9wavefront6targetE1EEEvSK_.has_recursion, 0
	.set _ZN7rocprim17ROCPRIM_400000_NS6detail17trampoline_kernelINS0_14default_configENS1_22reduce_config_selectorIiEEZNS1_11reduce_implILb1ES3_N6thrust23THRUST_200600_302600_NS6detail15normal_iteratorINS8_10device_ptrIiEEEEPiiNS8_4plusIiEEEE10hipError_tPvRmT1_T2_T3_mT4_P12ihipStream_tbEUlT_E1_NS1_11comp_targetILNS1_3genE10ELNS1_11target_archE1201ELNS1_3gpuE5ELNS1_3repE0EEENS1_30default_config_static_selectorELNS0_4arch9wavefront6targetE1EEEvSK_.has_indirect_call, 0
	.section	.AMDGPU.csdata,"",@progbits
; Kernel info:
; codeLenInByte = 0
; TotalNumSgprs: 6
; NumVgprs: 0
; NumAgprs: 0
; TotalNumVgprs: 0
; ScratchSize: 0
; MemoryBound: 0
; FloatMode: 240
; IeeeMode: 1
; LDSByteSize: 0 bytes/workgroup (compile time only)
; SGPRBlocks: 0
; VGPRBlocks: 0
; NumSGPRsForWavesPerEU: 6
; NumVGPRsForWavesPerEU: 1
; AccumOffset: 4
; Occupancy: 8
; WaveLimiterHint : 0
; COMPUTE_PGM_RSRC2:SCRATCH_EN: 0
; COMPUTE_PGM_RSRC2:USER_SGPR: 2
; COMPUTE_PGM_RSRC2:TRAP_HANDLER: 0
; COMPUTE_PGM_RSRC2:TGID_X_EN: 1
; COMPUTE_PGM_RSRC2:TGID_Y_EN: 0
; COMPUTE_PGM_RSRC2:TGID_Z_EN: 0
; COMPUTE_PGM_RSRC2:TIDIG_COMP_CNT: 0
; COMPUTE_PGM_RSRC3_GFX90A:ACCUM_OFFSET: 0
; COMPUTE_PGM_RSRC3_GFX90A:TG_SPLIT: 0
	.section	.text._ZN7rocprim17ROCPRIM_400000_NS6detail17trampoline_kernelINS0_14default_configENS1_22reduce_config_selectorIiEEZNS1_11reduce_implILb1ES3_N6thrust23THRUST_200600_302600_NS6detail15normal_iteratorINS8_10device_ptrIiEEEEPiiNS8_4plusIiEEEE10hipError_tPvRmT1_T2_T3_mT4_P12ihipStream_tbEUlT_E1_NS1_11comp_targetILNS1_3genE10ELNS1_11target_archE1200ELNS1_3gpuE4ELNS1_3repE0EEENS1_30default_config_static_selectorELNS0_4arch9wavefront6targetE1EEEvSK_,"axG",@progbits,_ZN7rocprim17ROCPRIM_400000_NS6detail17trampoline_kernelINS0_14default_configENS1_22reduce_config_selectorIiEEZNS1_11reduce_implILb1ES3_N6thrust23THRUST_200600_302600_NS6detail15normal_iteratorINS8_10device_ptrIiEEEEPiiNS8_4plusIiEEEE10hipError_tPvRmT1_T2_T3_mT4_P12ihipStream_tbEUlT_E1_NS1_11comp_targetILNS1_3genE10ELNS1_11target_archE1200ELNS1_3gpuE4ELNS1_3repE0EEENS1_30default_config_static_selectorELNS0_4arch9wavefront6targetE1EEEvSK_,comdat
	.protected	_ZN7rocprim17ROCPRIM_400000_NS6detail17trampoline_kernelINS0_14default_configENS1_22reduce_config_selectorIiEEZNS1_11reduce_implILb1ES3_N6thrust23THRUST_200600_302600_NS6detail15normal_iteratorINS8_10device_ptrIiEEEEPiiNS8_4plusIiEEEE10hipError_tPvRmT1_T2_T3_mT4_P12ihipStream_tbEUlT_E1_NS1_11comp_targetILNS1_3genE10ELNS1_11target_archE1200ELNS1_3gpuE4ELNS1_3repE0EEENS1_30default_config_static_selectorELNS0_4arch9wavefront6targetE1EEEvSK_ ; -- Begin function _ZN7rocprim17ROCPRIM_400000_NS6detail17trampoline_kernelINS0_14default_configENS1_22reduce_config_selectorIiEEZNS1_11reduce_implILb1ES3_N6thrust23THRUST_200600_302600_NS6detail15normal_iteratorINS8_10device_ptrIiEEEEPiiNS8_4plusIiEEEE10hipError_tPvRmT1_T2_T3_mT4_P12ihipStream_tbEUlT_E1_NS1_11comp_targetILNS1_3genE10ELNS1_11target_archE1200ELNS1_3gpuE4ELNS1_3repE0EEENS1_30default_config_static_selectorELNS0_4arch9wavefront6targetE1EEEvSK_
	.globl	_ZN7rocprim17ROCPRIM_400000_NS6detail17trampoline_kernelINS0_14default_configENS1_22reduce_config_selectorIiEEZNS1_11reduce_implILb1ES3_N6thrust23THRUST_200600_302600_NS6detail15normal_iteratorINS8_10device_ptrIiEEEEPiiNS8_4plusIiEEEE10hipError_tPvRmT1_T2_T3_mT4_P12ihipStream_tbEUlT_E1_NS1_11comp_targetILNS1_3genE10ELNS1_11target_archE1200ELNS1_3gpuE4ELNS1_3repE0EEENS1_30default_config_static_selectorELNS0_4arch9wavefront6targetE1EEEvSK_
	.p2align	8
	.type	_ZN7rocprim17ROCPRIM_400000_NS6detail17trampoline_kernelINS0_14default_configENS1_22reduce_config_selectorIiEEZNS1_11reduce_implILb1ES3_N6thrust23THRUST_200600_302600_NS6detail15normal_iteratorINS8_10device_ptrIiEEEEPiiNS8_4plusIiEEEE10hipError_tPvRmT1_T2_T3_mT4_P12ihipStream_tbEUlT_E1_NS1_11comp_targetILNS1_3genE10ELNS1_11target_archE1200ELNS1_3gpuE4ELNS1_3repE0EEENS1_30default_config_static_selectorELNS0_4arch9wavefront6targetE1EEEvSK_,@function
_ZN7rocprim17ROCPRIM_400000_NS6detail17trampoline_kernelINS0_14default_configENS1_22reduce_config_selectorIiEEZNS1_11reduce_implILb1ES3_N6thrust23THRUST_200600_302600_NS6detail15normal_iteratorINS8_10device_ptrIiEEEEPiiNS8_4plusIiEEEE10hipError_tPvRmT1_T2_T3_mT4_P12ihipStream_tbEUlT_E1_NS1_11comp_targetILNS1_3genE10ELNS1_11target_archE1200ELNS1_3gpuE4ELNS1_3repE0EEENS1_30default_config_static_selectorELNS0_4arch9wavefront6targetE1EEEvSK_: ; @_ZN7rocprim17ROCPRIM_400000_NS6detail17trampoline_kernelINS0_14default_configENS1_22reduce_config_selectorIiEEZNS1_11reduce_implILb1ES3_N6thrust23THRUST_200600_302600_NS6detail15normal_iteratorINS8_10device_ptrIiEEEEPiiNS8_4plusIiEEEE10hipError_tPvRmT1_T2_T3_mT4_P12ihipStream_tbEUlT_E1_NS1_11comp_targetILNS1_3genE10ELNS1_11target_archE1200ELNS1_3gpuE4ELNS1_3repE0EEENS1_30default_config_static_selectorELNS0_4arch9wavefront6targetE1EEEvSK_
; %bb.0:
	.section	.rodata,"a",@progbits
	.p2align	6, 0x0
	.amdhsa_kernel _ZN7rocprim17ROCPRIM_400000_NS6detail17trampoline_kernelINS0_14default_configENS1_22reduce_config_selectorIiEEZNS1_11reduce_implILb1ES3_N6thrust23THRUST_200600_302600_NS6detail15normal_iteratorINS8_10device_ptrIiEEEEPiiNS8_4plusIiEEEE10hipError_tPvRmT1_T2_T3_mT4_P12ihipStream_tbEUlT_E1_NS1_11comp_targetILNS1_3genE10ELNS1_11target_archE1200ELNS1_3gpuE4ELNS1_3repE0EEENS1_30default_config_static_selectorELNS0_4arch9wavefront6targetE1EEEvSK_
		.amdhsa_group_segment_fixed_size 0
		.amdhsa_private_segment_fixed_size 0
		.amdhsa_kernarg_size 40
		.amdhsa_user_sgpr_count 2
		.amdhsa_user_sgpr_dispatch_ptr 0
		.amdhsa_user_sgpr_queue_ptr 0
		.amdhsa_user_sgpr_kernarg_segment_ptr 1
		.amdhsa_user_sgpr_dispatch_id 0
		.amdhsa_user_sgpr_kernarg_preload_length 0
		.amdhsa_user_sgpr_kernarg_preload_offset 0
		.amdhsa_user_sgpr_private_segment_size 0
		.amdhsa_uses_dynamic_stack 0
		.amdhsa_enable_private_segment 0
		.amdhsa_system_sgpr_workgroup_id_x 1
		.amdhsa_system_sgpr_workgroup_id_y 0
		.amdhsa_system_sgpr_workgroup_id_z 0
		.amdhsa_system_sgpr_workgroup_info 0
		.amdhsa_system_vgpr_workitem_id 0
		.amdhsa_next_free_vgpr 1
		.amdhsa_next_free_sgpr 0
		.amdhsa_accum_offset 4
		.amdhsa_reserve_vcc 0
		.amdhsa_float_round_mode_32 0
		.amdhsa_float_round_mode_16_64 0
		.amdhsa_float_denorm_mode_32 3
		.amdhsa_float_denorm_mode_16_64 3
		.amdhsa_dx10_clamp 1
		.amdhsa_ieee_mode 1
		.amdhsa_fp16_overflow 0
		.amdhsa_tg_split 0
		.amdhsa_exception_fp_ieee_invalid_op 0
		.amdhsa_exception_fp_denorm_src 0
		.amdhsa_exception_fp_ieee_div_zero 0
		.amdhsa_exception_fp_ieee_overflow 0
		.amdhsa_exception_fp_ieee_underflow 0
		.amdhsa_exception_fp_ieee_inexact 0
		.amdhsa_exception_int_div_zero 0
	.end_amdhsa_kernel
	.section	.text._ZN7rocprim17ROCPRIM_400000_NS6detail17trampoline_kernelINS0_14default_configENS1_22reduce_config_selectorIiEEZNS1_11reduce_implILb1ES3_N6thrust23THRUST_200600_302600_NS6detail15normal_iteratorINS8_10device_ptrIiEEEEPiiNS8_4plusIiEEEE10hipError_tPvRmT1_T2_T3_mT4_P12ihipStream_tbEUlT_E1_NS1_11comp_targetILNS1_3genE10ELNS1_11target_archE1200ELNS1_3gpuE4ELNS1_3repE0EEENS1_30default_config_static_selectorELNS0_4arch9wavefront6targetE1EEEvSK_,"axG",@progbits,_ZN7rocprim17ROCPRIM_400000_NS6detail17trampoline_kernelINS0_14default_configENS1_22reduce_config_selectorIiEEZNS1_11reduce_implILb1ES3_N6thrust23THRUST_200600_302600_NS6detail15normal_iteratorINS8_10device_ptrIiEEEEPiiNS8_4plusIiEEEE10hipError_tPvRmT1_T2_T3_mT4_P12ihipStream_tbEUlT_E1_NS1_11comp_targetILNS1_3genE10ELNS1_11target_archE1200ELNS1_3gpuE4ELNS1_3repE0EEENS1_30default_config_static_selectorELNS0_4arch9wavefront6targetE1EEEvSK_,comdat
.Lfunc_end257:
	.size	_ZN7rocprim17ROCPRIM_400000_NS6detail17trampoline_kernelINS0_14default_configENS1_22reduce_config_selectorIiEEZNS1_11reduce_implILb1ES3_N6thrust23THRUST_200600_302600_NS6detail15normal_iteratorINS8_10device_ptrIiEEEEPiiNS8_4plusIiEEEE10hipError_tPvRmT1_T2_T3_mT4_P12ihipStream_tbEUlT_E1_NS1_11comp_targetILNS1_3genE10ELNS1_11target_archE1200ELNS1_3gpuE4ELNS1_3repE0EEENS1_30default_config_static_selectorELNS0_4arch9wavefront6targetE1EEEvSK_, .Lfunc_end257-_ZN7rocprim17ROCPRIM_400000_NS6detail17trampoline_kernelINS0_14default_configENS1_22reduce_config_selectorIiEEZNS1_11reduce_implILb1ES3_N6thrust23THRUST_200600_302600_NS6detail15normal_iteratorINS8_10device_ptrIiEEEEPiiNS8_4plusIiEEEE10hipError_tPvRmT1_T2_T3_mT4_P12ihipStream_tbEUlT_E1_NS1_11comp_targetILNS1_3genE10ELNS1_11target_archE1200ELNS1_3gpuE4ELNS1_3repE0EEENS1_30default_config_static_selectorELNS0_4arch9wavefront6targetE1EEEvSK_
                                        ; -- End function
	.set _ZN7rocprim17ROCPRIM_400000_NS6detail17trampoline_kernelINS0_14default_configENS1_22reduce_config_selectorIiEEZNS1_11reduce_implILb1ES3_N6thrust23THRUST_200600_302600_NS6detail15normal_iteratorINS8_10device_ptrIiEEEEPiiNS8_4plusIiEEEE10hipError_tPvRmT1_T2_T3_mT4_P12ihipStream_tbEUlT_E1_NS1_11comp_targetILNS1_3genE10ELNS1_11target_archE1200ELNS1_3gpuE4ELNS1_3repE0EEENS1_30default_config_static_selectorELNS0_4arch9wavefront6targetE1EEEvSK_.num_vgpr, 0
	.set _ZN7rocprim17ROCPRIM_400000_NS6detail17trampoline_kernelINS0_14default_configENS1_22reduce_config_selectorIiEEZNS1_11reduce_implILb1ES3_N6thrust23THRUST_200600_302600_NS6detail15normal_iteratorINS8_10device_ptrIiEEEEPiiNS8_4plusIiEEEE10hipError_tPvRmT1_T2_T3_mT4_P12ihipStream_tbEUlT_E1_NS1_11comp_targetILNS1_3genE10ELNS1_11target_archE1200ELNS1_3gpuE4ELNS1_3repE0EEENS1_30default_config_static_selectorELNS0_4arch9wavefront6targetE1EEEvSK_.num_agpr, 0
	.set _ZN7rocprim17ROCPRIM_400000_NS6detail17trampoline_kernelINS0_14default_configENS1_22reduce_config_selectorIiEEZNS1_11reduce_implILb1ES3_N6thrust23THRUST_200600_302600_NS6detail15normal_iteratorINS8_10device_ptrIiEEEEPiiNS8_4plusIiEEEE10hipError_tPvRmT1_T2_T3_mT4_P12ihipStream_tbEUlT_E1_NS1_11comp_targetILNS1_3genE10ELNS1_11target_archE1200ELNS1_3gpuE4ELNS1_3repE0EEENS1_30default_config_static_selectorELNS0_4arch9wavefront6targetE1EEEvSK_.numbered_sgpr, 0
	.set _ZN7rocprim17ROCPRIM_400000_NS6detail17trampoline_kernelINS0_14default_configENS1_22reduce_config_selectorIiEEZNS1_11reduce_implILb1ES3_N6thrust23THRUST_200600_302600_NS6detail15normal_iteratorINS8_10device_ptrIiEEEEPiiNS8_4plusIiEEEE10hipError_tPvRmT1_T2_T3_mT4_P12ihipStream_tbEUlT_E1_NS1_11comp_targetILNS1_3genE10ELNS1_11target_archE1200ELNS1_3gpuE4ELNS1_3repE0EEENS1_30default_config_static_selectorELNS0_4arch9wavefront6targetE1EEEvSK_.num_named_barrier, 0
	.set _ZN7rocprim17ROCPRIM_400000_NS6detail17trampoline_kernelINS0_14default_configENS1_22reduce_config_selectorIiEEZNS1_11reduce_implILb1ES3_N6thrust23THRUST_200600_302600_NS6detail15normal_iteratorINS8_10device_ptrIiEEEEPiiNS8_4plusIiEEEE10hipError_tPvRmT1_T2_T3_mT4_P12ihipStream_tbEUlT_E1_NS1_11comp_targetILNS1_3genE10ELNS1_11target_archE1200ELNS1_3gpuE4ELNS1_3repE0EEENS1_30default_config_static_selectorELNS0_4arch9wavefront6targetE1EEEvSK_.private_seg_size, 0
	.set _ZN7rocprim17ROCPRIM_400000_NS6detail17trampoline_kernelINS0_14default_configENS1_22reduce_config_selectorIiEEZNS1_11reduce_implILb1ES3_N6thrust23THRUST_200600_302600_NS6detail15normal_iteratorINS8_10device_ptrIiEEEEPiiNS8_4plusIiEEEE10hipError_tPvRmT1_T2_T3_mT4_P12ihipStream_tbEUlT_E1_NS1_11comp_targetILNS1_3genE10ELNS1_11target_archE1200ELNS1_3gpuE4ELNS1_3repE0EEENS1_30default_config_static_selectorELNS0_4arch9wavefront6targetE1EEEvSK_.uses_vcc, 0
	.set _ZN7rocprim17ROCPRIM_400000_NS6detail17trampoline_kernelINS0_14default_configENS1_22reduce_config_selectorIiEEZNS1_11reduce_implILb1ES3_N6thrust23THRUST_200600_302600_NS6detail15normal_iteratorINS8_10device_ptrIiEEEEPiiNS8_4plusIiEEEE10hipError_tPvRmT1_T2_T3_mT4_P12ihipStream_tbEUlT_E1_NS1_11comp_targetILNS1_3genE10ELNS1_11target_archE1200ELNS1_3gpuE4ELNS1_3repE0EEENS1_30default_config_static_selectorELNS0_4arch9wavefront6targetE1EEEvSK_.uses_flat_scratch, 0
	.set _ZN7rocprim17ROCPRIM_400000_NS6detail17trampoline_kernelINS0_14default_configENS1_22reduce_config_selectorIiEEZNS1_11reduce_implILb1ES3_N6thrust23THRUST_200600_302600_NS6detail15normal_iteratorINS8_10device_ptrIiEEEEPiiNS8_4plusIiEEEE10hipError_tPvRmT1_T2_T3_mT4_P12ihipStream_tbEUlT_E1_NS1_11comp_targetILNS1_3genE10ELNS1_11target_archE1200ELNS1_3gpuE4ELNS1_3repE0EEENS1_30default_config_static_selectorELNS0_4arch9wavefront6targetE1EEEvSK_.has_dyn_sized_stack, 0
	.set _ZN7rocprim17ROCPRIM_400000_NS6detail17trampoline_kernelINS0_14default_configENS1_22reduce_config_selectorIiEEZNS1_11reduce_implILb1ES3_N6thrust23THRUST_200600_302600_NS6detail15normal_iteratorINS8_10device_ptrIiEEEEPiiNS8_4plusIiEEEE10hipError_tPvRmT1_T2_T3_mT4_P12ihipStream_tbEUlT_E1_NS1_11comp_targetILNS1_3genE10ELNS1_11target_archE1200ELNS1_3gpuE4ELNS1_3repE0EEENS1_30default_config_static_selectorELNS0_4arch9wavefront6targetE1EEEvSK_.has_recursion, 0
	.set _ZN7rocprim17ROCPRIM_400000_NS6detail17trampoline_kernelINS0_14default_configENS1_22reduce_config_selectorIiEEZNS1_11reduce_implILb1ES3_N6thrust23THRUST_200600_302600_NS6detail15normal_iteratorINS8_10device_ptrIiEEEEPiiNS8_4plusIiEEEE10hipError_tPvRmT1_T2_T3_mT4_P12ihipStream_tbEUlT_E1_NS1_11comp_targetILNS1_3genE10ELNS1_11target_archE1200ELNS1_3gpuE4ELNS1_3repE0EEENS1_30default_config_static_selectorELNS0_4arch9wavefront6targetE1EEEvSK_.has_indirect_call, 0
	.section	.AMDGPU.csdata,"",@progbits
; Kernel info:
; codeLenInByte = 0
; TotalNumSgprs: 6
; NumVgprs: 0
; NumAgprs: 0
; TotalNumVgprs: 0
; ScratchSize: 0
; MemoryBound: 0
; FloatMode: 240
; IeeeMode: 1
; LDSByteSize: 0 bytes/workgroup (compile time only)
; SGPRBlocks: 0
; VGPRBlocks: 0
; NumSGPRsForWavesPerEU: 6
; NumVGPRsForWavesPerEU: 1
; AccumOffset: 4
; Occupancy: 8
; WaveLimiterHint : 0
; COMPUTE_PGM_RSRC2:SCRATCH_EN: 0
; COMPUTE_PGM_RSRC2:USER_SGPR: 2
; COMPUTE_PGM_RSRC2:TRAP_HANDLER: 0
; COMPUTE_PGM_RSRC2:TGID_X_EN: 1
; COMPUTE_PGM_RSRC2:TGID_Y_EN: 0
; COMPUTE_PGM_RSRC2:TGID_Z_EN: 0
; COMPUTE_PGM_RSRC2:TIDIG_COMP_CNT: 0
; COMPUTE_PGM_RSRC3_GFX90A:ACCUM_OFFSET: 0
; COMPUTE_PGM_RSRC3_GFX90A:TG_SPLIT: 0
	.section	.text._ZN7rocprim17ROCPRIM_400000_NS6detail17trampoline_kernelINS0_14default_configENS1_22reduce_config_selectorIiEEZNS1_11reduce_implILb1ES3_N6thrust23THRUST_200600_302600_NS6detail15normal_iteratorINS8_10device_ptrIiEEEEPiiNS8_4plusIiEEEE10hipError_tPvRmT1_T2_T3_mT4_P12ihipStream_tbEUlT_E1_NS1_11comp_targetILNS1_3genE9ELNS1_11target_archE1100ELNS1_3gpuE3ELNS1_3repE0EEENS1_30default_config_static_selectorELNS0_4arch9wavefront6targetE1EEEvSK_,"axG",@progbits,_ZN7rocprim17ROCPRIM_400000_NS6detail17trampoline_kernelINS0_14default_configENS1_22reduce_config_selectorIiEEZNS1_11reduce_implILb1ES3_N6thrust23THRUST_200600_302600_NS6detail15normal_iteratorINS8_10device_ptrIiEEEEPiiNS8_4plusIiEEEE10hipError_tPvRmT1_T2_T3_mT4_P12ihipStream_tbEUlT_E1_NS1_11comp_targetILNS1_3genE9ELNS1_11target_archE1100ELNS1_3gpuE3ELNS1_3repE0EEENS1_30default_config_static_selectorELNS0_4arch9wavefront6targetE1EEEvSK_,comdat
	.protected	_ZN7rocprim17ROCPRIM_400000_NS6detail17trampoline_kernelINS0_14default_configENS1_22reduce_config_selectorIiEEZNS1_11reduce_implILb1ES3_N6thrust23THRUST_200600_302600_NS6detail15normal_iteratorINS8_10device_ptrIiEEEEPiiNS8_4plusIiEEEE10hipError_tPvRmT1_T2_T3_mT4_P12ihipStream_tbEUlT_E1_NS1_11comp_targetILNS1_3genE9ELNS1_11target_archE1100ELNS1_3gpuE3ELNS1_3repE0EEENS1_30default_config_static_selectorELNS0_4arch9wavefront6targetE1EEEvSK_ ; -- Begin function _ZN7rocprim17ROCPRIM_400000_NS6detail17trampoline_kernelINS0_14default_configENS1_22reduce_config_selectorIiEEZNS1_11reduce_implILb1ES3_N6thrust23THRUST_200600_302600_NS6detail15normal_iteratorINS8_10device_ptrIiEEEEPiiNS8_4plusIiEEEE10hipError_tPvRmT1_T2_T3_mT4_P12ihipStream_tbEUlT_E1_NS1_11comp_targetILNS1_3genE9ELNS1_11target_archE1100ELNS1_3gpuE3ELNS1_3repE0EEENS1_30default_config_static_selectorELNS0_4arch9wavefront6targetE1EEEvSK_
	.globl	_ZN7rocprim17ROCPRIM_400000_NS6detail17trampoline_kernelINS0_14default_configENS1_22reduce_config_selectorIiEEZNS1_11reduce_implILb1ES3_N6thrust23THRUST_200600_302600_NS6detail15normal_iteratorINS8_10device_ptrIiEEEEPiiNS8_4plusIiEEEE10hipError_tPvRmT1_T2_T3_mT4_P12ihipStream_tbEUlT_E1_NS1_11comp_targetILNS1_3genE9ELNS1_11target_archE1100ELNS1_3gpuE3ELNS1_3repE0EEENS1_30default_config_static_selectorELNS0_4arch9wavefront6targetE1EEEvSK_
	.p2align	8
	.type	_ZN7rocprim17ROCPRIM_400000_NS6detail17trampoline_kernelINS0_14default_configENS1_22reduce_config_selectorIiEEZNS1_11reduce_implILb1ES3_N6thrust23THRUST_200600_302600_NS6detail15normal_iteratorINS8_10device_ptrIiEEEEPiiNS8_4plusIiEEEE10hipError_tPvRmT1_T2_T3_mT4_P12ihipStream_tbEUlT_E1_NS1_11comp_targetILNS1_3genE9ELNS1_11target_archE1100ELNS1_3gpuE3ELNS1_3repE0EEENS1_30default_config_static_selectorELNS0_4arch9wavefront6targetE1EEEvSK_,@function
_ZN7rocprim17ROCPRIM_400000_NS6detail17trampoline_kernelINS0_14default_configENS1_22reduce_config_selectorIiEEZNS1_11reduce_implILb1ES3_N6thrust23THRUST_200600_302600_NS6detail15normal_iteratorINS8_10device_ptrIiEEEEPiiNS8_4plusIiEEEE10hipError_tPvRmT1_T2_T3_mT4_P12ihipStream_tbEUlT_E1_NS1_11comp_targetILNS1_3genE9ELNS1_11target_archE1100ELNS1_3gpuE3ELNS1_3repE0EEENS1_30default_config_static_selectorELNS0_4arch9wavefront6targetE1EEEvSK_: ; @_ZN7rocprim17ROCPRIM_400000_NS6detail17trampoline_kernelINS0_14default_configENS1_22reduce_config_selectorIiEEZNS1_11reduce_implILb1ES3_N6thrust23THRUST_200600_302600_NS6detail15normal_iteratorINS8_10device_ptrIiEEEEPiiNS8_4plusIiEEEE10hipError_tPvRmT1_T2_T3_mT4_P12ihipStream_tbEUlT_E1_NS1_11comp_targetILNS1_3genE9ELNS1_11target_archE1100ELNS1_3gpuE3ELNS1_3repE0EEENS1_30default_config_static_selectorELNS0_4arch9wavefront6targetE1EEEvSK_
; %bb.0:
	.section	.rodata,"a",@progbits
	.p2align	6, 0x0
	.amdhsa_kernel _ZN7rocprim17ROCPRIM_400000_NS6detail17trampoline_kernelINS0_14default_configENS1_22reduce_config_selectorIiEEZNS1_11reduce_implILb1ES3_N6thrust23THRUST_200600_302600_NS6detail15normal_iteratorINS8_10device_ptrIiEEEEPiiNS8_4plusIiEEEE10hipError_tPvRmT1_T2_T3_mT4_P12ihipStream_tbEUlT_E1_NS1_11comp_targetILNS1_3genE9ELNS1_11target_archE1100ELNS1_3gpuE3ELNS1_3repE0EEENS1_30default_config_static_selectorELNS0_4arch9wavefront6targetE1EEEvSK_
		.amdhsa_group_segment_fixed_size 0
		.amdhsa_private_segment_fixed_size 0
		.amdhsa_kernarg_size 40
		.amdhsa_user_sgpr_count 2
		.amdhsa_user_sgpr_dispatch_ptr 0
		.amdhsa_user_sgpr_queue_ptr 0
		.amdhsa_user_sgpr_kernarg_segment_ptr 1
		.amdhsa_user_sgpr_dispatch_id 0
		.amdhsa_user_sgpr_kernarg_preload_length 0
		.amdhsa_user_sgpr_kernarg_preload_offset 0
		.amdhsa_user_sgpr_private_segment_size 0
		.amdhsa_uses_dynamic_stack 0
		.amdhsa_enable_private_segment 0
		.amdhsa_system_sgpr_workgroup_id_x 1
		.amdhsa_system_sgpr_workgroup_id_y 0
		.amdhsa_system_sgpr_workgroup_id_z 0
		.amdhsa_system_sgpr_workgroup_info 0
		.amdhsa_system_vgpr_workitem_id 0
		.amdhsa_next_free_vgpr 1
		.amdhsa_next_free_sgpr 0
		.amdhsa_accum_offset 4
		.amdhsa_reserve_vcc 0
		.amdhsa_float_round_mode_32 0
		.amdhsa_float_round_mode_16_64 0
		.amdhsa_float_denorm_mode_32 3
		.amdhsa_float_denorm_mode_16_64 3
		.amdhsa_dx10_clamp 1
		.amdhsa_ieee_mode 1
		.amdhsa_fp16_overflow 0
		.amdhsa_tg_split 0
		.amdhsa_exception_fp_ieee_invalid_op 0
		.amdhsa_exception_fp_denorm_src 0
		.amdhsa_exception_fp_ieee_div_zero 0
		.amdhsa_exception_fp_ieee_overflow 0
		.amdhsa_exception_fp_ieee_underflow 0
		.amdhsa_exception_fp_ieee_inexact 0
		.amdhsa_exception_int_div_zero 0
	.end_amdhsa_kernel
	.section	.text._ZN7rocprim17ROCPRIM_400000_NS6detail17trampoline_kernelINS0_14default_configENS1_22reduce_config_selectorIiEEZNS1_11reduce_implILb1ES3_N6thrust23THRUST_200600_302600_NS6detail15normal_iteratorINS8_10device_ptrIiEEEEPiiNS8_4plusIiEEEE10hipError_tPvRmT1_T2_T3_mT4_P12ihipStream_tbEUlT_E1_NS1_11comp_targetILNS1_3genE9ELNS1_11target_archE1100ELNS1_3gpuE3ELNS1_3repE0EEENS1_30default_config_static_selectorELNS0_4arch9wavefront6targetE1EEEvSK_,"axG",@progbits,_ZN7rocprim17ROCPRIM_400000_NS6detail17trampoline_kernelINS0_14default_configENS1_22reduce_config_selectorIiEEZNS1_11reduce_implILb1ES3_N6thrust23THRUST_200600_302600_NS6detail15normal_iteratorINS8_10device_ptrIiEEEEPiiNS8_4plusIiEEEE10hipError_tPvRmT1_T2_T3_mT4_P12ihipStream_tbEUlT_E1_NS1_11comp_targetILNS1_3genE9ELNS1_11target_archE1100ELNS1_3gpuE3ELNS1_3repE0EEENS1_30default_config_static_selectorELNS0_4arch9wavefront6targetE1EEEvSK_,comdat
.Lfunc_end258:
	.size	_ZN7rocprim17ROCPRIM_400000_NS6detail17trampoline_kernelINS0_14default_configENS1_22reduce_config_selectorIiEEZNS1_11reduce_implILb1ES3_N6thrust23THRUST_200600_302600_NS6detail15normal_iteratorINS8_10device_ptrIiEEEEPiiNS8_4plusIiEEEE10hipError_tPvRmT1_T2_T3_mT4_P12ihipStream_tbEUlT_E1_NS1_11comp_targetILNS1_3genE9ELNS1_11target_archE1100ELNS1_3gpuE3ELNS1_3repE0EEENS1_30default_config_static_selectorELNS0_4arch9wavefront6targetE1EEEvSK_, .Lfunc_end258-_ZN7rocprim17ROCPRIM_400000_NS6detail17trampoline_kernelINS0_14default_configENS1_22reduce_config_selectorIiEEZNS1_11reduce_implILb1ES3_N6thrust23THRUST_200600_302600_NS6detail15normal_iteratorINS8_10device_ptrIiEEEEPiiNS8_4plusIiEEEE10hipError_tPvRmT1_T2_T3_mT4_P12ihipStream_tbEUlT_E1_NS1_11comp_targetILNS1_3genE9ELNS1_11target_archE1100ELNS1_3gpuE3ELNS1_3repE0EEENS1_30default_config_static_selectorELNS0_4arch9wavefront6targetE1EEEvSK_
                                        ; -- End function
	.set _ZN7rocprim17ROCPRIM_400000_NS6detail17trampoline_kernelINS0_14default_configENS1_22reduce_config_selectorIiEEZNS1_11reduce_implILb1ES3_N6thrust23THRUST_200600_302600_NS6detail15normal_iteratorINS8_10device_ptrIiEEEEPiiNS8_4plusIiEEEE10hipError_tPvRmT1_T2_T3_mT4_P12ihipStream_tbEUlT_E1_NS1_11comp_targetILNS1_3genE9ELNS1_11target_archE1100ELNS1_3gpuE3ELNS1_3repE0EEENS1_30default_config_static_selectorELNS0_4arch9wavefront6targetE1EEEvSK_.num_vgpr, 0
	.set _ZN7rocprim17ROCPRIM_400000_NS6detail17trampoline_kernelINS0_14default_configENS1_22reduce_config_selectorIiEEZNS1_11reduce_implILb1ES3_N6thrust23THRUST_200600_302600_NS6detail15normal_iteratorINS8_10device_ptrIiEEEEPiiNS8_4plusIiEEEE10hipError_tPvRmT1_T2_T3_mT4_P12ihipStream_tbEUlT_E1_NS1_11comp_targetILNS1_3genE9ELNS1_11target_archE1100ELNS1_3gpuE3ELNS1_3repE0EEENS1_30default_config_static_selectorELNS0_4arch9wavefront6targetE1EEEvSK_.num_agpr, 0
	.set _ZN7rocprim17ROCPRIM_400000_NS6detail17trampoline_kernelINS0_14default_configENS1_22reduce_config_selectorIiEEZNS1_11reduce_implILb1ES3_N6thrust23THRUST_200600_302600_NS6detail15normal_iteratorINS8_10device_ptrIiEEEEPiiNS8_4plusIiEEEE10hipError_tPvRmT1_T2_T3_mT4_P12ihipStream_tbEUlT_E1_NS1_11comp_targetILNS1_3genE9ELNS1_11target_archE1100ELNS1_3gpuE3ELNS1_3repE0EEENS1_30default_config_static_selectorELNS0_4arch9wavefront6targetE1EEEvSK_.numbered_sgpr, 0
	.set _ZN7rocprim17ROCPRIM_400000_NS6detail17trampoline_kernelINS0_14default_configENS1_22reduce_config_selectorIiEEZNS1_11reduce_implILb1ES3_N6thrust23THRUST_200600_302600_NS6detail15normal_iteratorINS8_10device_ptrIiEEEEPiiNS8_4plusIiEEEE10hipError_tPvRmT1_T2_T3_mT4_P12ihipStream_tbEUlT_E1_NS1_11comp_targetILNS1_3genE9ELNS1_11target_archE1100ELNS1_3gpuE3ELNS1_3repE0EEENS1_30default_config_static_selectorELNS0_4arch9wavefront6targetE1EEEvSK_.num_named_barrier, 0
	.set _ZN7rocprim17ROCPRIM_400000_NS6detail17trampoline_kernelINS0_14default_configENS1_22reduce_config_selectorIiEEZNS1_11reduce_implILb1ES3_N6thrust23THRUST_200600_302600_NS6detail15normal_iteratorINS8_10device_ptrIiEEEEPiiNS8_4plusIiEEEE10hipError_tPvRmT1_T2_T3_mT4_P12ihipStream_tbEUlT_E1_NS1_11comp_targetILNS1_3genE9ELNS1_11target_archE1100ELNS1_3gpuE3ELNS1_3repE0EEENS1_30default_config_static_selectorELNS0_4arch9wavefront6targetE1EEEvSK_.private_seg_size, 0
	.set _ZN7rocprim17ROCPRIM_400000_NS6detail17trampoline_kernelINS0_14default_configENS1_22reduce_config_selectorIiEEZNS1_11reduce_implILb1ES3_N6thrust23THRUST_200600_302600_NS6detail15normal_iteratorINS8_10device_ptrIiEEEEPiiNS8_4plusIiEEEE10hipError_tPvRmT1_T2_T3_mT4_P12ihipStream_tbEUlT_E1_NS1_11comp_targetILNS1_3genE9ELNS1_11target_archE1100ELNS1_3gpuE3ELNS1_3repE0EEENS1_30default_config_static_selectorELNS0_4arch9wavefront6targetE1EEEvSK_.uses_vcc, 0
	.set _ZN7rocprim17ROCPRIM_400000_NS6detail17trampoline_kernelINS0_14default_configENS1_22reduce_config_selectorIiEEZNS1_11reduce_implILb1ES3_N6thrust23THRUST_200600_302600_NS6detail15normal_iteratorINS8_10device_ptrIiEEEEPiiNS8_4plusIiEEEE10hipError_tPvRmT1_T2_T3_mT4_P12ihipStream_tbEUlT_E1_NS1_11comp_targetILNS1_3genE9ELNS1_11target_archE1100ELNS1_3gpuE3ELNS1_3repE0EEENS1_30default_config_static_selectorELNS0_4arch9wavefront6targetE1EEEvSK_.uses_flat_scratch, 0
	.set _ZN7rocprim17ROCPRIM_400000_NS6detail17trampoline_kernelINS0_14default_configENS1_22reduce_config_selectorIiEEZNS1_11reduce_implILb1ES3_N6thrust23THRUST_200600_302600_NS6detail15normal_iteratorINS8_10device_ptrIiEEEEPiiNS8_4plusIiEEEE10hipError_tPvRmT1_T2_T3_mT4_P12ihipStream_tbEUlT_E1_NS1_11comp_targetILNS1_3genE9ELNS1_11target_archE1100ELNS1_3gpuE3ELNS1_3repE0EEENS1_30default_config_static_selectorELNS0_4arch9wavefront6targetE1EEEvSK_.has_dyn_sized_stack, 0
	.set _ZN7rocprim17ROCPRIM_400000_NS6detail17trampoline_kernelINS0_14default_configENS1_22reduce_config_selectorIiEEZNS1_11reduce_implILb1ES3_N6thrust23THRUST_200600_302600_NS6detail15normal_iteratorINS8_10device_ptrIiEEEEPiiNS8_4plusIiEEEE10hipError_tPvRmT1_T2_T3_mT4_P12ihipStream_tbEUlT_E1_NS1_11comp_targetILNS1_3genE9ELNS1_11target_archE1100ELNS1_3gpuE3ELNS1_3repE0EEENS1_30default_config_static_selectorELNS0_4arch9wavefront6targetE1EEEvSK_.has_recursion, 0
	.set _ZN7rocprim17ROCPRIM_400000_NS6detail17trampoline_kernelINS0_14default_configENS1_22reduce_config_selectorIiEEZNS1_11reduce_implILb1ES3_N6thrust23THRUST_200600_302600_NS6detail15normal_iteratorINS8_10device_ptrIiEEEEPiiNS8_4plusIiEEEE10hipError_tPvRmT1_T2_T3_mT4_P12ihipStream_tbEUlT_E1_NS1_11comp_targetILNS1_3genE9ELNS1_11target_archE1100ELNS1_3gpuE3ELNS1_3repE0EEENS1_30default_config_static_selectorELNS0_4arch9wavefront6targetE1EEEvSK_.has_indirect_call, 0
	.section	.AMDGPU.csdata,"",@progbits
; Kernel info:
; codeLenInByte = 0
; TotalNumSgprs: 6
; NumVgprs: 0
; NumAgprs: 0
; TotalNumVgprs: 0
; ScratchSize: 0
; MemoryBound: 0
; FloatMode: 240
; IeeeMode: 1
; LDSByteSize: 0 bytes/workgroup (compile time only)
; SGPRBlocks: 0
; VGPRBlocks: 0
; NumSGPRsForWavesPerEU: 6
; NumVGPRsForWavesPerEU: 1
; AccumOffset: 4
; Occupancy: 8
; WaveLimiterHint : 0
; COMPUTE_PGM_RSRC2:SCRATCH_EN: 0
; COMPUTE_PGM_RSRC2:USER_SGPR: 2
; COMPUTE_PGM_RSRC2:TRAP_HANDLER: 0
; COMPUTE_PGM_RSRC2:TGID_X_EN: 1
; COMPUTE_PGM_RSRC2:TGID_Y_EN: 0
; COMPUTE_PGM_RSRC2:TGID_Z_EN: 0
; COMPUTE_PGM_RSRC2:TIDIG_COMP_CNT: 0
; COMPUTE_PGM_RSRC3_GFX90A:ACCUM_OFFSET: 0
; COMPUTE_PGM_RSRC3_GFX90A:TG_SPLIT: 0
	.section	.text._ZN7rocprim17ROCPRIM_400000_NS6detail17trampoline_kernelINS0_14default_configENS1_22reduce_config_selectorIiEEZNS1_11reduce_implILb1ES3_N6thrust23THRUST_200600_302600_NS6detail15normal_iteratorINS8_10device_ptrIiEEEEPiiNS8_4plusIiEEEE10hipError_tPvRmT1_T2_T3_mT4_P12ihipStream_tbEUlT_E1_NS1_11comp_targetILNS1_3genE8ELNS1_11target_archE1030ELNS1_3gpuE2ELNS1_3repE0EEENS1_30default_config_static_selectorELNS0_4arch9wavefront6targetE1EEEvSK_,"axG",@progbits,_ZN7rocprim17ROCPRIM_400000_NS6detail17trampoline_kernelINS0_14default_configENS1_22reduce_config_selectorIiEEZNS1_11reduce_implILb1ES3_N6thrust23THRUST_200600_302600_NS6detail15normal_iteratorINS8_10device_ptrIiEEEEPiiNS8_4plusIiEEEE10hipError_tPvRmT1_T2_T3_mT4_P12ihipStream_tbEUlT_E1_NS1_11comp_targetILNS1_3genE8ELNS1_11target_archE1030ELNS1_3gpuE2ELNS1_3repE0EEENS1_30default_config_static_selectorELNS0_4arch9wavefront6targetE1EEEvSK_,comdat
	.protected	_ZN7rocprim17ROCPRIM_400000_NS6detail17trampoline_kernelINS0_14default_configENS1_22reduce_config_selectorIiEEZNS1_11reduce_implILb1ES3_N6thrust23THRUST_200600_302600_NS6detail15normal_iteratorINS8_10device_ptrIiEEEEPiiNS8_4plusIiEEEE10hipError_tPvRmT1_T2_T3_mT4_P12ihipStream_tbEUlT_E1_NS1_11comp_targetILNS1_3genE8ELNS1_11target_archE1030ELNS1_3gpuE2ELNS1_3repE0EEENS1_30default_config_static_selectorELNS0_4arch9wavefront6targetE1EEEvSK_ ; -- Begin function _ZN7rocprim17ROCPRIM_400000_NS6detail17trampoline_kernelINS0_14default_configENS1_22reduce_config_selectorIiEEZNS1_11reduce_implILb1ES3_N6thrust23THRUST_200600_302600_NS6detail15normal_iteratorINS8_10device_ptrIiEEEEPiiNS8_4plusIiEEEE10hipError_tPvRmT1_T2_T3_mT4_P12ihipStream_tbEUlT_E1_NS1_11comp_targetILNS1_3genE8ELNS1_11target_archE1030ELNS1_3gpuE2ELNS1_3repE0EEENS1_30default_config_static_selectorELNS0_4arch9wavefront6targetE1EEEvSK_
	.globl	_ZN7rocprim17ROCPRIM_400000_NS6detail17trampoline_kernelINS0_14default_configENS1_22reduce_config_selectorIiEEZNS1_11reduce_implILb1ES3_N6thrust23THRUST_200600_302600_NS6detail15normal_iteratorINS8_10device_ptrIiEEEEPiiNS8_4plusIiEEEE10hipError_tPvRmT1_T2_T3_mT4_P12ihipStream_tbEUlT_E1_NS1_11comp_targetILNS1_3genE8ELNS1_11target_archE1030ELNS1_3gpuE2ELNS1_3repE0EEENS1_30default_config_static_selectorELNS0_4arch9wavefront6targetE1EEEvSK_
	.p2align	8
	.type	_ZN7rocprim17ROCPRIM_400000_NS6detail17trampoline_kernelINS0_14default_configENS1_22reduce_config_selectorIiEEZNS1_11reduce_implILb1ES3_N6thrust23THRUST_200600_302600_NS6detail15normal_iteratorINS8_10device_ptrIiEEEEPiiNS8_4plusIiEEEE10hipError_tPvRmT1_T2_T3_mT4_P12ihipStream_tbEUlT_E1_NS1_11comp_targetILNS1_3genE8ELNS1_11target_archE1030ELNS1_3gpuE2ELNS1_3repE0EEENS1_30default_config_static_selectorELNS0_4arch9wavefront6targetE1EEEvSK_,@function
_ZN7rocprim17ROCPRIM_400000_NS6detail17trampoline_kernelINS0_14default_configENS1_22reduce_config_selectorIiEEZNS1_11reduce_implILb1ES3_N6thrust23THRUST_200600_302600_NS6detail15normal_iteratorINS8_10device_ptrIiEEEEPiiNS8_4plusIiEEEE10hipError_tPvRmT1_T2_T3_mT4_P12ihipStream_tbEUlT_E1_NS1_11comp_targetILNS1_3genE8ELNS1_11target_archE1030ELNS1_3gpuE2ELNS1_3repE0EEENS1_30default_config_static_selectorELNS0_4arch9wavefront6targetE1EEEvSK_: ; @_ZN7rocprim17ROCPRIM_400000_NS6detail17trampoline_kernelINS0_14default_configENS1_22reduce_config_selectorIiEEZNS1_11reduce_implILb1ES3_N6thrust23THRUST_200600_302600_NS6detail15normal_iteratorINS8_10device_ptrIiEEEEPiiNS8_4plusIiEEEE10hipError_tPvRmT1_T2_T3_mT4_P12ihipStream_tbEUlT_E1_NS1_11comp_targetILNS1_3genE8ELNS1_11target_archE1030ELNS1_3gpuE2ELNS1_3repE0EEENS1_30default_config_static_selectorELNS0_4arch9wavefront6targetE1EEEvSK_
; %bb.0:
	.section	.rodata,"a",@progbits
	.p2align	6, 0x0
	.amdhsa_kernel _ZN7rocprim17ROCPRIM_400000_NS6detail17trampoline_kernelINS0_14default_configENS1_22reduce_config_selectorIiEEZNS1_11reduce_implILb1ES3_N6thrust23THRUST_200600_302600_NS6detail15normal_iteratorINS8_10device_ptrIiEEEEPiiNS8_4plusIiEEEE10hipError_tPvRmT1_T2_T3_mT4_P12ihipStream_tbEUlT_E1_NS1_11comp_targetILNS1_3genE8ELNS1_11target_archE1030ELNS1_3gpuE2ELNS1_3repE0EEENS1_30default_config_static_selectorELNS0_4arch9wavefront6targetE1EEEvSK_
		.amdhsa_group_segment_fixed_size 0
		.amdhsa_private_segment_fixed_size 0
		.amdhsa_kernarg_size 40
		.amdhsa_user_sgpr_count 2
		.amdhsa_user_sgpr_dispatch_ptr 0
		.amdhsa_user_sgpr_queue_ptr 0
		.amdhsa_user_sgpr_kernarg_segment_ptr 1
		.amdhsa_user_sgpr_dispatch_id 0
		.amdhsa_user_sgpr_kernarg_preload_length 0
		.amdhsa_user_sgpr_kernarg_preload_offset 0
		.amdhsa_user_sgpr_private_segment_size 0
		.amdhsa_uses_dynamic_stack 0
		.amdhsa_enable_private_segment 0
		.amdhsa_system_sgpr_workgroup_id_x 1
		.amdhsa_system_sgpr_workgroup_id_y 0
		.amdhsa_system_sgpr_workgroup_id_z 0
		.amdhsa_system_sgpr_workgroup_info 0
		.amdhsa_system_vgpr_workitem_id 0
		.amdhsa_next_free_vgpr 1
		.amdhsa_next_free_sgpr 0
		.amdhsa_accum_offset 4
		.amdhsa_reserve_vcc 0
		.amdhsa_float_round_mode_32 0
		.amdhsa_float_round_mode_16_64 0
		.amdhsa_float_denorm_mode_32 3
		.amdhsa_float_denorm_mode_16_64 3
		.amdhsa_dx10_clamp 1
		.amdhsa_ieee_mode 1
		.amdhsa_fp16_overflow 0
		.amdhsa_tg_split 0
		.amdhsa_exception_fp_ieee_invalid_op 0
		.amdhsa_exception_fp_denorm_src 0
		.amdhsa_exception_fp_ieee_div_zero 0
		.amdhsa_exception_fp_ieee_overflow 0
		.amdhsa_exception_fp_ieee_underflow 0
		.amdhsa_exception_fp_ieee_inexact 0
		.amdhsa_exception_int_div_zero 0
	.end_amdhsa_kernel
	.section	.text._ZN7rocprim17ROCPRIM_400000_NS6detail17trampoline_kernelINS0_14default_configENS1_22reduce_config_selectorIiEEZNS1_11reduce_implILb1ES3_N6thrust23THRUST_200600_302600_NS6detail15normal_iteratorINS8_10device_ptrIiEEEEPiiNS8_4plusIiEEEE10hipError_tPvRmT1_T2_T3_mT4_P12ihipStream_tbEUlT_E1_NS1_11comp_targetILNS1_3genE8ELNS1_11target_archE1030ELNS1_3gpuE2ELNS1_3repE0EEENS1_30default_config_static_selectorELNS0_4arch9wavefront6targetE1EEEvSK_,"axG",@progbits,_ZN7rocprim17ROCPRIM_400000_NS6detail17trampoline_kernelINS0_14default_configENS1_22reduce_config_selectorIiEEZNS1_11reduce_implILb1ES3_N6thrust23THRUST_200600_302600_NS6detail15normal_iteratorINS8_10device_ptrIiEEEEPiiNS8_4plusIiEEEE10hipError_tPvRmT1_T2_T3_mT4_P12ihipStream_tbEUlT_E1_NS1_11comp_targetILNS1_3genE8ELNS1_11target_archE1030ELNS1_3gpuE2ELNS1_3repE0EEENS1_30default_config_static_selectorELNS0_4arch9wavefront6targetE1EEEvSK_,comdat
.Lfunc_end259:
	.size	_ZN7rocprim17ROCPRIM_400000_NS6detail17trampoline_kernelINS0_14default_configENS1_22reduce_config_selectorIiEEZNS1_11reduce_implILb1ES3_N6thrust23THRUST_200600_302600_NS6detail15normal_iteratorINS8_10device_ptrIiEEEEPiiNS8_4plusIiEEEE10hipError_tPvRmT1_T2_T3_mT4_P12ihipStream_tbEUlT_E1_NS1_11comp_targetILNS1_3genE8ELNS1_11target_archE1030ELNS1_3gpuE2ELNS1_3repE0EEENS1_30default_config_static_selectorELNS0_4arch9wavefront6targetE1EEEvSK_, .Lfunc_end259-_ZN7rocprim17ROCPRIM_400000_NS6detail17trampoline_kernelINS0_14default_configENS1_22reduce_config_selectorIiEEZNS1_11reduce_implILb1ES3_N6thrust23THRUST_200600_302600_NS6detail15normal_iteratorINS8_10device_ptrIiEEEEPiiNS8_4plusIiEEEE10hipError_tPvRmT1_T2_T3_mT4_P12ihipStream_tbEUlT_E1_NS1_11comp_targetILNS1_3genE8ELNS1_11target_archE1030ELNS1_3gpuE2ELNS1_3repE0EEENS1_30default_config_static_selectorELNS0_4arch9wavefront6targetE1EEEvSK_
                                        ; -- End function
	.set _ZN7rocprim17ROCPRIM_400000_NS6detail17trampoline_kernelINS0_14default_configENS1_22reduce_config_selectorIiEEZNS1_11reduce_implILb1ES3_N6thrust23THRUST_200600_302600_NS6detail15normal_iteratorINS8_10device_ptrIiEEEEPiiNS8_4plusIiEEEE10hipError_tPvRmT1_T2_T3_mT4_P12ihipStream_tbEUlT_E1_NS1_11comp_targetILNS1_3genE8ELNS1_11target_archE1030ELNS1_3gpuE2ELNS1_3repE0EEENS1_30default_config_static_selectorELNS0_4arch9wavefront6targetE1EEEvSK_.num_vgpr, 0
	.set _ZN7rocprim17ROCPRIM_400000_NS6detail17trampoline_kernelINS0_14default_configENS1_22reduce_config_selectorIiEEZNS1_11reduce_implILb1ES3_N6thrust23THRUST_200600_302600_NS6detail15normal_iteratorINS8_10device_ptrIiEEEEPiiNS8_4plusIiEEEE10hipError_tPvRmT1_T2_T3_mT4_P12ihipStream_tbEUlT_E1_NS1_11comp_targetILNS1_3genE8ELNS1_11target_archE1030ELNS1_3gpuE2ELNS1_3repE0EEENS1_30default_config_static_selectorELNS0_4arch9wavefront6targetE1EEEvSK_.num_agpr, 0
	.set _ZN7rocprim17ROCPRIM_400000_NS6detail17trampoline_kernelINS0_14default_configENS1_22reduce_config_selectorIiEEZNS1_11reduce_implILb1ES3_N6thrust23THRUST_200600_302600_NS6detail15normal_iteratorINS8_10device_ptrIiEEEEPiiNS8_4plusIiEEEE10hipError_tPvRmT1_T2_T3_mT4_P12ihipStream_tbEUlT_E1_NS1_11comp_targetILNS1_3genE8ELNS1_11target_archE1030ELNS1_3gpuE2ELNS1_3repE0EEENS1_30default_config_static_selectorELNS0_4arch9wavefront6targetE1EEEvSK_.numbered_sgpr, 0
	.set _ZN7rocprim17ROCPRIM_400000_NS6detail17trampoline_kernelINS0_14default_configENS1_22reduce_config_selectorIiEEZNS1_11reduce_implILb1ES3_N6thrust23THRUST_200600_302600_NS6detail15normal_iteratorINS8_10device_ptrIiEEEEPiiNS8_4plusIiEEEE10hipError_tPvRmT1_T2_T3_mT4_P12ihipStream_tbEUlT_E1_NS1_11comp_targetILNS1_3genE8ELNS1_11target_archE1030ELNS1_3gpuE2ELNS1_3repE0EEENS1_30default_config_static_selectorELNS0_4arch9wavefront6targetE1EEEvSK_.num_named_barrier, 0
	.set _ZN7rocprim17ROCPRIM_400000_NS6detail17trampoline_kernelINS0_14default_configENS1_22reduce_config_selectorIiEEZNS1_11reduce_implILb1ES3_N6thrust23THRUST_200600_302600_NS6detail15normal_iteratorINS8_10device_ptrIiEEEEPiiNS8_4plusIiEEEE10hipError_tPvRmT1_T2_T3_mT4_P12ihipStream_tbEUlT_E1_NS1_11comp_targetILNS1_3genE8ELNS1_11target_archE1030ELNS1_3gpuE2ELNS1_3repE0EEENS1_30default_config_static_selectorELNS0_4arch9wavefront6targetE1EEEvSK_.private_seg_size, 0
	.set _ZN7rocprim17ROCPRIM_400000_NS6detail17trampoline_kernelINS0_14default_configENS1_22reduce_config_selectorIiEEZNS1_11reduce_implILb1ES3_N6thrust23THRUST_200600_302600_NS6detail15normal_iteratorINS8_10device_ptrIiEEEEPiiNS8_4plusIiEEEE10hipError_tPvRmT1_T2_T3_mT4_P12ihipStream_tbEUlT_E1_NS1_11comp_targetILNS1_3genE8ELNS1_11target_archE1030ELNS1_3gpuE2ELNS1_3repE0EEENS1_30default_config_static_selectorELNS0_4arch9wavefront6targetE1EEEvSK_.uses_vcc, 0
	.set _ZN7rocprim17ROCPRIM_400000_NS6detail17trampoline_kernelINS0_14default_configENS1_22reduce_config_selectorIiEEZNS1_11reduce_implILb1ES3_N6thrust23THRUST_200600_302600_NS6detail15normal_iteratorINS8_10device_ptrIiEEEEPiiNS8_4plusIiEEEE10hipError_tPvRmT1_T2_T3_mT4_P12ihipStream_tbEUlT_E1_NS1_11comp_targetILNS1_3genE8ELNS1_11target_archE1030ELNS1_3gpuE2ELNS1_3repE0EEENS1_30default_config_static_selectorELNS0_4arch9wavefront6targetE1EEEvSK_.uses_flat_scratch, 0
	.set _ZN7rocprim17ROCPRIM_400000_NS6detail17trampoline_kernelINS0_14default_configENS1_22reduce_config_selectorIiEEZNS1_11reduce_implILb1ES3_N6thrust23THRUST_200600_302600_NS6detail15normal_iteratorINS8_10device_ptrIiEEEEPiiNS8_4plusIiEEEE10hipError_tPvRmT1_T2_T3_mT4_P12ihipStream_tbEUlT_E1_NS1_11comp_targetILNS1_3genE8ELNS1_11target_archE1030ELNS1_3gpuE2ELNS1_3repE0EEENS1_30default_config_static_selectorELNS0_4arch9wavefront6targetE1EEEvSK_.has_dyn_sized_stack, 0
	.set _ZN7rocprim17ROCPRIM_400000_NS6detail17trampoline_kernelINS0_14default_configENS1_22reduce_config_selectorIiEEZNS1_11reduce_implILb1ES3_N6thrust23THRUST_200600_302600_NS6detail15normal_iteratorINS8_10device_ptrIiEEEEPiiNS8_4plusIiEEEE10hipError_tPvRmT1_T2_T3_mT4_P12ihipStream_tbEUlT_E1_NS1_11comp_targetILNS1_3genE8ELNS1_11target_archE1030ELNS1_3gpuE2ELNS1_3repE0EEENS1_30default_config_static_selectorELNS0_4arch9wavefront6targetE1EEEvSK_.has_recursion, 0
	.set _ZN7rocprim17ROCPRIM_400000_NS6detail17trampoline_kernelINS0_14default_configENS1_22reduce_config_selectorIiEEZNS1_11reduce_implILb1ES3_N6thrust23THRUST_200600_302600_NS6detail15normal_iteratorINS8_10device_ptrIiEEEEPiiNS8_4plusIiEEEE10hipError_tPvRmT1_T2_T3_mT4_P12ihipStream_tbEUlT_E1_NS1_11comp_targetILNS1_3genE8ELNS1_11target_archE1030ELNS1_3gpuE2ELNS1_3repE0EEENS1_30default_config_static_selectorELNS0_4arch9wavefront6targetE1EEEvSK_.has_indirect_call, 0
	.section	.AMDGPU.csdata,"",@progbits
; Kernel info:
; codeLenInByte = 0
; TotalNumSgprs: 6
; NumVgprs: 0
; NumAgprs: 0
; TotalNumVgprs: 0
; ScratchSize: 0
; MemoryBound: 0
; FloatMode: 240
; IeeeMode: 1
; LDSByteSize: 0 bytes/workgroup (compile time only)
; SGPRBlocks: 0
; VGPRBlocks: 0
; NumSGPRsForWavesPerEU: 6
; NumVGPRsForWavesPerEU: 1
; AccumOffset: 4
; Occupancy: 8
; WaveLimiterHint : 0
; COMPUTE_PGM_RSRC2:SCRATCH_EN: 0
; COMPUTE_PGM_RSRC2:USER_SGPR: 2
; COMPUTE_PGM_RSRC2:TRAP_HANDLER: 0
; COMPUTE_PGM_RSRC2:TGID_X_EN: 1
; COMPUTE_PGM_RSRC2:TGID_Y_EN: 0
; COMPUTE_PGM_RSRC2:TGID_Z_EN: 0
; COMPUTE_PGM_RSRC2:TIDIG_COMP_CNT: 0
; COMPUTE_PGM_RSRC3_GFX90A:ACCUM_OFFSET: 0
; COMPUTE_PGM_RSRC3_GFX90A:TG_SPLIT: 0
	.section	.text._ZN6thrust23THRUST_200600_302600_NS11hip_rocprim14__parallel_for6kernelILj256ENS1_20__uninitialized_fill7functorINS0_10device_ptrIsEEsEEmLj1EEEvT0_T1_SA_,"axG",@progbits,_ZN6thrust23THRUST_200600_302600_NS11hip_rocprim14__parallel_for6kernelILj256ENS1_20__uninitialized_fill7functorINS0_10device_ptrIsEEsEEmLj1EEEvT0_T1_SA_,comdat
	.protected	_ZN6thrust23THRUST_200600_302600_NS11hip_rocprim14__parallel_for6kernelILj256ENS1_20__uninitialized_fill7functorINS0_10device_ptrIsEEsEEmLj1EEEvT0_T1_SA_ ; -- Begin function _ZN6thrust23THRUST_200600_302600_NS11hip_rocprim14__parallel_for6kernelILj256ENS1_20__uninitialized_fill7functorINS0_10device_ptrIsEEsEEmLj1EEEvT0_T1_SA_
	.globl	_ZN6thrust23THRUST_200600_302600_NS11hip_rocprim14__parallel_for6kernelILj256ENS1_20__uninitialized_fill7functorINS0_10device_ptrIsEEsEEmLj1EEEvT0_T1_SA_
	.p2align	8
	.type	_ZN6thrust23THRUST_200600_302600_NS11hip_rocprim14__parallel_for6kernelILj256ENS1_20__uninitialized_fill7functorINS0_10device_ptrIsEEsEEmLj1EEEvT0_T1_SA_,@function
_ZN6thrust23THRUST_200600_302600_NS11hip_rocprim14__parallel_for6kernelILj256ENS1_20__uninitialized_fill7functorINS0_10device_ptrIsEEsEEmLj1EEEvT0_T1_SA_: ; @_ZN6thrust23THRUST_200600_302600_NS11hip_rocprim14__parallel_for6kernelILj256ENS1_20__uninitialized_fill7functorINS0_10device_ptrIsEEsEEmLj1EEEvT0_T1_SA_
; %bb.0:
	s_load_dwordx4 s[12:15], s[0:1], 0x10
	s_load_dwordx2 s[4:5], s[0:1], 0x0
	s_load_dword s8, s[0:1], 0x8
	s_lshl_b32 s0, s2, 8
	v_mov_b64_e32 v[2:3], 0xff
	s_waitcnt lgkmcnt(0)
	s_add_u32 s0, s14, s0
	s_addc_u32 s1, s15, 0
	s_sub_u32 s2, s12, s0
	s_subb_u32 s3, s13, s1
	v_cmp_gt_u64_e32 vcc, s[2:3], v[2:3]
	s_mov_b64 s[6:7], -1
	s_cbranch_vccz .LBB260_3
; %bb.1:
	s_andn2_b64 vcc, exec, s[6:7]
	s_cbranch_vccz .LBB260_6
.LBB260_2:
	s_endpgm
.LBB260_3:
	v_cmp_gt_u32_e32 vcc, s2, v0
	s_and_saveexec_b64 s[2:3], vcc
	s_cbranch_execz .LBB260_5
; %bb.4:
	s_lshl_b64 s[6:7], s[0:1], 1
	s_add_u32 s6, s4, s6
	s_addc_u32 s7, s5, s7
	v_lshlrev_b32_e32 v2, 1, v0
	v_mov_b32_e32 v3, 0
	v_lshl_add_u64 v[2:3], s[6:7], 0, v[2:3]
	v_mov_b32_e32 v1, s8
	flat_store_short v[2:3], v1
.LBB260_5:
	s_or_b64 exec, exec, s[2:3]
	s_cbranch_execnz .LBB260_2
.LBB260_6:
	s_lshl_b64 s[0:1], s[0:1], 1
	s_add_u32 s0, s4, s0
	s_addc_u32 s1, s5, s1
	v_lshlrev_b32_e32 v0, 1, v0
	v_mov_b32_e32 v1, 0
	v_lshl_add_u64 v[0:1], s[0:1], 0, v[0:1]
	v_mov_b32_e32 v2, s8
	flat_store_short v[0:1], v2
	s_endpgm
	.section	.rodata,"a",@progbits
	.p2align	6, 0x0
	.amdhsa_kernel _ZN6thrust23THRUST_200600_302600_NS11hip_rocprim14__parallel_for6kernelILj256ENS1_20__uninitialized_fill7functorINS0_10device_ptrIsEEsEEmLj1EEEvT0_T1_SA_
		.amdhsa_group_segment_fixed_size 0
		.amdhsa_private_segment_fixed_size 0
		.amdhsa_kernarg_size 32
		.amdhsa_user_sgpr_count 2
		.amdhsa_user_sgpr_dispatch_ptr 0
		.amdhsa_user_sgpr_queue_ptr 0
		.amdhsa_user_sgpr_kernarg_segment_ptr 1
		.amdhsa_user_sgpr_dispatch_id 0
		.amdhsa_user_sgpr_kernarg_preload_length 0
		.amdhsa_user_sgpr_kernarg_preload_offset 0
		.amdhsa_user_sgpr_private_segment_size 0
		.amdhsa_uses_dynamic_stack 0
		.amdhsa_enable_private_segment 0
		.amdhsa_system_sgpr_workgroup_id_x 1
		.amdhsa_system_sgpr_workgroup_id_y 0
		.amdhsa_system_sgpr_workgroup_id_z 0
		.amdhsa_system_sgpr_workgroup_info 0
		.amdhsa_system_vgpr_workitem_id 0
		.amdhsa_next_free_vgpr 4
		.amdhsa_next_free_sgpr 16
		.amdhsa_accum_offset 4
		.amdhsa_reserve_vcc 1
		.amdhsa_float_round_mode_32 0
		.amdhsa_float_round_mode_16_64 0
		.amdhsa_float_denorm_mode_32 3
		.amdhsa_float_denorm_mode_16_64 3
		.amdhsa_dx10_clamp 1
		.amdhsa_ieee_mode 1
		.amdhsa_fp16_overflow 0
		.amdhsa_tg_split 0
		.amdhsa_exception_fp_ieee_invalid_op 0
		.amdhsa_exception_fp_denorm_src 0
		.amdhsa_exception_fp_ieee_div_zero 0
		.amdhsa_exception_fp_ieee_overflow 0
		.amdhsa_exception_fp_ieee_underflow 0
		.amdhsa_exception_fp_ieee_inexact 0
		.amdhsa_exception_int_div_zero 0
	.end_amdhsa_kernel
	.section	.text._ZN6thrust23THRUST_200600_302600_NS11hip_rocprim14__parallel_for6kernelILj256ENS1_20__uninitialized_fill7functorINS0_10device_ptrIsEEsEEmLj1EEEvT0_T1_SA_,"axG",@progbits,_ZN6thrust23THRUST_200600_302600_NS11hip_rocprim14__parallel_for6kernelILj256ENS1_20__uninitialized_fill7functorINS0_10device_ptrIsEEsEEmLj1EEEvT0_T1_SA_,comdat
.Lfunc_end260:
	.size	_ZN6thrust23THRUST_200600_302600_NS11hip_rocprim14__parallel_for6kernelILj256ENS1_20__uninitialized_fill7functorINS0_10device_ptrIsEEsEEmLj1EEEvT0_T1_SA_, .Lfunc_end260-_ZN6thrust23THRUST_200600_302600_NS11hip_rocprim14__parallel_for6kernelILj256ENS1_20__uninitialized_fill7functorINS0_10device_ptrIsEEsEEmLj1EEEvT0_T1_SA_
                                        ; -- End function
	.set _ZN6thrust23THRUST_200600_302600_NS11hip_rocprim14__parallel_for6kernelILj256ENS1_20__uninitialized_fill7functorINS0_10device_ptrIsEEsEEmLj1EEEvT0_T1_SA_.num_vgpr, 4
	.set _ZN6thrust23THRUST_200600_302600_NS11hip_rocprim14__parallel_for6kernelILj256ENS1_20__uninitialized_fill7functorINS0_10device_ptrIsEEsEEmLj1EEEvT0_T1_SA_.num_agpr, 0
	.set _ZN6thrust23THRUST_200600_302600_NS11hip_rocprim14__parallel_for6kernelILj256ENS1_20__uninitialized_fill7functorINS0_10device_ptrIsEEsEEmLj1EEEvT0_T1_SA_.numbered_sgpr, 16
	.set _ZN6thrust23THRUST_200600_302600_NS11hip_rocprim14__parallel_for6kernelILj256ENS1_20__uninitialized_fill7functorINS0_10device_ptrIsEEsEEmLj1EEEvT0_T1_SA_.num_named_barrier, 0
	.set _ZN6thrust23THRUST_200600_302600_NS11hip_rocprim14__parallel_for6kernelILj256ENS1_20__uninitialized_fill7functorINS0_10device_ptrIsEEsEEmLj1EEEvT0_T1_SA_.private_seg_size, 0
	.set _ZN6thrust23THRUST_200600_302600_NS11hip_rocprim14__parallel_for6kernelILj256ENS1_20__uninitialized_fill7functorINS0_10device_ptrIsEEsEEmLj1EEEvT0_T1_SA_.uses_vcc, 1
	.set _ZN6thrust23THRUST_200600_302600_NS11hip_rocprim14__parallel_for6kernelILj256ENS1_20__uninitialized_fill7functorINS0_10device_ptrIsEEsEEmLj1EEEvT0_T1_SA_.uses_flat_scratch, 0
	.set _ZN6thrust23THRUST_200600_302600_NS11hip_rocprim14__parallel_for6kernelILj256ENS1_20__uninitialized_fill7functorINS0_10device_ptrIsEEsEEmLj1EEEvT0_T1_SA_.has_dyn_sized_stack, 0
	.set _ZN6thrust23THRUST_200600_302600_NS11hip_rocprim14__parallel_for6kernelILj256ENS1_20__uninitialized_fill7functorINS0_10device_ptrIsEEsEEmLj1EEEvT0_T1_SA_.has_recursion, 0
	.set _ZN6thrust23THRUST_200600_302600_NS11hip_rocprim14__parallel_for6kernelILj256ENS1_20__uninitialized_fill7functorINS0_10device_ptrIsEEsEEmLj1EEEvT0_T1_SA_.has_indirect_call, 0
	.section	.AMDGPU.csdata,"",@progbits
; Kernel info:
; codeLenInByte = 184
; TotalNumSgprs: 22
; NumVgprs: 4
; NumAgprs: 0
; TotalNumVgprs: 4
; ScratchSize: 0
; MemoryBound: 0
; FloatMode: 240
; IeeeMode: 1
; LDSByteSize: 0 bytes/workgroup (compile time only)
; SGPRBlocks: 2
; VGPRBlocks: 0
; NumSGPRsForWavesPerEU: 22
; NumVGPRsForWavesPerEU: 4
; AccumOffset: 4
; Occupancy: 8
; WaveLimiterHint : 0
; COMPUTE_PGM_RSRC2:SCRATCH_EN: 0
; COMPUTE_PGM_RSRC2:USER_SGPR: 2
; COMPUTE_PGM_RSRC2:TRAP_HANDLER: 0
; COMPUTE_PGM_RSRC2:TGID_X_EN: 1
; COMPUTE_PGM_RSRC2:TGID_Y_EN: 0
; COMPUTE_PGM_RSRC2:TGID_Z_EN: 0
; COMPUTE_PGM_RSRC2:TIDIG_COMP_CNT: 0
; COMPUTE_PGM_RSRC3_GFX90A:ACCUM_OFFSET: 0
; COMPUTE_PGM_RSRC3_GFX90A:TG_SPLIT: 0
	.section	.text._ZN7rocprim17ROCPRIM_400000_NS6detail17trampoline_kernelINS0_14default_configENS1_22reduce_config_selectorIsEEZNS1_11reduce_implILb1ES3_PsS7_sN6thrust23THRUST_200600_302600_NS4plusIsEEEE10hipError_tPvRmT1_T2_T3_mT4_P12ihipStream_tbEUlT_E0_NS1_11comp_targetILNS1_3genE0ELNS1_11target_archE4294967295ELNS1_3gpuE0ELNS1_3repE0EEENS1_30default_config_static_selectorELNS0_4arch9wavefront6targetE1EEEvSF_,"axG",@progbits,_ZN7rocprim17ROCPRIM_400000_NS6detail17trampoline_kernelINS0_14default_configENS1_22reduce_config_selectorIsEEZNS1_11reduce_implILb1ES3_PsS7_sN6thrust23THRUST_200600_302600_NS4plusIsEEEE10hipError_tPvRmT1_T2_T3_mT4_P12ihipStream_tbEUlT_E0_NS1_11comp_targetILNS1_3genE0ELNS1_11target_archE4294967295ELNS1_3gpuE0ELNS1_3repE0EEENS1_30default_config_static_selectorELNS0_4arch9wavefront6targetE1EEEvSF_,comdat
	.protected	_ZN7rocprim17ROCPRIM_400000_NS6detail17trampoline_kernelINS0_14default_configENS1_22reduce_config_selectorIsEEZNS1_11reduce_implILb1ES3_PsS7_sN6thrust23THRUST_200600_302600_NS4plusIsEEEE10hipError_tPvRmT1_T2_T3_mT4_P12ihipStream_tbEUlT_E0_NS1_11comp_targetILNS1_3genE0ELNS1_11target_archE4294967295ELNS1_3gpuE0ELNS1_3repE0EEENS1_30default_config_static_selectorELNS0_4arch9wavefront6targetE1EEEvSF_ ; -- Begin function _ZN7rocprim17ROCPRIM_400000_NS6detail17trampoline_kernelINS0_14default_configENS1_22reduce_config_selectorIsEEZNS1_11reduce_implILb1ES3_PsS7_sN6thrust23THRUST_200600_302600_NS4plusIsEEEE10hipError_tPvRmT1_T2_T3_mT4_P12ihipStream_tbEUlT_E0_NS1_11comp_targetILNS1_3genE0ELNS1_11target_archE4294967295ELNS1_3gpuE0ELNS1_3repE0EEENS1_30default_config_static_selectorELNS0_4arch9wavefront6targetE1EEEvSF_
	.globl	_ZN7rocprim17ROCPRIM_400000_NS6detail17trampoline_kernelINS0_14default_configENS1_22reduce_config_selectorIsEEZNS1_11reduce_implILb1ES3_PsS7_sN6thrust23THRUST_200600_302600_NS4plusIsEEEE10hipError_tPvRmT1_T2_T3_mT4_P12ihipStream_tbEUlT_E0_NS1_11comp_targetILNS1_3genE0ELNS1_11target_archE4294967295ELNS1_3gpuE0ELNS1_3repE0EEENS1_30default_config_static_selectorELNS0_4arch9wavefront6targetE1EEEvSF_
	.p2align	8
	.type	_ZN7rocprim17ROCPRIM_400000_NS6detail17trampoline_kernelINS0_14default_configENS1_22reduce_config_selectorIsEEZNS1_11reduce_implILb1ES3_PsS7_sN6thrust23THRUST_200600_302600_NS4plusIsEEEE10hipError_tPvRmT1_T2_T3_mT4_P12ihipStream_tbEUlT_E0_NS1_11comp_targetILNS1_3genE0ELNS1_11target_archE4294967295ELNS1_3gpuE0ELNS1_3repE0EEENS1_30default_config_static_selectorELNS0_4arch9wavefront6targetE1EEEvSF_,@function
_ZN7rocprim17ROCPRIM_400000_NS6detail17trampoline_kernelINS0_14default_configENS1_22reduce_config_selectorIsEEZNS1_11reduce_implILb1ES3_PsS7_sN6thrust23THRUST_200600_302600_NS4plusIsEEEE10hipError_tPvRmT1_T2_T3_mT4_P12ihipStream_tbEUlT_E0_NS1_11comp_targetILNS1_3genE0ELNS1_11target_archE4294967295ELNS1_3gpuE0ELNS1_3repE0EEENS1_30default_config_static_selectorELNS0_4arch9wavefront6targetE1EEEvSF_: ; @_ZN7rocprim17ROCPRIM_400000_NS6detail17trampoline_kernelINS0_14default_configENS1_22reduce_config_selectorIsEEZNS1_11reduce_implILb1ES3_PsS7_sN6thrust23THRUST_200600_302600_NS4plusIsEEEE10hipError_tPvRmT1_T2_T3_mT4_P12ihipStream_tbEUlT_E0_NS1_11comp_targetILNS1_3genE0ELNS1_11target_archE4294967295ELNS1_3gpuE0ELNS1_3repE0EEENS1_30default_config_static_selectorELNS0_4arch9wavefront6targetE1EEEvSF_
; %bb.0:
	s_load_dwordx8 s[12:19], s[0:1], 0x0
	s_load_dwordx4 s[20:23], s[0:1], 0x20
	v_lshlrev_b32_e32 v6, 1, v0
	v_mbcnt_lo_u32_b32 v1, -1, 0
	s_waitcnt lgkmcnt(0)
	s_lshl_b64 s[4:5], s[14:15], 1
	s_add_u32 s10, s12, s4
	s_addc_u32 s11, s13, s5
	s_lshl_b32 s4, s2, 10
	s_mov_b32 s5, 0
	s_lshr_b64 s[6:7], s[16:17], 10
	s_lshl_b64 s[8:9], s[4:5], 1
	s_add_u32 s14, s10, s8
	s_mov_b32 s3, s5
	s_addc_u32 s15, s11, s9
	s_cmp_lg_u64 s[6:7], s[2:3]
	s_cbranch_scc0 .LBB261_6
; %bb.1:
	global_load_ushort v2, v6, s[14:15]
	global_load_ushort v5, v6, s[14:15] offset:256
	global_load_ushort v7, v6, s[14:15] offset:512
	global_load_ushort v8, v6, s[14:15] offset:768
	global_load_ushort v9, v6, s[14:15] offset:1024
	global_load_ushort v10, v6, s[14:15] offset:1280
	global_load_ushort v11, v6, s[14:15] offset:1536
	global_load_ushort v12, v6, s[14:15] offset:1792
	v_mbcnt_hi_u32_b32 v3, -1, v1
	v_lshlrev_b32_e32 v4, 2, v3
	v_cmp_eq_u32_e32 vcc, 0, v3
	s_waitcnt vmcnt(6)
	v_add_u16_e32 v2, v5, v2
	s_waitcnt vmcnt(5)
	v_add_u16_e32 v2, v2, v7
	;; [unrolled: 2-line block ×7, first 2 shown]
	v_or_b32_e32 v5, 0xfc, v4
	s_nop 0
	v_add_u16_dpp v2, v2, v2 quad_perm:[1,0,3,2] row_mask:0xf bank_mask:0xf bound_ctrl:1
	s_nop 1
	v_add_u16_dpp v2, v2, v2 quad_perm:[2,3,0,1] row_mask:0xf bank_mask:0xf bound_ctrl:1
	s_nop 1
	v_add_u16_dpp v2, v2, v2 row_ror:4 row_mask:0xf bank_mask:0xf bound_ctrl:1
	s_nop 1
	v_add_u16_dpp v2, v2, v2 row_ror:8 row_mask:0xf bank_mask:0xf bound_ctrl:1
	s_nop 1
	v_add_u16_dpp v2, v2, v2 row_bcast:15 row_mask:0xf bank_mask:0xf bound_ctrl:1
	s_nop 1
	v_add_u16_dpp v2, v2, v2 row_bcast:31 row_mask:0xf bank_mask:0xf bound_ctrl:1
	ds_bpermute_b32 v2, v5, v2
	s_and_saveexec_b64 s[6:7], vcc
	s_cbranch_execz .LBB261_3
; %bb.2:
	v_lshrrev_b32_e32 v5, 5, v0
	v_and_b32_e32 v5, 2, v5
	s_waitcnt lgkmcnt(0)
	ds_write_b16 v5, v2
.LBB261_3:
	s_or_b64 exec, exec, s[6:7]
	v_cmp_gt_u32_e32 vcc, 64, v0
	s_waitcnt lgkmcnt(0)
	s_barrier
	s_and_saveexec_b64 s[6:7], vcc
	s_cbranch_execz .LBB261_5
; %bb.4:
	v_and_b32_e32 v2, 1, v3
	v_lshlrev_b32_e32 v2, 1, v2
	ds_read_u16 v2, v2
	v_or_b32_e32 v3, 4, v4
	s_waitcnt lgkmcnt(0)
	v_and_b32_e32 v4, 0xffff, v2
	ds_bpermute_b32 v3, v3, v4
	s_waitcnt lgkmcnt(0)
	v_add_u16_e32 v2, v2, v3
.LBB261_5:
	s_or_b64 exec, exec, s[6:7]
	s_load_dword s26, s[0:1], 0x30
	s_branch .LBB261_28
.LBB261_6:
                                        ; implicit-def: $vgpr2
	s_load_dword s26, s[0:1], 0x30
	s_cbranch_execz .LBB261_28
; %bb.7:
	s_sub_i32 s27, s16, s4
	v_mov_b32_e32 v2, 0
	v_cmp_gt_u32_e32 vcc, s27, v0
	v_mov_b32_e32 v3, v2
	v_mov_b32_e32 v4, v2
	;; [unrolled: 1-line block ×3, first 2 shown]
	s_and_saveexec_b64 s[0:1], vcc
	s_cbranch_execz .LBB261_9
; %bb.8:
	global_load_ushort v3, v6, s[14:15]
	v_mov_b32_e32 v9, v2
	v_mov_b32_e32 v10, v2
	;; [unrolled: 1-line block ×3, first 2 shown]
	s_waitcnt vmcnt(0)
	v_and_b32_e32 v8, 0xffff, v3
	v_mov_b64_e32 v[2:3], v[8:9]
	v_mov_b64_e32 v[4:5], v[10:11]
.LBB261_9:
	s_or_b64 exec, exec, s[0:1]
	v_or_b32_e32 v7, 0x80, v0
	v_cmp_gt_u32_e32 vcc, s27, v7
	s_and_saveexec_b64 s[0:1], vcc
	s_cbranch_execz .LBB261_11
; %bb.10:
	global_load_ushort v7, v6, s[14:15] offset:256
	s_mov_b32 s4, 0x5040100
	s_waitcnt vmcnt(0)
	v_perm_b32 v2, v7, v2, s4
.LBB261_11:
	s_or_b64 exec, exec, s[0:1]
	v_or_b32_e32 v7, 0x100, v0
	v_cmp_gt_u32_e64 s[0:1], s27, v7
	s_and_saveexec_b64 s[4:5], s[0:1]
	s_cbranch_execz .LBB261_13
; %bb.12:
	global_load_ushort v7, v6, s[14:15] offset:512
	s_mov_b32 s6, 0xffff
	s_waitcnt vmcnt(0)
	v_bfi_b32 v3, s6, v7, v3
.LBB261_13:
	s_or_b64 exec, exec, s[4:5]
	v_or_b32_e32 v7, 0x180, v0
	v_cmp_gt_u32_e64 s[4:5], s27, v7
	s_and_saveexec_b64 s[6:7], s[4:5]
	s_cbranch_execz .LBB261_15
; %bb.14:
	global_load_ushort v7, v6, s[14:15] offset:768
	s_mov_b32 s8, 0x5040100
	s_waitcnt vmcnt(0)
	v_perm_b32 v3, v7, v3, s8
.LBB261_15:
	s_or_b64 exec, exec, s[6:7]
	v_or_b32_e32 v7, 0x200, v0
	v_cmp_gt_u32_e64 s[6:7], s27, v7
	s_and_saveexec_b64 s[8:9], s[6:7]
	s_cbranch_execz .LBB261_17
; %bb.16:
	global_load_ushort v7, v6, s[14:15] offset:1024
	s_mov_b32 s10, 0xffff
	s_waitcnt vmcnt(0)
	v_bfi_b32 v4, s10, v7, v4
.LBB261_17:
	s_or_b64 exec, exec, s[8:9]
	v_or_b32_e32 v7, 0x280, v0
	v_cmp_gt_u32_e64 s[8:9], s27, v7
	s_and_saveexec_b64 s[10:11], s[8:9]
	;; [unrolled: 22-line block ×3, first 2 shown]
	s_cbranch_execz .LBB261_23
; %bb.22:
	global_load_ushort v6, v6, s[14:15] offset:1792
	s_mov_b32 s14, 0x5040100
	s_waitcnt vmcnt(0)
	v_perm_b32 v5, v6, v5, s14
.LBB261_23:
	s_or_b64 exec, exec, s[24:25]
	v_mov_b32_e32 v6, 0
	v_cndmask_b32_sdwa v6, v6, v2, vcc dst_sel:DWORD dst_unused:UNUSED_PAD src0_sel:DWORD src1_sel:WORD_1
	v_add_u16_e32 v2, v6, v2
	v_cndmask_b32_e64 v6, 0, v3, s[0:1]
	v_lshrrev_b32_e32 v3, 16, v3
	v_add_u16_e32 v2, v2, v6
	v_cndmask_b32_e64 v3, 0, v3, s[4:5]
	v_add_u16_e32 v2, v2, v3
	v_cndmask_b32_e64 v3, 0, v4, s[6:7]
	v_add_u16_e32 v2, v2, v3
	v_lshrrev_b32_e32 v3, 16, v4
	v_cndmask_b32_e64 v3, 0, v3, s[8:9]
	v_add_u16_e32 v2, v2, v3
	v_cndmask_b32_e64 v3, 0, v5, s[10:11]
	v_mbcnt_hi_u32_b32 v1, -1, v1
	v_add_u16_e32 v2, v2, v3
	v_lshrrev_b32_e32 v3, 16, v5
	v_and_b32_e32 v4, 63, v1
	v_cndmask_b32_e64 v3, 0, v3, s[12:13]
	v_cmp_ne_u32_e32 vcc, 63, v4
	v_add_u16_e32 v2, v2, v3
	s_min_u32 s4, s27, 0x80
	v_addc_co_u32_e32 v3, vcc, 0, v1, vcc
	v_lshlrev_b32_e32 v3, 2, v3
	ds_bpermute_b32 v3, v3, v2
	v_and_b32_e32 v5, 64, v0
	v_sub_u32_e64 v5, s4, v5 clamp
	v_add_u32_e32 v6, 1, v4
	v_cmp_gt_u32_e64 s[0:1], 62, v4
	s_waitcnt lgkmcnt(0)
	v_add_u16_e32 v3, v2, v3
	v_cmp_lt_u32_e32 vcc, v6, v5
	v_cndmask_b32_e64 v6, 0, 2, s[0:1]
	v_add_lshl_u32 v6, v6, v1, 2
	v_cndmask_b32_e32 v3, v2, v3, vcc
	ds_bpermute_b32 v6, v6, v3
	v_add_u32_e32 v7, 2, v4
	v_cmp_lt_u32_e64 s[0:1], v7, v5
	v_add_u32_e32 v7, 4, v4
	s_waitcnt lgkmcnt(0)
	v_add_u16_e32 v6, v3, v6
	v_cndmask_b32_e64 v3, v3, v6, s[0:1]
	v_cmp_gt_u32_e64 s[0:1], 60, v4
	s_nop 1
	v_cndmask_b32_e64 v6, 0, 4, s[0:1]
	v_add_lshl_u32 v6, v6, v1, 2
	ds_bpermute_b32 v6, v6, v3
	v_cmp_lt_u32_e64 s[0:1], v7, v5
	v_add_u32_e32 v7, 8, v4
	s_waitcnt lgkmcnt(0)
	v_add_u16_e32 v6, v3, v6
	v_cndmask_b32_e64 v3, v3, v6, s[0:1]
	v_cmp_gt_u32_e64 s[0:1], 56, v4
	s_nop 1
	v_cndmask_b32_e64 v6, 0, 8, s[0:1]
	v_add_lshl_u32 v6, v6, v1, 2
	ds_bpermute_b32 v6, v6, v3
	v_cmp_lt_u32_e64 s[0:1], v7, v5
	v_add_u32_e32 v7, 16, v4
	s_waitcnt lgkmcnt(0)
	v_add_u16_e32 v6, v3, v6
	v_cndmask_b32_e64 v3, v3, v6, s[0:1]
	v_cmp_gt_u32_e64 s[0:1], 48, v4
	v_add_u32_e32 v4, 32, v4
	s_nop 0
	v_cndmask_b32_e64 v6, 0, 16, s[0:1]
	v_add_lshl_u32 v6, v6, v1, 2
	ds_bpermute_b32 v6, v6, v3
	v_cmp_lt_u32_e64 s[0:1], v7, v5
	s_waitcnt lgkmcnt(0)
	v_add_u16_e32 v6, v3, v6
	v_cndmask_b32_e64 v6, v3, v6, s[0:1]
	v_lshlrev_b32_e32 v3, 2, v1
	v_or_b32_e32 v7, 0x80, v3
	ds_bpermute_b32 v7, v7, v6
	v_cmp_lt_u32_e64 s[0:1], v4, v5
	s_waitcnt lgkmcnt(0)
	s_nop 0
	v_cndmask_b32_e64 v4, 0, v7, s[0:1]
	v_add_u16_e32 v4, v6, v4
	v_cndmask_b32_e32 v2, v2, v4, vcc
	v_cmp_eq_u32_e32 vcc, 0, v1
	s_and_saveexec_b64 s[0:1], vcc
; %bb.24:
	v_lshrrev_b32_e32 v4, 5, v0
	v_and_b32_e32 v4, 2, v4
	ds_write_b16 v4, v2 offset:4
; %bb.25:
	s_or_b64 exec, exec, s[0:1]
	v_cmp_gt_u32_e32 vcc, 2, v0
	s_waitcnt lgkmcnt(0)
	s_barrier
	s_and_saveexec_b64 s[0:1], vcc
	s_cbranch_execz .LBB261_27
; %bb.26:
	v_lshlrev_b32_e32 v2, 1, v1
	ds_read_u16 v2, v2 offset:4
	v_or_b32_e32 v3, 4, v3
	s_add_i32 s4, s4, 63
	v_and_b32_e32 v1, 1, v1
	s_lshr_b32 s4, s4, 6
	s_waitcnt lgkmcnt(0)
	v_and_b32_e32 v4, 0xffff, v2
	ds_bpermute_b32 v3, v3, v4
	v_add_u32_e32 v1, 1, v1
	v_cmp_gt_u32_e32 vcc, s4, v1
	s_waitcnt lgkmcnt(0)
	s_nop 0
	v_cndmask_b32_e32 v1, 0, v3, vcc
	v_add_u16_e32 v2, v1, v2
.LBB261_27:
	s_or_b64 exec, exec, s[0:1]
.LBB261_28:
	v_cmp_eq_u32_e32 vcc, 0, v0
	s_and_saveexec_b64 s[0:1], vcc
	s_cbranch_execnz .LBB261_30
; %bb.29:
	s_endpgm
.LBB261_30:
	s_mul_i32 s0, s22, s21
	s_mul_hi_u32 s1, s22, s20
	s_add_i32 s0, s1, s0
	s_mul_i32 s1, s23, s20
	s_add_i32 s1, s0, s1
	s_mul_i32 s0, s22, s20
	s_lshl_b64 s[0:1], s[0:1], 1
	s_add_u32 s4, s18, s0
	s_addc_u32 s5, s19, s1
	s_cmp_eq_u64 s[16:17], 0
	s_cselect_b64 vcc, -1, 0
	s_lshl_b64 s[0:1], s[2:3], 1
	s_waitcnt lgkmcnt(0)
	v_mov_b32_e32 v0, s26
	s_add_u32 s0, s4, s0
	v_cndmask_b32_e32 v0, v2, v0, vcc
	s_addc_u32 s1, s5, s1
	v_mov_b32_e32 v1, 0
	global_store_short v1, v0, s[0:1]
	s_endpgm
	.section	.rodata,"a",@progbits
	.p2align	6, 0x0
	.amdhsa_kernel _ZN7rocprim17ROCPRIM_400000_NS6detail17trampoline_kernelINS0_14default_configENS1_22reduce_config_selectorIsEEZNS1_11reduce_implILb1ES3_PsS7_sN6thrust23THRUST_200600_302600_NS4plusIsEEEE10hipError_tPvRmT1_T2_T3_mT4_P12ihipStream_tbEUlT_E0_NS1_11comp_targetILNS1_3genE0ELNS1_11target_archE4294967295ELNS1_3gpuE0ELNS1_3repE0EEENS1_30default_config_static_selectorELNS0_4arch9wavefront6targetE1EEEvSF_
		.amdhsa_group_segment_fixed_size 8
		.amdhsa_private_segment_fixed_size 0
		.amdhsa_kernarg_size 56
		.amdhsa_user_sgpr_count 2
		.amdhsa_user_sgpr_dispatch_ptr 0
		.amdhsa_user_sgpr_queue_ptr 0
		.amdhsa_user_sgpr_kernarg_segment_ptr 1
		.amdhsa_user_sgpr_dispatch_id 0
		.amdhsa_user_sgpr_kernarg_preload_length 0
		.amdhsa_user_sgpr_kernarg_preload_offset 0
		.amdhsa_user_sgpr_private_segment_size 0
		.amdhsa_uses_dynamic_stack 0
		.amdhsa_enable_private_segment 0
		.amdhsa_system_sgpr_workgroup_id_x 1
		.amdhsa_system_sgpr_workgroup_id_y 0
		.amdhsa_system_sgpr_workgroup_id_z 0
		.amdhsa_system_sgpr_workgroup_info 0
		.amdhsa_system_vgpr_workitem_id 0
		.amdhsa_next_free_vgpr 13
		.amdhsa_next_free_sgpr 28
		.amdhsa_accum_offset 16
		.amdhsa_reserve_vcc 1
		.amdhsa_float_round_mode_32 0
		.amdhsa_float_round_mode_16_64 0
		.amdhsa_float_denorm_mode_32 3
		.amdhsa_float_denorm_mode_16_64 3
		.amdhsa_dx10_clamp 1
		.amdhsa_ieee_mode 1
		.amdhsa_fp16_overflow 0
		.amdhsa_tg_split 0
		.amdhsa_exception_fp_ieee_invalid_op 0
		.amdhsa_exception_fp_denorm_src 0
		.amdhsa_exception_fp_ieee_div_zero 0
		.amdhsa_exception_fp_ieee_overflow 0
		.amdhsa_exception_fp_ieee_underflow 0
		.amdhsa_exception_fp_ieee_inexact 0
		.amdhsa_exception_int_div_zero 0
	.end_amdhsa_kernel
	.section	.text._ZN7rocprim17ROCPRIM_400000_NS6detail17trampoline_kernelINS0_14default_configENS1_22reduce_config_selectorIsEEZNS1_11reduce_implILb1ES3_PsS7_sN6thrust23THRUST_200600_302600_NS4plusIsEEEE10hipError_tPvRmT1_T2_T3_mT4_P12ihipStream_tbEUlT_E0_NS1_11comp_targetILNS1_3genE0ELNS1_11target_archE4294967295ELNS1_3gpuE0ELNS1_3repE0EEENS1_30default_config_static_selectorELNS0_4arch9wavefront6targetE1EEEvSF_,"axG",@progbits,_ZN7rocprim17ROCPRIM_400000_NS6detail17trampoline_kernelINS0_14default_configENS1_22reduce_config_selectorIsEEZNS1_11reduce_implILb1ES3_PsS7_sN6thrust23THRUST_200600_302600_NS4plusIsEEEE10hipError_tPvRmT1_T2_T3_mT4_P12ihipStream_tbEUlT_E0_NS1_11comp_targetILNS1_3genE0ELNS1_11target_archE4294967295ELNS1_3gpuE0ELNS1_3repE0EEENS1_30default_config_static_selectorELNS0_4arch9wavefront6targetE1EEEvSF_,comdat
.Lfunc_end261:
	.size	_ZN7rocprim17ROCPRIM_400000_NS6detail17trampoline_kernelINS0_14default_configENS1_22reduce_config_selectorIsEEZNS1_11reduce_implILb1ES3_PsS7_sN6thrust23THRUST_200600_302600_NS4plusIsEEEE10hipError_tPvRmT1_T2_T3_mT4_P12ihipStream_tbEUlT_E0_NS1_11comp_targetILNS1_3genE0ELNS1_11target_archE4294967295ELNS1_3gpuE0ELNS1_3repE0EEENS1_30default_config_static_selectorELNS0_4arch9wavefront6targetE1EEEvSF_, .Lfunc_end261-_ZN7rocprim17ROCPRIM_400000_NS6detail17trampoline_kernelINS0_14default_configENS1_22reduce_config_selectorIsEEZNS1_11reduce_implILb1ES3_PsS7_sN6thrust23THRUST_200600_302600_NS4plusIsEEEE10hipError_tPvRmT1_T2_T3_mT4_P12ihipStream_tbEUlT_E0_NS1_11comp_targetILNS1_3genE0ELNS1_11target_archE4294967295ELNS1_3gpuE0ELNS1_3repE0EEENS1_30default_config_static_selectorELNS0_4arch9wavefront6targetE1EEEvSF_
                                        ; -- End function
	.set _ZN7rocprim17ROCPRIM_400000_NS6detail17trampoline_kernelINS0_14default_configENS1_22reduce_config_selectorIsEEZNS1_11reduce_implILb1ES3_PsS7_sN6thrust23THRUST_200600_302600_NS4plusIsEEEE10hipError_tPvRmT1_T2_T3_mT4_P12ihipStream_tbEUlT_E0_NS1_11comp_targetILNS1_3genE0ELNS1_11target_archE4294967295ELNS1_3gpuE0ELNS1_3repE0EEENS1_30default_config_static_selectorELNS0_4arch9wavefront6targetE1EEEvSF_.num_vgpr, 13
	.set _ZN7rocprim17ROCPRIM_400000_NS6detail17trampoline_kernelINS0_14default_configENS1_22reduce_config_selectorIsEEZNS1_11reduce_implILb1ES3_PsS7_sN6thrust23THRUST_200600_302600_NS4plusIsEEEE10hipError_tPvRmT1_T2_T3_mT4_P12ihipStream_tbEUlT_E0_NS1_11comp_targetILNS1_3genE0ELNS1_11target_archE4294967295ELNS1_3gpuE0ELNS1_3repE0EEENS1_30default_config_static_selectorELNS0_4arch9wavefront6targetE1EEEvSF_.num_agpr, 0
	.set _ZN7rocprim17ROCPRIM_400000_NS6detail17trampoline_kernelINS0_14default_configENS1_22reduce_config_selectorIsEEZNS1_11reduce_implILb1ES3_PsS7_sN6thrust23THRUST_200600_302600_NS4plusIsEEEE10hipError_tPvRmT1_T2_T3_mT4_P12ihipStream_tbEUlT_E0_NS1_11comp_targetILNS1_3genE0ELNS1_11target_archE4294967295ELNS1_3gpuE0ELNS1_3repE0EEENS1_30default_config_static_selectorELNS0_4arch9wavefront6targetE1EEEvSF_.numbered_sgpr, 28
	.set _ZN7rocprim17ROCPRIM_400000_NS6detail17trampoline_kernelINS0_14default_configENS1_22reduce_config_selectorIsEEZNS1_11reduce_implILb1ES3_PsS7_sN6thrust23THRUST_200600_302600_NS4plusIsEEEE10hipError_tPvRmT1_T2_T3_mT4_P12ihipStream_tbEUlT_E0_NS1_11comp_targetILNS1_3genE0ELNS1_11target_archE4294967295ELNS1_3gpuE0ELNS1_3repE0EEENS1_30default_config_static_selectorELNS0_4arch9wavefront6targetE1EEEvSF_.num_named_barrier, 0
	.set _ZN7rocprim17ROCPRIM_400000_NS6detail17trampoline_kernelINS0_14default_configENS1_22reduce_config_selectorIsEEZNS1_11reduce_implILb1ES3_PsS7_sN6thrust23THRUST_200600_302600_NS4plusIsEEEE10hipError_tPvRmT1_T2_T3_mT4_P12ihipStream_tbEUlT_E0_NS1_11comp_targetILNS1_3genE0ELNS1_11target_archE4294967295ELNS1_3gpuE0ELNS1_3repE0EEENS1_30default_config_static_selectorELNS0_4arch9wavefront6targetE1EEEvSF_.private_seg_size, 0
	.set _ZN7rocprim17ROCPRIM_400000_NS6detail17trampoline_kernelINS0_14default_configENS1_22reduce_config_selectorIsEEZNS1_11reduce_implILb1ES3_PsS7_sN6thrust23THRUST_200600_302600_NS4plusIsEEEE10hipError_tPvRmT1_T2_T3_mT4_P12ihipStream_tbEUlT_E0_NS1_11comp_targetILNS1_3genE0ELNS1_11target_archE4294967295ELNS1_3gpuE0ELNS1_3repE0EEENS1_30default_config_static_selectorELNS0_4arch9wavefront6targetE1EEEvSF_.uses_vcc, 1
	.set _ZN7rocprim17ROCPRIM_400000_NS6detail17trampoline_kernelINS0_14default_configENS1_22reduce_config_selectorIsEEZNS1_11reduce_implILb1ES3_PsS7_sN6thrust23THRUST_200600_302600_NS4plusIsEEEE10hipError_tPvRmT1_T2_T3_mT4_P12ihipStream_tbEUlT_E0_NS1_11comp_targetILNS1_3genE0ELNS1_11target_archE4294967295ELNS1_3gpuE0ELNS1_3repE0EEENS1_30default_config_static_selectorELNS0_4arch9wavefront6targetE1EEEvSF_.uses_flat_scratch, 0
	.set _ZN7rocprim17ROCPRIM_400000_NS6detail17trampoline_kernelINS0_14default_configENS1_22reduce_config_selectorIsEEZNS1_11reduce_implILb1ES3_PsS7_sN6thrust23THRUST_200600_302600_NS4plusIsEEEE10hipError_tPvRmT1_T2_T3_mT4_P12ihipStream_tbEUlT_E0_NS1_11comp_targetILNS1_3genE0ELNS1_11target_archE4294967295ELNS1_3gpuE0ELNS1_3repE0EEENS1_30default_config_static_selectorELNS0_4arch9wavefront6targetE1EEEvSF_.has_dyn_sized_stack, 0
	.set _ZN7rocprim17ROCPRIM_400000_NS6detail17trampoline_kernelINS0_14default_configENS1_22reduce_config_selectorIsEEZNS1_11reduce_implILb1ES3_PsS7_sN6thrust23THRUST_200600_302600_NS4plusIsEEEE10hipError_tPvRmT1_T2_T3_mT4_P12ihipStream_tbEUlT_E0_NS1_11comp_targetILNS1_3genE0ELNS1_11target_archE4294967295ELNS1_3gpuE0ELNS1_3repE0EEENS1_30default_config_static_selectorELNS0_4arch9wavefront6targetE1EEEvSF_.has_recursion, 0
	.set _ZN7rocprim17ROCPRIM_400000_NS6detail17trampoline_kernelINS0_14default_configENS1_22reduce_config_selectorIsEEZNS1_11reduce_implILb1ES3_PsS7_sN6thrust23THRUST_200600_302600_NS4plusIsEEEE10hipError_tPvRmT1_T2_T3_mT4_P12ihipStream_tbEUlT_E0_NS1_11comp_targetILNS1_3genE0ELNS1_11target_archE4294967295ELNS1_3gpuE0ELNS1_3repE0EEENS1_30default_config_static_selectorELNS0_4arch9wavefront6targetE1EEEvSF_.has_indirect_call, 0
	.section	.AMDGPU.csdata,"",@progbits
; Kernel info:
; codeLenInByte = 1600
; TotalNumSgprs: 34
; NumVgprs: 13
; NumAgprs: 0
; TotalNumVgprs: 13
; ScratchSize: 0
; MemoryBound: 0
; FloatMode: 240
; IeeeMode: 1
; LDSByteSize: 8 bytes/workgroup (compile time only)
; SGPRBlocks: 4
; VGPRBlocks: 1
; NumSGPRsForWavesPerEU: 34
; NumVGPRsForWavesPerEU: 13
; AccumOffset: 16
; Occupancy: 8
; WaveLimiterHint : 1
; COMPUTE_PGM_RSRC2:SCRATCH_EN: 0
; COMPUTE_PGM_RSRC2:USER_SGPR: 2
; COMPUTE_PGM_RSRC2:TRAP_HANDLER: 0
; COMPUTE_PGM_RSRC2:TGID_X_EN: 1
; COMPUTE_PGM_RSRC2:TGID_Y_EN: 0
; COMPUTE_PGM_RSRC2:TGID_Z_EN: 0
; COMPUTE_PGM_RSRC2:TIDIG_COMP_CNT: 0
; COMPUTE_PGM_RSRC3_GFX90A:ACCUM_OFFSET: 3
; COMPUTE_PGM_RSRC3_GFX90A:TG_SPLIT: 0
	.section	.text._ZN7rocprim17ROCPRIM_400000_NS6detail17trampoline_kernelINS0_14default_configENS1_22reduce_config_selectorIsEEZNS1_11reduce_implILb1ES3_PsS7_sN6thrust23THRUST_200600_302600_NS4plusIsEEEE10hipError_tPvRmT1_T2_T3_mT4_P12ihipStream_tbEUlT_E0_NS1_11comp_targetILNS1_3genE5ELNS1_11target_archE942ELNS1_3gpuE9ELNS1_3repE0EEENS1_30default_config_static_selectorELNS0_4arch9wavefront6targetE1EEEvSF_,"axG",@progbits,_ZN7rocprim17ROCPRIM_400000_NS6detail17trampoline_kernelINS0_14default_configENS1_22reduce_config_selectorIsEEZNS1_11reduce_implILb1ES3_PsS7_sN6thrust23THRUST_200600_302600_NS4plusIsEEEE10hipError_tPvRmT1_T2_T3_mT4_P12ihipStream_tbEUlT_E0_NS1_11comp_targetILNS1_3genE5ELNS1_11target_archE942ELNS1_3gpuE9ELNS1_3repE0EEENS1_30default_config_static_selectorELNS0_4arch9wavefront6targetE1EEEvSF_,comdat
	.protected	_ZN7rocprim17ROCPRIM_400000_NS6detail17trampoline_kernelINS0_14default_configENS1_22reduce_config_selectorIsEEZNS1_11reduce_implILb1ES3_PsS7_sN6thrust23THRUST_200600_302600_NS4plusIsEEEE10hipError_tPvRmT1_T2_T3_mT4_P12ihipStream_tbEUlT_E0_NS1_11comp_targetILNS1_3genE5ELNS1_11target_archE942ELNS1_3gpuE9ELNS1_3repE0EEENS1_30default_config_static_selectorELNS0_4arch9wavefront6targetE1EEEvSF_ ; -- Begin function _ZN7rocprim17ROCPRIM_400000_NS6detail17trampoline_kernelINS0_14default_configENS1_22reduce_config_selectorIsEEZNS1_11reduce_implILb1ES3_PsS7_sN6thrust23THRUST_200600_302600_NS4plusIsEEEE10hipError_tPvRmT1_T2_T3_mT4_P12ihipStream_tbEUlT_E0_NS1_11comp_targetILNS1_3genE5ELNS1_11target_archE942ELNS1_3gpuE9ELNS1_3repE0EEENS1_30default_config_static_selectorELNS0_4arch9wavefront6targetE1EEEvSF_
	.globl	_ZN7rocprim17ROCPRIM_400000_NS6detail17trampoline_kernelINS0_14default_configENS1_22reduce_config_selectorIsEEZNS1_11reduce_implILb1ES3_PsS7_sN6thrust23THRUST_200600_302600_NS4plusIsEEEE10hipError_tPvRmT1_T2_T3_mT4_P12ihipStream_tbEUlT_E0_NS1_11comp_targetILNS1_3genE5ELNS1_11target_archE942ELNS1_3gpuE9ELNS1_3repE0EEENS1_30default_config_static_selectorELNS0_4arch9wavefront6targetE1EEEvSF_
	.p2align	8
	.type	_ZN7rocprim17ROCPRIM_400000_NS6detail17trampoline_kernelINS0_14default_configENS1_22reduce_config_selectorIsEEZNS1_11reduce_implILb1ES3_PsS7_sN6thrust23THRUST_200600_302600_NS4plusIsEEEE10hipError_tPvRmT1_T2_T3_mT4_P12ihipStream_tbEUlT_E0_NS1_11comp_targetILNS1_3genE5ELNS1_11target_archE942ELNS1_3gpuE9ELNS1_3repE0EEENS1_30default_config_static_selectorELNS0_4arch9wavefront6targetE1EEEvSF_,@function
_ZN7rocprim17ROCPRIM_400000_NS6detail17trampoline_kernelINS0_14default_configENS1_22reduce_config_selectorIsEEZNS1_11reduce_implILb1ES3_PsS7_sN6thrust23THRUST_200600_302600_NS4plusIsEEEE10hipError_tPvRmT1_T2_T3_mT4_P12ihipStream_tbEUlT_E0_NS1_11comp_targetILNS1_3genE5ELNS1_11target_archE942ELNS1_3gpuE9ELNS1_3repE0EEENS1_30default_config_static_selectorELNS0_4arch9wavefront6targetE1EEEvSF_: ; @_ZN7rocprim17ROCPRIM_400000_NS6detail17trampoline_kernelINS0_14default_configENS1_22reduce_config_selectorIsEEZNS1_11reduce_implILb1ES3_PsS7_sN6thrust23THRUST_200600_302600_NS4plusIsEEEE10hipError_tPvRmT1_T2_T3_mT4_P12ihipStream_tbEUlT_E0_NS1_11comp_targetILNS1_3genE5ELNS1_11target_archE942ELNS1_3gpuE9ELNS1_3repE0EEENS1_30default_config_static_selectorELNS0_4arch9wavefront6targetE1EEEvSF_
; %bb.0:
	.section	.rodata,"a",@progbits
	.p2align	6, 0x0
	.amdhsa_kernel _ZN7rocprim17ROCPRIM_400000_NS6detail17trampoline_kernelINS0_14default_configENS1_22reduce_config_selectorIsEEZNS1_11reduce_implILb1ES3_PsS7_sN6thrust23THRUST_200600_302600_NS4plusIsEEEE10hipError_tPvRmT1_T2_T3_mT4_P12ihipStream_tbEUlT_E0_NS1_11comp_targetILNS1_3genE5ELNS1_11target_archE942ELNS1_3gpuE9ELNS1_3repE0EEENS1_30default_config_static_selectorELNS0_4arch9wavefront6targetE1EEEvSF_
		.amdhsa_group_segment_fixed_size 0
		.amdhsa_private_segment_fixed_size 0
		.amdhsa_kernarg_size 56
		.amdhsa_user_sgpr_count 2
		.amdhsa_user_sgpr_dispatch_ptr 0
		.amdhsa_user_sgpr_queue_ptr 0
		.amdhsa_user_sgpr_kernarg_segment_ptr 1
		.amdhsa_user_sgpr_dispatch_id 0
		.amdhsa_user_sgpr_kernarg_preload_length 0
		.amdhsa_user_sgpr_kernarg_preload_offset 0
		.amdhsa_user_sgpr_private_segment_size 0
		.amdhsa_uses_dynamic_stack 0
		.amdhsa_enable_private_segment 0
		.amdhsa_system_sgpr_workgroup_id_x 1
		.amdhsa_system_sgpr_workgroup_id_y 0
		.amdhsa_system_sgpr_workgroup_id_z 0
		.amdhsa_system_sgpr_workgroup_info 0
		.amdhsa_system_vgpr_workitem_id 0
		.amdhsa_next_free_vgpr 1
		.amdhsa_next_free_sgpr 0
		.amdhsa_accum_offset 4
		.amdhsa_reserve_vcc 0
		.amdhsa_float_round_mode_32 0
		.amdhsa_float_round_mode_16_64 0
		.amdhsa_float_denorm_mode_32 3
		.amdhsa_float_denorm_mode_16_64 3
		.amdhsa_dx10_clamp 1
		.amdhsa_ieee_mode 1
		.amdhsa_fp16_overflow 0
		.amdhsa_tg_split 0
		.amdhsa_exception_fp_ieee_invalid_op 0
		.amdhsa_exception_fp_denorm_src 0
		.amdhsa_exception_fp_ieee_div_zero 0
		.amdhsa_exception_fp_ieee_overflow 0
		.amdhsa_exception_fp_ieee_underflow 0
		.amdhsa_exception_fp_ieee_inexact 0
		.amdhsa_exception_int_div_zero 0
	.end_amdhsa_kernel
	.section	.text._ZN7rocprim17ROCPRIM_400000_NS6detail17trampoline_kernelINS0_14default_configENS1_22reduce_config_selectorIsEEZNS1_11reduce_implILb1ES3_PsS7_sN6thrust23THRUST_200600_302600_NS4plusIsEEEE10hipError_tPvRmT1_T2_T3_mT4_P12ihipStream_tbEUlT_E0_NS1_11comp_targetILNS1_3genE5ELNS1_11target_archE942ELNS1_3gpuE9ELNS1_3repE0EEENS1_30default_config_static_selectorELNS0_4arch9wavefront6targetE1EEEvSF_,"axG",@progbits,_ZN7rocprim17ROCPRIM_400000_NS6detail17trampoline_kernelINS0_14default_configENS1_22reduce_config_selectorIsEEZNS1_11reduce_implILb1ES3_PsS7_sN6thrust23THRUST_200600_302600_NS4plusIsEEEE10hipError_tPvRmT1_T2_T3_mT4_P12ihipStream_tbEUlT_E0_NS1_11comp_targetILNS1_3genE5ELNS1_11target_archE942ELNS1_3gpuE9ELNS1_3repE0EEENS1_30default_config_static_selectorELNS0_4arch9wavefront6targetE1EEEvSF_,comdat
.Lfunc_end262:
	.size	_ZN7rocprim17ROCPRIM_400000_NS6detail17trampoline_kernelINS0_14default_configENS1_22reduce_config_selectorIsEEZNS1_11reduce_implILb1ES3_PsS7_sN6thrust23THRUST_200600_302600_NS4plusIsEEEE10hipError_tPvRmT1_T2_T3_mT4_P12ihipStream_tbEUlT_E0_NS1_11comp_targetILNS1_3genE5ELNS1_11target_archE942ELNS1_3gpuE9ELNS1_3repE0EEENS1_30default_config_static_selectorELNS0_4arch9wavefront6targetE1EEEvSF_, .Lfunc_end262-_ZN7rocprim17ROCPRIM_400000_NS6detail17trampoline_kernelINS0_14default_configENS1_22reduce_config_selectorIsEEZNS1_11reduce_implILb1ES3_PsS7_sN6thrust23THRUST_200600_302600_NS4plusIsEEEE10hipError_tPvRmT1_T2_T3_mT4_P12ihipStream_tbEUlT_E0_NS1_11comp_targetILNS1_3genE5ELNS1_11target_archE942ELNS1_3gpuE9ELNS1_3repE0EEENS1_30default_config_static_selectorELNS0_4arch9wavefront6targetE1EEEvSF_
                                        ; -- End function
	.set _ZN7rocprim17ROCPRIM_400000_NS6detail17trampoline_kernelINS0_14default_configENS1_22reduce_config_selectorIsEEZNS1_11reduce_implILb1ES3_PsS7_sN6thrust23THRUST_200600_302600_NS4plusIsEEEE10hipError_tPvRmT1_T2_T3_mT4_P12ihipStream_tbEUlT_E0_NS1_11comp_targetILNS1_3genE5ELNS1_11target_archE942ELNS1_3gpuE9ELNS1_3repE0EEENS1_30default_config_static_selectorELNS0_4arch9wavefront6targetE1EEEvSF_.num_vgpr, 0
	.set _ZN7rocprim17ROCPRIM_400000_NS6detail17trampoline_kernelINS0_14default_configENS1_22reduce_config_selectorIsEEZNS1_11reduce_implILb1ES3_PsS7_sN6thrust23THRUST_200600_302600_NS4plusIsEEEE10hipError_tPvRmT1_T2_T3_mT4_P12ihipStream_tbEUlT_E0_NS1_11comp_targetILNS1_3genE5ELNS1_11target_archE942ELNS1_3gpuE9ELNS1_3repE0EEENS1_30default_config_static_selectorELNS0_4arch9wavefront6targetE1EEEvSF_.num_agpr, 0
	.set _ZN7rocprim17ROCPRIM_400000_NS6detail17trampoline_kernelINS0_14default_configENS1_22reduce_config_selectorIsEEZNS1_11reduce_implILb1ES3_PsS7_sN6thrust23THRUST_200600_302600_NS4plusIsEEEE10hipError_tPvRmT1_T2_T3_mT4_P12ihipStream_tbEUlT_E0_NS1_11comp_targetILNS1_3genE5ELNS1_11target_archE942ELNS1_3gpuE9ELNS1_3repE0EEENS1_30default_config_static_selectorELNS0_4arch9wavefront6targetE1EEEvSF_.numbered_sgpr, 0
	.set _ZN7rocprim17ROCPRIM_400000_NS6detail17trampoline_kernelINS0_14default_configENS1_22reduce_config_selectorIsEEZNS1_11reduce_implILb1ES3_PsS7_sN6thrust23THRUST_200600_302600_NS4plusIsEEEE10hipError_tPvRmT1_T2_T3_mT4_P12ihipStream_tbEUlT_E0_NS1_11comp_targetILNS1_3genE5ELNS1_11target_archE942ELNS1_3gpuE9ELNS1_3repE0EEENS1_30default_config_static_selectorELNS0_4arch9wavefront6targetE1EEEvSF_.num_named_barrier, 0
	.set _ZN7rocprim17ROCPRIM_400000_NS6detail17trampoline_kernelINS0_14default_configENS1_22reduce_config_selectorIsEEZNS1_11reduce_implILb1ES3_PsS7_sN6thrust23THRUST_200600_302600_NS4plusIsEEEE10hipError_tPvRmT1_T2_T3_mT4_P12ihipStream_tbEUlT_E0_NS1_11comp_targetILNS1_3genE5ELNS1_11target_archE942ELNS1_3gpuE9ELNS1_3repE0EEENS1_30default_config_static_selectorELNS0_4arch9wavefront6targetE1EEEvSF_.private_seg_size, 0
	.set _ZN7rocprim17ROCPRIM_400000_NS6detail17trampoline_kernelINS0_14default_configENS1_22reduce_config_selectorIsEEZNS1_11reduce_implILb1ES3_PsS7_sN6thrust23THRUST_200600_302600_NS4plusIsEEEE10hipError_tPvRmT1_T2_T3_mT4_P12ihipStream_tbEUlT_E0_NS1_11comp_targetILNS1_3genE5ELNS1_11target_archE942ELNS1_3gpuE9ELNS1_3repE0EEENS1_30default_config_static_selectorELNS0_4arch9wavefront6targetE1EEEvSF_.uses_vcc, 0
	.set _ZN7rocprim17ROCPRIM_400000_NS6detail17trampoline_kernelINS0_14default_configENS1_22reduce_config_selectorIsEEZNS1_11reduce_implILb1ES3_PsS7_sN6thrust23THRUST_200600_302600_NS4plusIsEEEE10hipError_tPvRmT1_T2_T3_mT4_P12ihipStream_tbEUlT_E0_NS1_11comp_targetILNS1_3genE5ELNS1_11target_archE942ELNS1_3gpuE9ELNS1_3repE0EEENS1_30default_config_static_selectorELNS0_4arch9wavefront6targetE1EEEvSF_.uses_flat_scratch, 0
	.set _ZN7rocprim17ROCPRIM_400000_NS6detail17trampoline_kernelINS0_14default_configENS1_22reduce_config_selectorIsEEZNS1_11reduce_implILb1ES3_PsS7_sN6thrust23THRUST_200600_302600_NS4plusIsEEEE10hipError_tPvRmT1_T2_T3_mT4_P12ihipStream_tbEUlT_E0_NS1_11comp_targetILNS1_3genE5ELNS1_11target_archE942ELNS1_3gpuE9ELNS1_3repE0EEENS1_30default_config_static_selectorELNS0_4arch9wavefront6targetE1EEEvSF_.has_dyn_sized_stack, 0
	.set _ZN7rocprim17ROCPRIM_400000_NS6detail17trampoline_kernelINS0_14default_configENS1_22reduce_config_selectorIsEEZNS1_11reduce_implILb1ES3_PsS7_sN6thrust23THRUST_200600_302600_NS4plusIsEEEE10hipError_tPvRmT1_T2_T3_mT4_P12ihipStream_tbEUlT_E0_NS1_11comp_targetILNS1_3genE5ELNS1_11target_archE942ELNS1_3gpuE9ELNS1_3repE0EEENS1_30default_config_static_selectorELNS0_4arch9wavefront6targetE1EEEvSF_.has_recursion, 0
	.set _ZN7rocprim17ROCPRIM_400000_NS6detail17trampoline_kernelINS0_14default_configENS1_22reduce_config_selectorIsEEZNS1_11reduce_implILb1ES3_PsS7_sN6thrust23THRUST_200600_302600_NS4plusIsEEEE10hipError_tPvRmT1_T2_T3_mT4_P12ihipStream_tbEUlT_E0_NS1_11comp_targetILNS1_3genE5ELNS1_11target_archE942ELNS1_3gpuE9ELNS1_3repE0EEENS1_30default_config_static_selectorELNS0_4arch9wavefront6targetE1EEEvSF_.has_indirect_call, 0
	.section	.AMDGPU.csdata,"",@progbits
; Kernel info:
; codeLenInByte = 0
; TotalNumSgprs: 6
; NumVgprs: 0
; NumAgprs: 0
; TotalNumVgprs: 0
; ScratchSize: 0
; MemoryBound: 0
; FloatMode: 240
; IeeeMode: 1
; LDSByteSize: 0 bytes/workgroup (compile time only)
; SGPRBlocks: 0
; VGPRBlocks: 0
; NumSGPRsForWavesPerEU: 6
; NumVGPRsForWavesPerEU: 1
; AccumOffset: 4
; Occupancy: 8
; WaveLimiterHint : 0
; COMPUTE_PGM_RSRC2:SCRATCH_EN: 0
; COMPUTE_PGM_RSRC2:USER_SGPR: 2
; COMPUTE_PGM_RSRC2:TRAP_HANDLER: 0
; COMPUTE_PGM_RSRC2:TGID_X_EN: 1
; COMPUTE_PGM_RSRC2:TGID_Y_EN: 0
; COMPUTE_PGM_RSRC2:TGID_Z_EN: 0
; COMPUTE_PGM_RSRC2:TIDIG_COMP_CNT: 0
; COMPUTE_PGM_RSRC3_GFX90A:ACCUM_OFFSET: 0
; COMPUTE_PGM_RSRC3_GFX90A:TG_SPLIT: 0
	.section	.text._ZN7rocprim17ROCPRIM_400000_NS6detail17trampoline_kernelINS0_14default_configENS1_22reduce_config_selectorIsEEZNS1_11reduce_implILb1ES3_PsS7_sN6thrust23THRUST_200600_302600_NS4plusIsEEEE10hipError_tPvRmT1_T2_T3_mT4_P12ihipStream_tbEUlT_E0_NS1_11comp_targetILNS1_3genE4ELNS1_11target_archE910ELNS1_3gpuE8ELNS1_3repE0EEENS1_30default_config_static_selectorELNS0_4arch9wavefront6targetE1EEEvSF_,"axG",@progbits,_ZN7rocprim17ROCPRIM_400000_NS6detail17trampoline_kernelINS0_14default_configENS1_22reduce_config_selectorIsEEZNS1_11reduce_implILb1ES3_PsS7_sN6thrust23THRUST_200600_302600_NS4plusIsEEEE10hipError_tPvRmT1_T2_T3_mT4_P12ihipStream_tbEUlT_E0_NS1_11comp_targetILNS1_3genE4ELNS1_11target_archE910ELNS1_3gpuE8ELNS1_3repE0EEENS1_30default_config_static_selectorELNS0_4arch9wavefront6targetE1EEEvSF_,comdat
	.protected	_ZN7rocprim17ROCPRIM_400000_NS6detail17trampoline_kernelINS0_14default_configENS1_22reduce_config_selectorIsEEZNS1_11reduce_implILb1ES3_PsS7_sN6thrust23THRUST_200600_302600_NS4plusIsEEEE10hipError_tPvRmT1_T2_T3_mT4_P12ihipStream_tbEUlT_E0_NS1_11comp_targetILNS1_3genE4ELNS1_11target_archE910ELNS1_3gpuE8ELNS1_3repE0EEENS1_30default_config_static_selectorELNS0_4arch9wavefront6targetE1EEEvSF_ ; -- Begin function _ZN7rocprim17ROCPRIM_400000_NS6detail17trampoline_kernelINS0_14default_configENS1_22reduce_config_selectorIsEEZNS1_11reduce_implILb1ES3_PsS7_sN6thrust23THRUST_200600_302600_NS4plusIsEEEE10hipError_tPvRmT1_T2_T3_mT4_P12ihipStream_tbEUlT_E0_NS1_11comp_targetILNS1_3genE4ELNS1_11target_archE910ELNS1_3gpuE8ELNS1_3repE0EEENS1_30default_config_static_selectorELNS0_4arch9wavefront6targetE1EEEvSF_
	.globl	_ZN7rocprim17ROCPRIM_400000_NS6detail17trampoline_kernelINS0_14default_configENS1_22reduce_config_selectorIsEEZNS1_11reduce_implILb1ES3_PsS7_sN6thrust23THRUST_200600_302600_NS4plusIsEEEE10hipError_tPvRmT1_T2_T3_mT4_P12ihipStream_tbEUlT_E0_NS1_11comp_targetILNS1_3genE4ELNS1_11target_archE910ELNS1_3gpuE8ELNS1_3repE0EEENS1_30default_config_static_selectorELNS0_4arch9wavefront6targetE1EEEvSF_
	.p2align	8
	.type	_ZN7rocprim17ROCPRIM_400000_NS6detail17trampoline_kernelINS0_14default_configENS1_22reduce_config_selectorIsEEZNS1_11reduce_implILb1ES3_PsS7_sN6thrust23THRUST_200600_302600_NS4plusIsEEEE10hipError_tPvRmT1_T2_T3_mT4_P12ihipStream_tbEUlT_E0_NS1_11comp_targetILNS1_3genE4ELNS1_11target_archE910ELNS1_3gpuE8ELNS1_3repE0EEENS1_30default_config_static_selectorELNS0_4arch9wavefront6targetE1EEEvSF_,@function
_ZN7rocprim17ROCPRIM_400000_NS6detail17trampoline_kernelINS0_14default_configENS1_22reduce_config_selectorIsEEZNS1_11reduce_implILb1ES3_PsS7_sN6thrust23THRUST_200600_302600_NS4plusIsEEEE10hipError_tPvRmT1_T2_T3_mT4_P12ihipStream_tbEUlT_E0_NS1_11comp_targetILNS1_3genE4ELNS1_11target_archE910ELNS1_3gpuE8ELNS1_3repE0EEENS1_30default_config_static_selectorELNS0_4arch9wavefront6targetE1EEEvSF_: ; @_ZN7rocprim17ROCPRIM_400000_NS6detail17trampoline_kernelINS0_14default_configENS1_22reduce_config_selectorIsEEZNS1_11reduce_implILb1ES3_PsS7_sN6thrust23THRUST_200600_302600_NS4plusIsEEEE10hipError_tPvRmT1_T2_T3_mT4_P12ihipStream_tbEUlT_E0_NS1_11comp_targetILNS1_3genE4ELNS1_11target_archE910ELNS1_3gpuE8ELNS1_3repE0EEENS1_30default_config_static_selectorELNS0_4arch9wavefront6targetE1EEEvSF_
; %bb.0:
	.section	.rodata,"a",@progbits
	.p2align	6, 0x0
	.amdhsa_kernel _ZN7rocprim17ROCPRIM_400000_NS6detail17trampoline_kernelINS0_14default_configENS1_22reduce_config_selectorIsEEZNS1_11reduce_implILb1ES3_PsS7_sN6thrust23THRUST_200600_302600_NS4plusIsEEEE10hipError_tPvRmT1_T2_T3_mT4_P12ihipStream_tbEUlT_E0_NS1_11comp_targetILNS1_3genE4ELNS1_11target_archE910ELNS1_3gpuE8ELNS1_3repE0EEENS1_30default_config_static_selectorELNS0_4arch9wavefront6targetE1EEEvSF_
		.amdhsa_group_segment_fixed_size 0
		.amdhsa_private_segment_fixed_size 0
		.amdhsa_kernarg_size 56
		.amdhsa_user_sgpr_count 2
		.amdhsa_user_sgpr_dispatch_ptr 0
		.amdhsa_user_sgpr_queue_ptr 0
		.amdhsa_user_sgpr_kernarg_segment_ptr 1
		.amdhsa_user_sgpr_dispatch_id 0
		.amdhsa_user_sgpr_kernarg_preload_length 0
		.amdhsa_user_sgpr_kernarg_preload_offset 0
		.amdhsa_user_sgpr_private_segment_size 0
		.amdhsa_uses_dynamic_stack 0
		.amdhsa_enable_private_segment 0
		.amdhsa_system_sgpr_workgroup_id_x 1
		.amdhsa_system_sgpr_workgroup_id_y 0
		.amdhsa_system_sgpr_workgroup_id_z 0
		.amdhsa_system_sgpr_workgroup_info 0
		.amdhsa_system_vgpr_workitem_id 0
		.amdhsa_next_free_vgpr 1
		.amdhsa_next_free_sgpr 0
		.amdhsa_accum_offset 4
		.amdhsa_reserve_vcc 0
		.amdhsa_float_round_mode_32 0
		.amdhsa_float_round_mode_16_64 0
		.amdhsa_float_denorm_mode_32 3
		.amdhsa_float_denorm_mode_16_64 3
		.amdhsa_dx10_clamp 1
		.amdhsa_ieee_mode 1
		.amdhsa_fp16_overflow 0
		.amdhsa_tg_split 0
		.amdhsa_exception_fp_ieee_invalid_op 0
		.amdhsa_exception_fp_denorm_src 0
		.amdhsa_exception_fp_ieee_div_zero 0
		.amdhsa_exception_fp_ieee_overflow 0
		.amdhsa_exception_fp_ieee_underflow 0
		.amdhsa_exception_fp_ieee_inexact 0
		.amdhsa_exception_int_div_zero 0
	.end_amdhsa_kernel
	.section	.text._ZN7rocprim17ROCPRIM_400000_NS6detail17trampoline_kernelINS0_14default_configENS1_22reduce_config_selectorIsEEZNS1_11reduce_implILb1ES3_PsS7_sN6thrust23THRUST_200600_302600_NS4plusIsEEEE10hipError_tPvRmT1_T2_T3_mT4_P12ihipStream_tbEUlT_E0_NS1_11comp_targetILNS1_3genE4ELNS1_11target_archE910ELNS1_3gpuE8ELNS1_3repE0EEENS1_30default_config_static_selectorELNS0_4arch9wavefront6targetE1EEEvSF_,"axG",@progbits,_ZN7rocprim17ROCPRIM_400000_NS6detail17trampoline_kernelINS0_14default_configENS1_22reduce_config_selectorIsEEZNS1_11reduce_implILb1ES3_PsS7_sN6thrust23THRUST_200600_302600_NS4plusIsEEEE10hipError_tPvRmT1_T2_T3_mT4_P12ihipStream_tbEUlT_E0_NS1_11comp_targetILNS1_3genE4ELNS1_11target_archE910ELNS1_3gpuE8ELNS1_3repE0EEENS1_30default_config_static_selectorELNS0_4arch9wavefront6targetE1EEEvSF_,comdat
.Lfunc_end263:
	.size	_ZN7rocprim17ROCPRIM_400000_NS6detail17trampoline_kernelINS0_14default_configENS1_22reduce_config_selectorIsEEZNS1_11reduce_implILb1ES3_PsS7_sN6thrust23THRUST_200600_302600_NS4plusIsEEEE10hipError_tPvRmT1_T2_T3_mT4_P12ihipStream_tbEUlT_E0_NS1_11comp_targetILNS1_3genE4ELNS1_11target_archE910ELNS1_3gpuE8ELNS1_3repE0EEENS1_30default_config_static_selectorELNS0_4arch9wavefront6targetE1EEEvSF_, .Lfunc_end263-_ZN7rocprim17ROCPRIM_400000_NS6detail17trampoline_kernelINS0_14default_configENS1_22reduce_config_selectorIsEEZNS1_11reduce_implILb1ES3_PsS7_sN6thrust23THRUST_200600_302600_NS4plusIsEEEE10hipError_tPvRmT1_T2_T3_mT4_P12ihipStream_tbEUlT_E0_NS1_11comp_targetILNS1_3genE4ELNS1_11target_archE910ELNS1_3gpuE8ELNS1_3repE0EEENS1_30default_config_static_selectorELNS0_4arch9wavefront6targetE1EEEvSF_
                                        ; -- End function
	.set _ZN7rocprim17ROCPRIM_400000_NS6detail17trampoline_kernelINS0_14default_configENS1_22reduce_config_selectorIsEEZNS1_11reduce_implILb1ES3_PsS7_sN6thrust23THRUST_200600_302600_NS4plusIsEEEE10hipError_tPvRmT1_T2_T3_mT4_P12ihipStream_tbEUlT_E0_NS1_11comp_targetILNS1_3genE4ELNS1_11target_archE910ELNS1_3gpuE8ELNS1_3repE0EEENS1_30default_config_static_selectorELNS0_4arch9wavefront6targetE1EEEvSF_.num_vgpr, 0
	.set _ZN7rocprim17ROCPRIM_400000_NS6detail17trampoline_kernelINS0_14default_configENS1_22reduce_config_selectorIsEEZNS1_11reduce_implILb1ES3_PsS7_sN6thrust23THRUST_200600_302600_NS4plusIsEEEE10hipError_tPvRmT1_T2_T3_mT4_P12ihipStream_tbEUlT_E0_NS1_11comp_targetILNS1_3genE4ELNS1_11target_archE910ELNS1_3gpuE8ELNS1_3repE0EEENS1_30default_config_static_selectorELNS0_4arch9wavefront6targetE1EEEvSF_.num_agpr, 0
	.set _ZN7rocprim17ROCPRIM_400000_NS6detail17trampoline_kernelINS0_14default_configENS1_22reduce_config_selectorIsEEZNS1_11reduce_implILb1ES3_PsS7_sN6thrust23THRUST_200600_302600_NS4plusIsEEEE10hipError_tPvRmT1_T2_T3_mT4_P12ihipStream_tbEUlT_E0_NS1_11comp_targetILNS1_3genE4ELNS1_11target_archE910ELNS1_3gpuE8ELNS1_3repE0EEENS1_30default_config_static_selectorELNS0_4arch9wavefront6targetE1EEEvSF_.numbered_sgpr, 0
	.set _ZN7rocprim17ROCPRIM_400000_NS6detail17trampoline_kernelINS0_14default_configENS1_22reduce_config_selectorIsEEZNS1_11reduce_implILb1ES3_PsS7_sN6thrust23THRUST_200600_302600_NS4plusIsEEEE10hipError_tPvRmT1_T2_T3_mT4_P12ihipStream_tbEUlT_E0_NS1_11comp_targetILNS1_3genE4ELNS1_11target_archE910ELNS1_3gpuE8ELNS1_3repE0EEENS1_30default_config_static_selectorELNS0_4arch9wavefront6targetE1EEEvSF_.num_named_barrier, 0
	.set _ZN7rocprim17ROCPRIM_400000_NS6detail17trampoline_kernelINS0_14default_configENS1_22reduce_config_selectorIsEEZNS1_11reduce_implILb1ES3_PsS7_sN6thrust23THRUST_200600_302600_NS4plusIsEEEE10hipError_tPvRmT1_T2_T3_mT4_P12ihipStream_tbEUlT_E0_NS1_11comp_targetILNS1_3genE4ELNS1_11target_archE910ELNS1_3gpuE8ELNS1_3repE0EEENS1_30default_config_static_selectorELNS0_4arch9wavefront6targetE1EEEvSF_.private_seg_size, 0
	.set _ZN7rocprim17ROCPRIM_400000_NS6detail17trampoline_kernelINS0_14default_configENS1_22reduce_config_selectorIsEEZNS1_11reduce_implILb1ES3_PsS7_sN6thrust23THRUST_200600_302600_NS4plusIsEEEE10hipError_tPvRmT1_T2_T3_mT4_P12ihipStream_tbEUlT_E0_NS1_11comp_targetILNS1_3genE4ELNS1_11target_archE910ELNS1_3gpuE8ELNS1_3repE0EEENS1_30default_config_static_selectorELNS0_4arch9wavefront6targetE1EEEvSF_.uses_vcc, 0
	.set _ZN7rocprim17ROCPRIM_400000_NS6detail17trampoline_kernelINS0_14default_configENS1_22reduce_config_selectorIsEEZNS1_11reduce_implILb1ES3_PsS7_sN6thrust23THRUST_200600_302600_NS4plusIsEEEE10hipError_tPvRmT1_T2_T3_mT4_P12ihipStream_tbEUlT_E0_NS1_11comp_targetILNS1_3genE4ELNS1_11target_archE910ELNS1_3gpuE8ELNS1_3repE0EEENS1_30default_config_static_selectorELNS0_4arch9wavefront6targetE1EEEvSF_.uses_flat_scratch, 0
	.set _ZN7rocprim17ROCPRIM_400000_NS6detail17trampoline_kernelINS0_14default_configENS1_22reduce_config_selectorIsEEZNS1_11reduce_implILb1ES3_PsS7_sN6thrust23THRUST_200600_302600_NS4plusIsEEEE10hipError_tPvRmT1_T2_T3_mT4_P12ihipStream_tbEUlT_E0_NS1_11comp_targetILNS1_3genE4ELNS1_11target_archE910ELNS1_3gpuE8ELNS1_3repE0EEENS1_30default_config_static_selectorELNS0_4arch9wavefront6targetE1EEEvSF_.has_dyn_sized_stack, 0
	.set _ZN7rocprim17ROCPRIM_400000_NS6detail17trampoline_kernelINS0_14default_configENS1_22reduce_config_selectorIsEEZNS1_11reduce_implILb1ES3_PsS7_sN6thrust23THRUST_200600_302600_NS4plusIsEEEE10hipError_tPvRmT1_T2_T3_mT4_P12ihipStream_tbEUlT_E0_NS1_11comp_targetILNS1_3genE4ELNS1_11target_archE910ELNS1_3gpuE8ELNS1_3repE0EEENS1_30default_config_static_selectorELNS0_4arch9wavefront6targetE1EEEvSF_.has_recursion, 0
	.set _ZN7rocprim17ROCPRIM_400000_NS6detail17trampoline_kernelINS0_14default_configENS1_22reduce_config_selectorIsEEZNS1_11reduce_implILb1ES3_PsS7_sN6thrust23THRUST_200600_302600_NS4plusIsEEEE10hipError_tPvRmT1_T2_T3_mT4_P12ihipStream_tbEUlT_E0_NS1_11comp_targetILNS1_3genE4ELNS1_11target_archE910ELNS1_3gpuE8ELNS1_3repE0EEENS1_30default_config_static_selectorELNS0_4arch9wavefront6targetE1EEEvSF_.has_indirect_call, 0
	.section	.AMDGPU.csdata,"",@progbits
; Kernel info:
; codeLenInByte = 0
; TotalNumSgprs: 6
; NumVgprs: 0
; NumAgprs: 0
; TotalNumVgprs: 0
; ScratchSize: 0
; MemoryBound: 0
; FloatMode: 240
; IeeeMode: 1
; LDSByteSize: 0 bytes/workgroup (compile time only)
; SGPRBlocks: 0
; VGPRBlocks: 0
; NumSGPRsForWavesPerEU: 6
; NumVGPRsForWavesPerEU: 1
; AccumOffset: 4
; Occupancy: 8
; WaveLimiterHint : 0
; COMPUTE_PGM_RSRC2:SCRATCH_EN: 0
; COMPUTE_PGM_RSRC2:USER_SGPR: 2
; COMPUTE_PGM_RSRC2:TRAP_HANDLER: 0
; COMPUTE_PGM_RSRC2:TGID_X_EN: 1
; COMPUTE_PGM_RSRC2:TGID_Y_EN: 0
; COMPUTE_PGM_RSRC2:TGID_Z_EN: 0
; COMPUTE_PGM_RSRC2:TIDIG_COMP_CNT: 0
; COMPUTE_PGM_RSRC3_GFX90A:ACCUM_OFFSET: 0
; COMPUTE_PGM_RSRC3_GFX90A:TG_SPLIT: 0
	.section	.text._ZN7rocprim17ROCPRIM_400000_NS6detail17trampoline_kernelINS0_14default_configENS1_22reduce_config_selectorIsEEZNS1_11reduce_implILb1ES3_PsS7_sN6thrust23THRUST_200600_302600_NS4plusIsEEEE10hipError_tPvRmT1_T2_T3_mT4_P12ihipStream_tbEUlT_E0_NS1_11comp_targetILNS1_3genE3ELNS1_11target_archE908ELNS1_3gpuE7ELNS1_3repE0EEENS1_30default_config_static_selectorELNS0_4arch9wavefront6targetE1EEEvSF_,"axG",@progbits,_ZN7rocprim17ROCPRIM_400000_NS6detail17trampoline_kernelINS0_14default_configENS1_22reduce_config_selectorIsEEZNS1_11reduce_implILb1ES3_PsS7_sN6thrust23THRUST_200600_302600_NS4plusIsEEEE10hipError_tPvRmT1_T2_T3_mT4_P12ihipStream_tbEUlT_E0_NS1_11comp_targetILNS1_3genE3ELNS1_11target_archE908ELNS1_3gpuE7ELNS1_3repE0EEENS1_30default_config_static_selectorELNS0_4arch9wavefront6targetE1EEEvSF_,comdat
	.protected	_ZN7rocprim17ROCPRIM_400000_NS6detail17trampoline_kernelINS0_14default_configENS1_22reduce_config_selectorIsEEZNS1_11reduce_implILb1ES3_PsS7_sN6thrust23THRUST_200600_302600_NS4plusIsEEEE10hipError_tPvRmT1_T2_T3_mT4_P12ihipStream_tbEUlT_E0_NS1_11comp_targetILNS1_3genE3ELNS1_11target_archE908ELNS1_3gpuE7ELNS1_3repE0EEENS1_30default_config_static_selectorELNS0_4arch9wavefront6targetE1EEEvSF_ ; -- Begin function _ZN7rocprim17ROCPRIM_400000_NS6detail17trampoline_kernelINS0_14default_configENS1_22reduce_config_selectorIsEEZNS1_11reduce_implILb1ES3_PsS7_sN6thrust23THRUST_200600_302600_NS4plusIsEEEE10hipError_tPvRmT1_T2_T3_mT4_P12ihipStream_tbEUlT_E0_NS1_11comp_targetILNS1_3genE3ELNS1_11target_archE908ELNS1_3gpuE7ELNS1_3repE0EEENS1_30default_config_static_selectorELNS0_4arch9wavefront6targetE1EEEvSF_
	.globl	_ZN7rocprim17ROCPRIM_400000_NS6detail17trampoline_kernelINS0_14default_configENS1_22reduce_config_selectorIsEEZNS1_11reduce_implILb1ES3_PsS7_sN6thrust23THRUST_200600_302600_NS4plusIsEEEE10hipError_tPvRmT1_T2_T3_mT4_P12ihipStream_tbEUlT_E0_NS1_11comp_targetILNS1_3genE3ELNS1_11target_archE908ELNS1_3gpuE7ELNS1_3repE0EEENS1_30default_config_static_selectorELNS0_4arch9wavefront6targetE1EEEvSF_
	.p2align	8
	.type	_ZN7rocprim17ROCPRIM_400000_NS6detail17trampoline_kernelINS0_14default_configENS1_22reduce_config_selectorIsEEZNS1_11reduce_implILb1ES3_PsS7_sN6thrust23THRUST_200600_302600_NS4plusIsEEEE10hipError_tPvRmT1_T2_T3_mT4_P12ihipStream_tbEUlT_E0_NS1_11comp_targetILNS1_3genE3ELNS1_11target_archE908ELNS1_3gpuE7ELNS1_3repE0EEENS1_30default_config_static_selectorELNS0_4arch9wavefront6targetE1EEEvSF_,@function
_ZN7rocprim17ROCPRIM_400000_NS6detail17trampoline_kernelINS0_14default_configENS1_22reduce_config_selectorIsEEZNS1_11reduce_implILb1ES3_PsS7_sN6thrust23THRUST_200600_302600_NS4plusIsEEEE10hipError_tPvRmT1_T2_T3_mT4_P12ihipStream_tbEUlT_E0_NS1_11comp_targetILNS1_3genE3ELNS1_11target_archE908ELNS1_3gpuE7ELNS1_3repE0EEENS1_30default_config_static_selectorELNS0_4arch9wavefront6targetE1EEEvSF_: ; @_ZN7rocprim17ROCPRIM_400000_NS6detail17trampoline_kernelINS0_14default_configENS1_22reduce_config_selectorIsEEZNS1_11reduce_implILb1ES3_PsS7_sN6thrust23THRUST_200600_302600_NS4plusIsEEEE10hipError_tPvRmT1_T2_T3_mT4_P12ihipStream_tbEUlT_E0_NS1_11comp_targetILNS1_3genE3ELNS1_11target_archE908ELNS1_3gpuE7ELNS1_3repE0EEENS1_30default_config_static_selectorELNS0_4arch9wavefront6targetE1EEEvSF_
; %bb.0:
	.section	.rodata,"a",@progbits
	.p2align	6, 0x0
	.amdhsa_kernel _ZN7rocprim17ROCPRIM_400000_NS6detail17trampoline_kernelINS0_14default_configENS1_22reduce_config_selectorIsEEZNS1_11reduce_implILb1ES3_PsS7_sN6thrust23THRUST_200600_302600_NS4plusIsEEEE10hipError_tPvRmT1_T2_T3_mT4_P12ihipStream_tbEUlT_E0_NS1_11comp_targetILNS1_3genE3ELNS1_11target_archE908ELNS1_3gpuE7ELNS1_3repE0EEENS1_30default_config_static_selectorELNS0_4arch9wavefront6targetE1EEEvSF_
		.amdhsa_group_segment_fixed_size 0
		.amdhsa_private_segment_fixed_size 0
		.amdhsa_kernarg_size 56
		.amdhsa_user_sgpr_count 2
		.amdhsa_user_sgpr_dispatch_ptr 0
		.amdhsa_user_sgpr_queue_ptr 0
		.amdhsa_user_sgpr_kernarg_segment_ptr 1
		.amdhsa_user_sgpr_dispatch_id 0
		.amdhsa_user_sgpr_kernarg_preload_length 0
		.amdhsa_user_sgpr_kernarg_preload_offset 0
		.amdhsa_user_sgpr_private_segment_size 0
		.amdhsa_uses_dynamic_stack 0
		.amdhsa_enable_private_segment 0
		.amdhsa_system_sgpr_workgroup_id_x 1
		.amdhsa_system_sgpr_workgroup_id_y 0
		.amdhsa_system_sgpr_workgroup_id_z 0
		.amdhsa_system_sgpr_workgroup_info 0
		.amdhsa_system_vgpr_workitem_id 0
		.amdhsa_next_free_vgpr 1
		.amdhsa_next_free_sgpr 0
		.amdhsa_accum_offset 4
		.amdhsa_reserve_vcc 0
		.amdhsa_float_round_mode_32 0
		.amdhsa_float_round_mode_16_64 0
		.amdhsa_float_denorm_mode_32 3
		.amdhsa_float_denorm_mode_16_64 3
		.amdhsa_dx10_clamp 1
		.amdhsa_ieee_mode 1
		.amdhsa_fp16_overflow 0
		.amdhsa_tg_split 0
		.amdhsa_exception_fp_ieee_invalid_op 0
		.amdhsa_exception_fp_denorm_src 0
		.amdhsa_exception_fp_ieee_div_zero 0
		.amdhsa_exception_fp_ieee_overflow 0
		.amdhsa_exception_fp_ieee_underflow 0
		.amdhsa_exception_fp_ieee_inexact 0
		.amdhsa_exception_int_div_zero 0
	.end_amdhsa_kernel
	.section	.text._ZN7rocprim17ROCPRIM_400000_NS6detail17trampoline_kernelINS0_14default_configENS1_22reduce_config_selectorIsEEZNS1_11reduce_implILb1ES3_PsS7_sN6thrust23THRUST_200600_302600_NS4plusIsEEEE10hipError_tPvRmT1_T2_T3_mT4_P12ihipStream_tbEUlT_E0_NS1_11comp_targetILNS1_3genE3ELNS1_11target_archE908ELNS1_3gpuE7ELNS1_3repE0EEENS1_30default_config_static_selectorELNS0_4arch9wavefront6targetE1EEEvSF_,"axG",@progbits,_ZN7rocprim17ROCPRIM_400000_NS6detail17trampoline_kernelINS0_14default_configENS1_22reduce_config_selectorIsEEZNS1_11reduce_implILb1ES3_PsS7_sN6thrust23THRUST_200600_302600_NS4plusIsEEEE10hipError_tPvRmT1_T2_T3_mT4_P12ihipStream_tbEUlT_E0_NS1_11comp_targetILNS1_3genE3ELNS1_11target_archE908ELNS1_3gpuE7ELNS1_3repE0EEENS1_30default_config_static_selectorELNS0_4arch9wavefront6targetE1EEEvSF_,comdat
.Lfunc_end264:
	.size	_ZN7rocprim17ROCPRIM_400000_NS6detail17trampoline_kernelINS0_14default_configENS1_22reduce_config_selectorIsEEZNS1_11reduce_implILb1ES3_PsS7_sN6thrust23THRUST_200600_302600_NS4plusIsEEEE10hipError_tPvRmT1_T2_T3_mT4_P12ihipStream_tbEUlT_E0_NS1_11comp_targetILNS1_3genE3ELNS1_11target_archE908ELNS1_3gpuE7ELNS1_3repE0EEENS1_30default_config_static_selectorELNS0_4arch9wavefront6targetE1EEEvSF_, .Lfunc_end264-_ZN7rocprim17ROCPRIM_400000_NS6detail17trampoline_kernelINS0_14default_configENS1_22reduce_config_selectorIsEEZNS1_11reduce_implILb1ES3_PsS7_sN6thrust23THRUST_200600_302600_NS4plusIsEEEE10hipError_tPvRmT1_T2_T3_mT4_P12ihipStream_tbEUlT_E0_NS1_11comp_targetILNS1_3genE3ELNS1_11target_archE908ELNS1_3gpuE7ELNS1_3repE0EEENS1_30default_config_static_selectorELNS0_4arch9wavefront6targetE1EEEvSF_
                                        ; -- End function
	.set _ZN7rocprim17ROCPRIM_400000_NS6detail17trampoline_kernelINS0_14default_configENS1_22reduce_config_selectorIsEEZNS1_11reduce_implILb1ES3_PsS7_sN6thrust23THRUST_200600_302600_NS4plusIsEEEE10hipError_tPvRmT1_T2_T3_mT4_P12ihipStream_tbEUlT_E0_NS1_11comp_targetILNS1_3genE3ELNS1_11target_archE908ELNS1_3gpuE7ELNS1_3repE0EEENS1_30default_config_static_selectorELNS0_4arch9wavefront6targetE1EEEvSF_.num_vgpr, 0
	.set _ZN7rocprim17ROCPRIM_400000_NS6detail17trampoline_kernelINS0_14default_configENS1_22reduce_config_selectorIsEEZNS1_11reduce_implILb1ES3_PsS7_sN6thrust23THRUST_200600_302600_NS4plusIsEEEE10hipError_tPvRmT1_T2_T3_mT4_P12ihipStream_tbEUlT_E0_NS1_11comp_targetILNS1_3genE3ELNS1_11target_archE908ELNS1_3gpuE7ELNS1_3repE0EEENS1_30default_config_static_selectorELNS0_4arch9wavefront6targetE1EEEvSF_.num_agpr, 0
	.set _ZN7rocprim17ROCPRIM_400000_NS6detail17trampoline_kernelINS0_14default_configENS1_22reduce_config_selectorIsEEZNS1_11reduce_implILb1ES3_PsS7_sN6thrust23THRUST_200600_302600_NS4plusIsEEEE10hipError_tPvRmT1_T2_T3_mT4_P12ihipStream_tbEUlT_E0_NS1_11comp_targetILNS1_3genE3ELNS1_11target_archE908ELNS1_3gpuE7ELNS1_3repE0EEENS1_30default_config_static_selectorELNS0_4arch9wavefront6targetE1EEEvSF_.numbered_sgpr, 0
	.set _ZN7rocprim17ROCPRIM_400000_NS6detail17trampoline_kernelINS0_14default_configENS1_22reduce_config_selectorIsEEZNS1_11reduce_implILb1ES3_PsS7_sN6thrust23THRUST_200600_302600_NS4plusIsEEEE10hipError_tPvRmT1_T2_T3_mT4_P12ihipStream_tbEUlT_E0_NS1_11comp_targetILNS1_3genE3ELNS1_11target_archE908ELNS1_3gpuE7ELNS1_3repE0EEENS1_30default_config_static_selectorELNS0_4arch9wavefront6targetE1EEEvSF_.num_named_barrier, 0
	.set _ZN7rocprim17ROCPRIM_400000_NS6detail17trampoline_kernelINS0_14default_configENS1_22reduce_config_selectorIsEEZNS1_11reduce_implILb1ES3_PsS7_sN6thrust23THRUST_200600_302600_NS4plusIsEEEE10hipError_tPvRmT1_T2_T3_mT4_P12ihipStream_tbEUlT_E0_NS1_11comp_targetILNS1_3genE3ELNS1_11target_archE908ELNS1_3gpuE7ELNS1_3repE0EEENS1_30default_config_static_selectorELNS0_4arch9wavefront6targetE1EEEvSF_.private_seg_size, 0
	.set _ZN7rocprim17ROCPRIM_400000_NS6detail17trampoline_kernelINS0_14default_configENS1_22reduce_config_selectorIsEEZNS1_11reduce_implILb1ES3_PsS7_sN6thrust23THRUST_200600_302600_NS4plusIsEEEE10hipError_tPvRmT1_T2_T3_mT4_P12ihipStream_tbEUlT_E0_NS1_11comp_targetILNS1_3genE3ELNS1_11target_archE908ELNS1_3gpuE7ELNS1_3repE0EEENS1_30default_config_static_selectorELNS0_4arch9wavefront6targetE1EEEvSF_.uses_vcc, 0
	.set _ZN7rocprim17ROCPRIM_400000_NS6detail17trampoline_kernelINS0_14default_configENS1_22reduce_config_selectorIsEEZNS1_11reduce_implILb1ES3_PsS7_sN6thrust23THRUST_200600_302600_NS4plusIsEEEE10hipError_tPvRmT1_T2_T3_mT4_P12ihipStream_tbEUlT_E0_NS1_11comp_targetILNS1_3genE3ELNS1_11target_archE908ELNS1_3gpuE7ELNS1_3repE0EEENS1_30default_config_static_selectorELNS0_4arch9wavefront6targetE1EEEvSF_.uses_flat_scratch, 0
	.set _ZN7rocprim17ROCPRIM_400000_NS6detail17trampoline_kernelINS0_14default_configENS1_22reduce_config_selectorIsEEZNS1_11reduce_implILb1ES3_PsS7_sN6thrust23THRUST_200600_302600_NS4plusIsEEEE10hipError_tPvRmT1_T2_T3_mT4_P12ihipStream_tbEUlT_E0_NS1_11comp_targetILNS1_3genE3ELNS1_11target_archE908ELNS1_3gpuE7ELNS1_3repE0EEENS1_30default_config_static_selectorELNS0_4arch9wavefront6targetE1EEEvSF_.has_dyn_sized_stack, 0
	.set _ZN7rocprim17ROCPRIM_400000_NS6detail17trampoline_kernelINS0_14default_configENS1_22reduce_config_selectorIsEEZNS1_11reduce_implILb1ES3_PsS7_sN6thrust23THRUST_200600_302600_NS4plusIsEEEE10hipError_tPvRmT1_T2_T3_mT4_P12ihipStream_tbEUlT_E0_NS1_11comp_targetILNS1_3genE3ELNS1_11target_archE908ELNS1_3gpuE7ELNS1_3repE0EEENS1_30default_config_static_selectorELNS0_4arch9wavefront6targetE1EEEvSF_.has_recursion, 0
	.set _ZN7rocprim17ROCPRIM_400000_NS6detail17trampoline_kernelINS0_14default_configENS1_22reduce_config_selectorIsEEZNS1_11reduce_implILb1ES3_PsS7_sN6thrust23THRUST_200600_302600_NS4plusIsEEEE10hipError_tPvRmT1_T2_T3_mT4_P12ihipStream_tbEUlT_E0_NS1_11comp_targetILNS1_3genE3ELNS1_11target_archE908ELNS1_3gpuE7ELNS1_3repE0EEENS1_30default_config_static_selectorELNS0_4arch9wavefront6targetE1EEEvSF_.has_indirect_call, 0
	.section	.AMDGPU.csdata,"",@progbits
; Kernel info:
; codeLenInByte = 0
; TotalNumSgprs: 6
; NumVgprs: 0
; NumAgprs: 0
; TotalNumVgprs: 0
; ScratchSize: 0
; MemoryBound: 0
; FloatMode: 240
; IeeeMode: 1
; LDSByteSize: 0 bytes/workgroup (compile time only)
; SGPRBlocks: 0
; VGPRBlocks: 0
; NumSGPRsForWavesPerEU: 6
; NumVGPRsForWavesPerEU: 1
; AccumOffset: 4
; Occupancy: 8
; WaveLimiterHint : 0
; COMPUTE_PGM_RSRC2:SCRATCH_EN: 0
; COMPUTE_PGM_RSRC2:USER_SGPR: 2
; COMPUTE_PGM_RSRC2:TRAP_HANDLER: 0
; COMPUTE_PGM_RSRC2:TGID_X_EN: 1
; COMPUTE_PGM_RSRC2:TGID_Y_EN: 0
; COMPUTE_PGM_RSRC2:TGID_Z_EN: 0
; COMPUTE_PGM_RSRC2:TIDIG_COMP_CNT: 0
; COMPUTE_PGM_RSRC3_GFX90A:ACCUM_OFFSET: 0
; COMPUTE_PGM_RSRC3_GFX90A:TG_SPLIT: 0
	.section	.text._ZN7rocprim17ROCPRIM_400000_NS6detail17trampoline_kernelINS0_14default_configENS1_22reduce_config_selectorIsEEZNS1_11reduce_implILb1ES3_PsS7_sN6thrust23THRUST_200600_302600_NS4plusIsEEEE10hipError_tPvRmT1_T2_T3_mT4_P12ihipStream_tbEUlT_E0_NS1_11comp_targetILNS1_3genE2ELNS1_11target_archE906ELNS1_3gpuE6ELNS1_3repE0EEENS1_30default_config_static_selectorELNS0_4arch9wavefront6targetE1EEEvSF_,"axG",@progbits,_ZN7rocprim17ROCPRIM_400000_NS6detail17trampoline_kernelINS0_14default_configENS1_22reduce_config_selectorIsEEZNS1_11reduce_implILb1ES3_PsS7_sN6thrust23THRUST_200600_302600_NS4plusIsEEEE10hipError_tPvRmT1_T2_T3_mT4_P12ihipStream_tbEUlT_E0_NS1_11comp_targetILNS1_3genE2ELNS1_11target_archE906ELNS1_3gpuE6ELNS1_3repE0EEENS1_30default_config_static_selectorELNS0_4arch9wavefront6targetE1EEEvSF_,comdat
	.protected	_ZN7rocprim17ROCPRIM_400000_NS6detail17trampoline_kernelINS0_14default_configENS1_22reduce_config_selectorIsEEZNS1_11reduce_implILb1ES3_PsS7_sN6thrust23THRUST_200600_302600_NS4plusIsEEEE10hipError_tPvRmT1_T2_T3_mT4_P12ihipStream_tbEUlT_E0_NS1_11comp_targetILNS1_3genE2ELNS1_11target_archE906ELNS1_3gpuE6ELNS1_3repE0EEENS1_30default_config_static_selectorELNS0_4arch9wavefront6targetE1EEEvSF_ ; -- Begin function _ZN7rocprim17ROCPRIM_400000_NS6detail17trampoline_kernelINS0_14default_configENS1_22reduce_config_selectorIsEEZNS1_11reduce_implILb1ES3_PsS7_sN6thrust23THRUST_200600_302600_NS4plusIsEEEE10hipError_tPvRmT1_T2_T3_mT4_P12ihipStream_tbEUlT_E0_NS1_11comp_targetILNS1_3genE2ELNS1_11target_archE906ELNS1_3gpuE6ELNS1_3repE0EEENS1_30default_config_static_selectorELNS0_4arch9wavefront6targetE1EEEvSF_
	.globl	_ZN7rocprim17ROCPRIM_400000_NS6detail17trampoline_kernelINS0_14default_configENS1_22reduce_config_selectorIsEEZNS1_11reduce_implILb1ES3_PsS7_sN6thrust23THRUST_200600_302600_NS4plusIsEEEE10hipError_tPvRmT1_T2_T3_mT4_P12ihipStream_tbEUlT_E0_NS1_11comp_targetILNS1_3genE2ELNS1_11target_archE906ELNS1_3gpuE6ELNS1_3repE0EEENS1_30default_config_static_selectorELNS0_4arch9wavefront6targetE1EEEvSF_
	.p2align	8
	.type	_ZN7rocprim17ROCPRIM_400000_NS6detail17trampoline_kernelINS0_14default_configENS1_22reduce_config_selectorIsEEZNS1_11reduce_implILb1ES3_PsS7_sN6thrust23THRUST_200600_302600_NS4plusIsEEEE10hipError_tPvRmT1_T2_T3_mT4_P12ihipStream_tbEUlT_E0_NS1_11comp_targetILNS1_3genE2ELNS1_11target_archE906ELNS1_3gpuE6ELNS1_3repE0EEENS1_30default_config_static_selectorELNS0_4arch9wavefront6targetE1EEEvSF_,@function
_ZN7rocprim17ROCPRIM_400000_NS6detail17trampoline_kernelINS0_14default_configENS1_22reduce_config_selectorIsEEZNS1_11reduce_implILb1ES3_PsS7_sN6thrust23THRUST_200600_302600_NS4plusIsEEEE10hipError_tPvRmT1_T2_T3_mT4_P12ihipStream_tbEUlT_E0_NS1_11comp_targetILNS1_3genE2ELNS1_11target_archE906ELNS1_3gpuE6ELNS1_3repE0EEENS1_30default_config_static_selectorELNS0_4arch9wavefront6targetE1EEEvSF_: ; @_ZN7rocprim17ROCPRIM_400000_NS6detail17trampoline_kernelINS0_14default_configENS1_22reduce_config_selectorIsEEZNS1_11reduce_implILb1ES3_PsS7_sN6thrust23THRUST_200600_302600_NS4plusIsEEEE10hipError_tPvRmT1_T2_T3_mT4_P12ihipStream_tbEUlT_E0_NS1_11comp_targetILNS1_3genE2ELNS1_11target_archE906ELNS1_3gpuE6ELNS1_3repE0EEENS1_30default_config_static_selectorELNS0_4arch9wavefront6targetE1EEEvSF_
; %bb.0:
	.section	.rodata,"a",@progbits
	.p2align	6, 0x0
	.amdhsa_kernel _ZN7rocprim17ROCPRIM_400000_NS6detail17trampoline_kernelINS0_14default_configENS1_22reduce_config_selectorIsEEZNS1_11reduce_implILb1ES3_PsS7_sN6thrust23THRUST_200600_302600_NS4plusIsEEEE10hipError_tPvRmT1_T2_T3_mT4_P12ihipStream_tbEUlT_E0_NS1_11comp_targetILNS1_3genE2ELNS1_11target_archE906ELNS1_3gpuE6ELNS1_3repE0EEENS1_30default_config_static_selectorELNS0_4arch9wavefront6targetE1EEEvSF_
		.amdhsa_group_segment_fixed_size 0
		.amdhsa_private_segment_fixed_size 0
		.amdhsa_kernarg_size 56
		.amdhsa_user_sgpr_count 2
		.amdhsa_user_sgpr_dispatch_ptr 0
		.amdhsa_user_sgpr_queue_ptr 0
		.amdhsa_user_sgpr_kernarg_segment_ptr 1
		.amdhsa_user_sgpr_dispatch_id 0
		.amdhsa_user_sgpr_kernarg_preload_length 0
		.amdhsa_user_sgpr_kernarg_preload_offset 0
		.amdhsa_user_sgpr_private_segment_size 0
		.amdhsa_uses_dynamic_stack 0
		.amdhsa_enable_private_segment 0
		.amdhsa_system_sgpr_workgroup_id_x 1
		.amdhsa_system_sgpr_workgroup_id_y 0
		.amdhsa_system_sgpr_workgroup_id_z 0
		.amdhsa_system_sgpr_workgroup_info 0
		.amdhsa_system_vgpr_workitem_id 0
		.amdhsa_next_free_vgpr 1
		.amdhsa_next_free_sgpr 0
		.amdhsa_accum_offset 4
		.amdhsa_reserve_vcc 0
		.amdhsa_float_round_mode_32 0
		.amdhsa_float_round_mode_16_64 0
		.amdhsa_float_denorm_mode_32 3
		.amdhsa_float_denorm_mode_16_64 3
		.amdhsa_dx10_clamp 1
		.amdhsa_ieee_mode 1
		.amdhsa_fp16_overflow 0
		.amdhsa_tg_split 0
		.amdhsa_exception_fp_ieee_invalid_op 0
		.amdhsa_exception_fp_denorm_src 0
		.amdhsa_exception_fp_ieee_div_zero 0
		.amdhsa_exception_fp_ieee_overflow 0
		.amdhsa_exception_fp_ieee_underflow 0
		.amdhsa_exception_fp_ieee_inexact 0
		.amdhsa_exception_int_div_zero 0
	.end_amdhsa_kernel
	.section	.text._ZN7rocprim17ROCPRIM_400000_NS6detail17trampoline_kernelINS0_14default_configENS1_22reduce_config_selectorIsEEZNS1_11reduce_implILb1ES3_PsS7_sN6thrust23THRUST_200600_302600_NS4plusIsEEEE10hipError_tPvRmT1_T2_T3_mT4_P12ihipStream_tbEUlT_E0_NS1_11comp_targetILNS1_3genE2ELNS1_11target_archE906ELNS1_3gpuE6ELNS1_3repE0EEENS1_30default_config_static_selectorELNS0_4arch9wavefront6targetE1EEEvSF_,"axG",@progbits,_ZN7rocprim17ROCPRIM_400000_NS6detail17trampoline_kernelINS0_14default_configENS1_22reduce_config_selectorIsEEZNS1_11reduce_implILb1ES3_PsS7_sN6thrust23THRUST_200600_302600_NS4plusIsEEEE10hipError_tPvRmT1_T2_T3_mT4_P12ihipStream_tbEUlT_E0_NS1_11comp_targetILNS1_3genE2ELNS1_11target_archE906ELNS1_3gpuE6ELNS1_3repE0EEENS1_30default_config_static_selectorELNS0_4arch9wavefront6targetE1EEEvSF_,comdat
.Lfunc_end265:
	.size	_ZN7rocprim17ROCPRIM_400000_NS6detail17trampoline_kernelINS0_14default_configENS1_22reduce_config_selectorIsEEZNS1_11reduce_implILb1ES3_PsS7_sN6thrust23THRUST_200600_302600_NS4plusIsEEEE10hipError_tPvRmT1_T2_T3_mT4_P12ihipStream_tbEUlT_E0_NS1_11comp_targetILNS1_3genE2ELNS1_11target_archE906ELNS1_3gpuE6ELNS1_3repE0EEENS1_30default_config_static_selectorELNS0_4arch9wavefront6targetE1EEEvSF_, .Lfunc_end265-_ZN7rocprim17ROCPRIM_400000_NS6detail17trampoline_kernelINS0_14default_configENS1_22reduce_config_selectorIsEEZNS1_11reduce_implILb1ES3_PsS7_sN6thrust23THRUST_200600_302600_NS4plusIsEEEE10hipError_tPvRmT1_T2_T3_mT4_P12ihipStream_tbEUlT_E0_NS1_11comp_targetILNS1_3genE2ELNS1_11target_archE906ELNS1_3gpuE6ELNS1_3repE0EEENS1_30default_config_static_selectorELNS0_4arch9wavefront6targetE1EEEvSF_
                                        ; -- End function
	.set _ZN7rocprim17ROCPRIM_400000_NS6detail17trampoline_kernelINS0_14default_configENS1_22reduce_config_selectorIsEEZNS1_11reduce_implILb1ES3_PsS7_sN6thrust23THRUST_200600_302600_NS4plusIsEEEE10hipError_tPvRmT1_T2_T3_mT4_P12ihipStream_tbEUlT_E0_NS1_11comp_targetILNS1_3genE2ELNS1_11target_archE906ELNS1_3gpuE6ELNS1_3repE0EEENS1_30default_config_static_selectorELNS0_4arch9wavefront6targetE1EEEvSF_.num_vgpr, 0
	.set _ZN7rocprim17ROCPRIM_400000_NS6detail17trampoline_kernelINS0_14default_configENS1_22reduce_config_selectorIsEEZNS1_11reduce_implILb1ES3_PsS7_sN6thrust23THRUST_200600_302600_NS4plusIsEEEE10hipError_tPvRmT1_T2_T3_mT4_P12ihipStream_tbEUlT_E0_NS1_11comp_targetILNS1_3genE2ELNS1_11target_archE906ELNS1_3gpuE6ELNS1_3repE0EEENS1_30default_config_static_selectorELNS0_4arch9wavefront6targetE1EEEvSF_.num_agpr, 0
	.set _ZN7rocprim17ROCPRIM_400000_NS6detail17trampoline_kernelINS0_14default_configENS1_22reduce_config_selectorIsEEZNS1_11reduce_implILb1ES3_PsS7_sN6thrust23THRUST_200600_302600_NS4plusIsEEEE10hipError_tPvRmT1_T2_T3_mT4_P12ihipStream_tbEUlT_E0_NS1_11comp_targetILNS1_3genE2ELNS1_11target_archE906ELNS1_3gpuE6ELNS1_3repE0EEENS1_30default_config_static_selectorELNS0_4arch9wavefront6targetE1EEEvSF_.numbered_sgpr, 0
	.set _ZN7rocprim17ROCPRIM_400000_NS6detail17trampoline_kernelINS0_14default_configENS1_22reduce_config_selectorIsEEZNS1_11reduce_implILb1ES3_PsS7_sN6thrust23THRUST_200600_302600_NS4plusIsEEEE10hipError_tPvRmT1_T2_T3_mT4_P12ihipStream_tbEUlT_E0_NS1_11comp_targetILNS1_3genE2ELNS1_11target_archE906ELNS1_3gpuE6ELNS1_3repE0EEENS1_30default_config_static_selectorELNS0_4arch9wavefront6targetE1EEEvSF_.num_named_barrier, 0
	.set _ZN7rocprim17ROCPRIM_400000_NS6detail17trampoline_kernelINS0_14default_configENS1_22reduce_config_selectorIsEEZNS1_11reduce_implILb1ES3_PsS7_sN6thrust23THRUST_200600_302600_NS4plusIsEEEE10hipError_tPvRmT1_T2_T3_mT4_P12ihipStream_tbEUlT_E0_NS1_11comp_targetILNS1_3genE2ELNS1_11target_archE906ELNS1_3gpuE6ELNS1_3repE0EEENS1_30default_config_static_selectorELNS0_4arch9wavefront6targetE1EEEvSF_.private_seg_size, 0
	.set _ZN7rocprim17ROCPRIM_400000_NS6detail17trampoline_kernelINS0_14default_configENS1_22reduce_config_selectorIsEEZNS1_11reduce_implILb1ES3_PsS7_sN6thrust23THRUST_200600_302600_NS4plusIsEEEE10hipError_tPvRmT1_T2_T3_mT4_P12ihipStream_tbEUlT_E0_NS1_11comp_targetILNS1_3genE2ELNS1_11target_archE906ELNS1_3gpuE6ELNS1_3repE0EEENS1_30default_config_static_selectorELNS0_4arch9wavefront6targetE1EEEvSF_.uses_vcc, 0
	.set _ZN7rocprim17ROCPRIM_400000_NS6detail17trampoline_kernelINS0_14default_configENS1_22reduce_config_selectorIsEEZNS1_11reduce_implILb1ES3_PsS7_sN6thrust23THRUST_200600_302600_NS4plusIsEEEE10hipError_tPvRmT1_T2_T3_mT4_P12ihipStream_tbEUlT_E0_NS1_11comp_targetILNS1_3genE2ELNS1_11target_archE906ELNS1_3gpuE6ELNS1_3repE0EEENS1_30default_config_static_selectorELNS0_4arch9wavefront6targetE1EEEvSF_.uses_flat_scratch, 0
	.set _ZN7rocprim17ROCPRIM_400000_NS6detail17trampoline_kernelINS0_14default_configENS1_22reduce_config_selectorIsEEZNS1_11reduce_implILb1ES3_PsS7_sN6thrust23THRUST_200600_302600_NS4plusIsEEEE10hipError_tPvRmT1_T2_T3_mT4_P12ihipStream_tbEUlT_E0_NS1_11comp_targetILNS1_3genE2ELNS1_11target_archE906ELNS1_3gpuE6ELNS1_3repE0EEENS1_30default_config_static_selectorELNS0_4arch9wavefront6targetE1EEEvSF_.has_dyn_sized_stack, 0
	.set _ZN7rocprim17ROCPRIM_400000_NS6detail17trampoline_kernelINS0_14default_configENS1_22reduce_config_selectorIsEEZNS1_11reduce_implILb1ES3_PsS7_sN6thrust23THRUST_200600_302600_NS4plusIsEEEE10hipError_tPvRmT1_T2_T3_mT4_P12ihipStream_tbEUlT_E0_NS1_11comp_targetILNS1_3genE2ELNS1_11target_archE906ELNS1_3gpuE6ELNS1_3repE0EEENS1_30default_config_static_selectorELNS0_4arch9wavefront6targetE1EEEvSF_.has_recursion, 0
	.set _ZN7rocprim17ROCPRIM_400000_NS6detail17trampoline_kernelINS0_14default_configENS1_22reduce_config_selectorIsEEZNS1_11reduce_implILb1ES3_PsS7_sN6thrust23THRUST_200600_302600_NS4plusIsEEEE10hipError_tPvRmT1_T2_T3_mT4_P12ihipStream_tbEUlT_E0_NS1_11comp_targetILNS1_3genE2ELNS1_11target_archE906ELNS1_3gpuE6ELNS1_3repE0EEENS1_30default_config_static_selectorELNS0_4arch9wavefront6targetE1EEEvSF_.has_indirect_call, 0
	.section	.AMDGPU.csdata,"",@progbits
; Kernel info:
; codeLenInByte = 0
; TotalNumSgprs: 6
; NumVgprs: 0
; NumAgprs: 0
; TotalNumVgprs: 0
; ScratchSize: 0
; MemoryBound: 0
; FloatMode: 240
; IeeeMode: 1
; LDSByteSize: 0 bytes/workgroup (compile time only)
; SGPRBlocks: 0
; VGPRBlocks: 0
; NumSGPRsForWavesPerEU: 6
; NumVGPRsForWavesPerEU: 1
; AccumOffset: 4
; Occupancy: 8
; WaveLimiterHint : 0
; COMPUTE_PGM_RSRC2:SCRATCH_EN: 0
; COMPUTE_PGM_RSRC2:USER_SGPR: 2
; COMPUTE_PGM_RSRC2:TRAP_HANDLER: 0
; COMPUTE_PGM_RSRC2:TGID_X_EN: 1
; COMPUTE_PGM_RSRC2:TGID_Y_EN: 0
; COMPUTE_PGM_RSRC2:TGID_Z_EN: 0
; COMPUTE_PGM_RSRC2:TIDIG_COMP_CNT: 0
; COMPUTE_PGM_RSRC3_GFX90A:ACCUM_OFFSET: 0
; COMPUTE_PGM_RSRC3_GFX90A:TG_SPLIT: 0
	.section	.text._ZN7rocprim17ROCPRIM_400000_NS6detail17trampoline_kernelINS0_14default_configENS1_22reduce_config_selectorIsEEZNS1_11reduce_implILb1ES3_PsS7_sN6thrust23THRUST_200600_302600_NS4plusIsEEEE10hipError_tPvRmT1_T2_T3_mT4_P12ihipStream_tbEUlT_E0_NS1_11comp_targetILNS1_3genE10ELNS1_11target_archE1201ELNS1_3gpuE5ELNS1_3repE0EEENS1_30default_config_static_selectorELNS0_4arch9wavefront6targetE1EEEvSF_,"axG",@progbits,_ZN7rocprim17ROCPRIM_400000_NS6detail17trampoline_kernelINS0_14default_configENS1_22reduce_config_selectorIsEEZNS1_11reduce_implILb1ES3_PsS7_sN6thrust23THRUST_200600_302600_NS4plusIsEEEE10hipError_tPvRmT1_T2_T3_mT4_P12ihipStream_tbEUlT_E0_NS1_11comp_targetILNS1_3genE10ELNS1_11target_archE1201ELNS1_3gpuE5ELNS1_3repE0EEENS1_30default_config_static_selectorELNS0_4arch9wavefront6targetE1EEEvSF_,comdat
	.protected	_ZN7rocprim17ROCPRIM_400000_NS6detail17trampoline_kernelINS0_14default_configENS1_22reduce_config_selectorIsEEZNS1_11reduce_implILb1ES3_PsS7_sN6thrust23THRUST_200600_302600_NS4plusIsEEEE10hipError_tPvRmT1_T2_T3_mT4_P12ihipStream_tbEUlT_E0_NS1_11comp_targetILNS1_3genE10ELNS1_11target_archE1201ELNS1_3gpuE5ELNS1_3repE0EEENS1_30default_config_static_selectorELNS0_4arch9wavefront6targetE1EEEvSF_ ; -- Begin function _ZN7rocprim17ROCPRIM_400000_NS6detail17trampoline_kernelINS0_14default_configENS1_22reduce_config_selectorIsEEZNS1_11reduce_implILb1ES3_PsS7_sN6thrust23THRUST_200600_302600_NS4plusIsEEEE10hipError_tPvRmT1_T2_T3_mT4_P12ihipStream_tbEUlT_E0_NS1_11comp_targetILNS1_3genE10ELNS1_11target_archE1201ELNS1_3gpuE5ELNS1_3repE0EEENS1_30default_config_static_selectorELNS0_4arch9wavefront6targetE1EEEvSF_
	.globl	_ZN7rocprim17ROCPRIM_400000_NS6detail17trampoline_kernelINS0_14default_configENS1_22reduce_config_selectorIsEEZNS1_11reduce_implILb1ES3_PsS7_sN6thrust23THRUST_200600_302600_NS4plusIsEEEE10hipError_tPvRmT1_T2_T3_mT4_P12ihipStream_tbEUlT_E0_NS1_11comp_targetILNS1_3genE10ELNS1_11target_archE1201ELNS1_3gpuE5ELNS1_3repE0EEENS1_30default_config_static_selectorELNS0_4arch9wavefront6targetE1EEEvSF_
	.p2align	8
	.type	_ZN7rocprim17ROCPRIM_400000_NS6detail17trampoline_kernelINS0_14default_configENS1_22reduce_config_selectorIsEEZNS1_11reduce_implILb1ES3_PsS7_sN6thrust23THRUST_200600_302600_NS4plusIsEEEE10hipError_tPvRmT1_T2_T3_mT4_P12ihipStream_tbEUlT_E0_NS1_11comp_targetILNS1_3genE10ELNS1_11target_archE1201ELNS1_3gpuE5ELNS1_3repE0EEENS1_30default_config_static_selectorELNS0_4arch9wavefront6targetE1EEEvSF_,@function
_ZN7rocprim17ROCPRIM_400000_NS6detail17trampoline_kernelINS0_14default_configENS1_22reduce_config_selectorIsEEZNS1_11reduce_implILb1ES3_PsS7_sN6thrust23THRUST_200600_302600_NS4plusIsEEEE10hipError_tPvRmT1_T2_T3_mT4_P12ihipStream_tbEUlT_E0_NS1_11comp_targetILNS1_3genE10ELNS1_11target_archE1201ELNS1_3gpuE5ELNS1_3repE0EEENS1_30default_config_static_selectorELNS0_4arch9wavefront6targetE1EEEvSF_: ; @_ZN7rocprim17ROCPRIM_400000_NS6detail17trampoline_kernelINS0_14default_configENS1_22reduce_config_selectorIsEEZNS1_11reduce_implILb1ES3_PsS7_sN6thrust23THRUST_200600_302600_NS4plusIsEEEE10hipError_tPvRmT1_T2_T3_mT4_P12ihipStream_tbEUlT_E0_NS1_11comp_targetILNS1_3genE10ELNS1_11target_archE1201ELNS1_3gpuE5ELNS1_3repE0EEENS1_30default_config_static_selectorELNS0_4arch9wavefront6targetE1EEEvSF_
; %bb.0:
	.section	.rodata,"a",@progbits
	.p2align	6, 0x0
	.amdhsa_kernel _ZN7rocprim17ROCPRIM_400000_NS6detail17trampoline_kernelINS0_14default_configENS1_22reduce_config_selectorIsEEZNS1_11reduce_implILb1ES3_PsS7_sN6thrust23THRUST_200600_302600_NS4plusIsEEEE10hipError_tPvRmT1_T2_T3_mT4_P12ihipStream_tbEUlT_E0_NS1_11comp_targetILNS1_3genE10ELNS1_11target_archE1201ELNS1_3gpuE5ELNS1_3repE0EEENS1_30default_config_static_selectorELNS0_4arch9wavefront6targetE1EEEvSF_
		.amdhsa_group_segment_fixed_size 0
		.amdhsa_private_segment_fixed_size 0
		.amdhsa_kernarg_size 56
		.amdhsa_user_sgpr_count 2
		.amdhsa_user_sgpr_dispatch_ptr 0
		.amdhsa_user_sgpr_queue_ptr 0
		.amdhsa_user_sgpr_kernarg_segment_ptr 1
		.amdhsa_user_sgpr_dispatch_id 0
		.amdhsa_user_sgpr_kernarg_preload_length 0
		.amdhsa_user_sgpr_kernarg_preload_offset 0
		.amdhsa_user_sgpr_private_segment_size 0
		.amdhsa_uses_dynamic_stack 0
		.amdhsa_enable_private_segment 0
		.amdhsa_system_sgpr_workgroup_id_x 1
		.amdhsa_system_sgpr_workgroup_id_y 0
		.amdhsa_system_sgpr_workgroup_id_z 0
		.amdhsa_system_sgpr_workgroup_info 0
		.amdhsa_system_vgpr_workitem_id 0
		.amdhsa_next_free_vgpr 1
		.amdhsa_next_free_sgpr 0
		.amdhsa_accum_offset 4
		.amdhsa_reserve_vcc 0
		.amdhsa_float_round_mode_32 0
		.amdhsa_float_round_mode_16_64 0
		.amdhsa_float_denorm_mode_32 3
		.amdhsa_float_denorm_mode_16_64 3
		.amdhsa_dx10_clamp 1
		.amdhsa_ieee_mode 1
		.amdhsa_fp16_overflow 0
		.amdhsa_tg_split 0
		.amdhsa_exception_fp_ieee_invalid_op 0
		.amdhsa_exception_fp_denorm_src 0
		.amdhsa_exception_fp_ieee_div_zero 0
		.amdhsa_exception_fp_ieee_overflow 0
		.amdhsa_exception_fp_ieee_underflow 0
		.amdhsa_exception_fp_ieee_inexact 0
		.amdhsa_exception_int_div_zero 0
	.end_amdhsa_kernel
	.section	.text._ZN7rocprim17ROCPRIM_400000_NS6detail17trampoline_kernelINS0_14default_configENS1_22reduce_config_selectorIsEEZNS1_11reduce_implILb1ES3_PsS7_sN6thrust23THRUST_200600_302600_NS4plusIsEEEE10hipError_tPvRmT1_T2_T3_mT4_P12ihipStream_tbEUlT_E0_NS1_11comp_targetILNS1_3genE10ELNS1_11target_archE1201ELNS1_3gpuE5ELNS1_3repE0EEENS1_30default_config_static_selectorELNS0_4arch9wavefront6targetE1EEEvSF_,"axG",@progbits,_ZN7rocprim17ROCPRIM_400000_NS6detail17trampoline_kernelINS0_14default_configENS1_22reduce_config_selectorIsEEZNS1_11reduce_implILb1ES3_PsS7_sN6thrust23THRUST_200600_302600_NS4plusIsEEEE10hipError_tPvRmT1_T2_T3_mT4_P12ihipStream_tbEUlT_E0_NS1_11comp_targetILNS1_3genE10ELNS1_11target_archE1201ELNS1_3gpuE5ELNS1_3repE0EEENS1_30default_config_static_selectorELNS0_4arch9wavefront6targetE1EEEvSF_,comdat
.Lfunc_end266:
	.size	_ZN7rocprim17ROCPRIM_400000_NS6detail17trampoline_kernelINS0_14default_configENS1_22reduce_config_selectorIsEEZNS1_11reduce_implILb1ES3_PsS7_sN6thrust23THRUST_200600_302600_NS4plusIsEEEE10hipError_tPvRmT1_T2_T3_mT4_P12ihipStream_tbEUlT_E0_NS1_11comp_targetILNS1_3genE10ELNS1_11target_archE1201ELNS1_3gpuE5ELNS1_3repE0EEENS1_30default_config_static_selectorELNS0_4arch9wavefront6targetE1EEEvSF_, .Lfunc_end266-_ZN7rocprim17ROCPRIM_400000_NS6detail17trampoline_kernelINS0_14default_configENS1_22reduce_config_selectorIsEEZNS1_11reduce_implILb1ES3_PsS7_sN6thrust23THRUST_200600_302600_NS4plusIsEEEE10hipError_tPvRmT1_T2_T3_mT4_P12ihipStream_tbEUlT_E0_NS1_11comp_targetILNS1_3genE10ELNS1_11target_archE1201ELNS1_3gpuE5ELNS1_3repE0EEENS1_30default_config_static_selectorELNS0_4arch9wavefront6targetE1EEEvSF_
                                        ; -- End function
	.set _ZN7rocprim17ROCPRIM_400000_NS6detail17trampoline_kernelINS0_14default_configENS1_22reduce_config_selectorIsEEZNS1_11reduce_implILb1ES3_PsS7_sN6thrust23THRUST_200600_302600_NS4plusIsEEEE10hipError_tPvRmT1_T2_T3_mT4_P12ihipStream_tbEUlT_E0_NS1_11comp_targetILNS1_3genE10ELNS1_11target_archE1201ELNS1_3gpuE5ELNS1_3repE0EEENS1_30default_config_static_selectorELNS0_4arch9wavefront6targetE1EEEvSF_.num_vgpr, 0
	.set _ZN7rocprim17ROCPRIM_400000_NS6detail17trampoline_kernelINS0_14default_configENS1_22reduce_config_selectorIsEEZNS1_11reduce_implILb1ES3_PsS7_sN6thrust23THRUST_200600_302600_NS4plusIsEEEE10hipError_tPvRmT1_T2_T3_mT4_P12ihipStream_tbEUlT_E0_NS1_11comp_targetILNS1_3genE10ELNS1_11target_archE1201ELNS1_3gpuE5ELNS1_3repE0EEENS1_30default_config_static_selectorELNS0_4arch9wavefront6targetE1EEEvSF_.num_agpr, 0
	.set _ZN7rocprim17ROCPRIM_400000_NS6detail17trampoline_kernelINS0_14default_configENS1_22reduce_config_selectorIsEEZNS1_11reduce_implILb1ES3_PsS7_sN6thrust23THRUST_200600_302600_NS4plusIsEEEE10hipError_tPvRmT1_T2_T3_mT4_P12ihipStream_tbEUlT_E0_NS1_11comp_targetILNS1_3genE10ELNS1_11target_archE1201ELNS1_3gpuE5ELNS1_3repE0EEENS1_30default_config_static_selectorELNS0_4arch9wavefront6targetE1EEEvSF_.numbered_sgpr, 0
	.set _ZN7rocprim17ROCPRIM_400000_NS6detail17trampoline_kernelINS0_14default_configENS1_22reduce_config_selectorIsEEZNS1_11reduce_implILb1ES3_PsS7_sN6thrust23THRUST_200600_302600_NS4plusIsEEEE10hipError_tPvRmT1_T2_T3_mT4_P12ihipStream_tbEUlT_E0_NS1_11comp_targetILNS1_3genE10ELNS1_11target_archE1201ELNS1_3gpuE5ELNS1_3repE0EEENS1_30default_config_static_selectorELNS0_4arch9wavefront6targetE1EEEvSF_.num_named_barrier, 0
	.set _ZN7rocprim17ROCPRIM_400000_NS6detail17trampoline_kernelINS0_14default_configENS1_22reduce_config_selectorIsEEZNS1_11reduce_implILb1ES3_PsS7_sN6thrust23THRUST_200600_302600_NS4plusIsEEEE10hipError_tPvRmT1_T2_T3_mT4_P12ihipStream_tbEUlT_E0_NS1_11comp_targetILNS1_3genE10ELNS1_11target_archE1201ELNS1_3gpuE5ELNS1_3repE0EEENS1_30default_config_static_selectorELNS0_4arch9wavefront6targetE1EEEvSF_.private_seg_size, 0
	.set _ZN7rocprim17ROCPRIM_400000_NS6detail17trampoline_kernelINS0_14default_configENS1_22reduce_config_selectorIsEEZNS1_11reduce_implILb1ES3_PsS7_sN6thrust23THRUST_200600_302600_NS4plusIsEEEE10hipError_tPvRmT1_T2_T3_mT4_P12ihipStream_tbEUlT_E0_NS1_11comp_targetILNS1_3genE10ELNS1_11target_archE1201ELNS1_3gpuE5ELNS1_3repE0EEENS1_30default_config_static_selectorELNS0_4arch9wavefront6targetE1EEEvSF_.uses_vcc, 0
	.set _ZN7rocprim17ROCPRIM_400000_NS6detail17trampoline_kernelINS0_14default_configENS1_22reduce_config_selectorIsEEZNS1_11reduce_implILb1ES3_PsS7_sN6thrust23THRUST_200600_302600_NS4plusIsEEEE10hipError_tPvRmT1_T2_T3_mT4_P12ihipStream_tbEUlT_E0_NS1_11comp_targetILNS1_3genE10ELNS1_11target_archE1201ELNS1_3gpuE5ELNS1_3repE0EEENS1_30default_config_static_selectorELNS0_4arch9wavefront6targetE1EEEvSF_.uses_flat_scratch, 0
	.set _ZN7rocprim17ROCPRIM_400000_NS6detail17trampoline_kernelINS0_14default_configENS1_22reduce_config_selectorIsEEZNS1_11reduce_implILb1ES3_PsS7_sN6thrust23THRUST_200600_302600_NS4plusIsEEEE10hipError_tPvRmT1_T2_T3_mT4_P12ihipStream_tbEUlT_E0_NS1_11comp_targetILNS1_3genE10ELNS1_11target_archE1201ELNS1_3gpuE5ELNS1_3repE0EEENS1_30default_config_static_selectorELNS0_4arch9wavefront6targetE1EEEvSF_.has_dyn_sized_stack, 0
	.set _ZN7rocprim17ROCPRIM_400000_NS6detail17trampoline_kernelINS0_14default_configENS1_22reduce_config_selectorIsEEZNS1_11reduce_implILb1ES3_PsS7_sN6thrust23THRUST_200600_302600_NS4plusIsEEEE10hipError_tPvRmT1_T2_T3_mT4_P12ihipStream_tbEUlT_E0_NS1_11comp_targetILNS1_3genE10ELNS1_11target_archE1201ELNS1_3gpuE5ELNS1_3repE0EEENS1_30default_config_static_selectorELNS0_4arch9wavefront6targetE1EEEvSF_.has_recursion, 0
	.set _ZN7rocprim17ROCPRIM_400000_NS6detail17trampoline_kernelINS0_14default_configENS1_22reduce_config_selectorIsEEZNS1_11reduce_implILb1ES3_PsS7_sN6thrust23THRUST_200600_302600_NS4plusIsEEEE10hipError_tPvRmT1_T2_T3_mT4_P12ihipStream_tbEUlT_E0_NS1_11comp_targetILNS1_3genE10ELNS1_11target_archE1201ELNS1_3gpuE5ELNS1_3repE0EEENS1_30default_config_static_selectorELNS0_4arch9wavefront6targetE1EEEvSF_.has_indirect_call, 0
	.section	.AMDGPU.csdata,"",@progbits
; Kernel info:
; codeLenInByte = 0
; TotalNumSgprs: 6
; NumVgprs: 0
; NumAgprs: 0
; TotalNumVgprs: 0
; ScratchSize: 0
; MemoryBound: 0
; FloatMode: 240
; IeeeMode: 1
; LDSByteSize: 0 bytes/workgroup (compile time only)
; SGPRBlocks: 0
; VGPRBlocks: 0
; NumSGPRsForWavesPerEU: 6
; NumVGPRsForWavesPerEU: 1
; AccumOffset: 4
; Occupancy: 8
; WaveLimiterHint : 0
; COMPUTE_PGM_RSRC2:SCRATCH_EN: 0
; COMPUTE_PGM_RSRC2:USER_SGPR: 2
; COMPUTE_PGM_RSRC2:TRAP_HANDLER: 0
; COMPUTE_PGM_RSRC2:TGID_X_EN: 1
; COMPUTE_PGM_RSRC2:TGID_Y_EN: 0
; COMPUTE_PGM_RSRC2:TGID_Z_EN: 0
; COMPUTE_PGM_RSRC2:TIDIG_COMP_CNT: 0
; COMPUTE_PGM_RSRC3_GFX90A:ACCUM_OFFSET: 0
; COMPUTE_PGM_RSRC3_GFX90A:TG_SPLIT: 0
	.section	.text._ZN7rocprim17ROCPRIM_400000_NS6detail17trampoline_kernelINS0_14default_configENS1_22reduce_config_selectorIsEEZNS1_11reduce_implILb1ES3_PsS7_sN6thrust23THRUST_200600_302600_NS4plusIsEEEE10hipError_tPvRmT1_T2_T3_mT4_P12ihipStream_tbEUlT_E0_NS1_11comp_targetILNS1_3genE10ELNS1_11target_archE1200ELNS1_3gpuE4ELNS1_3repE0EEENS1_30default_config_static_selectorELNS0_4arch9wavefront6targetE1EEEvSF_,"axG",@progbits,_ZN7rocprim17ROCPRIM_400000_NS6detail17trampoline_kernelINS0_14default_configENS1_22reduce_config_selectorIsEEZNS1_11reduce_implILb1ES3_PsS7_sN6thrust23THRUST_200600_302600_NS4plusIsEEEE10hipError_tPvRmT1_T2_T3_mT4_P12ihipStream_tbEUlT_E0_NS1_11comp_targetILNS1_3genE10ELNS1_11target_archE1200ELNS1_3gpuE4ELNS1_3repE0EEENS1_30default_config_static_selectorELNS0_4arch9wavefront6targetE1EEEvSF_,comdat
	.protected	_ZN7rocprim17ROCPRIM_400000_NS6detail17trampoline_kernelINS0_14default_configENS1_22reduce_config_selectorIsEEZNS1_11reduce_implILb1ES3_PsS7_sN6thrust23THRUST_200600_302600_NS4plusIsEEEE10hipError_tPvRmT1_T2_T3_mT4_P12ihipStream_tbEUlT_E0_NS1_11comp_targetILNS1_3genE10ELNS1_11target_archE1200ELNS1_3gpuE4ELNS1_3repE0EEENS1_30default_config_static_selectorELNS0_4arch9wavefront6targetE1EEEvSF_ ; -- Begin function _ZN7rocprim17ROCPRIM_400000_NS6detail17trampoline_kernelINS0_14default_configENS1_22reduce_config_selectorIsEEZNS1_11reduce_implILb1ES3_PsS7_sN6thrust23THRUST_200600_302600_NS4plusIsEEEE10hipError_tPvRmT1_T2_T3_mT4_P12ihipStream_tbEUlT_E0_NS1_11comp_targetILNS1_3genE10ELNS1_11target_archE1200ELNS1_3gpuE4ELNS1_3repE0EEENS1_30default_config_static_selectorELNS0_4arch9wavefront6targetE1EEEvSF_
	.globl	_ZN7rocprim17ROCPRIM_400000_NS6detail17trampoline_kernelINS0_14default_configENS1_22reduce_config_selectorIsEEZNS1_11reduce_implILb1ES3_PsS7_sN6thrust23THRUST_200600_302600_NS4plusIsEEEE10hipError_tPvRmT1_T2_T3_mT4_P12ihipStream_tbEUlT_E0_NS1_11comp_targetILNS1_3genE10ELNS1_11target_archE1200ELNS1_3gpuE4ELNS1_3repE0EEENS1_30default_config_static_selectorELNS0_4arch9wavefront6targetE1EEEvSF_
	.p2align	8
	.type	_ZN7rocprim17ROCPRIM_400000_NS6detail17trampoline_kernelINS0_14default_configENS1_22reduce_config_selectorIsEEZNS1_11reduce_implILb1ES3_PsS7_sN6thrust23THRUST_200600_302600_NS4plusIsEEEE10hipError_tPvRmT1_T2_T3_mT4_P12ihipStream_tbEUlT_E0_NS1_11comp_targetILNS1_3genE10ELNS1_11target_archE1200ELNS1_3gpuE4ELNS1_3repE0EEENS1_30default_config_static_selectorELNS0_4arch9wavefront6targetE1EEEvSF_,@function
_ZN7rocprim17ROCPRIM_400000_NS6detail17trampoline_kernelINS0_14default_configENS1_22reduce_config_selectorIsEEZNS1_11reduce_implILb1ES3_PsS7_sN6thrust23THRUST_200600_302600_NS4plusIsEEEE10hipError_tPvRmT1_T2_T3_mT4_P12ihipStream_tbEUlT_E0_NS1_11comp_targetILNS1_3genE10ELNS1_11target_archE1200ELNS1_3gpuE4ELNS1_3repE0EEENS1_30default_config_static_selectorELNS0_4arch9wavefront6targetE1EEEvSF_: ; @_ZN7rocprim17ROCPRIM_400000_NS6detail17trampoline_kernelINS0_14default_configENS1_22reduce_config_selectorIsEEZNS1_11reduce_implILb1ES3_PsS7_sN6thrust23THRUST_200600_302600_NS4plusIsEEEE10hipError_tPvRmT1_T2_T3_mT4_P12ihipStream_tbEUlT_E0_NS1_11comp_targetILNS1_3genE10ELNS1_11target_archE1200ELNS1_3gpuE4ELNS1_3repE0EEENS1_30default_config_static_selectorELNS0_4arch9wavefront6targetE1EEEvSF_
; %bb.0:
	.section	.rodata,"a",@progbits
	.p2align	6, 0x0
	.amdhsa_kernel _ZN7rocprim17ROCPRIM_400000_NS6detail17trampoline_kernelINS0_14default_configENS1_22reduce_config_selectorIsEEZNS1_11reduce_implILb1ES3_PsS7_sN6thrust23THRUST_200600_302600_NS4plusIsEEEE10hipError_tPvRmT1_T2_T3_mT4_P12ihipStream_tbEUlT_E0_NS1_11comp_targetILNS1_3genE10ELNS1_11target_archE1200ELNS1_3gpuE4ELNS1_3repE0EEENS1_30default_config_static_selectorELNS0_4arch9wavefront6targetE1EEEvSF_
		.amdhsa_group_segment_fixed_size 0
		.amdhsa_private_segment_fixed_size 0
		.amdhsa_kernarg_size 56
		.amdhsa_user_sgpr_count 2
		.amdhsa_user_sgpr_dispatch_ptr 0
		.amdhsa_user_sgpr_queue_ptr 0
		.amdhsa_user_sgpr_kernarg_segment_ptr 1
		.amdhsa_user_sgpr_dispatch_id 0
		.amdhsa_user_sgpr_kernarg_preload_length 0
		.amdhsa_user_sgpr_kernarg_preload_offset 0
		.amdhsa_user_sgpr_private_segment_size 0
		.amdhsa_uses_dynamic_stack 0
		.amdhsa_enable_private_segment 0
		.amdhsa_system_sgpr_workgroup_id_x 1
		.amdhsa_system_sgpr_workgroup_id_y 0
		.amdhsa_system_sgpr_workgroup_id_z 0
		.amdhsa_system_sgpr_workgroup_info 0
		.amdhsa_system_vgpr_workitem_id 0
		.amdhsa_next_free_vgpr 1
		.amdhsa_next_free_sgpr 0
		.amdhsa_accum_offset 4
		.amdhsa_reserve_vcc 0
		.amdhsa_float_round_mode_32 0
		.amdhsa_float_round_mode_16_64 0
		.amdhsa_float_denorm_mode_32 3
		.amdhsa_float_denorm_mode_16_64 3
		.amdhsa_dx10_clamp 1
		.amdhsa_ieee_mode 1
		.amdhsa_fp16_overflow 0
		.amdhsa_tg_split 0
		.amdhsa_exception_fp_ieee_invalid_op 0
		.amdhsa_exception_fp_denorm_src 0
		.amdhsa_exception_fp_ieee_div_zero 0
		.amdhsa_exception_fp_ieee_overflow 0
		.amdhsa_exception_fp_ieee_underflow 0
		.amdhsa_exception_fp_ieee_inexact 0
		.amdhsa_exception_int_div_zero 0
	.end_amdhsa_kernel
	.section	.text._ZN7rocprim17ROCPRIM_400000_NS6detail17trampoline_kernelINS0_14default_configENS1_22reduce_config_selectorIsEEZNS1_11reduce_implILb1ES3_PsS7_sN6thrust23THRUST_200600_302600_NS4plusIsEEEE10hipError_tPvRmT1_T2_T3_mT4_P12ihipStream_tbEUlT_E0_NS1_11comp_targetILNS1_3genE10ELNS1_11target_archE1200ELNS1_3gpuE4ELNS1_3repE0EEENS1_30default_config_static_selectorELNS0_4arch9wavefront6targetE1EEEvSF_,"axG",@progbits,_ZN7rocprim17ROCPRIM_400000_NS6detail17trampoline_kernelINS0_14default_configENS1_22reduce_config_selectorIsEEZNS1_11reduce_implILb1ES3_PsS7_sN6thrust23THRUST_200600_302600_NS4plusIsEEEE10hipError_tPvRmT1_T2_T3_mT4_P12ihipStream_tbEUlT_E0_NS1_11comp_targetILNS1_3genE10ELNS1_11target_archE1200ELNS1_3gpuE4ELNS1_3repE0EEENS1_30default_config_static_selectorELNS0_4arch9wavefront6targetE1EEEvSF_,comdat
.Lfunc_end267:
	.size	_ZN7rocprim17ROCPRIM_400000_NS6detail17trampoline_kernelINS0_14default_configENS1_22reduce_config_selectorIsEEZNS1_11reduce_implILb1ES3_PsS7_sN6thrust23THRUST_200600_302600_NS4plusIsEEEE10hipError_tPvRmT1_T2_T3_mT4_P12ihipStream_tbEUlT_E0_NS1_11comp_targetILNS1_3genE10ELNS1_11target_archE1200ELNS1_3gpuE4ELNS1_3repE0EEENS1_30default_config_static_selectorELNS0_4arch9wavefront6targetE1EEEvSF_, .Lfunc_end267-_ZN7rocprim17ROCPRIM_400000_NS6detail17trampoline_kernelINS0_14default_configENS1_22reduce_config_selectorIsEEZNS1_11reduce_implILb1ES3_PsS7_sN6thrust23THRUST_200600_302600_NS4plusIsEEEE10hipError_tPvRmT1_T2_T3_mT4_P12ihipStream_tbEUlT_E0_NS1_11comp_targetILNS1_3genE10ELNS1_11target_archE1200ELNS1_3gpuE4ELNS1_3repE0EEENS1_30default_config_static_selectorELNS0_4arch9wavefront6targetE1EEEvSF_
                                        ; -- End function
	.set _ZN7rocprim17ROCPRIM_400000_NS6detail17trampoline_kernelINS0_14default_configENS1_22reduce_config_selectorIsEEZNS1_11reduce_implILb1ES3_PsS7_sN6thrust23THRUST_200600_302600_NS4plusIsEEEE10hipError_tPvRmT1_T2_T3_mT4_P12ihipStream_tbEUlT_E0_NS1_11comp_targetILNS1_3genE10ELNS1_11target_archE1200ELNS1_3gpuE4ELNS1_3repE0EEENS1_30default_config_static_selectorELNS0_4arch9wavefront6targetE1EEEvSF_.num_vgpr, 0
	.set _ZN7rocprim17ROCPRIM_400000_NS6detail17trampoline_kernelINS0_14default_configENS1_22reduce_config_selectorIsEEZNS1_11reduce_implILb1ES3_PsS7_sN6thrust23THRUST_200600_302600_NS4plusIsEEEE10hipError_tPvRmT1_T2_T3_mT4_P12ihipStream_tbEUlT_E0_NS1_11comp_targetILNS1_3genE10ELNS1_11target_archE1200ELNS1_3gpuE4ELNS1_3repE0EEENS1_30default_config_static_selectorELNS0_4arch9wavefront6targetE1EEEvSF_.num_agpr, 0
	.set _ZN7rocprim17ROCPRIM_400000_NS6detail17trampoline_kernelINS0_14default_configENS1_22reduce_config_selectorIsEEZNS1_11reduce_implILb1ES3_PsS7_sN6thrust23THRUST_200600_302600_NS4plusIsEEEE10hipError_tPvRmT1_T2_T3_mT4_P12ihipStream_tbEUlT_E0_NS1_11comp_targetILNS1_3genE10ELNS1_11target_archE1200ELNS1_3gpuE4ELNS1_3repE0EEENS1_30default_config_static_selectorELNS0_4arch9wavefront6targetE1EEEvSF_.numbered_sgpr, 0
	.set _ZN7rocprim17ROCPRIM_400000_NS6detail17trampoline_kernelINS0_14default_configENS1_22reduce_config_selectorIsEEZNS1_11reduce_implILb1ES3_PsS7_sN6thrust23THRUST_200600_302600_NS4plusIsEEEE10hipError_tPvRmT1_T2_T3_mT4_P12ihipStream_tbEUlT_E0_NS1_11comp_targetILNS1_3genE10ELNS1_11target_archE1200ELNS1_3gpuE4ELNS1_3repE0EEENS1_30default_config_static_selectorELNS0_4arch9wavefront6targetE1EEEvSF_.num_named_barrier, 0
	.set _ZN7rocprim17ROCPRIM_400000_NS6detail17trampoline_kernelINS0_14default_configENS1_22reduce_config_selectorIsEEZNS1_11reduce_implILb1ES3_PsS7_sN6thrust23THRUST_200600_302600_NS4plusIsEEEE10hipError_tPvRmT1_T2_T3_mT4_P12ihipStream_tbEUlT_E0_NS1_11comp_targetILNS1_3genE10ELNS1_11target_archE1200ELNS1_3gpuE4ELNS1_3repE0EEENS1_30default_config_static_selectorELNS0_4arch9wavefront6targetE1EEEvSF_.private_seg_size, 0
	.set _ZN7rocprim17ROCPRIM_400000_NS6detail17trampoline_kernelINS0_14default_configENS1_22reduce_config_selectorIsEEZNS1_11reduce_implILb1ES3_PsS7_sN6thrust23THRUST_200600_302600_NS4plusIsEEEE10hipError_tPvRmT1_T2_T3_mT4_P12ihipStream_tbEUlT_E0_NS1_11comp_targetILNS1_3genE10ELNS1_11target_archE1200ELNS1_3gpuE4ELNS1_3repE0EEENS1_30default_config_static_selectorELNS0_4arch9wavefront6targetE1EEEvSF_.uses_vcc, 0
	.set _ZN7rocprim17ROCPRIM_400000_NS6detail17trampoline_kernelINS0_14default_configENS1_22reduce_config_selectorIsEEZNS1_11reduce_implILb1ES3_PsS7_sN6thrust23THRUST_200600_302600_NS4plusIsEEEE10hipError_tPvRmT1_T2_T3_mT4_P12ihipStream_tbEUlT_E0_NS1_11comp_targetILNS1_3genE10ELNS1_11target_archE1200ELNS1_3gpuE4ELNS1_3repE0EEENS1_30default_config_static_selectorELNS0_4arch9wavefront6targetE1EEEvSF_.uses_flat_scratch, 0
	.set _ZN7rocprim17ROCPRIM_400000_NS6detail17trampoline_kernelINS0_14default_configENS1_22reduce_config_selectorIsEEZNS1_11reduce_implILb1ES3_PsS7_sN6thrust23THRUST_200600_302600_NS4plusIsEEEE10hipError_tPvRmT1_T2_T3_mT4_P12ihipStream_tbEUlT_E0_NS1_11comp_targetILNS1_3genE10ELNS1_11target_archE1200ELNS1_3gpuE4ELNS1_3repE0EEENS1_30default_config_static_selectorELNS0_4arch9wavefront6targetE1EEEvSF_.has_dyn_sized_stack, 0
	.set _ZN7rocprim17ROCPRIM_400000_NS6detail17trampoline_kernelINS0_14default_configENS1_22reduce_config_selectorIsEEZNS1_11reduce_implILb1ES3_PsS7_sN6thrust23THRUST_200600_302600_NS4plusIsEEEE10hipError_tPvRmT1_T2_T3_mT4_P12ihipStream_tbEUlT_E0_NS1_11comp_targetILNS1_3genE10ELNS1_11target_archE1200ELNS1_3gpuE4ELNS1_3repE0EEENS1_30default_config_static_selectorELNS0_4arch9wavefront6targetE1EEEvSF_.has_recursion, 0
	.set _ZN7rocprim17ROCPRIM_400000_NS6detail17trampoline_kernelINS0_14default_configENS1_22reduce_config_selectorIsEEZNS1_11reduce_implILb1ES3_PsS7_sN6thrust23THRUST_200600_302600_NS4plusIsEEEE10hipError_tPvRmT1_T2_T3_mT4_P12ihipStream_tbEUlT_E0_NS1_11comp_targetILNS1_3genE10ELNS1_11target_archE1200ELNS1_3gpuE4ELNS1_3repE0EEENS1_30default_config_static_selectorELNS0_4arch9wavefront6targetE1EEEvSF_.has_indirect_call, 0
	.section	.AMDGPU.csdata,"",@progbits
; Kernel info:
; codeLenInByte = 0
; TotalNumSgprs: 6
; NumVgprs: 0
; NumAgprs: 0
; TotalNumVgprs: 0
; ScratchSize: 0
; MemoryBound: 0
; FloatMode: 240
; IeeeMode: 1
; LDSByteSize: 0 bytes/workgroup (compile time only)
; SGPRBlocks: 0
; VGPRBlocks: 0
; NumSGPRsForWavesPerEU: 6
; NumVGPRsForWavesPerEU: 1
; AccumOffset: 4
; Occupancy: 8
; WaveLimiterHint : 0
; COMPUTE_PGM_RSRC2:SCRATCH_EN: 0
; COMPUTE_PGM_RSRC2:USER_SGPR: 2
; COMPUTE_PGM_RSRC2:TRAP_HANDLER: 0
; COMPUTE_PGM_RSRC2:TGID_X_EN: 1
; COMPUTE_PGM_RSRC2:TGID_Y_EN: 0
; COMPUTE_PGM_RSRC2:TGID_Z_EN: 0
; COMPUTE_PGM_RSRC2:TIDIG_COMP_CNT: 0
; COMPUTE_PGM_RSRC3_GFX90A:ACCUM_OFFSET: 0
; COMPUTE_PGM_RSRC3_GFX90A:TG_SPLIT: 0
	.section	.text._ZN7rocprim17ROCPRIM_400000_NS6detail17trampoline_kernelINS0_14default_configENS1_22reduce_config_selectorIsEEZNS1_11reduce_implILb1ES3_PsS7_sN6thrust23THRUST_200600_302600_NS4plusIsEEEE10hipError_tPvRmT1_T2_T3_mT4_P12ihipStream_tbEUlT_E0_NS1_11comp_targetILNS1_3genE9ELNS1_11target_archE1100ELNS1_3gpuE3ELNS1_3repE0EEENS1_30default_config_static_selectorELNS0_4arch9wavefront6targetE1EEEvSF_,"axG",@progbits,_ZN7rocprim17ROCPRIM_400000_NS6detail17trampoline_kernelINS0_14default_configENS1_22reduce_config_selectorIsEEZNS1_11reduce_implILb1ES3_PsS7_sN6thrust23THRUST_200600_302600_NS4plusIsEEEE10hipError_tPvRmT1_T2_T3_mT4_P12ihipStream_tbEUlT_E0_NS1_11comp_targetILNS1_3genE9ELNS1_11target_archE1100ELNS1_3gpuE3ELNS1_3repE0EEENS1_30default_config_static_selectorELNS0_4arch9wavefront6targetE1EEEvSF_,comdat
	.protected	_ZN7rocprim17ROCPRIM_400000_NS6detail17trampoline_kernelINS0_14default_configENS1_22reduce_config_selectorIsEEZNS1_11reduce_implILb1ES3_PsS7_sN6thrust23THRUST_200600_302600_NS4plusIsEEEE10hipError_tPvRmT1_T2_T3_mT4_P12ihipStream_tbEUlT_E0_NS1_11comp_targetILNS1_3genE9ELNS1_11target_archE1100ELNS1_3gpuE3ELNS1_3repE0EEENS1_30default_config_static_selectorELNS0_4arch9wavefront6targetE1EEEvSF_ ; -- Begin function _ZN7rocprim17ROCPRIM_400000_NS6detail17trampoline_kernelINS0_14default_configENS1_22reduce_config_selectorIsEEZNS1_11reduce_implILb1ES3_PsS7_sN6thrust23THRUST_200600_302600_NS4plusIsEEEE10hipError_tPvRmT1_T2_T3_mT4_P12ihipStream_tbEUlT_E0_NS1_11comp_targetILNS1_3genE9ELNS1_11target_archE1100ELNS1_3gpuE3ELNS1_3repE0EEENS1_30default_config_static_selectorELNS0_4arch9wavefront6targetE1EEEvSF_
	.globl	_ZN7rocprim17ROCPRIM_400000_NS6detail17trampoline_kernelINS0_14default_configENS1_22reduce_config_selectorIsEEZNS1_11reduce_implILb1ES3_PsS7_sN6thrust23THRUST_200600_302600_NS4plusIsEEEE10hipError_tPvRmT1_T2_T3_mT4_P12ihipStream_tbEUlT_E0_NS1_11comp_targetILNS1_3genE9ELNS1_11target_archE1100ELNS1_3gpuE3ELNS1_3repE0EEENS1_30default_config_static_selectorELNS0_4arch9wavefront6targetE1EEEvSF_
	.p2align	8
	.type	_ZN7rocprim17ROCPRIM_400000_NS6detail17trampoline_kernelINS0_14default_configENS1_22reduce_config_selectorIsEEZNS1_11reduce_implILb1ES3_PsS7_sN6thrust23THRUST_200600_302600_NS4plusIsEEEE10hipError_tPvRmT1_T2_T3_mT4_P12ihipStream_tbEUlT_E0_NS1_11comp_targetILNS1_3genE9ELNS1_11target_archE1100ELNS1_3gpuE3ELNS1_3repE0EEENS1_30default_config_static_selectorELNS0_4arch9wavefront6targetE1EEEvSF_,@function
_ZN7rocprim17ROCPRIM_400000_NS6detail17trampoline_kernelINS0_14default_configENS1_22reduce_config_selectorIsEEZNS1_11reduce_implILb1ES3_PsS7_sN6thrust23THRUST_200600_302600_NS4plusIsEEEE10hipError_tPvRmT1_T2_T3_mT4_P12ihipStream_tbEUlT_E0_NS1_11comp_targetILNS1_3genE9ELNS1_11target_archE1100ELNS1_3gpuE3ELNS1_3repE0EEENS1_30default_config_static_selectorELNS0_4arch9wavefront6targetE1EEEvSF_: ; @_ZN7rocprim17ROCPRIM_400000_NS6detail17trampoline_kernelINS0_14default_configENS1_22reduce_config_selectorIsEEZNS1_11reduce_implILb1ES3_PsS7_sN6thrust23THRUST_200600_302600_NS4plusIsEEEE10hipError_tPvRmT1_T2_T3_mT4_P12ihipStream_tbEUlT_E0_NS1_11comp_targetILNS1_3genE9ELNS1_11target_archE1100ELNS1_3gpuE3ELNS1_3repE0EEENS1_30default_config_static_selectorELNS0_4arch9wavefront6targetE1EEEvSF_
; %bb.0:
	.section	.rodata,"a",@progbits
	.p2align	6, 0x0
	.amdhsa_kernel _ZN7rocprim17ROCPRIM_400000_NS6detail17trampoline_kernelINS0_14default_configENS1_22reduce_config_selectorIsEEZNS1_11reduce_implILb1ES3_PsS7_sN6thrust23THRUST_200600_302600_NS4plusIsEEEE10hipError_tPvRmT1_T2_T3_mT4_P12ihipStream_tbEUlT_E0_NS1_11comp_targetILNS1_3genE9ELNS1_11target_archE1100ELNS1_3gpuE3ELNS1_3repE0EEENS1_30default_config_static_selectorELNS0_4arch9wavefront6targetE1EEEvSF_
		.amdhsa_group_segment_fixed_size 0
		.amdhsa_private_segment_fixed_size 0
		.amdhsa_kernarg_size 56
		.amdhsa_user_sgpr_count 2
		.amdhsa_user_sgpr_dispatch_ptr 0
		.amdhsa_user_sgpr_queue_ptr 0
		.amdhsa_user_sgpr_kernarg_segment_ptr 1
		.amdhsa_user_sgpr_dispatch_id 0
		.amdhsa_user_sgpr_kernarg_preload_length 0
		.amdhsa_user_sgpr_kernarg_preload_offset 0
		.amdhsa_user_sgpr_private_segment_size 0
		.amdhsa_uses_dynamic_stack 0
		.amdhsa_enable_private_segment 0
		.amdhsa_system_sgpr_workgroup_id_x 1
		.amdhsa_system_sgpr_workgroup_id_y 0
		.amdhsa_system_sgpr_workgroup_id_z 0
		.amdhsa_system_sgpr_workgroup_info 0
		.amdhsa_system_vgpr_workitem_id 0
		.amdhsa_next_free_vgpr 1
		.amdhsa_next_free_sgpr 0
		.amdhsa_accum_offset 4
		.amdhsa_reserve_vcc 0
		.amdhsa_float_round_mode_32 0
		.amdhsa_float_round_mode_16_64 0
		.amdhsa_float_denorm_mode_32 3
		.amdhsa_float_denorm_mode_16_64 3
		.amdhsa_dx10_clamp 1
		.amdhsa_ieee_mode 1
		.amdhsa_fp16_overflow 0
		.amdhsa_tg_split 0
		.amdhsa_exception_fp_ieee_invalid_op 0
		.amdhsa_exception_fp_denorm_src 0
		.amdhsa_exception_fp_ieee_div_zero 0
		.amdhsa_exception_fp_ieee_overflow 0
		.amdhsa_exception_fp_ieee_underflow 0
		.amdhsa_exception_fp_ieee_inexact 0
		.amdhsa_exception_int_div_zero 0
	.end_amdhsa_kernel
	.section	.text._ZN7rocprim17ROCPRIM_400000_NS6detail17trampoline_kernelINS0_14default_configENS1_22reduce_config_selectorIsEEZNS1_11reduce_implILb1ES3_PsS7_sN6thrust23THRUST_200600_302600_NS4plusIsEEEE10hipError_tPvRmT1_T2_T3_mT4_P12ihipStream_tbEUlT_E0_NS1_11comp_targetILNS1_3genE9ELNS1_11target_archE1100ELNS1_3gpuE3ELNS1_3repE0EEENS1_30default_config_static_selectorELNS0_4arch9wavefront6targetE1EEEvSF_,"axG",@progbits,_ZN7rocprim17ROCPRIM_400000_NS6detail17trampoline_kernelINS0_14default_configENS1_22reduce_config_selectorIsEEZNS1_11reduce_implILb1ES3_PsS7_sN6thrust23THRUST_200600_302600_NS4plusIsEEEE10hipError_tPvRmT1_T2_T3_mT4_P12ihipStream_tbEUlT_E0_NS1_11comp_targetILNS1_3genE9ELNS1_11target_archE1100ELNS1_3gpuE3ELNS1_3repE0EEENS1_30default_config_static_selectorELNS0_4arch9wavefront6targetE1EEEvSF_,comdat
.Lfunc_end268:
	.size	_ZN7rocprim17ROCPRIM_400000_NS6detail17trampoline_kernelINS0_14default_configENS1_22reduce_config_selectorIsEEZNS1_11reduce_implILb1ES3_PsS7_sN6thrust23THRUST_200600_302600_NS4plusIsEEEE10hipError_tPvRmT1_T2_T3_mT4_P12ihipStream_tbEUlT_E0_NS1_11comp_targetILNS1_3genE9ELNS1_11target_archE1100ELNS1_3gpuE3ELNS1_3repE0EEENS1_30default_config_static_selectorELNS0_4arch9wavefront6targetE1EEEvSF_, .Lfunc_end268-_ZN7rocprim17ROCPRIM_400000_NS6detail17trampoline_kernelINS0_14default_configENS1_22reduce_config_selectorIsEEZNS1_11reduce_implILb1ES3_PsS7_sN6thrust23THRUST_200600_302600_NS4plusIsEEEE10hipError_tPvRmT1_T2_T3_mT4_P12ihipStream_tbEUlT_E0_NS1_11comp_targetILNS1_3genE9ELNS1_11target_archE1100ELNS1_3gpuE3ELNS1_3repE0EEENS1_30default_config_static_selectorELNS0_4arch9wavefront6targetE1EEEvSF_
                                        ; -- End function
	.set _ZN7rocprim17ROCPRIM_400000_NS6detail17trampoline_kernelINS0_14default_configENS1_22reduce_config_selectorIsEEZNS1_11reduce_implILb1ES3_PsS7_sN6thrust23THRUST_200600_302600_NS4plusIsEEEE10hipError_tPvRmT1_T2_T3_mT4_P12ihipStream_tbEUlT_E0_NS1_11comp_targetILNS1_3genE9ELNS1_11target_archE1100ELNS1_3gpuE3ELNS1_3repE0EEENS1_30default_config_static_selectorELNS0_4arch9wavefront6targetE1EEEvSF_.num_vgpr, 0
	.set _ZN7rocprim17ROCPRIM_400000_NS6detail17trampoline_kernelINS0_14default_configENS1_22reduce_config_selectorIsEEZNS1_11reduce_implILb1ES3_PsS7_sN6thrust23THRUST_200600_302600_NS4plusIsEEEE10hipError_tPvRmT1_T2_T3_mT4_P12ihipStream_tbEUlT_E0_NS1_11comp_targetILNS1_3genE9ELNS1_11target_archE1100ELNS1_3gpuE3ELNS1_3repE0EEENS1_30default_config_static_selectorELNS0_4arch9wavefront6targetE1EEEvSF_.num_agpr, 0
	.set _ZN7rocprim17ROCPRIM_400000_NS6detail17trampoline_kernelINS0_14default_configENS1_22reduce_config_selectorIsEEZNS1_11reduce_implILb1ES3_PsS7_sN6thrust23THRUST_200600_302600_NS4plusIsEEEE10hipError_tPvRmT1_T2_T3_mT4_P12ihipStream_tbEUlT_E0_NS1_11comp_targetILNS1_3genE9ELNS1_11target_archE1100ELNS1_3gpuE3ELNS1_3repE0EEENS1_30default_config_static_selectorELNS0_4arch9wavefront6targetE1EEEvSF_.numbered_sgpr, 0
	.set _ZN7rocprim17ROCPRIM_400000_NS6detail17trampoline_kernelINS0_14default_configENS1_22reduce_config_selectorIsEEZNS1_11reduce_implILb1ES3_PsS7_sN6thrust23THRUST_200600_302600_NS4plusIsEEEE10hipError_tPvRmT1_T2_T3_mT4_P12ihipStream_tbEUlT_E0_NS1_11comp_targetILNS1_3genE9ELNS1_11target_archE1100ELNS1_3gpuE3ELNS1_3repE0EEENS1_30default_config_static_selectorELNS0_4arch9wavefront6targetE1EEEvSF_.num_named_barrier, 0
	.set _ZN7rocprim17ROCPRIM_400000_NS6detail17trampoline_kernelINS0_14default_configENS1_22reduce_config_selectorIsEEZNS1_11reduce_implILb1ES3_PsS7_sN6thrust23THRUST_200600_302600_NS4plusIsEEEE10hipError_tPvRmT1_T2_T3_mT4_P12ihipStream_tbEUlT_E0_NS1_11comp_targetILNS1_3genE9ELNS1_11target_archE1100ELNS1_3gpuE3ELNS1_3repE0EEENS1_30default_config_static_selectorELNS0_4arch9wavefront6targetE1EEEvSF_.private_seg_size, 0
	.set _ZN7rocprim17ROCPRIM_400000_NS6detail17trampoline_kernelINS0_14default_configENS1_22reduce_config_selectorIsEEZNS1_11reduce_implILb1ES3_PsS7_sN6thrust23THRUST_200600_302600_NS4plusIsEEEE10hipError_tPvRmT1_T2_T3_mT4_P12ihipStream_tbEUlT_E0_NS1_11comp_targetILNS1_3genE9ELNS1_11target_archE1100ELNS1_3gpuE3ELNS1_3repE0EEENS1_30default_config_static_selectorELNS0_4arch9wavefront6targetE1EEEvSF_.uses_vcc, 0
	.set _ZN7rocprim17ROCPRIM_400000_NS6detail17trampoline_kernelINS0_14default_configENS1_22reduce_config_selectorIsEEZNS1_11reduce_implILb1ES3_PsS7_sN6thrust23THRUST_200600_302600_NS4plusIsEEEE10hipError_tPvRmT1_T2_T3_mT4_P12ihipStream_tbEUlT_E0_NS1_11comp_targetILNS1_3genE9ELNS1_11target_archE1100ELNS1_3gpuE3ELNS1_3repE0EEENS1_30default_config_static_selectorELNS0_4arch9wavefront6targetE1EEEvSF_.uses_flat_scratch, 0
	.set _ZN7rocprim17ROCPRIM_400000_NS6detail17trampoline_kernelINS0_14default_configENS1_22reduce_config_selectorIsEEZNS1_11reduce_implILb1ES3_PsS7_sN6thrust23THRUST_200600_302600_NS4plusIsEEEE10hipError_tPvRmT1_T2_T3_mT4_P12ihipStream_tbEUlT_E0_NS1_11comp_targetILNS1_3genE9ELNS1_11target_archE1100ELNS1_3gpuE3ELNS1_3repE0EEENS1_30default_config_static_selectorELNS0_4arch9wavefront6targetE1EEEvSF_.has_dyn_sized_stack, 0
	.set _ZN7rocprim17ROCPRIM_400000_NS6detail17trampoline_kernelINS0_14default_configENS1_22reduce_config_selectorIsEEZNS1_11reduce_implILb1ES3_PsS7_sN6thrust23THRUST_200600_302600_NS4plusIsEEEE10hipError_tPvRmT1_T2_T3_mT4_P12ihipStream_tbEUlT_E0_NS1_11comp_targetILNS1_3genE9ELNS1_11target_archE1100ELNS1_3gpuE3ELNS1_3repE0EEENS1_30default_config_static_selectorELNS0_4arch9wavefront6targetE1EEEvSF_.has_recursion, 0
	.set _ZN7rocprim17ROCPRIM_400000_NS6detail17trampoline_kernelINS0_14default_configENS1_22reduce_config_selectorIsEEZNS1_11reduce_implILb1ES3_PsS7_sN6thrust23THRUST_200600_302600_NS4plusIsEEEE10hipError_tPvRmT1_T2_T3_mT4_P12ihipStream_tbEUlT_E0_NS1_11comp_targetILNS1_3genE9ELNS1_11target_archE1100ELNS1_3gpuE3ELNS1_3repE0EEENS1_30default_config_static_selectorELNS0_4arch9wavefront6targetE1EEEvSF_.has_indirect_call, 0
	.section	.AMDGPU.csdata,"",@progbits
; Kernel info:
; codeLenInByte = 0
; TotalNumSgprs: 6
; NumVgprs: 0
; NumAgprs: 0
; TotalNumVgprs: 0
; ScratchSize: 0
; MemoryBound: 0
; FloatMode: 240
; IeeeMode: 1
; LDSByteSize: 0 bytes/workgroup (compile time only)
; SGPRBlocks: 0
; VGPRBlocks: 0
; NumSGPRsForWavesPerEU: 6
; NumVGPRsForWavesPerEU: 1
; AccumOffset: 4
; Occupancy: 8
; WaveLimiterHint : 0
; COMPUTE_PGM_RSRC2:SCRATCH_EN: 0
; COMPUTE_PGM_RSRC2:USER_SGPR: 2
; COMPUTE_PGM_RSRC2:TRAP_HANDLER: 0
; COMPUTE_PGM_RSRC2:TGID_X_EN: 1
; COMPUTE_PGM_RSRC2:TGID_Y_EN: 0
; COMPUTE_PGM_RSRC2:TGID_Z_EN: 0
; COMPUTE_PGM_RSRC2:TIDIG_COMP_CNT: 0
; COMPUTE_PGM_RSRC3_GFX90A:ACCUM_OFFSET: 0
; COMPUTE_PGM_RSRC3_GFX90A:TG_SPLIT: 0
	.section	.text._ZN7rocprim17ROCPRIM_400000_NS6detail17trampoline_kernelINS0_14default_configENS1_22reduce_config_selectorIsEEZNS1_11reduce_implILb1ES3_PsS7_sN6thrust23THRUST_200600_302600_NS4plusIsEEEE10hipError_tPvRmT1_T2_T3_mT4_P12ihipStream_tbEUlT_E0_NS1_11comp_targetILNS1_3genE8ELNS1_11target_archE1030ELNS1_3gpuE2ELNS1_3repE0EEENS1_30default_config_static_selectorELNS0_4arch9wavefront6targetE1EEEvSF_,"axG",@progbits,_ZN7rocprim17ROCPRIM_400000_NS6detail17trampoline_kernelINS0_14default_configENS1_22reduce_config_selectorIsEEZNS1_11reduce_implILb1ES3_PsS7_sN6thrust23THRUST_200600_302600_NS4plusIsEEEE10hipError_tPvRmT1_T2_T3_mT4_P12ihipStream_tbEUlT_E0_NS1_11comp_targetILNS1_3genE8ELNS1_11target_archE1030ELNS1_3gpuE2ELNS1_3repE0EEENS1_30default_config_static_selectorELNS0_4arch9wavefront6targetE1EEEvSF_,comdat
	.protected	_ZN7rocprim17ROCPRIM_400000_NS6detail17trampoline_kernelINS0_14default_configENS1_22reduce_config_selectorIsEEZNS1_11reduce_implILb1ES3_PsS7_sN6thrust23THRUST_200600_302600_NS4plusIsEEEE10hipError_tPvRmT1_T2_T3_mT4_P12ihipStream_tbEUlT_E0_NS1_11comp_targetILNS1_3genE8ELNS1_11target_archE1030ELNS1_3gpuE2ELNS1_3repE0EEENS1_30default_config_static_selectorELNS0_4arch9wavefront6targetE1EEEvSF_ ; -- Begin function _ZN7rocprim17ROCPRIM_400000_NS6detail17trampoline_kernelINS0_14default_configENS1_22reduce_config_selectorIsEEZNS1_11reduce_implILb1ES3_PsS7_sN6thrust23THRUST_200600_302600_NS4plusIsEEEE10hipError_tPvRmT1_T2_T3_mT4_P12ihipStream_tbEUlT_E0_NS1_11comp_targetILNS1_3genE8ELNS1_11target_archE1030ELNS1_3gpuE2ELNS1_3repE0EEENS1_30default_config_static_selectorELNS0_4arch9wavefront6targetE1EEEvSF_
	.globl	_ZN7rocprim17ROCPRIM_400000_NS6detail17trampoline_kernelINS0_14default_configENS1_22reduce_config_selectorIsEEZNS1_11reduce_implILb1ES3_PsS7_sN6thrust23THRUST_200600_302600_NS4plusIsEEEE10hipError_tPvRmT1_T2_T3_mT4_P12ihipStream_tbEUlT_E0_NS1_11comp_targetILNS1_3genE8ELNS1_11target_archE1030ELNS1_3gpuE2ELNS1_3repE0EEENS1_30default_config_static_selectorELNS0_4arch9wavefront6targetE1EEEvSF_
	.p2align	8
	.type	_ZN7rocprim17ROCPRIM_400000_NS6detail17trampoline_kernelINS0_14default_configENS1_22reduce_config_selectorIsEEZNS1_11reduce_implILb1ES3_PsS7_sN6thrust23THRUST_200600_302600_NS4plusIsEEEE10hipError_tPvRmT1_T2_T3_mT4_P12ihipStream_tbEUlT_E0_NS1_11comp_targetILNS1_3genE8ELNS1_11target_archE1030ELNS1_3gpuE2ELNS1_3repE0EEENS1_30default_config_static_selectorELNS0_4arch9wavefront6targetE1EEEvSF_,@function
_ZN7rocprim17ROCPRIM_400000_NS6detail17trampoline_kernelINS0_14default_configENS1_22reduce_config_selectorIsEEZNS1_11reduce_implILb1ES3_PsS7_sN6thrust23THRUST_200600_302600_NS4plusIsEEEE10hipError_tPvRmT1_T2_T3_mT4_P12ihipStream_tbEUlT_E0_NS1_11comp_targetILNS1_3genE8ELNS1_11target_archE1030ELNS1_3gpuE2ELNS1_3repE0EEENS1_30default_config_static_selectorELNS0_4arch9wavefront6targetE1EEEvSF_: ; @_ZN7rocprim17ROCPRIM_400000_NS6detail17trampoline_kernelINS0_14default_configENS1_22reduce_config_selectorIsEEZNS1_11reduce_implILb1ES3_PsS7_sN6thrust23THRUST_200600_302600_NS4plusIsEEEE10hipError_tPvRmT1_T2_T3_mT4_P12ihipStream_tbEUlT_E0_NS1_11comp_targetILNS1_3genE8ELNS1_11target_archE1030ELNS1_3gpuE2ELNS1_3repE0EEENS1_30default_config_static_selectorELNS0_4arch9wavefront6targetE1EEEvSF_
; %bb.0:
	.section	.rodata,"a",@progbits
	.p2align	6, 0x0
	.amdhsa_kernel _ZN7rocprim17ROCPRIM_400000_NS6detail17trampoline_kernelINS0_14default_configENS1_22reduce_config_selectorIsEEZNS1_11reduce_implILb1ES3_PsS7_sN6thrust23THRUST_200600_302600_NS4plusIsEEEE10hipError_tPvRmT1_T2_T3_mT4_P12ihipStream_tbEUlT_E0_NS1_11comp_targetILNS1_3genE8ELNS1_11target_archE1030ELNS1_3gpuE2ELNS1_3repE0EEENS1_30default_config_static_selectorELNS0_4arch9wavefront6targetE1EEEvSF_
		.amdhsa_group_segment_fixed_size 0
		.amdhsa_private_segment_fixed_size 0
		.amdhsa_kernarg_size 56
		.amdhsa_user_sgpr_count 2
		.amdhsa_user_sgpr_dispatch_ptr 0
		.amdhsa_user_sgpr_queue_ptr 0
		.amdhsa_user_sgpr_kernarg_segment_ptr 1
		.amdhsa_user_sgpr_dispatch_id 0
		.amdhsa_user_sgpr_kernarg_preload_length 0
		.amdhsa_user_sgpr_kernarg_preload_offset 0
		.amdhsa_user_sgpr_private_segment_size 0
		.amdhsa_uses_dynamic_stack 0
		.amdhsa_enable_private_segment 0
		.amdhsa_system_sgpr_workgroup_id_x 1
		.amdhsa_system_sgpr_workgroup_id_y 0
		.amdhsa_system_sgpr_workgroup_id_z 0
		.amdhsa_system_sgpr_workgroup_info 0
		.amdhsa_system_vgpr_workitem_id 0
		.amdhsa_next_free_vgpr 1
		.amdhsa_next_free_sgpr 0
		.amdhsa_accum_offset 4
		.amdhsa_reserve_vcc 0
		.amdhsa_float_round_mode_32 0
		.amdhsa_float_round_mode_16_64 0
		.amdhsa_float_denorm_mode_32 3
		.amdhsa_float_denorm_mode_16_64 3
		.amdhsa_dx10_clamp 1
		.amdhsa_ieee_mode 1
		.amdhsa_fp16_overflow 0
		.amdhsa_tg_split 0
		.amdhsa_exception_fp_ieee_invalid_op 0
		.amdhsa_exception_fp_denorm_src 0
		.amdhsa_exception_fp_ieee_div_zero 0
		.amdhsa_exception_fp_ieee_overflow 0
		.amdhsa_exception_fp_ieee_underflow 0
		.amdhsa_exception_fp_ieee_inexact 0
		.amdhsa_exception_int_div_zero 0
	.end_amdhsa_kernel
	.section	.text._ZN7rocprim17ROCPRIM_400000_NS6detail17trampoline_kernelINS0_14default_configENS1_22reduce_config_selectorIsEEZNS1_11reduce_implILb1ES3_PsS7_sN6thrust23THRUST_200600_302600_NS4plusIsEEEE10hipError_tPvRmT1_T2_T3_mT4_P12ihipStream_tbEUlT_E0_NS1_11comp_targetILNS1_3genE8ELNS1_11target_archE1030ELNS1_3gpuE2ELNS1_3repE0EEENS1_30default_config_static_selectorELNS0_4arch9wavefront6targetE1EEEvSF_,"axG",@progbits,_ZN7rocprim17ROCPRIM_400000_NS6detail17trampoline_kernelINS0_14default_configENS1_22reduce_config_selectorIsEEZNS1_11reduce_implILb1ES3_PsS7_sN6thrust23THRUST_200600_302600_NS4plusIsEEEE10hipError_tPvRmT1_T2_T3_mT4_P12ihipStream_tbEUlT_E0_NS1_11comp_targetILNS1_3genE8ELNS1_11target_archE1030ELNS1_3gpuE2ELNS1_3repE0EEENS1_30default_config_static_selectorELNS0_4arch9wavefront6targetE1EEEvSF_,comdat
.Lfunc_end269:
	.size	_ZN7rocprim17ROCPRIM_400000_NS6detail17trampoline_kernelINS0_14default_configENS1_22reduce_config_selectorIsEEZNS1_11reduce_implILb1ES3_PsS7_sN6thrust23THRUST_200600_302600_NS4plusIsEEEE10hipError_tPvRmT1_T2_T3_mT4_P12ihipStream_tbEUlT_E0_NS1_11comp_targetILNS1_3genE8ELNS1_11target_archE1030ELNS1_3gpuE2ELNS1_3repE0EEENS1_30default_config_static_selectorELNS0_4arch9wavefront6targetE1EEEvSF_, .Lfunc_end269-_ZN7rocprim17ROCPRIM_400000_NS6detail17trampoline_kernelINS0_14default_configENS1_22reduce_config_selectorIsEEZNS1_11reduce_implILb1ES3_PsS7_sN6thrust23THRUST_200600_302600_NS4plusIsEEEE10hipError_tPvRmT1_T2_T3_mT4_P12ihipStream_tbEUlT_E0_NS1_11comp_targetILNS1_3genE8ELNS1_11target_archE1030ELNS1_3gpuE2ELNS1_3repE0EEENS1_30default_config_static_selectorELNS0_4arch9wavefront6targetE1EEEvSF_
                                        ; -- End function
	.set _ZN7rocprim17ROCPRIM_400000_NS6detail17trampoline_kernelINS0_14default_configENS1_22reduce_config_selectorIsEEZNS1_11reduce_implILb1ES3_PsS7_sN6thrust23THRUST_200600_302600_NS4plusIsEEEE10hipError_tPvRmT1_T2_T3_mT4_P12ihipStream_tbEUlT_E0_NS1_11comp_targetILNS1_3genE8ELNS1_11target_archE1030ELNS1_3gpuE2ELNS1_3repE0EEENS1_30default_config_static_selectorELNS0_4arch9wavefront6targetE1EEEvSF_.num_vgpr, 0
	.set _ZN7rocprim17ROCPRIM_400000_NS6detail17trampoline_kernelINS0_14default_configENS1_22reduce_config_selectorIsEEZNS1_11reduce_implILb1ES3_PsS7_sN6thrust23THRUST_200600_302600_NS4plusIsEEEE10hipError_tPvRmT1_T2_T3_mT4_P12ihipStream_tbEUlT_E0_NS1_11comp_targetILNS1_3genE8ELNS1_11target_archE1030ELNS1_3gpuE2ELNS1_3repE0EEENS1_30default_config_static_selectorELNS0_4arch9wavefront6targetE1EEEvSF_.num_agpr, 0
	.set _ZN7rocprim17ROCPRIM_400000_NS6detail17trampoline_kernelINS0_14default_configENS1_22reduce_config_selectorIsEEZNS1_11reduce_implILb1ES3_PsS7_sN6thrust23THRUST_200600_302600_NS4plusIsEEEE10hipError_tPvRmT1_T2_T3_mT4_P12ihipStream_tbEUlT_E0_NS1_11comp_targetILNS1_3genE8ELNS1_11target_archE1030ELNS1_3gpuE2ELNS1_3repE0EEENS1_30default_config_static_selectorELNS0_4arch9wavefront6targetE1EEEvSF_.numbered_sgpr, 0
	.set _ZN7rocprim17ROCPRIM_400000_NS6detail17trampoline_kernelINS0_14default_configENS1_22reduce_config_selectorIsEEZNS1_11reduce_implILb1ES3_PsS7_sN6thrust23THRUST_200600_302600_NS4plusIsEEEE10hipError_tPvRmT1_T2_T3_mT4_P12ihipStream_tbEUlT_E0_NS1_11comp_targetILNS1_3genE8ELNS1_11target_archE1030ELNS1_3gpuE2ELNS1_3repE0EEENS1_30default_config_static_selectorELNS0_4arch9wavefront6targetE1EEEvSF_.num_named_barrier, 0
	.set _ZN7rocprim17ROCPRIM_400000_NS6detail17trampoline_kernelINS0_14default_configENS1_22reduce_config_selectorIsEEZNS1_11reduce_implILb1ES3_PsS7_sN6thrust23THRUST_200600_302600_NS4plusIsEEEE10hipError_tPvRmT1_T2_T3_mT4_P12ihipStream_tbEUlT_E0_NS1_11comp_targetILNS1_3genE8ELNS1_11target_archE1030ELNS1_3gpuE2ELNS1_3repE0EEENS1_30default_config_static_selectorELNS0_4arch9wavefront6targetE1EEEvSF_.private_seg_size, 0
	.set _ZN7rocprim17ROCPRIM_400000_NS6detail17trampoline_kernelINS0_14default_configENS1_22reduce_config_selectorIsEEZNS1_11reduce_implILb1ES3_PsS7_sN6thrust23THRUST_200600_302600_NS4plusIsEEEE10hipError_tPvRmT1_T2_T3_mT4_P12ihipStream_tbEUlT_E0_NS1_11comp_targetILNS1_3genE8ELNS1_11target_archE1030ELNS1_3gpuE2ELNS1_3repE0EEENS1_30default_config_static_selectorELNS0_4arch9wavefront6targetE1EEEvSF_.uses_vcc, 0
	.set _ZN7rocprim17ROCPRIM_400000_NS6detail17trampoline_kernelINS0_14default_configENS1_22reduce_config_selectorIsEEZNS1_11reduce_implILb1ES3_PsS7_sN6thrust23THRUST_200600_302600_NS4plusIsEEEE10hipError_tPvRmT1_T2_T3_mT4_P12ihipStream_tbEUlT_E0_NS1_11comp_targetILNS1_3genE8ELNS1_11target_archE1030ELNS1_3gpuE2ELNS1_3repE0EEENS1_30default_config_static_selectorELNS0_4arch9wavefront6targetE1EEEvSF_.uses_flat_scratch, 0
	.set _ZN7rocprim17ROCPRIM_400000_NS6detail17trampoline_kernelINS0_14default_configENS1_22reduce_config_selectorIsEEZNS1_11reduce_implILb1ES3_PsS7_sN6thrust23THRUST_200600_302600_NS4plusIsEEEE10hipError_tPvRmT1_T2_T3_mT4_P12ihipStream_tbEUlT_E0_NS1_11comp_targetILNS1_3genE8ELNS1_11target_archE1030ELNS1_3gpuE2ELNS1_3repE0EEENS1_30default_config_static_selectorELNS0_4arch9wavefront6targetE1EEEvSF_.has_dyn_sized_stack, 0
	.set _ZN7rocprim17ROCPRIM_400000_NS6detail17trampoline_kernelINS0_14default_configENS1_22reduce_config_selectorIsEEZNS1_11reduce_implILb1ES3_PsS7_sN6thrust23THRUST_200600_302600_NS4plusIsEEEE10hipError_tPvRmT1_T2_T3_mT4_P12ihipStream_tbEUlT_E0_NS1_11comp_targetILNS1_3genE8ELNS1_11target_archE1030ELNS1_3gpuE2ELNS1_3repE0EEENS1_30default_config_static_selectorELNS0_4arch9wavefront6targetE1EEEvSF_.has_recursion, 0
	.set _ZN7rocprim17ROCPRIM_400000_NS6detail17trampoline_kernelINS0_14default_configENS1_22reduce_config_selectorIsEEZNS1_11reduce_implILb1ES3_PsS7_sN6thrust23THRUST_200600_302600_NS4plusIsEEEE10hipError_tPvRmT1_T2_T3_mT4_P12ihipStream_tbEUlT_E0_NS1_11comp_targetILNS1_3genE8ELNS1_11target_archE1030ELNS1_3gpuE2ELNS1_3repE0EEENS1_30default_config_static_selectorELNS0_4arch9wavefront6targetE1EEEvSF_.has_indirect_call, 0
	.section	.AMDGPU.csdata,"",@progbits
; Kernel info:
; codeLenInByte = 0
; TotalNumSgprs: 6
; NumVgprs: 0
; NumAgprs: 0
; TotalNumVgprs: 0
; ScratchSize: 0
; MemoryBound: 0
; FloatMode: 240
; IeeeMode: 1
; LDSByteSize: 0 bytes/workgroup (compile time only)
; SGPRBlocks: 0
; VGPRBlocks: 0
; NumSGPRsForWavesPerEU: 6
; NumVGPRsForWavesPerEU: 1
; AccumOffset: 4
; Occupancy: 8
; WaveLimiterHint : 0
; COMPUTE_PGM_RSRC2:SCRATCH_EN: 0
; COMPUTE_PGM_RSRC2:USER_SGPR: 2
; COMPUTE_PGM_RSRC2:TRAP_HANDLER: 0
; COMPUTE_PGM_RSRC2:TGID_X_EN: 1
; COMPUTE_PGM_RSRC2:TGID_Y_EN: 0
; COMPUTE_PGM_RSRC2:TGID_Z_EN: 0
; COMPUTE_PGM_RSRC2:TIDIG_COMP_CNT: 0
; COMPUTE_PGM_RSRC3_GFX90A:ACCUM_OFFSET: 0
; COMPUTE_PGM_RSRC3_GFX90A:TG_SPLIT: 0
	.section	.text._ZN7rocprim17ROCPRIM_400000_NS6detail17trampoline_kernelINS0_14default_configENS1_22reduce_config_selectorIsEEZNS1_11reduce_implILb1ES3_PsS7_sN6thrust23THRUST_200600_302600_NS4plusIsEEEE10hipError_tPvRmT1_T2_T3_mT4_P12ihipStream_tbEUlT_E1_NS1_11comp_targetILNS1_3genE0ELNS1_11target_archE4294967295ELNS1_3gpuE0ELNS1_3repE0EEENS1_30default_config_static_selectorELNS0_4arch9wavefront6targetE1EEEvSF_,"axG",@progbits,_ZN7rocprim17ROCPRIM_400000_NS6detail17trampoline_kernelINS0_14default_configENS1_22reduce_config_selectorIsEEZNS1_11reduce_implILb1ES3_PsS7_sN6thrust23THRUST_200600_302600_NS4plusIsEEEE10hipError_tPvRmT1_T2_T3_mT4_P12ihipStream_tbEUlT_E1_NS1_11comp_targetILNS1_3genE0ELNS1_11target_archE4294967295ELNS1_3gpuE0ELNS1_3repE0EEENS1_30default_config_static_selectorELNS0_4arch9wavefront6targetE1EEEvSF_,comdat
	.protected	_ZN7rocprim17ROCPRIM_400000_NS6detail17trampoline_kernelINS0_14default_configENS1_22reduce_config_selectorIsEEZNS1_11reduce_implILb1ES3_PsS7_sN6thrust23THRUST_200600_302600_NS4plusIsEEEE10hipError_tPvRmT1_T2_T3_mT4_P12ihipStream_tbEUlT_E1_NS1_11comp_targetILNS1_3genE0ELNS1_11target_archE4294967295ELNS1_3gpuE0ELNS1_3repE0EEENS1_30default_config_static_selectorELNS0_4arch9wavefront6targetE1EEEvSF_ ; -- Begin function _ZN7rocprim17ROCPRIM_400000_NS6detail17trampoline_kernelINS0_14default_configENS1_22reduce_config_selectorIsEEZNS1_11reduce_implILb1ES3_PsS7_sN6thrust23THRUST_200600_302600_NS4plusIsEEEE10hipError_tPvRmT1_T2_T3_mT4_P12ihipStream_tbEUlT_E1_NS1_11comp_targetILNS1_3genE0ELNS1_11target_archE4294967295ELNS1_3gpuE0ELNS1_3repE0EEENS1_30default_config_static_selectorELNS0_4arch9wavefront6targetE1EEEvSF_
	.globl	_ZN7rocprim17ROCPRIM_400000_NS6detail17trampoline_kernelINS0_14default_configENS1_22reduce_config_selectorIsEEZNS1_11reduce_implILb1ES3_PsS7_sN6thrust23THRUST_200600_302600_NS4plusIsEEEE10hipError_tPvRmT1_T2_T3_mT4_P12ihipStream_tbEUlT_E1_NS1_11comp_targetILNS1_3genE0ELNS1_11target_archE4294967295ELNS1_3gpuE0ELNS1_3repE0EEENS1_30default_config_static_selectorELNS0_4arch9wavefront6targetE1EEEvSF_
	.p2align	8
	.type	_ZN7rocprim17ROCPRIM_400000_NS6detail17trampoline_kernelINS0_14default_configENS1_22reduce_config_selectorIsEEZNS1_11reduce_implILb1ES3_PsS7_sN6thrust23THRUST_200600_302600_NS4plusIsEEEE10hipError_tPvRmT1_T2_T3_mT4_P12ihipStream_tbEUlT_E1_NS1_11comp_targetILNS1_3genE0ELNS1_11target_archE4294967295ELNS1_3gpuE0ELNS1_3repE0EEENS1_30default_config_static_selectorELNS0_4arch9wavefront6targetE1EEEvSF_,@function
_ZN7rocprim17ROCPRIM_400000_NS6detail17trampoline_kernelINS0_14default_configENS1_22reduce_config_selectorIsEEZNS1_11reduce_implILb1ES3_PsS7_sN6thrust23THRUST_200600_302600_NS4plusIsEEEE10hipError_tPvRmT1_T2_T3_mT4_P12ihipStream_tbEUlT_E1_NS1_11comp_targetILNS1_3genE0ELNS1_11target_archE4294967295ELNS1_3gpuE0ELNS1_3repE0EEENS1_30default_config_static_selectorELNS0_4arch9wavefront6targetE1EEEvSF_: ; @_ZN7rocprim17ROCPRIM_400000_NS6detail17trampoline_kernelINS0_14default_configENS1_22reduce_config_selectorIsEEZNS1_11reduce_implILb1ES3_PsS7_sN6thrust23THRUST_200600_302600_NS4plusIsEEEE10hipError_tPvRmT1_T2_T3_mT4_P12ihipStream_tbEUlT_E1_NS1_11comp_targetILNS1_3genE0ELNS1_11target_archE4294967295ELNS1_3gpuE0ELNS1_3repE0EEENS1_30default_config_static_selectorELNS0_4arch9wavefront6targetE1EEEvSF_
; %bb.0:
	s_load_dword s33, s[0:1], 0x4
	s_load_dwordx4 s[68:71], s[0:1], 0x8
	s_waitcnt lgkmcnt(0)
	s_cmp_lt_i32 s33, 8
	s_cbranch_scc1 .LBB270_12
; %bb.1:
	s_cmp_gt_i32 s33, 31
	s_cbranch_scc0 .LBB270_13
; %bb.2:
	s_cmp_gt_i32 s33, 63
	s_cbranch_scc0 .LBB270_22
; %bb.3:
	s_cmp_eq_u32 s33, 64
	s_mov_b64 s[40:41], 0
	s_cbranch_scc0 .LBB270_23
; %bb.4:
	s_mov_b32 s3, 0
	s_lshl_b32 s4, s2, 13
	s_mov_b32 s5, s3
	s_lshr_b64 s[6:7], s[70:71], 13
	s_lshl_b64 s[8:9], s[4:5], 1
	s_add_u32 s42, s68, s8
	s_addc_u32 s43, s69, s9
	s_cmp_lg_u64 s[6:7], s[2:3]
	s_cbranch_scc0 .LBB270_34
; %bb.5:
	v_lshlrev_b32_e32 v2, 1, v0
	global_load_ushort v1, v2, s[42:43]
	global_load_ushort v10, v2, s[42:43] offset:256
	global_load_ushort v11, v2, s[42:43] offset:512
	;; [unrolled: 1-line block ×8, first 2 shown]
	v_mov_b32_e32 v3, 0
	v_lshl_add_u64 v[4:5], s[42:43], 0, v[2:3]
	s_movk_i32 s5, 0x1000
	v_add_co_u32_e32 v6, vcc, s5, v4
	s_movk_i32 s5, 0x2000
	s_nop 0
	v_addc_co_u32_e32 v7, vcc, 0, v5, vcc
	v_add_co_u32_e32 v8, vcc, s5, v4
	s_movk_i32 s5, 0x3000
	s_nop 0
	v_addc_co_u32_e32 v9, vcc, 0, v5, vcc
	global_load_ushort v18, v2, s[42:43] offset:2304
	global_load_ushort v19, v2, s[42:43] offset:2560
	;; [unrolled: 1-line block ×7, first 2 shown]
	global_load_ushort v25, v[8:9], off offset:-4096
	global_load_ushort v26, v[6:7], off offset:256
	global_load_ushort v27, v[6:7], off offset:512
	;; [unrolled: 1-line block ×7, first 2 shown]
                                        ; kill: killed $vgpr2
	global_load_ushort v33, v[6:7], off offset:2048
	global_load_ushort v34, v[6:7], off offset:2304
	;; [unrolled: 1-line block ×8, first 2 shown]
	global_load_ushort v41, v[8:9], off
	global_load_ushort v42, v[8:9], off offset:256
	global_load_ushort v43, v[8:9], off offset:512
	;; [unrolled: 1-line block ×6, first 2 shown]
                                        ; kill: killed $vgpr6 killed $vgpr7
	global_load_ushort v6, v[8:9], off offset:1792
	global_load_ushort v7, v[8:9], off offset:2048
	;; [unrolled: 1-line block ×9, first 2 shown]
	v_add_co_u32_e32 v2, vcc, s5, v4
	s_waitcnt vmcnt(46)
	v_add_u16_e32 v1, v10, v1
	v_addc_co_u32_e32 v3, vcc, 0, v5, vcc
	global_load_ushort v4, v[2:3], off
	global_load_ushort v5, v[2:3], off offset:256
	global_load_ushort v8, v[2:3], off offset:512
	;; [unrolled: 1-line block ×14, first 2 shown]
	s_nop 0
	global_load_ushort v2, v[2:3], off offset:3840
	s_waitcnt vmcnt(61)
	v_add_u16_e32 v1, v1, v11
	s_waitcnt vmcnt(60)
	v_add_u16_e32 v1, v1, v12
	;; [unrolled: 2-line block ×62, first 2 shown]
	v_mbcnt_lo_u32_b32 v2, -1, 0
	v_mbcnt_hi_u32_b32 v2, -1, v2
	v_add_u16_dpp v1, v1, v1 quad_perm:[1,0,3,2] row_mask:0xf bank_mask:0xf bound_ctrl:1
	v_lshlrev_b32_e32 v3, 2, v2
	v_or_b32_e32 v4, 0xfc, v3
	v_add_u16_dpp v1, v1, v1 quad_perm:[2,3,0,1] row_mask:0xf bank_mask:0xf bound_ctrl:1
	v_cmp_eq_u32_e32 vcc, 0, v2
	s_nop 0
	v_add_u16_dpp v1, v1, v1 row_ror:4 row_mask:0xf bank_mask:0xf bound_ctrl:1
	s_nop 1
	v_add_u16_dpp v1, v1, v1 row_ror:8 row_mask:0xf bank_mask:0xf bound_ctrl:1
	s_nop 1
	v_add_u16_dpp v1, v1, v1 row_bcast:15 row_mask:0xf bank_mask:0xf bound_ctrl:1
	s_nop 1
	v_add_u16_dpp v1, v1, v1 row_bcast:31 row_mask:0xf bank_mask:0xf bound_ctrl:1
	ds_bpermute_b32 v1, v4, v1
	s_and_saveexec_b64 s[6:7], vcc
	s_cbranch_execz .LBB270_7
; %bb.6:
	v_lshrrev_b32_e32 v4, 5, v0
	v_and_b32_e32 v4, 2, v4
	s_waitcnt lgkmcnt(0)
	ds_write_b16 v4, v1 offset:20
.LBB270_7:
	s_or_b64 exec, exec, s[6:7]
	v_cmp_gt_u32_e32 vcc, 64, v0
	s_waitcnt lgkmcnt(0)
	s_barrier
	s_and_saveexec_b64 s[6:7], vcc
	s_cbranch_execz .LBB270_9
; %bb.8:
	v_and_b32_e32 v1, 1, v2
	v_lshlrev_b32_e32 v1, 1, v1
	ds_read_u16 v1, v1 offset:20
	v_or_b32_e32 v2, 4, v3
	s_waitcnt lgkmcnt(0)
	v_and_b32_e32 v3, 0xffff, v1
	ds_bpermute_b32 v2, v2, v3
	s_waitcnt lgkmcnt(0)
	v_add_u16_e32 v1, v1, v2
.LBB270_9:
	s_or_b64 exec, exec, s[6:7]
.LBB270_10:
	v_cmp_eq_u32_e64 s[4:5], 0, v0
	s_and_b64 vcc, exec, s[40:41]
	s_cbranch_vccnz .LBB270_24
.LBB270_11:
	s_branch .LBB270_288
.LBB270_12:
	s_mov_b64 s[4:5], 0
                                        ; implicit-def: $vgpr1
	s_cbranch_execz .LBB270_371
	s_branch .LBB270_289
.LBB270_13:
	s_mov_b64 s[4:5], 0
                                        ; implicit-def: $vgpr1
	s_cbranch_execz .LBB270_288
; %bb.14:
	s_cmp_gt_i32 s33, 15
	s_cbranch_scc0 .LBB270_31
; %bb.15:
	s_cmp_eq_u32 s33, 16
	s_cbranch_scc0 .LBB270_32
; %bb.16:
	s_mov_b32 s3, 0
	s_lshl_b32 s4, s2, 11
	s_mov_b32 s5, s3
	s_lshr_b64 s[6:7], s[70:71], 11
	s_lshl_b64 s[8:9], s[4:5], 1
	s_add_u32 s34, s68, s8
	s_addc_u32 s35, s69, s9
	s_cmp_lg_u64 s[6:7], s[2:3]
	s_cbranch_scc0 .LBB270_168
; %bb.17:
	v_lshlrev_b32_e32 v1, 1, v0
	global_load_ushort v4, v1, s[34:35]
	global_load_ushort v5, v1, s[34:35] offset:256
	global_load_ushort v6, v1, s[34:35] offset:512
	;; [unrolled: 1-line block ×14, first 2 shown]
	s_nop 0
	global_load_ushort v1, v1, s[34:35] offset:3840
	v_mbcnt_lo_u32_b32 v2, -1, 0
	v_mbcnt_hi_u32_b32 v2, -1, v2
	v_lshlrev_b32_e32 v3, 2, v2
	v_cmp_eq_u32_e32 vcc, 0, v2
	s_waitcnt vmcnt(14)
	v_add_u16_e32 v4, v5, v4
	s_waitcnt vmcnt(13)
	v_add_u16_e32 v4, v4, v6
	;; [unrolled: 2-line block ×15, first 2 shown]
	v_or_b32_e32 v4, 0xfc, v3
	s_nop 0
	v_add_u16_dpp v1, v1, v1 quad_perm:[1,0,3,2] row_mask:0xf bank_mask:0xf bound_ctrl:1
	s_nop 1
	v_add_u16_dpp v1, v1, v1 quad_perm:[2,3,0,1] row_mask:0xf bank_mask:0xf bound_ctrl:1
	s_nop 1
	v_add_u16_dpp v1, v1, v1 row_ror:4 row_mask:0xf bank_mask:0xf bound_ctrl:1
	s_nop 1
	v_add_u16_dpp v1, v1, v1 row_ror:8 row_mask:0xf bank_mask:0xf bound_ctrl:1
	s_nop 1
	v_add_u16_dpp v1, v1, v1 row_bcast:15 row_mask:0xf bank_mask:0xf bound_ctrl:1
	s_nop 1
	v_add_u16_dpp v1, v1, v1 row_bcast:31 row_mask:0xf bank_mask:0xf bound_ctrl:1
	ds_bpermute_b32 v1, v4, v1
	s_and_saveexec_b64 s[6:7], vcc
	s_cbranch_execz .LBB270_19
; %bb.18:
	v_lshrrev_b32_e32 v4, 5, v0
	v_and_b32_e32 v4, 2, v4
	s_waitcnt lgkmcnt(0)
	ds_write_b16 v4, v1
.LBB270_19:
	s_or_b64 exec, exec, s[6:7]
	v_cmp_gt_u32_e32 vcc, 64, v0
	s_waitcnt lgkmcnt(0)
	s_barrier
	s_and_saveexec_b64 s[6:7], vcc
	s_cbranch_execz .LBB270_21
; %bb.20:
	v_and_b32_e32 v1, 1, v2
	v_lshlrev_b32_e32 v1, 1, v1
	ds_read_u16 v1, v1
	v_or_b32_e32 v2, 4, v3
	s_waitcnt lgkmcnt(0)
	v_and_b32_e32 v3, 0xffff, v1
	ds_bpermute_b32 v2, v2, v3
	s_waitcnt lgkmcnt(0)
	v_add_u16_e32 v1, v1, v2
.LBB270_21:
	s_or_b64 exec, exec, s[6:7]
	s_mov_b64 s[6:7], 0
	s_branch .LBB270_169
.LBB270_22:
	s_mov_b64 s[40:41], -1
.LBB270_23:
	s_mov_b64 s[4:5], 0
                                        ; implicit-def: $vgpr1
	s_and_b64 vcc, exec, s[40:41]
	s_cbranch_vccz .LBB270_11
.LBB270_24:
	s_cmp_eq_u32 s33, 32
	s_cbranch_scc0 .LBB270_33
; %bb.25:
	s_mov_b32 s3, 0
	s_lshl_b32 s4, s2, 12
	s_mov_b32 s5, s3
	s_lshr_b64 s[6:7], s[70:71], 12
	s_lshl_b64 s[8:9], s[4:5], 1
	s_add_u32 s66, s68, s8
	s_addc_u32 s67, s69, s9
	s_cmp_lg_u64 s[6:7], s[2:3]
	s_cbranch_scc0 .LBB270_216
; %bb.26:
	v_lshlrev_b32_e32 v2, 1, v0
	global_load_ushort v1, v2, s[66:67]
	global_load_ushort v6, v2, s[66:67] offset:256
	global_load_ushort v7, v2, s[66:67] offset:512
	;; [unrolled: 1-line block ×15, first 2 shown]
	v_mov_b32_e32 v3, 0
	v_lshl_add_u64 v[4:5], s[66:67], 0, v[2:3]
	s_movk_i32 s5, 0x1000
	v_add_co_u32_e32 v2, vcc, s5, v4
	s_waitcnt vmcnt(14)
	v_add_u16_e32 v1, v6, v1
	v_addc_co_u32_e32 v3, vcc, 0, v5, vcc
	global_load_ushort v4, v[2:3], off
	global_load_ushort v5, v[2:3], off offset:256
	global_load_ushort v21, v[2:3], off offset:512
	;; [unrolled: 1-line block ×15, first 2 shown]
	s_waitcnt vmcnt(29)
	v_add_u16_e32 v1, v1, v7
	s_waitcnt vmcnt(28)
	v_add_u16_e32 v1, v1, v8
	;; [unrolled: 2-line block ×14, first 2 shown]
	v_mbcnt_lo_u32_b32 v2, -1, 0
	v_mbcnt_hi_u32_b32 v2, -1, v2
	v_lshlrev_b32_e32 v3, 2, v2
	v_cmp_eq_u32_e32 vcc, 0, v2
	s_waitcnt vmcnt(15)
	v_add_u16_e32 v1, v1, v4
	s_waitcnt vmcnt(14)
	v_add_u16_e32 v1, v1, v5
	;; [unrolled: 2-line block ×16, first 2 shown]
	v_or_b32_e32 v4, 0xfc, v3
	s_nop 0
	v_add_u16_dpp v1, v1, v1 quad_perm:[1,0,3,2] row_mask:0xf bank_mask:0xf bound_ctrl:1
	s_nop 1
	v_add_u16_dpp v1, v1, v1 quad_perm:[2,3,0,1] row_mask:0xf bank_mask:0xf bound_ctrl:1
	s_nop 1
	v_add_u16_dpp v1, v1, v1 row_ror:4 row_mask:0xf bank_mask:0xf bound_ctrl:1
	s_nop 1
	v_add_u16_dpp v1, v1, v1 row_ror:8 row_mask:0xf bank_mask:0xf bound_ctrl:1
	s_nop 1
	v_add_u16_dpp v1, v1, v1 row_bcast:15 row_mask:0xf bank_mask:0xf bound_ctrl:1
	s_nop 1
	v_add_u16_dpp v1, v1, v1 row_bcast:31 row_mask:0xf bank_mask:0xf bound_ctrl:1
	ds_bpermute_b32 v1, v4, v1
	s_and_saveexec_b64 s[6:7], vcc
	s_cbranch_execz .LBB270_28
; %bb.27:
	v_lshrrev_b32_e32 v4, 5, v0
	v_and_b32_e32 v4, 2, v4
	s_waitcnt lgkmcnt(0)
	ds_write_b16 v4, v1 offset:12
.LBB270_28:
	s_or_b64 exec, exec, s[6:7]
	v_cmp_gt_u32_e32 vcc, 64, v0
	s_waitcnt lgkmcnt(0)
	s_barrier
	s_and_saveexec_b64 s[6:7], vcc
	s_cbranch_execz .LBB270_30
; %bb.29:
	v_and_b32_e32 v1, 1, v2
	v_lshlrev_b32_e32 v1, 1, v1
	ds_read_u16 v1, v1 offset:12
	v_or_b32_e32 v2, 4, v3
	s_waitcnt lgkmcnt(0)
	v_and_b32_e32 v3, 0xffff, v1
	ds_bpermute_b32 v2, v2, v3
	s_waitcnt lgkmcnt(0)
	v_add_u16_e32 v1, v1, v2
.LBB270_30:
	s_or_b64 exec, exec, s[6:7]
	s_mov_b64 s[6:7], 0
	s_branch .LBB270_217
.LBB270_31:
                                        ; implicit-def: $vgpr1
	s_cbranch_execz .LBB270_288
	s_branch .LBB270_208
.LBB270_32:
                                        ; implicit-def: $vgpr1
	s_branch .LBB270_288
.LBB270_33:
                                        ; implicit-def: $vgpr1
	s_branch .LBB270_288
.LBB270_34:
                                        ; implicit-def: $vgpr1
	s_cbranch_execz .LBB270_10
; %bb.35:
	s_sub_i32 s46, s70, s4
	s_mov_b32 s4, 0
	s_mov_b32 s18, s4
	;; [unrolled: 1-line block ×16, first 2 shown]
	v_mov_b64_e32 v[32:33], s[18:19]
	v_mov_b64_e32 v[18:19], s[4:5]
	;; [unrolled: 1-line block ×9, first 2 shown]
	v_cmp_gt_u32_e32 vcc, s46, v0
	v_mov_b64_e32 v[4:5], v[20:21]
	v_mov_b64_e32 v[6:7], v[22:23]
	;; [unrolled: 1-line block ×7, first 2 shown]
	s_and_saveexec_b64 s[4:5], vcc
	s_cbranch_execz .LBB270_37
; %bb.36:
	v_lshlrev_b32_e32 v1, 1, v0
	global_load_ushort v1, v1, s[42:43]
	v_mov_b32_e32 v19, 0
	v_mov_b32_e32 v20, v19
	;; [unrolled: 1-line block ×31, first 2 shown]
	s_waitcnt vmcnt(0)
	v_and_b32_e32 v18, 0xffff, v1
.LBB270_37:
	s_or_b64 exec, exec, s[4:5]
	v_or_b32_e32 v1, 0x80, v0
	v_cmp_gt_u32_e32 vcc, s46, v1
	s_and_saveexec_b64 s[4:5], vcc
	s_cbranch_execz .LBB270_39
; %bb.38:
	v_lshlrev_b32_e32 v1, 1, v0
	global_load_ushort v1, v1, s[42:43] offset:256
	s_mov_b32 s6, 0x5040100
	s_waitcnt vmcnt(0)
	v_perm_b32 v18, v1, v18, s6
.LBB270_39:
	s_or_b64 exec, exec, s[4:5]
	v_or_b32_e32 v1, 0x100, v0
	v_cmp_gt_u32_e64 s[6:7], s46, v1
	s_mov_b64 s[4:5], exec
                                        ; implicit-def: $vgpr66 : SGPR spill to VGPR lane
	s_nop 0
	v_writelane_b32 v66, s6, 0
	s_nop 1
	v_writelane_b32 v66, s7, 1
	s_and_b64 s[6:7], s[4:5], s[6:7]
	s_mov_b64 exec, s[6:7]
	s_cbranch_execz .LBB270_41
; %bb.40:
	v_lshlrev_b32_e32 v1, 1, v0
	global_load_ushort v1, v1, s[42:43] offset:512
	s_mov_b32 s6, 0xffff
	s_waitcnt vmcnt(0)
	v_bfi_b32 v19, s6, v1, v19
.LBB270_41:
	s_or_b64 exec, exec, s[4:5]
	v_or_b32_e32 v1, 0x180, v0
	v_cmp_gt_u32_e64 s[6:7], s46, v1
	s_mov_b64 s[4:5], exec
	s_nop 0
	v_writelane_b32 v66, s6, 2
	s_nop 1
	v_writelane_b32 v66, s7, 3
	s_and_b64 s[6:7], s[4:5], s[6:7]
	s_mov_b64 exec, s[6:7]
	s_cbranch_execz .LBB270_43
; %bb.42:
	v_lshlrev_b32_e32 v1, 1, v0
	global_load_ushort v1, v1, s[42:43] offset:768
	s_mov_b32 s6, 0x5040100
	s_waitcnt vmcnt(0)
	v_perm_b32 v19, v1, v19, s6
.LBB270_43:
	s_or_b64 exec, exec, s[4:5]
	v_or_b32_e32 v1, 0x200, v0
	v_cmp_gt_u32_e64 s[6:7], s46, v1
	s_mov_b64 s[4:5], exec
	s_nop 0
	v_writelane_b32 v66, s6, 4
	s_nop 1
	v_writelane_b32 v66, s7, 5
	s_and_b64 s[6:7], s[4:5], s[6:7]
	s_mov_b64 exec, s[6:7]
	s_cbranch_execz .LBB270_45
; %bb.44:
	v_lshlrev_b32_e32 v1, 1, v0
	global_load_ushort v1, v1, s[42:43] offset:1024
	s_mov_b32 s6, 0xffff
	s_waitcnt vmcnt(0)
	v_bfi_b32 v20, s6, v1, v20
.LBB270_45:
	s_or_b64 exec, exec, s[4:5]
	v_or_b32_e32 v1, 0x280, v0
	v_cmp_gt_u32_e64 s[6:7], s46, v1
	s_mov_b64 s[4:5], exec
	s_nop 0
	v_writelane_b32 v66, s6, 6
	s_nop 1
	v_writelane_b32 v66, s7, 7
	s_and_b64 s[6:7], s[4:5], s[6:7]
	s_mov_b64 exec, s[6:7]
	s_cbranch_execz .LBB270_47
; %bb.46:
	v_lshlrev_b32_e32 v1, 1, v0
	global_load_ushort v1, v1, s[42:43] offset:1280
	s_mov_b32 s6, 0x5040100
	s_waitcnt vmcnt(0)
	v_perm_b32 v20, v1, v20, s6
.LBB270_47:
	s_or_b64 exec, exec, s[4:5]
	v_or_b32_e32 v1, 0x300, v0
	v_cmp_gt_u32_e64 s[6:7], s46, v1
	s_mov_b64 s[4:5], exec
	;; [unrolled: 36-line block ×7, first 2 shown]
	s_nop 0
	v_writelane_b32 v66, s6, 28
	s_nop 1
	v_writelane_b32 v66, s7, 29
	s_and_b64 s[6:7], s[4:5], s[6:7]
	s_mov_b64 exec, s[6:7]
	s_cbranch_execz .LBB270_69
; %bb.68:
	v_lshlrev_b32_e32 v1, 1, v1
	global_load_ushort v1, v1, s[42:43]
	s_mov_b32 s6, 0xffff
	s_waitcnt vmcnt(0)
	v_bfi_b32 v26, s6, v1, v26
.LBB270_69:
	s_or_b64 exec, exec, s[4:5]
	v_or_b32_e32 v1, 0x880, v0
	v_cmp_gt_u32_e64 s[6:7], s46, v1
	s_mov_b64 s[4:5], exec
	s_nop 0
	v_writelane_b32 v66, s6, 30
	s_nop 1
	v_writelane_b32 v66, s7, 31
	s_and_b64 s[6:7], s[4:5], s[6:7]
	s_mov_b64 exec, s[6:7]
	s_cbranch_execz .LBB270_71
; %bb.70:
	v_lshlrev_b32_e32 v1, 1, v1
	global_load_ushort v1, v1, s[42:43]
	s_mov_b32 s6, 0x5040100
	s_waitcnt vmcnt(0)
	v_perm_b32 v26, v1, v26, s6
.LBB270_71:
	s_or_b64 exec, exec, s[4:5]
	v_or_b32_e32 v1, 0x900, v0
	v_cmp_gt_u32_e64 s[6:7], s46, v1
	s_mov_b64 s[4:5], exec
	s_nop 0
	v_writelane_b32 v66, s6, 32
	s_nop 1
	v_writelane_b32 v66, s7, 33
	s_and_b64 s[6:7], s[4:5], s[6:7]
	s_mov_b64 exec, s[6:7]
	s_cbranch_execz .LBB270_73
; %bb.72:
	v_lshlrev_b32_e32 v1, 1, v1
	global_load_ushort v1, v1, s[42:43]
	s_mov_b32 s6, 0xffff
	s_waitcnt vmcnt(0)
	v_bfi_b32 v27, s6, v1, v27
.LBB270_73:
	s_or_b64 exec, exec, s[4:5]
	v_or_b32_e32 v1, 0x980, v0
	v_cmp_gt_u32_e64 s[6:7], s46, v1
	s_mov_b64 s[4:5], exec
	s_nop 0
	v_writelane_b32 v66, s6, 34
	s_nop 1
	v_writelane_b32 v66, s7, 35
	s_and_b64 s[6:7], s[4:5], s[6:7]
	s_mov_b64 exec, s[6:7]
	s_cbranch_execz .LBB270_75
; %bb.74:
	v_lshlrev_b32_e32 v1, 1, v1
	global_load_ushort v1, v1, s[42:43]
	s_mov_b32 s6, 0x5040100
	s_waitcnt vmcnt(0)
	v_perm_b32 v27, v1, v27, s6
.LBB270_75:
	s_or_b64 exec, exec, s[4:5]
	v_or_b32_e32 v1, 0xa00, v0
	v_cmp_gt_u32_e64 s[6:7], s46, v1
	s_mov_b64 s[4:5], exec
	;; [unrolled: 36-line block ×3, first 2 shown]
	s_nop 0
	v_writelane_b32 v66, s6, 40
	s_nop 1
	v_writelane_b32 v66, s7, 41
	s_and_b64 s[6:7], s[4:5], s[6:7]
	s_mov_b64 exec, s[6:7]
	s_cbranch_execz .LBB270_81
; %bb.80:
	v_lshlrev_b32_e32 v1, 1, v1
	global_load_ushort v1, v1, s[42:43]
	s_mov_b32 s6, 0xffff
	s_waitcnt vmcnt(0)
	v_bfi_b32 v29, s6, v1, v29
.LBB270_81:
	s_or_b64 exec, exec, s[4:5]
	v_or_b32_e32 v1, 0xb80, v0
	v_cmp_gt_u32_e64 s[6:7], s46, v1
	s_mov_b64 s[4:5], exec
	s_nop 0
	v_writelane_b32 v66, s6, 42
	s_nop 1
	v_writelane_b32 v66, s7, 43
	s_and_b64 s[6:7], s[4:5], s[6:7]
	s_mov_b64 exec, s[6:7]
	s_cbranch_execz .LBB270_83
; %bb.82:
	v_lshlrev_b32_e32 v1, 1, v1
	global_load_ushort v1, v1, s[42:43]
	s_mov_b32 s6, 0x5040100
	s_waitcnt vmcnt(0)
	v_perm_b32 v29, v1, v29, s6
.LBB270_83:
	s_or_b64 exec, exec, s[4:5]
	v_or_b32_e32 v1, 0xc00, v0
	v_cmp_gt_u32_e64 s[50:51], s46, v1
	s_and_saveexec_b64 s[4:5], s[50:51]
	s_cbranch_execz .LBB270_85
; %bb.84:
	v_lshlrev_b32_e32 v1, 1, v1
	global_load_ushort v1, v1, s[42:43]
	s_mov_b32 s6, 0xffff
	s_waitcnt vmcnt(0)
	v_bfi_b32 v30, s6, v1, v30
.LBB270_85:
	s_or_b64 exec, exec, s[4:5]
	v_or_b32_e32 v1, 0xc80, v0
	v_cmp_gt_u32_e64 s[52:53], s46, v1
	s_and_saveexec_b64 s[4:5], s[52:53]
	s_cbranch_execz .LBB270_87
; %bb.86:
	v_lshlrev_b32_e32 v1, 1, v1
	global_load_ushort v1, v1, s[42:43]
	s_mov_b32 s6, 0x5040100
	s_waitcnt vmcnt(0)
	v_perm_b32 v30, v1, v30, s6
.LBB270_87:
	s_or_b64 exec, exec, s[4:5]
	v_or_b32_e32 v1, 0xd00, v0
	v_cmp_gt_u32_e64 s[54:55], s46, v1
	s_and_saveexec_b64 s[4:5], s[54:55]
	s_cbranch_execz .LBB270_89
; %bb.88:
	v_lshlrev_b32_e32 v1, 1, v1
	global_load_ushort v1, v1, s[42:43]
	s_mov_b32 s6, 0xffff
	s_waitcnt vmcnt(0)
	v_bfi_b32 v31, s6, v1, v31
.LBB270_89:
	s_or_b64 exec, exec, s[4:5]
	v_or_b32_e32 v1, 0xd80, v0
	v_cmp_gt_u32_e64 s[56:57], s46, v1
	s_and_saveexec_b64 s[4:5], s[56:57]
	s_cbranch_execz .LBB270_91
; %bb.90:
	v_lshlrev_b32_e32 v1, 1, v1
	global_load_ushort v1, v1, s[42:43]
	s_mov_b32 s6, 0x5040100
	s_waitcnt vmcnt(0)
	v_perm_b32 v31, v1, v31, s6
.LBB270_91:
	s_or_b64 exec, exec, s[4:5]
	v_or_b32_e32 v1, 0xe00, v0
	v_cmp_gt_u32_e64 s[58:59], s46, v1
	s_and_saveexec_b64 s[4:5], s[58:59]
	s_cbranch_execz .LBB270_93
; %bb.92:
	v_lshlrev_b32_e32 v1, 1, v1
	global_load_ushort v1, v1, s[42:43]
	s_mov_b32 s6, 0xffff
	s_waitcnt vmcnt(0)
	v_bfi_b32 v32, s6, v1, v32
.LBB270_93:
	s_or_b64 exec, exec, s[4:5]
	v_or_b32_e32 v1, 0xe80, v0
	v_cmp_gt_u32_e64 s[60:61], s46, v1
	s_and_saveexec_b64 s[4:5], s[60:61]
	s_cbranch_execz .LBB270_95
; %bb.94:
	v_lshlrev_b32_e32 v1, 1, v1
	global_load_ushort v1, v1, s[42:43]
	s_mov_b32 s6, 0x5040100
	s_waitcnt vmcnt(0)
	v_perm_b32 v32, v1, v32, s6
.LBB270_95:
	s_or_b64 exec, exec, s[4:5]
	v_or_b32_e32 v1, 0xf00, v0
	v_cmp_gt_u32_e64 s[62:63], s46, v1
	s_and_saveexec_b64 s[4:5], s[62:63]
	s_cbranch_execz .LBB270_97
; %bb.96:
	v_lshlrev_b32_e32 v1, 1, v1
	global_load_ushort v1, v1, s[42:43]
	s_mov_b32 s6, 0xffff
	s_waitcnt vmcnt(0)
	v_bfi_b32 v33, s6, v1, v33
.LBB270_97:
	s_or_b64 exec, exec, s[4:5]
	v_or_b32_e32 v1, 0xf80, v0
	v_cmp_gt_u32_e64 s[64:65], s46, v1
	s_and_saveexec_b64 s[4:5], s[64:65]
	s_cbranch_execz .LBB270_99
; %bb.98:
	v_lshlrev_b32_e32 v1, 1, v1
	global_load_ushort v1, v1, s[42:43]
	s_mov_b32 s6, 0x5040100
	s_waitcnt vmcnt(0)
	v_perm_b32 v33, v1, v33, s6
.LBB270_99:
	s_or_b64 exec, exec, s[4:5]
	v_or_b32_e32 v1, 0x1000, v0
	v_cmp_gt_u32_e64 s[66:67], s46, v1
	s_and_saveexec_b64 s[4:5], s[66:67]
	s_cbranch_execz .LBB270_101
; %bb.100:
	v_lshlrev_b32_e32 v1, 1, v1
	global_load_ushort v1, v1, s[42:43]
	s_mov_b32 s6, 0xffff
	s_waitcnt vmcnt(0)
	v_bfi_b32 v2, s6, v1, v2
.LBB270_101:
	s_or_b64 exec, exec, s[4:5]
	v_or_b32_e32 v1, 0x1080, v0
	v_cmp_gt_u32_e64 s[36:37], s46, v1
	s_and_saveexec_b64 s[4:5], s[36:37]
	s_cbranch_execz .LBB270_103
; %bb.102:
	v_lshlrev_b32_e32 v1, 1, v1
	global_load_ushort v1, v1, s[42:43]
	s_mov_b32 s6, 0x5040100
	s_waitcnt vmcnt(0)
	v_perm_b32 v2, v1, v2, s6
.LBB270_103:
	s_or_b64 exec, exec, s[4:5]
	v_or_b32_e32 v1, 0x1100, v0
	v_cmp_gt_u32_e64 s[38:39], s46, v1
	s_and_saveexec_b64 s[4:5], s[38:39]
	s_cbranch_execz .LBB270_105
; %bb.104:
	v_lshlrev_b32_e32 v1, 1, v1
	global_load_ushort v1, v1, s[42:43]
	s_mov_b32 s6, 0xffff
	s_waitcnt vmcnt(0)
	v_bfi_b32 v3, s6, v1, v3
.LBB270_105:
	s_or_b64 exec, exec, s[4:5]
	v_or_b32_e32 v1, 0x1180, v0
	v_cmp_gt_u32_e64 s[72:73], s46, v1
	s_and_saveexec_b64 s[4:5], s[72:73]
	s_cbranch_execz .LBB270_107
; %bb.106:
	v_lshlrev_b32_e32 v1, 1, v1
	global_load_ushort v1, v1, s[42:43]
	s_mov_b32 s6, 0x5040100
	s_waitcnt vmcnt(0)
	v_perm_b32 v3, v1, v3, s6
.LBB270_107:
	s_or_b64 exec, exec, s[4:5]
	v_or_b32_e32 v1, 0x1200, v0
	v_cmp_gt_u32_e64 s[74:75], s46, v1
	s_and_saveexec_b64 s[4:5], s[74:75]
	s_cbranch_execz .LBB270_109
; %bb.108:
	v_lshlrev_b32_e32 v1, 1, v1
	global_load_ushort v1, v1, s[42:43]
	s_mov_b32 s6, 0xffff
	s_waitcnt vmcnt(0)
	v_bfi_b32 v4, s6, v1, v4
.LBB270_109:
	s_or_b64 exec, exec, s[4:5]
	v_or_b32_e32 v1, 0x1280, v0
	v_cmp_gt_u32_e64 s[76:77], s46, v1
	s_and_saveexec_b64 s[4:5], s[76:77]
	s_cbranch_execz .LBB270_111
; %bb.110:
	v_lshlrev_b32_e32 v1, 1, v1
	global_load_ushort v1, v1, s[42:43]
	s_mov_b32 s6, 0x5040100
	s_waitcnt vmcnt(0)
	v_perm_b32 v4, v1, v4, s6
.LBB270_111:
	s_or_b64 exec, exec, s[4:5]
	v_or_b32_e32 v1, 0x1300, v0
	v_cmp_gt_u32_e64 s[78:79], s46, v1
	s_and_saveexec_b64 s[4:5], s[78:79]
	s_cbranch_execz .LBB270_113
; %bb.112:
	v_lshlrev_b32_e32 v1, 1, v1
	global_load_ushort v1, v1, s[42:43]
	s_mov_b32 s6, 0xffff
	s_waitcnt vmcnt(0)
	v_bfi_b32 v5, s6, v1, v5
.LBB270_113:
	s_or_b64 exec, exec, s[4:5]
	v_or_b32_e32 v1, 0x1380, v0
	v_cmp_gt_u32_e64 s[80:81], s46, v1
	s_and_saveexec_b64 s[4:5], s[80:81]
	s_cbranch_execz .LBB270_115
; %bb.114:
	v_lshlrev_b32_e32 v1, 1, v1
	global_load_ushort v1, v1, s[42:43]
	s_mov_b32 s6, 0x5040100
	s_waitcnt vmcnt(0)
	v_perm_b32 v5, v1, v5, s6
.LBB270_115:
	s_or_b64 exec, exec, s[4:5]
	v_or_b32_e32 v1, 0x1400, v0
	v_cmp_gt_u32_e64 s[82:83], s46, v1
	s_and_saveexec_b64 s[4:5], s[82:83]
	s_cbranch_execz .LBB270_117
; %bb.116:
	v_lshlrev_b32_e32 v1, 1, v1
	global_load_ushort v1, v1, s[42:43]
	s_mov_b32 s6, 0xffff
	s_waitcnt vmcnt(0)
	v_bfi_b32 v6, s6, v1, v6
.LBB270_117:
	s_or_b64 exec, exec, s[4:5]
	v_or_b32_e32 v1, 0x1480, v0
	v_cmp_gt_u32_e64 s[84:85], s46, v1
	s_and_saveexec_b64 s[4:5], s[84:85]
	s_cbranch_execz .LBB270_119
; %bb.118:
	v_lshlrev_b32_e32 v1, 1, v1
	global_load_ushort v1, v1, s[42:43]
	s_mov_b32 s6, 0x5040100
	s_waitcnt vmcnt(0)
	v_perm_b32 v6, v1, v6, s6
.LBB270_119:
	s_or_b64 exec, exec, s[4:5]
	v_or_b32_e32 v1, 0x1500, v0
	v_cmp_gt_u32_e64 s[86:87], s46, v1
	s_and_saveexec_b64 s[4:5], s[86:87]
	s_cbranch_execz .LBB270_121
; %bb.120:
	v_lshlrev_b32_e32 v1, 1, v1
	global_load_ushort v1, v1, s[42:43]
	s_mov_b32 s6, 0xffff
	s_waitcnt vmcnt(0)
	v_bfi_b32 v7, s6, v1, v7
.LBB270_121:
	s_or_b64 exec, exec, s[4:5]
	v_or_b32_e32 v1, 0x1580, v0
	v_cmp_gt_u32_e64 s[88:89], s46, v1
	s_and_saveexec_b64 s[4:5], s[88:89]
	s_cbranch_execz .LBB270_123
; %bb.122:
	v_lshlrev_b32_e32 v1, 1, v1
	global_load_ushort v1, v1, s[42:43]
	s_mov_b32 s6, 0x5040100
	s_waitcnt vmcnt(0)
	v_perm_b32 v7, v1, v7, s6
.LBB270_123:
	s_or_b64 exec, exec, s[4:5]
	v_or_b32_e32 v1, 0x1600, v0
	v_cmp_gt_u32_e64 s[90:91], s46, v1
	s_and_saveexec_b64 s[4:5], s[90:91]
	s_cbranch_execz .LBB270_125
; %bb.124:
	v_lshlrev_b32_e32 v1, 1, v1
	global_load_ushort v1, v1, s[42:43]
	s_mov_b32 s6, 0xffff
	s_waitcnt vmcnt(0)
	v_bfi_b32 v8, s6, v1, v8
.LBB270_125:
	s_or_b64 exec, exec, s[4:5]
	v_or_b32_e32 v1, 0x1680, v0
	v_cmp_gt_u32_e64 s[92:93], s46, v1
	s_and_saveexec_b64 s[4:5], s[92:93]
	s_cbranch_execz .LBB270_127
; %bb.126:
	v_lshlrev_b32_e32 v1, 1, v1
	global_load_ushort v1, v1, s[42:43]
	s_mov_b32 s6, 0x5040100
	s_waitcnt vmcnt(0)
	v_perm_b32 v8, v1, v8, s6
.LBB270_127:
	s_or_b64 exec, exec, s[4:5]
	v_or_b32_e32 v1, 0x1700, v0
	v_cmp_gt_u32_e64 s[94:95], s46, v1
	s_and_saveexec_b64 s[4:5], s[94:95]
	s_cbranch_execz .LBB270_129
; %bb.128:
	v_lshlrev_b32_e32 v1, 1, v1
	global_load_ushort v1, v1, s[42:43]
	s_mov_b32 s6, 0xffff
	s_waitcnt vmcnt(0)
	v_bfi_b32 v9, s6, v1, v9
.LBB270_129:
	s_or_b64 exec, exec, s[4:5]
	v_or_b32_e32 v1, 0x1780, v0
	v_cmp_gt_u32_e64 s[96:97], s46, v1
	s_and_saveexec_b64 s[4:5], s[96:97]
	s_cbranch_execz .LBB270_131
; %bb.130:
	v_lshlrev_b32_e32 v1, 1, v1
	global_load_ushort v1, v1, s[42:43]
	s_mov_b32 s6, 0x5040100
	s_waitcnt vmcnt(0)
	v_perm_b32 v9, v1, v9, s6
.LBB270_131:
	s_or_b64 exec, exec, s[4:5]
	v_or_b32_e32 v1, 0x1800, v0
	v_cmp_gt_u32_e64 s[98:99], s46, v1
	s_and_saveexec_b64 s[4:5], s[98:99]
	s_cbranch_execz .LBB270_133
; %bb.132:
	v_lshlrev_b32_e32 v1, 1, v1
	global_load_ushort v1, v1, s[42:43]
	s_mov_b32 s6, 0xffff
	s_waitcnt vmcnt(0)
	v_bfi_b32 v10, s6, v1, v10
.LBB270_133:
	s_or_b64 exec, exec, s[4:5]
	v_or_b32_e32 v1, 0x1880, v0
	v_cmp_gt_u32_e64 s[4:5], s46, v1
	s_and_saveexec_b64 s[6:7], s[4:5]
	s_cbranch_execz .LBB270_135
; %bb.134:
	v_lshlrev_b32_e32 v1, 1, v1
	global_load_ushort v1, v1, s[42:43]
	s_mov_b32 s8, 0x5040100
	s_waitcnt vmcnt(0)
	v_perm_b32 v10, v1, v10, s8
.LBB270_135:
	s_or_b64 exec, exec, s[6:7]
	v_or_b32_e32 v1, 0x1900, v0
	v_cmp_gt_u32_e64 s[6:7], s46, v1
	s_and_saveexec_b64 s[8:9], s[6:7]
	s_cbranch_execz .LBB270_137
; %bb.136:
	v_lshlrev_b32_e32 v1, 1, v1
	global_load_ushort v1, v1, s[42:43]
	s_mov_b32 s10, 0xffff
	s_waitcnt vmcnt(0)
	v_bfi_b32 v11, s10, v1, v11
.LBB270_137:
	s_or_b64 exec, exec, s[8:9]
	v_or_b32_e32 v1, 0x1980, v0
	v_cmp_gt_u32_e64 s[8:9], s46, v1
	s_and_saveexec_b64 s[10:11], s[8:9]
	s_cbranch_execz .LBB270_139
; %bb.138:
	v_lshlrev_b32_e32 v1, 1, v1
	global_load_ushort v1, v1, s[42:43]
	s_mov_b32 s12, 0x5040100
	s_waitcnt vmcnt(0)
	v_perm_b32 v11, v1, v11, s12
.LBB270_139:
	s_or_b64 exec, exec, s[10:11]
	v_or_b32_e32 v1, 0x1a00, v0
	v_cmp_gt_u32_e64 s[10:11], s46, v1
	s_and_saveexec_b64 s[12:13], s[10:11]
	s_cbranch_execz .LBB270_141
; %bb.140:
	v_lshlrev_b32_e32 v1, 1, v1
	global_load_ushort v1, v1, s[42:43]
	s_mov_b32 s14, 0xffff
	s_waitcnt vmcnt(0)
	v_bfi_b32 v12, s14, v1, v12
.LBB270_141:
	s_or_b64 exec, exec, s[12:13]
	v_or_b32_e32 v1, 0x1a80, v0
	v_cmp_gt_u32_e64 s[12:13], s46, v1
	s_and_saveexec_b64 s[14:15], s[12:13]
	s_cbranch_execz .LBB270_143
; %bb.142:
	v_lshlrev_b32_e32 v1, 1, v1
	global_load_ushort v1, v1, s[42:43]
	s_mov_b32 s16, 0x5040100
	s_waitcnt vmcnt(0)
	v_perm_b32 v12, v1, v12, s16
.LBB270_143:
	s_or_b64 exec, exec, s[14:15]
	v_or_b32_e32 v1, 0x1b00, v0
	v_cmp_gt_u32_e64 s[14:15], s46, v1
	s_and_saveexec_b64 s[16:17], s[14:15]
	s_cbranch_execz .LBB270_145
; %bb.144:
	v_lshlrev_b32_e32 v1, 1, v1
	global_load_ushort v1, v1, s[42:43]
	s_mov_b32 s18, 0xffff
	s_waitcnt vmcnt(0)
	v_bfi_b32 v13, s18, v1, v13
.LBB270_145:
	s_or_b64 exec, exec, s[16:17]
	v_or_b32_e32 v1, 0x1b80, v0
	v_cmp_gt_u32_e64 s[16:17], s46, v1
	s_and_saveexec_b64 s[18:19], s[16:17]
	s_cbranch_execz .LBB270_147
; %bb.146:
	v_lshlrev_b32_e32 v1, 1, v1
	global_load_ushort v1, v1, s[42:43]
	s_mov_b32 s20, 0x5040100
	s_waitcnt vmcnt(0)
	v_perm_b32 v13, v1, v13, s20
.LBB270_147:
	s_or_b64 exec, exec, s[18:19]
	v_or_b32_e32 v1, 0x1c00, v0
	v_cmp_gt_u32_e64 s[18:19], s46, v1
	s_and_saveexec_b64 s[20:21], s[18:19]
	s_cbranch_execz .LBB270_149
; %bb.148:
	v_lshlrev_b32_e32 v1, 1, v1
	global_load_ushort v1, v1, s[42:43]
	s_mov_b32 s22, 0xffff
	s_waitcnt vmcnt(0)
	v_bfi_b32 v14, s22, v1, v14
.LBB270_149:
	s_or_b64 exec, exec, s[20:21]
	v_or_b32_e32 v1, 0x1c80, v0
	v_cmp_gt_u32_e64 s[20:21], s46, v1
	s_and_saveexec_b64 s[22:23], s[20:21]
	s_cbranch_execz .LBB270_151
; %bb.150:
	v_lshlrev_b32_e32 v1, 1, v1
	global_load_ushort v1, v1, s[42:43]
	s_mov_b32 s24, 0x5040100
	s_waitcnt vmcnt(0)
	v_perm_b32 v14, v1, v14, s24
.LBB270_151:
	s_or_b64 exec, exec, s[22:23]
	v_or_b32_e32 v1, 0x1d00, v0
	v_cmp_gt_u32_e64 s[22:23], s46, v1
	s_and_saveexec_b64 s[24:25], s[22:23]
	s_cbranch_execz .LBB270_153
; %bb.152:
	v_lshlrev_b32_e32 v1, 1, v1
	global_load_ushort v1, v1, s[42:43]
	s_mov_b32 s26, 0xffff
	s_waitcnt vmcnt(0)
	v_bfi_b32 v15, s26, v1, v15
.LBB270_153:
	s_or_b64 exec, exec, s[24:25]
	v_or_b32_e32 v1, 0x1d80, v0
	v_cmp_gt_u32_e64 s[24:25], s46, v1
	s_and_saveexec_b64 s[26:27], s[24:25]
	s_cbranch_execz .LBB270_155
; %bb.154:
	v_lshlrev_b32_e32 v1, 1, v1
	global_load_ushort v1, v1, s[42:43]
	s_mov_b32 s28, 0x5040100
	s_waitcnt vmcnt(0)
	v_perm_b32 v15, v1, v15, s28
.LBB270_155:
	s_or_b64 exec, exec, s[26:27]
	v_or_b32_e32 v1, 0x1e00, v0
	v_cmp_gt_u32_e64 s[26:27], s46, v1
	s_and_saveexec_b64 s[28:29], s[26:27]
	s_cbranch_execz .LBB270_157
; %bb.156:
	v_lshlrev_b32_e32 v1, 1, v1
	global_load_ushort v1, v1, s[42:43]
	s_mov_b32 s30, 0xffff
	s_waitcnt vmcnt(0)
	v_bfi_b32 v16, s30, v1, v16
.LBB270_157:
	s_or_b64 exec, exec, s[28:29]
	v_or_b32_e32 v1, 0x1e80, v0
	v_cmp_gt_u32_e64 s[28:29], s46, v1
	s_and_saveexec_b64 s[30:31], s[28:29]
	s_cbranch_execz .LBB270_159
; %bb.158:
	v_lshlrev_b32_e32 v1, 1, v1
	global_load_ushort v1, v1, s[42:43]
	s_mov_b32 s34, 0x5040100
	s_waitcnt vmcnt(0)
	v_perm_b32 v16, v1, v16, s34
.LBB270_159:
	s_or_b64 exec, exec, s[30:31]
	v_or_b32_e32 v1, 0x1f00, v0
	v_cmp_gt_u32_e64 s[30:31], s46, v1
	s_and_saveexec_b64 s[34:35], s[30:31]
	s_cbranch_execz .LBB270_161
; %bb.160:
	v_lshlrev_b32_e32 v1, 1, v1
	global_load_ushort v1, v1, s[42:43]
	s_mov_b32 s44, 0xffff
	s_waitcnt vmcnt(0)
	v_bfi_b32 v17, s44, v1, v17
.LBB270_161:
	s_or_b64 exec, exec, s[34:35]
	v_or_b32_e32 v1, 0x1f80, v0
	v_cmp_gt_u32_e64 s[34:35], s46, v1
	s_and_saveexec_b64 s[44:45], s[34:35]
	s_cbranch_execz .LBB270_163
; %bb.162:
	v_lshlrev_b32_e32 v1, 1, v1
	global_load_ushort v1, v1, s[42:43]
	s_mov_b32 s42, 0x5040100
	s_waitcnt vmcnt(0)
	v_perm_b32 v17, v1, v17, s42
.LBB270_163:
	s_or_b64 exec, exec, s[44:45]
	v_readlane_b32 s42, v66, 0
	v_readlane_b32 s43, v66, 1
	v_mov_b32_e32 v1, 0
	v_cndmask_b32_sdwa v1, v1, v18, vcc dst_sel:DWORD dst_unused:UNUSED_PAD src0_sel:DWORD src1_sel:WORD_1
	v_cndmask_b32_e64 v34, 0, v19, s[42:43]
	v_readlane_b32 s42, v66, 2
	v_lshrrev_b32_e32 v19, 16, v19
	v_readlane_b32 s43, v66, 3
	v_add_u16_e32 v1, v1, v18
	v_add_u16_e32 v1, v1, v34
	v_cndmask_b32_e64 v19, 0, v19, s[42:43]
	v_readlane_b32 s42, v66, 4
	v_readlane_b32 s43, v66, 5
	v_add_u16_e32 v1, v1, v19
	s_nop 0
	v_cndmask_b32_e64 v35, 0, v20, s[42:43]
	v_readlane_b32 s42, v66, 6
	v_lshrrev_b32_e32 v20, 16, v20
	v_readlane_b32 s43, v66, 7
	v_add_u16_e32 v1, v1, v35
	s_nop 0
	v_cndmask_b32_e64 v20, 0, v20, s[42:43]
	v_readlane_b32 s42, v66, 8
	v_readlane_b32 s43, v66, 9
	v_add_u16_e32 v1, v1, v20
	s_nop 0
	v_cndmask_b32_e64 v36, 0, v21, s[42:43]
	v_readlane_b32 s42, v66, 10
	v_lshrrev_b32_e32 v21, 16, v21
	v_readlane_b32 s43, v66, 11
	v_add_u16_e32 v1, v1, v36
	s_nop 0
	;; [unrolled: 11-line block ×9, first 2 shown]
	v_cndmask_b32_e64 v28, 0, v28, s[42:43]
	v_readlane_b32 s42, v66, 40
	v_readlane_b32 s43, v66, 41
	v_add_u16_e32 v1, v1, v28
	s_nop 0
	v_cndmask_b32_e64 v18, 0, v29, s[42:43]
	v_readlane_b32 s42, v66, 42
	v_add_u16_e32 v1, v1, v18
	v_lshrrev_b32_e32 v18, 16, v29
	v_readlane_b32 s43, v66, 43
	s_nop 1
	v_cndmask_b32_e64 v18, 0, v18, s[42:43]
	v_add_u16_e32 v1, v1, v18
	v_cndmask_b32_e64 v18, 0, v30, s[50:51]
	v_add_u16_e32 v1, v1, v18
	v_lshrrev_b32_e32 v18, 16, v30
	v_cndmask_b32_e64 v18, 0, v18, s[52:53]
	v_add_u16_e32 v1, v1, v18
	v_cndmask_b32_e64 v18, 0, v31, s[54:55]
	v_add_u16_e32 v1, v1, v18
	v_lshrrev_b32_e32 v18, 16, v31
	;; [unrolled: 5-line block ×4, first 2 shown]
	v_cndmask_b32_e64 v18, 0, v18, s[64:65]
	v_add_u16_e32 v1, v1, v18
	v_cndmask_b32_e64 v18, 0, v2, s[66:67]
	v_lshrrev_b32_e32 v2, 16, v2
	v_add_u16_e32 v1, v1, v18
	v_cndmask_b32_e64 v2, 0, v2, s[36:37]
	v_add_u16_e32 v1, v1, v2
	v_cndmask_b32_e64 v2, 0, v3, s[38:39]
	v_add_u16_e32 v1, v1, v2
	v_lshrrev_b32_e32 v2, 16, v3
	v_cndmask_b32_e64 v2, 0, v2, s[72:73]
	v_add_u16_e32 v1, v1, v2
	v_cndmask_b32_e64 v2, 0, v4, s[74:75]
	v_add_u16_e32 v1, v1, v2
	v_lshrrev_b32_e32 v2, 16, v4
	v_cndmask_b32_e64 v2, 0, v2, s[76:77]
	v_add_u16_e32 v1, v1, v2
	v_cndmask_b32_e64 v2, 0, v5, s[78:79]
	v_add_u16_e32 v1, v1, v2
	v_lshrrev_b32_e32 v2, 16, v5
	v_cndmask_b32_e64 v2, 0, v2, s[80:81]
	v_add_u16_e32 v1, v1, v2
	v_cndmask_b32_e64 v2, 0, v6, s[82:83]
	v_add_u16_e32 v1, v1, v2
	v_lshrrev_b32_e32 v2, 16, v6
	v_cndmask_b32_e64 v2, 0, v2, s[84:85]
	v_add_u16_e32 v1, v1, v2
	v_cndmask_b32_e64 v2, 0, v7, s[86:87]
	v_add_u16_e32 v1, v1, v2
	v_lshrrev_b32_e32 v2, 16, v7
	v_cndmask_b32_e64 v2, 0, v2, s[88:89]
	v_add_u16_e32 v1, v1, v2
	v_cndmask_b32_e64 v2, 0, v8, s[90:91]
	v_add_u16_e32 v1, v1, v2
	v_lshrrev_b32_e32 v2, 16, v8
	v_cndmask_b32_e64 v2, 0, v2, s[92:93]
	v_add_u16_e32 v1, v1, v2
	v_cndmask_b32_e64 v2, 0, v9, s[94:95]
	v_add_u16_e32 v1, v1, v2
	v_lshrrev_b32_e32 v2, 16, v9
	v_cndmask_b32_e64 v2, 0, v2, s[96:97]
	v_add_u16_e32 v1, v1, v2
	v_cndmask_b32_e64 v2, 0, v10, s[98:99]
	v_add_u16_e32 v1, v1, v2
	v_lshrrev_b32_e32 v2, 16, v10
	v_cndmask_b32_e64 v2, 0, v2, s[4:5]
	v_add_u16_e32 v1, v1, v2
	v_cndmask_b32_e64 v2, 0, v11, s[6:7]
	v_add_u16_e32 v1, v1, v2
	v_lshrrev_b32_e32 v2, 16, v11
	v_cndmask_b32_e64 v2, 0, v2, s[8:9]
	v_add_u16_e32 v1, v1, v2
	v_cndmask_b32_e64 v2, 0, v12, s[10:11]
	v_add_u16_e32 v1, v1, v2
	v_lshrrev_b32_e32 v2, 16, v12
	v_cndmask_b32_e64 v2, 0, v2, s[12:13]
	v_add_u16_e32 v1, v1, v2
	v_cndmask_b32_e64 v2, 0, v13, s[14:15]
	v_add_u16_e32 v1, v1, v2
	v_lshrrev_b32_e32 v2, 16, v13
	v_cndmask_b32_e64 v2, 0, v2, s[16:17]
	v_add_u16_e32 v1, v1, v2
	v_cndmask_b32_e64 v2, 0, v14, s[18:19]
	v_add_u16_e32 v1, v1, v2
	v_lshrrev_b32_e32 v2, 16, v14
	v_cndmask_b32_e64 v2, 0, v2, s[20:21]
	v_add_u16_e32 v1, v1, v2
	v_cndmask_b32_e64 v2, 0, v15, s[22:23]
	v_add_u16_e32 v1, v1, v2
	v_lshrrev_b32_e32 v2, 16, v15
	v_cndmask_b32_e64 v2, 0, v2, s[24:25]
	v_add_u16_e32 v1, v1, v2
	v_cndmask_b32_e64 v2, 0, v16, s[26:27]
	v_add_u16_e32 v1, v1, v2
	v_lshrrev_b32_e32 v2, 16, v16
	v_cndmask_b32_e64 v2, 0, v2, s[28:29]
	v_add_u16_e32 v1, v1, v2
	v_cndmask_b32_e64 v2, 0, v17, s[30:31]
	v_add_u16_e32 v1, v1, v2
	v_lshrrev_b32_e32 v2, 16, v17
	v_cndmask_b32_e64 v2, 0, v2, s[34:35]
	v_add_u16_e32 v1, v1, v2
	v_mbcnt_lo_u32_b32 v2, -1, 0
	v_mbcnt_hi_u32_b32 v2, -1, v2
	v_and_b32_e32 v4, 63, v2
	v_cmp_ne_u32_e32 vcc, 63, v4
	s_min_u32 s6, s46, 0x80
	v_and_b32_e32 v5, 64, v0
	v_addc_co_u32_e32 v3, vcc, 0, v2, vcc
	v_lshlrev_b32_e32 v3, 2, v3
	ds_bpermute_b32 v3, v3, v1
	v_sub_u32_e64 v5, s6, v5 clamp
	v_add_u32_e32 v6, 1, v4
	v_cmp_gt_u32_e64 s[4:5], 62, v4
	v_cmp_lt_u32_e32 vcc, v6, v5
	s_waitcnt lgkmcnt(0)
	v_add_u16_e32 v3, v1, v3
	v_cndmask_b32_e64 v6, 0, 2, s[4:5]
	v_cndmask_b32_e32 v3, v1, v3, vcc
	v_add_lshl_u32 v6, v6, v2, 2
	ds_bpermute_b32 v6, v6, v3
	v_add_u32_e32 v7, 2, v4
	v_cmp_lt_u32_e64 s[4:5], v7, v5
	v_add_u32_e32 v7, 4, v4
	s_waitcnt lgkmcnt(0)
	v_add_u16_e32 v6, v3, v6
	v_cndmask_b32_e64 v3, v3, v6, s[4:5]
	v_cmp_gt_u32_e64 s[4:5], 60, v4
	s_nop 1
	v_cndmask_b32_e64 v6, 0, 4, s[4:5]
	v_add_lshl_u32 v6, v6, v2, 2
	ds_bpermute_b32 v6, v6, v3
	v_cmp_lt_u32_e64 s[4:5], v7, v5
	v_add_u32_e32 v7, 8, v4
	s_waitcnt lgkmcnt(0)
	v_add_u16_e32 v6, v3, v6
	v_cndmask_b32_e64 v3, v3, v6, s[4:5]
	v_cmp_gt_u32_e64 s[4:5], 56, v4
	s_nop 1
	v_cndmask_b32_e64 v6, 0, 8, s[4:5]
	v_add_lshl_u32 v6, v6, v2, 2
	ds_bpermute_b32 v6, v6, v3
	v_cmp_lt_u32_e64 s[4:5], v7, v5
	v_add_u32_e32 v7, 16, v4
	s_waitcnt lgkmcnt(0)
	v_add_u16_e32 v6, v3, v6
	v_cndmask_b32_e64 v3, v3, v6, s[4:5]
	v_cmp_gt_u32_e64 s[4:5], 48, v4
	v_add_u32_e32 v4, 32, v4
	s_nop 0
	v_cndmask_b32_e64 v6, 0, 16, s[4:5]
	v_add_lshl_u32 v6, v6, v2, 2
	ds_bpermute_b32 v6, v6, v3
	v_cmp_lt_u32_e64 s[4:5], v7, v5
	s_waitcnt lgkmcnt(0)
	v_add_u16_e32 v6, v3, v6
	v_cndmask_b32_e64 v6, v3, v6, s[4:5]
	v_lshlrev_b32_e32 v3, 2, v2
	v_or_b32_e32 v7, 0x80, v3
	ds_bpermute_b32 v7, v7, v6
	v_cmp_lt_u32_e64 s[4:5], v4, v5
	s_waitcnt lgkmcnt(0)
	s_nop 0
	v_cndmask_b32_e64 v4, 0, v7, s[4:5]
	v_add_u16_e32 v4, v6, v4
	v_cndmask_b32_e32 v1, v1, v4, vcc
	v_cmp_eq_u32_e32 vcc, 0, v2
	s_and_saveexec_b64 s[4:5], vcc
; %bb.164:
	v_lshrrev_b32_e32 v4, 5, v0
	v_and_b32_e32 v4, 2, v4
	ds_write_b16 v4, v1 offset:28
; %bb.165:
	s_or_b64 exec, exec, s[4:5]
	v_cmp_gt_u32_e32 vcc, 2, v0
	s_waitcnt lgkmcnt(0)
	s_barrier
	s_and_saveexec_b64 s[4:5], vcc
	s_cbranch_execz .LBB270_167
; %bb.166:
	v_lshlrev_b32_e32 v1, 1, v2
	ds_read_u16 v1, v1 offset:28
	v_or_b32_e32 v3, 4, v3
	s_add_i32 s6, s6, 63
	v_and_b32_e32 v2, 1, v2
	s_lshr_b32 s6, s6, 6
	s_waitcnt lgkmcnt(0)
	v_and_b32_e32 v4, 0xffff, v1
	ds_bpermute_b32 v3, v3, v4
	v_add_u32_e32 v2, 1, v2
	v_cmp_gt_u32_e32 vcc, s6, v2
	s_waitcnt lgkmcnt(0)
	s_nop 0
	v_cndmask_b32_e32 v2, 0, v3, vcc
	v_add_u16_e32 v1, v2, v1
.LBB270_167:
	s_or_b64 exec, exec, s[4:5]
	v_cmp_eq_u32_e64 s[4:5], 0, v0
	s_and_b64 vcc, exec, s[40:41]
	s_cbranch_vccnz .LBB270_24
	s_branch .LBB270_11
.LBB270_168:
	s_mov_b64 s[6:7], -1
                                        ; implicit-def: $vgpr1
.LBB270_169:
	s_and_b64 vcc, exec, s[6:7]
	s_cbranch_vccz .LBB270_207
; %bb.170:
	s_sub_i32 s38, s70, s4
	v_mov_b32_e32 v2, 0
	v_cmp_gt_u32_e32 vcc, s38, v0
	v_mov_b32_e32 v3, v2
	v_mov_b32_e32 v4, v2
	;; [unrolled: 1-line block ×7, first 2 shown]
	s_and_saveexec_b64 s[4:5], vcc
	s_cbranch_execz .LBB270_172
; %bb.171:
	v_lshlrev_b32_e32 v1, 1, v0
	global_load_ushort v1, v1, s[34:35]
	v_mov_b32_e32 v5, v2
	v_mov_b32_e32 v6, v2
	v_mov_b32_e32 v7, v2
	v_mov_b32_e32 v8, v2
	v_mov_b32_e32 v9, v2
	v_mov_b32_e32 v10, v2
	v_mov_b32_e32 v11, v2
	s_waitcnt vmcnt(0)
	v_and_b32_e32 v4, 0xffff, v1
	v_mov_b64_e32 v[2:3], v[4:5]
	v_mov_b64_e32 v[4:5], v[6:7]
	;; [unrolled: 1-line block ×4, first 2 shown]
.LBB270_172:
	s_or_b64 exec, exec, s[4:5]
	v_or_b32_e32 v1, 0x80, v0
	v_cmp_gt_u32_e32 vcc, s38, v1
	s_and_saveexec_b64 s[4:5], vcc
	s_cbranch_execz .LBB270_174
; %bb.173:
	v_lshlrev_b32_e32 v1, 1, v0
	global_load_ushort v1, v1, s[34:35] offset:256
	s_mov_b32 s6, 0x5040100
	s_waitcnt vmcnt(0)
	v_perm_b32 v2, v1, v2, s6
.LBB270_174:
	s_or_b64 exec, exec, s[4:5]
	v_or_b32_e32 v1, 0x100, v0
	v_cmp_gt_u32_e64 s[4:5], s38, v1
	s_and_saveexec_b64 s[6:7], s[4:5]
	s_cbranch_execz .LBB270_176
; %bb.175:
	v_lshlrev_b32_e32 v1, 1, v0
	global_load_ushort v1, v1, s[34:35] offset:512
	s_mov_b32 s8, 0xffff
	s_waitcnt vmcnt(0)
	v_bfi_b32 v3, s8, v1, v3
.LBB270_176:
	s_or_b64 exec, exec, s[6:7]
	v_or_b32_e32 v1, 0x180, v0
	v_cmp_gt_u32_e64 s[6:7], s38, v1
	s_and_saveexec_b64 s[8:9], s[6:7]
	s_cbranch_execz .LBB270_178
; %bb.177:
	v_lshlrev_b32_e32 v1, 1, v0
	global_load_ushort v1, v1, s[34:35] offset:768
	s_mov_b32 s10, 0x5040100
	s_waitcnt vmcnt(0)
	v_perm_b32 v3, v1, v3, s10
.LBB270_178:
	s_or_b64 exec, exec, s[8:9]
	v_or_b32_e32 v1, 0x200, v0
	v_cmp_gt_u32_e64 s[8:9], s38, v1
	s_and_saveexec_b64 s[10:11], s[8:9]
	s_cbranch_execz .LBB270_180
; %bb.179:
	v_lshlrev_b32_e32 v1, 1, v0
	global_load_ushort v1, v1, s[34:35] offset:1024
	s_mov_b32 s12, 0xffff
	s_waitcnt vmcnt(0)
	v_bfi_b32 v4, s12, v1, v4
.LBB270_180:
	s_or_b64 exec, exec, s[10:11]
	v_or_b32_e32 v1, 0x280, v0
	v_cmp_gt_u32_e64 s[10:11], s38, v1
	s_and_saveexec_b64 s[12:13], s[10:11]
	;; [unrolled: 24-line block ×7, first 2 shown]
	s_cbranch_execz .LBB270_202
; %bb.201:
	v_lshlrev_b32_e32 v1, 1, v0
	global_load_ushort v1, v1, s[34:35] offset:3840
	s_mov_b32 s34, 0x5040100
	s_waitcnt vmcnt(0)
	v_perm_b32 v9, v1, v9, s34
.LBB270_202:
	s_or_b64 exec, exec, s[36:37]
	v_mov_b32_e32 v1, 0
	v_cndmask_b32_sdwa v1, v1, v2, vcc dst_sel:DWORD dst_unused:UNUSED_PAD src0_sel:DWORD src1_sel:WORD_1
	v_add_u16_e32 v1, v1, v2
	v_cndmask_b32_e64 v2, 0, v3, s[4:5]
	v_add_u16_e32 v1, v1, v2
	v_lshrrev_b32_e32 v2, 16, v3
	v_cndmask_b32_e64 v2, 0, v2, s[6:7]
	v_add_u16_e32 v1, v1, v2
	v_cndmask_b32_e64 v2, 0, v4, s[8:9]
	v_add_u16_e32 v1, v1, v2
	v_lshrrev_b32_e32 v2, 16, v4
	v_cndmask_b32_e64 v2, 0, v2, s[10:11]
	;; [unrolled: 5-line block ×7, first 2 shown]
	v_add_u16_e32 v1, v1, v2
	v_mbcnt_lo_u32_b32 v2, -1, 0
	v_mbcnt_hi_u32_b32 v2, -1, v2
	v_and_b32_e32 v4, 63, v2
	v_cmp_ne_u32_e32 vcc, 63, v4
	s_min_u32 s6, s38, 0x80
	v_and_b32_e32 v5, 64, v0
	v_addc_co_u32_e32 v3, vcc, 0, v2, vcc
	v_lshlrev_b32_e32 v3, 2, v3
	ds_bpermute_b32 v3, v3, v1
	v_sub_u32_e64 v5, s6, v5 clamp
	v_add_u32_e32 v6, 1, v4
	v_cmp_gt_u32_e64 s[4:5], 62, v4
	v_cmp_lt_u32_e32 vcc, v6, v5
	s_waitcnt lgkmcnt(0)
	v_add_u16_e32 v3, v1, v3
	v_cndmask_b32_e64 v6, 0, 2, s[4:5]
	v_cndmask_b32_e32 v3, v1, v3, vcc
	v_add_lshl_u32 v6, v6, v2, 2
	ds_bpermute_b32 v6, v6, v3
	v_add_u32_e32 v7, 2, v4
	v_cmp_lt_u32_e64 s[4:5], v7, v5
	v_add_u32_e32 v7, 4, v4
	s_waitcnt lgkmcnt(0)
	v_add_u16_e32 v6, v3, v6
	v_cndmask_b32_e64 v3, v3, v6, s[4:5]
	v_cmp_gt_u32_e64 s[4:5], 60, v4
	s_nop 1
	v_cndmask_b32_e64 v6, 0, 4, s[4:5]
	v_add_lshl_u32 v6, v6, v2, 2
	ds_bpermute_b32 v6, v6, v3
	v_cmp_lt_u32_e64 s[4:5], v7, v5
	v_add_u32_e32 v7, 8, v4
	s_waitcnt lgkmcnt(0)
	v_add_u16_e32 v6, v3, v6
	v_cndmask_b32_e64 v3, v3, v6, s[4:5]
	v_cmp_gt_u32_e64 s[4:5], 56, v4
	s_nop 1
	v_cndmask_b32_e64 v6, 0, 8, s[4:5]
	v_add_lshl_u32 v6, v6, v2, 2
	ds_bpermute_b32 v6, v6, v3
	v_cmp_lt_u32_e64 s[4:5], v7, v5
	v_add_u32_e32 v7, 16, v4
	s_waitcnt lgkmcnt(0)
	v_add_u16_e32 v6, v3, v6
	v_cndmask_b32_e64 v3, v3, v6, s[4:5]
	v_cmp_gt_u32_e64 s[4:5], 48, v4
	v_add_u32_e32 v4, 32, v4
	s_nop 0
	v_cndmask_b32_e64 v6, 0, 16, s[4:5]
	v_add_lshl_u32 v6, v6, v2, 2
	ds_bpermute_b32 v6, v6, v3
	v_cmp_lt_u32_e64 s[4:5], v7, v5
	s_waitcnt lgkmcnt(0)
	v_add_u16_e32 v6, v3, v6
	v_cndmask_b32_e64 v6, v3, v6, s[4:5]
	v_lshlrev_b32_e32 v3, 2, v2
	v_or_b32_e32 v7, 0x80, v3
	ds_bpermute_b32 v7, v7, v6
	v_cmp_lt_u32_e64 s[4:5], v4, v5
	s_waitcnt lgkmcnt(0)
	s_nop 0
	v_cndmask_b32_e64 v4, 0, v7, s[4:5]
	v_add_u16_e32 v4, v6, v4
	v_cndmask_b32_e32 v1, v1, v4, vcc
	v_cmp_eq_u32_e32 vcc, 0, v2
	s_and_saveexec_b64 s[4:5], vcc
; %bb.203:
	v_lshrrev_b32_e32 v4, 5, v0
	v_and_b32_e32 v4, 2, v4
	ds_write_b16 v4, v1 offset:28
; %bb.204:
	s_or_b64 exec, exec, s[4:5]
	v_cmp_gt_u32_e32 vcc, 2, v0
	s_waitcnt lgkmcnt(0)
	s_barrier
	s_and_saveexec_b64 s[4:5], vcc
	s_cbranch_execz .LBB270_206
; %bb.205:
	v_lshlrev_b32_e32 v1, 1, v2
	ds_read_u16 v1, v1 offset:28
	v_or_b32_e32 v3, 4, v3
	s_add_i32 s6, s6, 63
	v_and_b32_e32 v2, 1, v2
	s_lshr_b32 s6, s6, 6
	s_waitcnt lgkmcnt(0)
	v_and_b32_e32 v4, 0xffff, v1
	ds_bpermute_b32 v3, v3, v4
	v_add_u32_e32 v2, 1, v2
	v_cmp_gt_u32_e32 vcc, s6, v2
	s_waitcnt lgkmcnt(0)
	s_nop 0
	v_cndmask_b32_e32 v2, 0, v3, vcc
	v_add_u16_e32 v1, v2, v1
.LBB270_206:
	s_or_b64 exec, exec, s[4:5]
.LBB270_207:
	v_cmp_eq_u32_e64 s[4:5], 0, v0
	s_branch .LBB270_288
.LBB270_208:
	s_cmp_eq_u32 s33, 8
	s_cbranch_scc0 .LBB270_215
; %bb.209:
	s_mov_b32 s3, 0
	s_lshl_b32 s4, s2, 10
	s_mov_b32 s5, s3
	s_lshr_b64 s[6:7], s[70:71], 10
	s_lshl_b64 s[8:9], s[4:5], 1
	s_add_u32 s16, s68, s8
	s_addc_u32 s17, s69, s9
	s_cmp_lg_u64 s[6:7], s[2:3]
	s_cbranch_scc0 .LBB270_309
; %bb.210:
	v_lshlrev_b32_e32 v1, 1, v0
	global_load_ushort v4, v1, s[16:17]
	global_load_ushort v5, v1, s[16:17] offset:256
	global_load_ushort v6, v1, s[16:17] offset:512
	;; [unrolled: 1-line block ×7, first 2 shown]
	v_mbcnt_lo_u32_b32 v1, -1, 0
	v_mbcnt_hi_u32_b32 v2, -1, v1
	v_lshlrev_b32_e32 v3, 2, v2
	v_cmp_eq_u32_e32 vcc, 0, v2
	s_waitcnt vmcnt(6)
	v_add_u16_e32 v1, v5, v4
	s_waitcnt vmcnt(5)
	v_add_u16_e32 v1, v1, v6
	;; [unrolled: 2-line block ×7, first 2 shown]
	v_or_b32_e32 v4, 0xfc, v3
	s_nop 0
	v_add_u16_dpp v1, v1, v1 quad_perm:[1,0,3,2] row_mask:0xf bank_mask:0xf bound_ctrl:1
	s_nop 1
	v_add_u16_dpp v1, v1, v1 quad_perm:[2,3,0,1] row_mask:0xf bank_mask:0xf bound_ctrl:1
	s_nop 1
	v_add_u16_dpp v1, v1, v1 row_ror:4 row_mask:0xf bank_mask:0xf bound_ctrl:1
	s_nop 1
	v_add_u16_dpp v1, v1, v1 row_ror:8 row_mask:0xf bank_mask:0xf bound_ctrl:1
	s_nop 1
	v_add_u16_dpp v1, v1, v1 row_bcast:15 row_mask:0xf bank_mask:0xf bound_ctrl:1
	s_nop 1
	v_add_u16_dpp v1, v1, v1 row_bcast:31 row_mask:0xf bank_mask:0xf bound_ctrl:1
	ds_bpermute_b32 v1, v4, v1
	s_and_saveexec_b64 s[6:7], vcc
	s_cbranch_execz .LBB270_212
; %bb.211:
	v_lshrrev_b32_e32 v4, 5, v0
	v_and_b32_e32 v4, 2, v4
	s_waitcnt lgkmcnt(0)
	ds_write_b16 v4, v1 offset:24
.LBB270_212:
	s_or_b64 exec, exec, s[6:7]
	v_cmp_gt_u32_e32 vcc, 64, v0
	s_waitcnt lgkmcnt(0)
	s_barrier
	s_and_saveexec_b64 s[6:7], vcc
	s_cbranch_execz .LBB270_214
; %bb.213:
	v_and_b32_e32 v1, 1, v2
	v_lshlrev_b32_e32 v1, 1, v1
	ds_read_u16 v1, v1 offset:24
	v_or_b32_e32 v2, 4, v3
	s_waitcnt lgkmcnt(0)
	v_and_b32_e32 v3, 0xffff, v1
	ds_bpermute_b32 v2, v2, v3
	s_waitcnt lgkmcnt(0)
	v_add_u16_e32 v1, v1, v2
.LBB270_214:
	s_or_b64 exec, exec, s[6:7]
	s_mov_b64 s[6:7], 0
	s_branch .LBB270_310
.LBB270_215:
                                        ; implicit-def: $vgpr1
	s_branch .LBB270_371
.LBB270_216:
	s_mov_b64 s[6:7], -1
                                        ; implicit-def: $vgpr1
.LBB270_217:
	s_and_b64 vcc, exec, s[6:7]
	s_cbranch_vccz .LBB270_287
; %bb.218:
	s_sub_i32 s74, s70, s4
	v_mov_b32_e32 v2, 0
	v_cmp_gt_u32_e32 vcc, s74, v0
	v_mov_b32_e32 v3, v2
	v_mov_b32_e32 v4, v2
	;; [unrolled: 1-line block ×15, first 2 shown]
	s_and_saveexec_b64 s[4:5], vcc
	s_cbranch_execz .LBB270_220
; %bb.219:
	v_lshlrev_b32_e32 v1, 1, v0
	global_load_ushort v1, v1, s[66:67]
	v_mov_b32_e32 v5, v2
	v_mov_b32_e32 v6, v2
	;; [unrolled: 1-line block ×15, first 2 shown]
	s_waitcnt vmcnt(0)
	v_and_b32_e32 v4, 0xffff, v1
	v_mov_b64_e32 v[2:3], v[4:5]
	v_mov_b64_e32 v[4:5], v[6:7]
	;; [unrolled: 1-line block ×8, first 2 shown]
.LBB270_220:
	s_or_b64 exec, exec, s[4:5]
	v_or_b32_e32 v1, 0x80, v0
	v_cmp_gt_u32_e32 vcc, s74, v1
	s_and_saveexec_b64 s[4:5], vcc
	s_cbranch_execz .LBB270_222
; %bb.221:
	v_lshlrev_b32_e32 v1, 1, v0
	global_load_ushort v1, v1, s[66:67] offset:256
	s_mov_b32 s6, 0x5040100
	s_waitcnt vmcnt(0)
	v_perm_b32 v2, v1, v2, s6
.LBB270_222:
	s_or_b64 exec, exec, s[4:5]
	v_or_b32_e32 v1, 0x100, v0
	v_cmp_gt_u32_e64 s[4:5], s74, v1
	s_and_saveexec_b64 s[6:7], s[4:5]
	s_cbranch_execz .LBB270_224
; %bb.223:
	v_lshlrev_b32_e32 v1, 1, v0
	global_load_ushort v1, v1, s[66:67] offset:512
	s_mov_b32 s8, 0xffff
	s_waitcnt vmcnt(0)
	v_bfi_b32 v3, s8, v1, v3
.LBB270_224:
	s_or_b64 exec, exec, s[6:7]
	v_or_b32_e32 v1, 0x180, v0
	v_cmp_gt_u32_e64 s[6:7], s74, v1
	s_and_saveexec_b64 s[8:9], s[6:7]
	s_cbranch_execz .LBB270_226
; %bb.225:
	v_lshlrev_b32_e32 v1, 1, v0
	global_load_ushort v1, v1, s[66:67] offset:768
	s_mov_b32 s10, 0x5040100
	s_waitcnt vmcnt(0)
	v_perm_b32 v3, v1, v3, s10
.LBB270_226:
	s_or_b64 exec, exec, s[8:9]
	v_or_b32_e32 v1, 0x200, v0
	v_cmp_gt_u32_e64 s[8:9], s74, v1
	s_and_saveexec_b64 s[10:11], s[8:9]
	s_cbranch_execz .LBB270_228
; %bb.227:
	v_lshlrev_b32_e32 v1, 1, v0
	global_load_ushort v1, v1, s[66:67] offset:1024
	s_mov_b32 s12, 0xffff
	s_waitcnt vmcnt(0)
	v_bfi_b32 v4, s12, v1, v4
.LBB270_228:
	s_or_b64 exec, exec, s[10:11]
	v_or_b32_e32 v1, 0x280, v0
	v_cmp_gt_u32_e64 s[10:11], s74, v1
	s_and_saveexec_b64 s[12:13], s[10:11]
	;; [unrolled: 24-line block ×7, first 2 shown]
	s_cbranch_execz .LBB270_250
; %bb.249:
	v_lshlrev_b32_e32 v1, 1, v0
	global_load_ushort v1, v1, s[66:67] offset:3840
	s_mov_b32 s36, 0x5040100
	s_waitcnt vmcnt(0)
	v_perm_b32 v9, v1, v9, s36
.LBB270_250:
	s_or_b64 exec, exec, s[34:35]
	v_or_b32_e32 v1, 0x800, v0
	v_cmp_gt_u32_e64 s[34:35], s74, v1
	s_and_saveexec_b64 s[36:37], s[34:35]
	s_cbranch_execz .LBB270_252
; %bb.251:
	v_lshlrev_b32_e32 v1, 1, v1
	global_load_ushort v1, v1, s[66:67]
	s_mov_b32 s38, 0xffff
	s_waitcnt vmcnt(0)
	v_bfi_b32 v10, s38, v1, v10
.LBB270_252:
	s_or_b64 exec, exec, s[36:37]
	v_or_b32_e32 v1, 0x880, v0
	v_cmp_gt_u32_e64 s[36:37], s74, v1
	s_and_saveexec_b64 s[38:39], s[36:37]
	s_cbranch_execz .LBB270_254
; %bb.253:
	v_lshlrev_b32_e32 v1, 1, v1
	global_load_ushort v1, v1, s[66:67]
	s_mov_b32 s40, 0x5040100
	s_waitcnt vmcnt(0)
	v_perm_b32 v10, v1, v10, s40
.LBB270_254:
	s_or_b64 exec, exec, s[38:39]
	v_or_b32_e32 v1, 0x900, v0
	v_cmp_gt_u32_e64 s[38:39], s74, v1
	s_and_saveexec_b64 s[40:41], s[38:39]
	s_cbranch_execz .LBB270_256
; %bb.255:
	v_lshlrev_b32_e32 v1, 1, v1
	global_load_ushort v1, v1, s[66:67]
	s_mov_b32 s42, 0xffff
	s_waitcnt vmcnt(0)
	v_bfi_b32 v11, s42, v1, v11
.LBB270_256:
	s_or_b64 exec, exec, s[40:41]
	v_or_b32_e32 v1, 0x980, v0
	v_cmp_gt_u32_e64 s[40:41], s74, v1
	s_and_saveexec_b64 s[42:43], s[40:41]
	s_cbranch_execz .LBB270_258
; %bb.257:
	v_lshlrev_b32_e32 v1, 1, v1
	global_load_ushort v1, v1, s[66:67]
	s_mov_b32 s44, 0x5040100
	s_waitcnt vmcnt(0)
	v_perm_b32 v11, v1, v11, s44
.LBB270_258:
	;; [unrolled: 24-line block ×8, first 2 shown]
	s_or_b64 exec, exec, s[72:73]
	v_mov_b32_e32 v1, 0
	v_cndmask_b32_sdwa v1, v1, v2, vcc dst_sel:DWORD dst_unused:UNUSED_PAD src0_sel:DWORD src1_sel:WORD_1
	v_add_u16_e32 v1, v1, v2
	v_cndmask_b32_e64 v2, 0, v3, s[4:5]
	v_add_u16_e32 v1, v1, v2
	v_lshrrev_b32_e32 v2, 16, v3
	v_cndmask_b32_e64 v2, 0, v2, s[6:7]
	v_add_u16_e32 v1, v1, v2
	v_cndmask_b32_e64 v2, 0, v4, s[8:9]
	v_add_u16_e32 v1, v1, v2
	v_lshrrev_b32_e32 v2, 16, v4
	v_cndmask_b32_e64 v2, 0, v2, s[10:11]
	v_add_u16_e32 v1, v1, v2
	v_cndmask_b32_e64 v2, 0, v5, s[12:13]
	v_add_u16_e32 v1, v1, v2
	v_lshrrev_b32_e32 v2, 16, v5
	v_cndmask_b32_e64 v2, 0, v2, s[14:15]
	v_add_u16_e32 v1, v1, v2
	v_cndmask_b32_e64 v2, 0, v6, s[16:17]
	v_add_u16_e32 v1, v1, v2
	v_lshrrev_b32_e32 v2, 16, v6
	v_cndmask_b32_e64 v2, 0, v2, s[18:19]
	v_add_u16_e32 v1, v1, v2
	v_cndmask_b32_e64 v2, 0, v7, s[20:21]
	v_add_u16_e32 v1, v1, v2
	v_lshrrev_b32_e32 v2, 16, v7
	v_cndmask_b32_e64 v2, 0, v2, s[22:23]
	v_add_u16_e32 v1, v1, v2
	v_cndmask_b32_e64 v2, 0, v8, s[24:25]
	v_add_u16_e32 v1, v1, v2
	v_lshrrev_b32_e32 v2, 16, v8
	v_cndmask_b32_e64 v2, 0, v2, s[26:27]
	v_add_u16_e32 v1, v1, v2
	v_cndmask_b32_e64 v2, 0, v9, s[28:29]
	v_add_u16_e32 v1, v1, v2
	v_lshrrev_b32_e32 v2, 16, v9
	v_cndmask_b32_e64 v2, 0, v2, s[30:31]
	v_add_u16_e32 v1, v1, v2
	v_cndmask_b32_e64 v2, 0, v10, s[34:35]
	v_add_u16_e32 v1, v1, v2
	v_lshrrev_b32_e32 v2, 16, v10
	v_cndmask_b32_e64 v2, 0, v2, s[36:37]
	v_add_u16_e32 v1, v1, v2
	v_cndmask_b32_e64 v2, 0, v11, s[38:39]
	v_add_u16_e32 v1, v1, v2
	v_lshrrev_b32_e32 v2, 16, v11
	v_cndmask_b32_e64 v2, 0, v2, s[40:41]
	v_add_u16_e32 v1, v1, v2
	v_cndmask_b32_e64 v2, 0, v12, s[42:43]
	v_add_u16_e32 v1, v1, v2
	v_lshrrev_b32_e32 v2, 16, v12
	v_cndmask_b32_e64 v2, 0, v2, s[44:45]
	v_add_u16_e32 v1, v1, v2
	v_cndmask_b32_e64 v2, 0, v13, s[46:47]
	v_add_u16_e32 v1, v1, v2
	v_lshrrev_b32_e32 v2, 16, v13
	v_cndmask_b32_e64 v2, 0, v2, s[48:49]
	v_add_u16_e32 v1, v1, v2
	v_cndmask_b32_e64 v2, 0, v14, s[50:51]
	v_add_u16_e32 v1, v1, v2
	v_lshrrev_b32_e32 v2, 16, v14
	v_cndmask_b32_e64 v2, 0, v2, s[52:53]
	v_add_u16_e32 v1, v1, v2
	v_cndmask_b32_e64 v2, 0, v15, s[54:55]
	v_add_u16_e32 v1, v1, v2
	v_lshrrev_b32_e32 v2, 16, v15
	v_cndmask_b32_e64 v2, 0, v2, s[56:57]
	v_add_u16_e32 v1, v1, v2
	v_cndmask_b32_e64 v2, 0, v16, s[58:59]
	v_add_u16_e32 v1, v1, v2
	v_lshrrev_b32_e32 v2, 16, v16
	v_cndmask_b32_e64 v2, 0, v2, s[60:61]
	v_add_u16_e32 v1, v1, v2
	v_cndmask_b32_e64 v2, 0, v17, s[62:63]
	v_add_u16_e32 v1, v1, v2
	v_lshrrev_b32_e32 v2, 16, v17
	v_cndmask_b32_e64 v2, 0, v2, s[64:65]
	v_add_u16_e32 v1, v1, v2
	v_mbcnt_lo_u32_b32 v2, -1, 0
	v_mbcnt_hi_u32_b32 v2, -1, v2
	v_and_b32_e32 v4, 63, v2
	v_cmp_ne_u32_e32 vcc, 63, v4
	s_min_u32 s6, s74, 0x80
	v_and_b32_e32 v5, 64, v0
	v_addc_co_u32_e32 v3, vcc, 0, v2, vcc
	v_lshlrev_b32_e32 v3, 2, v3
	ds_bpermute_b32 v3, v3, v1
	v_sub_u32_e64 v5, s6, v5 clamp
	v_add_u32_e32 v6, 1, v4
	v_cmp_gt_u32_e64 s[4:5], 62, v4
	v_cmp_lt_u32_e32 vcc, v6, v5
	s_waitcnt lgkmcnt(0)
	v_add_u16_e32 v3, v1, v3
	v_cndmask_b32_e64 v6, 0, 2, s[4:5]
	v_cndmask_b32_e32 v3, v1, v3, vcc
	v_add_lshl_u32 v6, v6, v2, 2
	ds_bpermute_b32 v6, v6, v3
	v_add_u32_e32 v7, 2, v4
	v_cmp_lt_u32_e64 s[4:5], v7, v5
	v_add_u32_e32 v7, 4, v4
	s_waitcnt lgkmcnt(0)
	v_add_u16_e32 v6, v3, v6
	v_cndmask_b32_e64 v3, v3, v6, s[4:5]
	v_cmp_gt_u32_e64 s[4:5], 60, v4
	s_nop 1
	v_cndmask_b32_e64 v6, 0, 4, s[4:5]
	v_add_lshl_u32 v6, v6, v2, 2
	ds_bpermute_b32 v6, v6, v3
	v_cmp_lt_u32_e64 s[4:5], v7, v5
	v_add_u32_e32 v7, 8, v4
	s_waitcnt lgkmcnt(0)
	v_add_u16_e32 v6, v3, v6
	v_cndmask_b32_e64 v3, v3, v6, s[4:5]
	v_cmp_gt_u32_e64 s[4:5], 56, v4
	s_nop 1
	v_cndmask_b32_e64 v6, 0, 8, s[4:5]
	v_add_lshl_u32 v6, v6, v2, 2
	ds_bpermute_b32 v6, v6, v3
	v_cmp_lt_u32_e64 s[4:5], v7, v5
	v_add_u32_e32 v7, 16, v4
	s_waitcnt lgkmcnt(0)
	v_add_u16_e32 v6, v3, v6
	v_cndmask_b32_e64 v3, v3, v6, s[4:5]
	v_cmp_gt_u32_e64 s[4:5], 48, v4
	v_add_u32_e32 v4, 32, v4
	s_nop 0
	v_cndmask_b32_e64 v6, 0, 16, s[4:5]
	v_add_lshl_u32 v6, v6, v2, 2
	ds_bpermute_b32 v6, v6, v3
	v_cmp_lt_u32_e64 s[4:5], v7, v5
	s_waitcnt lgkmcnt(0)
	v_add_u16_e32 v6, v3, v6
	v_cndmask_b32_e64 v6, v3, v6, s[4:5]
	v_lshlrev_b32_e32 v3, 2, v2
	v_or_b32_e32 v7, 0x80, v3
	ds_bpermute_b32 v7, v7, v6
	v_cmp_lt_u32_e64 s[4:5], v4, v5
	s_waitcnt lgkmcnt(0)
	s_nop 0
	v_cndmask_b32_e64 v4, 0, v7, s[4:5]
	v_add_u16_e32 v4, v6, v4
	v_cndmask_b32_e32 v1, v1, v4, vcc
	v_cmp_eq_u32_e32 vcc, 0, v2
	s_and_saveexec_b64 s[4:5], vcc
; %bb.283:
	v_lshrrev_b32_e32 v4, 5, v0
	v_and_b32_e32 v4, 2, v4
	ds_write_b16 v4, v1 offset:28
; %bb.284:
	s_or_b64 exec, exec, s[4:5]
	v_cmp_gt_u32_e32 vcc, 2, v0
	s_waitcnt lgkmcnt(0)
	s_barrier
	s_and_saveexec_b64 s[4:5], vcc
	s_cbranch_execz .LBB270_286
; %bb.285:
	v_lshlrev_b32_e32 v1, 1, v2
	ds_read_u16 v1, v1 offset:28
	v_or_b32_e32 v3, 4, v3
	s_add_i32 s6, s6, 63
	v_and_b32_e32 v2, 1, v2
	s_lshr_b32 s6, s6, 6
	s_waitcnt lgkmcnt(0)
	v_and_b32_e32 v4, 0xffff, v1
	ds_bpermute_b32 v3, v3, v4
	v_add_u32_e32 v2, 1, v2
	v_cmp_gt_u32_e32 vcc, s6, v2
	s_waitcnt lgkmcnt(0)
	s_nop 0
	v_cndmask_b32_e32 v2, 0, v3, vcc
	v_add_u16_e32 v1, v2, v1
.LBB270_286:
	s_or_b64 exec, exec, s[4:5]
.LBB270_287:
	v_cmp_eq_u32_e64 s[4:5], 0, v0
.LBB270_288:
	s_branch .LBB270_371
.LBB270_289:
	s_cmp_gt_i32 s33, 1
	s_cbranch_scc0 .LBB270_298
; %bb.290:
	s_cmp_gt_i32 s33, 3
	s_cbranch_scc0 .LBB270_299
; %bb.291:
	s_cmp_eq_u32 s33, 4
	s_cbranch_scc0 .LBB270_307
; %bb.292:
	s_mov_b32 s3, 0
	s_lshl_b32 s4, s2, 9
	s_mov_b32 s5, s3
	s_lshr_b64 s[6:7], s[70:71], 9
	s_lshl_b64 s[8:9], s[4:5], 1
	s_add_u32 s8, s68, s8
	s_addc_u32 s9, s69, s9
	s_cmp_lg_u64 s[6:7], s[2:3]
	s_cbranch_scc0 .LBB270_333
; %bb.293:
	v_lshlrev_b32_e32 v1, 1, v0
	global_load_ushort v4, v1, s[8:9]
	global_load_ushort v5, v1, s[8:9] offset:256
	global_load_ushort v6, v1, s[8:9] offset:512
	;; [unrolled: 1-line block ×3, first 2 shown]
	v_mbcnt_lo_u32_b32 v1, -1, 0
	v_mbcnt_hi_u32_b32 v2, -1, v1
	v_lshlrev_b32_e32 v3, 2, v2
	v_cmp_eq_u32_e32 vcc, 0, v2
	s_waitcnt vmcnt(2)
	v_add_u16_e32 v1, v5, v4
	s_waitcnt vmcnt(1)
	v_add_u16_e32 v1, v1, v6
	;; [unrolled: 2-line block ×3, first 2 shown]
	v_or_b32_e32 v4, 0xfc, v3
	s_nop 0
	v_add_u16_dpp v1, v1, v1 quad_perm:[1,0,3,2] row_mask:0xf bank_mask:0xf bound_ctrl:1
	s_nop 1
	v_add_u16_dpp v1, v1, v1 quad_perm:[2,3,0,1] row_mask:0xf bank_mask:0xf bound_ctrl:1
	s_nop 1
	v_add_u16_dpp v1, v1, v1 row_ror:4 row_mask:0xf bank_mask:0xf bound_ctrl:1
	s_nop 1
	v_add_u16_dpp v1, v1, v1 row_ror:8 row_mask:0xf bank_mask:0xf bound_ctrl:1
	s_nop 1
	v_add_u16_dpp v1, v1, v1 row_bcast:15 row_mask:0xf bank_mask:0xf bound_ctrl:1
	s_nop 1
	v_add_u16_dpp v1, v1, v1 row_bcast:31 row_mask:0xf bank_mask:0xf bound_ctrl:1
	ds_bpermute_b32 v1, v4, v1
	s_and_saveexec_b64 s[6:7], vcc
	s_cbranch_execz .LBB270_295
; %bb.294:
	v_lshrrev_b32_e32 v4, 5, v0
	v_and_b32_e32 v4, 2, v4
	s_waitcnt lgkmcnt(0)
	ds_write_b16 v4, v1 offset:16
.LBB270_295:
	s_or_b64 exec, exec, s[6:7]
	v_cmp_gt_u32_e32 vcc, 64, v0
	s_waitcnt lgkmcnt(0)
	s_barrier
	s_and_saveexec_b64 s[6:7], vcc
	s_cbranch_execz .LBB270_297
; %bb.296:
	v_and_b32_e32 v1, 1, v2
	v_lshlrev_b32_e32 v1, 1, v1
	ds_read_u16 v1, v1 offset:16
	v_or_b32_e32 v2, 4, v3
	s_waitcnt lgkmcnt(0)
	v_and_b32_e32 v3, 0xffff, v1
	ds_bpermute_b32 v2, v2, v3
	s_waitcnt lgkmcnt(0)
	v_add_u16_e32 v1, v1, v2
.LBB270_297:
	s_or_b64 exec, exec, s[6:7]
	s_mov_b64 s[6:7], 0
	s_branch .LBB270_334
.LBB270_298:
                                        ; implicit-def: $vgpr1
	s_cbranch_execnz .LBB270_362
	s_branch .LBB270_371
.LBB270_299:
                                        ; implicit-def: $vgpr1
	s_cbranch_execz .LBB270_349
; %bb.300:
	s_cmp_eq_u32 s33, 2
	s_cbranch_scc0 .LBB270_308
; %bb.301:
	s_mov_b32 s3, 0
	s_lshl_b32 s6, s2, 8
	s_mov_b32 s7, s3
	s_lshr_b64 s[8:9], s[70:71], 8
	s_lshl_b64 s[4:5], s[6:7], 1
	s_add_u32 s4, s68, s4
	s_addc_u32 s5, s69, s5
	s_cmp_lg_u64 s[8:9], s[2:3]
	s_cbranch_scc0 .LBB270_350
; %bb.302:
	v_lshlrev_b32_e32 v1, 1, v0
	global_load_ushort v4, v1, s[4:5]
	global_load_ushort v5, v1, s[4:5] offset:256
	v_mbcnt_lo_u32_b32 v1, -1, 0
	v_mbcnt_hi_u32_b32 v2, -1, v1
	v_lshlrev_b32_e32 v3, 2, v2
	v_cmp_eq_u32_e32 vcc, 0, v2
	s_waitcnt vmcnt(0)
	v_add_u16_e32 v1, v5, v4
	s_nop 1
	v_add_u16_dpp v1, v1, v1 quad_perm:[1,0,3,2] row_mask:0xf bank_mask:0xf bound_ctrl:1
	v_or_b32_e32 v4, 0xfc, v3
	s_nop 0
	v_add_u16_dpp v1, v1, v1 quad_perm:[2,3,0,1] row_mask:0xf bank_mask:0xf bound_ctrl:1
	s_nop 1
	v_add_u16_dpp v1, v1, v1 row_ror:4 row_mask:0xf bank_mask:0xf bound_ctrl:1
	s_nop 1
	v_add_u16_dpp v1, v1, v1 row_ror:8 row_mask:0xf bank_mask:0xf bound_ctrl:1
	s_nop 1
	v_add_u16_dpp v1, v1, v1 row_bcast:15 row_mask:0xf bank_mask:0xf bound_ctrl:1
	s_nop 1
	v_add_u16_dpp v1, v1, v1 row_bcast:31 row_mask:0xf bank_mask:0xf bound_ctrl:1
	ds_bpermute_b32 v1, v4, v1
	s_and_saveexec_b64 s[8:9], vcc
	s_cbranch_execz .LBB270_304
; %bb.303:
	v_lshrrev_b32_e32 v4, 5, v0
	v_and_b32_e32 v4, 2, v4
	s_waitcnt lgkmcnt(0)
	ds_write_b16 v4, v1 offset:8
.LBB270_304:
	s_or_b64 exec, exec, s[8:9]
	v_cmp_gt_u32_e32 vcc, 64, v0
	s_waitcnt lgkmcnt(0)
	s_barrier
	s_and_saveexec_b64 s[8:9], vcc
	s_cbranch_execz .LBB270_306
; %bb.305:
	v_and_b32_e32 v1, 1, v2
	v_lshlrev_b32_e32 v1, 1, v1
	ds_read_u16 v1, v1 offset:8
	v_or_b32_e32 v2, 4, v3
	s_waitcnt lgkmcnt(0)
	v_and_b32_e32 v3, 0xffff, v1
	ds_bpermute_b32 v2, v2, v3
	s_waitcnt lgkmcnt(0)
	v_add_u16_e32 v1, v1, v2
.LBB270_306:
	s_or_b64 exec, exec, s[8:9]
	s_mov_b64 s[8:9], 0
	s_branch .LBB270_351
.LBB270_307:
                                        ; implicit-def: $vgpr1
	s_branch .LBB270_349
.LBB270_308:
                                        ; implicit-def: $vgpr1
	s_branch .LBB270_371
.LBB270_309:
	s_mov_b64 s[6:7], -1
                                        ; implicit-def: $vgpr1
.LBB270_310:
	s_and_b64 vcc, exec, s[6:7]
	s_cbranch_vccz .LBB270_332
; %bb.311:
	s_sub_i32 s20, s70, s4
	v_mov_b32_e32 v2, 0
	v_cmp_gt_u32_e32 vcc, s20, v0
	v_mov_b32_e32 v3, v2
	v_mov_b32_e32 v4, v2
	;; [unrolled: 1-line block ×3, first 2 shown]
	s_and_saveexec_b64 s[4:5], vcc
	s_cbranch_execz .LBB270_313
; %bb.312:
	v_lshlrev_b32_e32 v1, 1, v0
	global_load_ushort v1, v1, s[16:17]
	v_mov_b32_e32 v5, v2
	v_mov_b32_e32 v6, v2
	;; [unrolled: 1-line block ×3, first 2 shown]
	s_waitcnt vmcnt(0)
	v_and_b32_e32 v4, 0xffff, v1
	v_mov_b64_e32 v[2:3], v[4:5]
	v_mov_b64_e32 v[4:5], v[6:7]
.LBB270_313:
	s_or_b64 exec, exec, s[4:5]
	v_or_b32_e32 v1, 0x80, v0
	v_cmp_gt_u32_e32 vcc, s20, v1
	s_and_saveexec_b64 s[4:5], vcc
	s_cbranch_execz .LBB270_315
; %bb.314:
	v_lshlrev_b32_e32 v1, 1, v0
	global_load_ushort v1, v1, s[16:17] offset:256
	s_mov_b32 s6, 0x5040100
	s_waitcnt vmcnt(0)
	v_perm_b32 v2, v1, v2, s6
.LBB270_315:
	s_or_b64 exec, exec, s[4:5]
	v_or_b32_e32 v1, 0x100, v0
	v_cmp_gt_u32_e64 s[4:5], s20, v1
	s_and_saveexec_b64 s[6:7], s[4:5]
	s_cbranch_execz .LBB270_317
; %bb.316:
	v_lshlrev_b32_e32 v1, 1, v0
	global_load_ushort v1, v1, s[16:17] offset:512
	s_mov_b32 s8, 0xffff
	s_waitcnt vmcnt(0)
	v_bfi_b32 v3, s8, v1, v3
.LBB270_317:
	s_or_b64 exec, exec, s[6:7]
	v_or_b32_e32 v1, 0x180, v0
	v_cmp_gt_u32_e64 s[6:7], s20, v1
	s_and_saveexec_b64 s[8:9], s[6:7]
	s_cbranch_execz .LBB270_319
; %bb.318:
	v_lshlrev_b32_e32 v1, 1, v0
	global_load_ushort v1, v1, s[16:17] offset:768
	s_mov_b32 s10, 0x5040100
	s_waitcnt vmcnt(0)
	v_perm_b32 v3, v1, v3, s10
.LBB270_319:
	s_or_b64 exec, exec, s[8:9]
	v_or_b32_e32 v1, 0x200, v0
	v_cmp_gt_u32_e64 s[8:9], s20, v1
	s_and_saveexec_b64 s[10:11], s[8:9]
	s_cbranch_execz .LBB270_321
; %bb.320:
	v_lshlrev_b32_e32 v1, 1, v0
	global_load_ushort v1, v1, s[16:17] offset:1024
	s_mov_b32 s12, 0xffff
	s_waitcnt vmcnt(0)
	v_bfi_b32 v4, s12, v1, v4
.LBB270_321:
	s_or_b64 exec, exec, s[10:11]
	v_or_b32_e32 v1, 0x280, v0
	v_cmp_gt_u32_e64 s[10:11], s20, v1
	s_and_saveexec_b64 s[12:13], s[10:11]
	;; [unrolled: 24-line block ×3, first 2 shown]
	s_cbranch_execz .LBB270_327
; %bb.326:
	v_lshlrev_b32_e32 v1, 1, v0
	global_load_ushort v1, v1, s[16:17] offset:1792
	s_mov_b32 s16, 0x5040100
	s_waitcnt vmcnt(0)
	v_perm_b32 v5, v1, v5, s16
.LBB270_327:
	s_or_b64 exec, exec, s[18:19]
	v_mov_b32_e32 v1, 0
	v_cndmask_b32_sdwa v1, v1, v2, vcc dst_sel:DWORD dst_unused:UNUSED_PAD src0_sel:DWORD src1_sel:WORD_1
	v_add_u16_e32 v1, v1, v2
	v_cndmask_b32_e64 v2, 0, v3, s[4:5]
	v_add_u16_e32 v1, v1, v2
	v_lshrrev_b32_e32 v2, 16, v3
	v_cndmask_b32_e64 v2, 0, v2, s[6:7]
	v_add_u16_e32 v1, v1, v2
	v_cndmask_b32_e64 v2, 0, v4, s[8:9]
	v_add_u16_e32 v1, v1, v2
	v_lshrrev_b32_e32 v2, 16, v4
	v_cndmask_b32_e64 v2, 0, v2, s[10:11]
	;; [unrolled: 5-line block ×3, first 2 shown]
	v_add_u16_e32 v1, v1, v2
	v_mbcnt_lo_u32_b32 v2, -1, 0
	v_mbcnt_hi_u32_b32 v2, -1, v2
	v_and_b32_e32 v4, 63, v2
	v_cmp_ne_u32_e32 vcc, 63, v4
	s_min_u32 s6, s20, 0x80
	v_and_b32_e32 v5, 64, v0
	v_addc_co_u32_e32 v3, vcc, 0, v2, vcc
	v_lshlrev_b32_e32 v3, 2, v3
	ds_bpermute_b32 v3, v3, v1
	v_sub_u32_e64 v5, s6, v5 clamp
	v_add_u32_e32 v6, 1, v4
	v_cmp_gt_u32_e64 s[4:5], 62, v4
	v_cmp_lt_u32_e32 vcc, v6, v5
	s_waitcnt lgkmcnt(0)
	v_add_u16_e32 v3, v1, v3
	v_cndmask_b32_e64 v6, 0, 2, s[4:5]
	v_cndmask_b32_e32 v3, v1, v3, vcc
	v_add_lshl_u32 v6, v6, v2, 2
	ds_bpermute_b32 v6, v6, v3
	v_add_u32_e32 v7, 2, v4
	v_cmp_lt_u32_e64 s[4:5], v7, v5
	v_add_u32_e32 v7, 4, v4
	s_waitcnt lgkmcnt(0)
	v_add_u16_e32 v6, v3, v6
	v_cndmask_b32_e64 v3, v3, v6, s[4:5]
	v_cmp_gt_u32_e64 s[4:5], 60, v4
	s_nop 1
	v_cndmask_b32_e64 v6, 0, 4, s[4:5]
	v_add_lshl_u32 v6, v6, v2, 2
	ds_bpermute_b32 v6, v6, v3
	v_cmp_lt_u32_e64 s[4:5], v7, v5
	v_add_u32_e32 v7, 8, v4
	s_waitcnt lgkmcnt(0)
	v_add_u16_e32 v6, v3, v6
	v_cndmask_b32_e64 v3, v3, v6, s[4:5]
	v_cmp_gt_u32_e64 s[4:5], 56, v4
	s_nop 1
	v_cndmask_b32_e64 v6, 0, 8, s[4:5]
	v_add_lshl_u32 v6, v6, v2, 2
	ds_bpermute_b32 v6, v6, v3
	v_cmp_lt_u32_e64 s[4:5], v7, v5
	v_add_u32_e32 v7, 16, v4
	s_waitcnt lgkmcnt(0)
	v_add_u16_e32 v6, v3, v6
	v_cndmask_b32_e64 v3, v3, v6, s[4:5]
	v_cmp_gt_u32_e64 s[4:5], 48, v4
	v_add_u32_e32 v4, 32, v4
	s_nop 0
	v_cndmask_b32_e64 v6, 0, 16, s[4:5]
	v_add_lshl_u32 v6, v6, v2, 2
	ds_bpermute_b32 v6, v6, v3
	v_cmp_lt_u32_e64 s[4:5], v7, v5
	s_waitcnt lgkmcnt(0)
	v_add_u16_e32 v6, v3, v6
	v_cndmask_b32_e64 v6, v3, v6, s[4:5]
	v_lshlrev_b32_e32 v3, 2, v2
	v_or_b32_e32 v7, 0x80, v3
	ds_bpermute_b32 v7, v7, v6
	v_cmp_lt_u32_e64 s[4:5], v4, v5
	s_waitcnt lgkmcnt(0)
	s_nop 0
	v_cndmask_b32_e64 v4, 0, v7, s[4:5]
	v_add_u16_e32 v4, v6, v4
	v_cndmask_b32_e32 v1, v1, v4, vcc
	v_cmp_eq_u32_e32 vcc, 0, v2
	s_and_saveexec_b64 s[4:5], vcc
; %bb.328:
	v_lshrrev_b32_e32 v4, 5, v0
	v_and_b32_e32 v4, 2, v4
	ds_write_b16 v4, v1 offset:28
; %bb.329:
	s_or_b64 exec, exec, s[4:5]
	v_cmp_gt_u32_e32 vcc, 2, v0
	s_waitcnt lgkmcnt(0)
	s_barrier
	s_and_saveexec_b64 s[4:5], vcc
	s_cbranch_execz .LBB270_331
; %bb.330:
	v_lshlrev_b32_e32 v1, 1, v2
	ds_read_u16 v1, v1 offset:28
	v_or_b32_e32 v3, 4, v3
	s_add_i32 s6, s6, 63
	v_and_b32_e32 v2, 1, v2
	s_lshr_b32 s6, s6, 6
	s_waitcnt lgkmcnt(0)
	v_and_b32_e32 v4, 0xffff, v1
	ds_bpermute_b32 v3, v3, v4
	v_add_u32_e32 v2, 1, v2
	v_cmp_gt_u32_e32 vcc, s6, v2
	s_waitcnt lgkmcnt(0)
	s_nop 0
	v_cndmask_b32_e32 v2, 0, v3, vcc
	v_add_u16_e32 v1, v2, v1
.LBB270_331:
	s_or_b64 exec, exec, s[4:5]
.LBB270_332:
	v_cmp_eq_u32_e64 s[4:5], 0, v0
	s_branch .LBB270_371
.LBB270_333:
	s_mov_b64 s[6:7], -1
                                        ; implicit-def: $vgpr1
.LBB270_334:
	s_and_b64 vcc, exec, s[6:7]
	s_cbranch_vccz .LBB270_348
; %bb.335:
	s_sub_i32 s12, s70, s4
	v_mov_b32_e32 v2, 0
	v_cmp_gt_u32_e32 vcc, s12, v0
	v_mov_b32_e32 v3, v2
	s_and_saveexec_b64 s[4:5], vcc
	s_cbranch_execz .LBB270_337
; %bb.336:
	v_lshlrev_b32_e32 v1, 1, v0
	global_load_ushort v1, v1, s[8:9]
	v_mov_b32_e32 v5, v2
	s_waitcnt vmcnt(0)
	v_and_b32_e32 v4, 0xffff, v1
	v_mov_b64_e32 v[2:3], v[4:5]
.LBB270_337:
	s_or_b64 exec, exec, s[4:5]
	v_or_b32_e32 v1, 0x80, v0
	v_cmp_gt_u32_e32 vcc, s12, v1
	s_and_saveexec_b64 s[4:5], vcc
	s_cbranch_execz .LBB270_339
; %bb.338:
	v_lshlrev_b32_e32 v1, 1, v0
	global_load_ushort v1, v1, s[8:9] offset:256
	s_mov_b32 s6, 0x5040100
	s_waitcnt vmcnt(0)
	v_perm_b32 v2, v1, v2, s6
.LBB270_339:
	s_or_b64 exec, exec, s[4:5]
	v_or_b32_e32 v1, 0x100, v0
	v_cmp_gt_u32_e64 s[4:5], s12, v1
	s_and_saveexec_b64 s[6:7], s[4:5]
	s_cbranch_execz .LBB270_341
; %bb.340:
	v_lshlrev_b32_e32 v1, 1, v0
	global_load_ushort v1, v1, s[8:9] offset:512
	s_mov_b32 s10, 0xffff
	s_waitcnt vmcnt(0)
	v_bfi_b32 v3, s10, v1, v3
.LBB270_341:
	s_or_b64 exec, exec, s[6:7]
	v_or_b32_e32 v1, 0x180, v0
	v_cmp_gt_u32_e64 s[6:7], s12, v1
	s_and_saveexec_b64 s[10:11], s[6:7]
	s_cbranch_execz .LBB270_343
; %bb.342:
	v_lshlrev_b32_e32 v1, 1, v0
	global_load_ushort v1, v1, s[8:9] offset:768
	s_mov_b32 s8, 0x5040100
	s_waitcnt vmcnt(0)
	v_perm_b32 v3, v1, v3, s8
.LBB270_343:
	s_or_b64 exec, exec, s[10:11]
	v_mov_b32_e32 v1, 0
	v_cndmask_b32_sdwa v1, v1, v2, vcc dst_sel:DWORD dst_unused:UNUSED_PAD src0_sel:DWORD src1_sel:WORD_1
	v_add_u16_e32 v1, v1, v2
	v_cndmask_b32_e64 v2, 0, v3, s[4:5]
	v_add_u16_e32 v1, v1, v2
	v_lshrrev_b32_e32 v2, 16, v3
	v_cndmask_b32_e64 v2, 0, v2, s[6:7]
	v_add_u16_e32 v1, v1, v2
	v_mbcnt_lo_u32_b32 v2, -1, 0
	v_mbcnt_hi_u32_b32 v2, -1, v2
	v_and_b32_e32 v4, 63, v2
	v_cmp_ne_u32_e32 vcc, 63, v4
	s_min_u32 s6, s12, 0x80
	v_and_b32_e32 v5, 64, v0
	v_addc_co_u32_e32 v3, vcc, 0, v2, vcc
	v_lshlrev_b32_e32 v3, 2, v3
	ds_bpermute_b32 v3, v3, v1
	v_sub_u32_e64 v5, s6, v5 clamp
	v_add_u32_e32 v6, 1, v4
	v_cmp_gt_u32_e64 s[4:5], 62, v4
	v_cmp_lt_u32_e32 vcc, v6, v5
	s_waitcnt lgkmcnt(0)
	v_add_u16_e32 v3, v1, v3
	v_cndmask_b32_e64 v6, 0, 2, s[4:5]
	v_cndmask_b32_e32 v3, v1, v3, vcc
	v_add_lshl_u32 v6, v6, v2, 2
	ds_bpermute_b32 v6, v6, v3
	v_add_u32_e32 v7, 2, v4
	v_cmp_lt_u32_e64 s[4:5], v7, v5
	v_add_u32_e32 v7, 4, v4
	s_waitcnt lgkmcnt(0)
	v_add_u16_e32 v6, v3, v6
	v_cndmask_b32_e64 v3, v3, v6, s[4:5]
	v_cmp_gt_u32_e64 s[4:5], 60, v4
	s_nop 1
	v_cndmask_b32_e64 v6, 0, 4, s[4:5]
	v_add_lshl_u32 v6, v6, v2, 2
	ds_bpermute_b32 v6, v6, v3
	v_cmp_lt_u32_e64 s[4:5], v7, v5
	v_add_u32_e32 v7, 8, v4
	s_waitcnt lgkmcnt(0)
	v_add_u16_e32 v6, v3, v6
	v_cndmask_b32_e64 v3, v3, v6, s[4:5]
	v_cmp_gt_u32_e64 s[4:5], 56, v4
	s_nop 1
	v_cndmask_b32_e64 v6, 0, 8, s[4:5]
	v_add_lshl_u32 v6, v6, v2, 2
	ds_bpermute_b32 v6, v6, v3
	v_cmp_lt_u32_e64 s[4:5], v7, v5
	v_add_u32_e32 v7, 16, v4
	s_waitcnt lgkmcnt(0)
	v_add_u16_e32 v6, v3, v6
	v_cndmask_b32_e64 v3, v3, v6, s[4:5]
	v_cmp_gt_u32_e64 s[4:5], 48, v4
	v_add_u32_e32 v4, 32, v4
	s_nop 0
	v_cndmask_b32_e64 v6, 0, 16, s[4:5]
	v_add_lshl_u32 v6, v6, v2, 2
	ds_bpermute_b32 v6, v6, v3
	v_cmp_lt_u32_e64 s[4:5], v7, v5
	s_waitcnt lgkmcnt(0)
	v_add_u16_e32 v6, v3, v6
	v_cndmask_b32_e64 v6, v3, v6, s[4:5]
	v_lshlrev_b32_e32 v3, 2, v2
	v_or_b32_e32 v7, 0x80, v3
	ds_bpermute_b32 v7, v7, v6
	v_cmp_lt_u32_e64 s[4:5], v4, v5
	s_waitcnt lgkmcnt(0)
	s_nop 0
	v_cndmask_b32_e64 v4, 0, v7, s[4:5]
	v_add_u16_e32 v4, v6, v4
	v_cndmask_b32_e32 v1, v1, v4, vcc
	v_cmp_eq_u32_e32 vcc, 0, v2
	s_and_saveexec_b64 s[4:5], vcc
; %bb.344:
	v_lshrrev_b32_e32 v4, 5, v0
	v_and_b32_e32 v4, 2, v4
	ds_write_b16 v4, v1 offset:28
; %bb.345:
	s_or_b64 exec, exec, s[4:5]
	v_cmp_gt_u32_e32 vcc, 2, v0
	s_waitcnt lgkmcnt(0)
	s_barrier
	s_and_saveexec_b64 s[4:5], vcc
	s_cbranch_execz .LBB270_347
; %bb.346:
	v_lshlrev_b32_e32 v1, 1, v2
	ds_read_u16 v1, v1 offset:28
	v_or_b32_e32 v3, 4, v3
	s_add_i32 s6, s6, 63
	v_and_b32_e32 v2, 1, v2
	s_lshr_b32 s6, s6, 6
	s_waitcnt lgkmcnt(0)
	v_and_b32_e32 v4, 0xffff, v1
	ds_bpermute_b32 v3, v3, v4
	v_add_u32_e32 v2, 1, v2
	v_cmp_gt_u32_e32 vcc, s6, v2
	s_waitcnt lgkmcnt(0)
	s_nop 0
	v_cndmask_b32_e32 v2, 0, v3, vcc
	v_add_u16_e32 v1, v2, v1
.LBB270_347:
	s_or_b64 exec, exec, s[4:5]
.LBB270_348:
	v_cmp_eq_u32_e64 s[4:5], 0, v0
.LBB270_349:
	s_branch .LBB270_371
.LBB270_350:
	s_mov_b64 s[8:9], -1
                                        ; implicit-def: $vgpr1
.LBB270_351:
	s_and_b64 vcc, exec, s[8:9]
	s_cbranch_vccz .LBB270_361
; %bb.352:
	s_sub_i32 s8, s70, s6
	v_cmp_gt_u32_e32 vcc, s8, v0
	v_mov_b32_e32 v1, 0
	s_and_saveexec_b64 s[6:7], vcc
	s_cbranch_execz .LBB270_354
; %bb.353:
	v_lshlrev_b32_e32 v1, 1, v0
	global_load_ushort v1, v1, s[4:5]
	s_waitcnt vmcnt(0)
	v_and_b32_e32 v1, 0xffff, v1
.LBB270_354:
	s_or_b64 exec, exec, s[6:7]
	v_or_b32_e32 v2, 0x80, v0
	v_cmp_gt_u32_e32 vcc, s8, v2
	s_and_saveexec_b64 s[6:7], vcc
	s_cbranch_execz .LBB270_356
; %bb.355:
	v_lshlrev_b32_e32 v2, 1, v0
	global_load_ushort v2, v2, s[4:5] offset:256
	s_mov_b32 s4, 0x5040100
	s_waitcnt vmcnt(0)
	v_perm_b32 v1, v2, v1, s4
.LBB270_356:
	s_or_b64 exec, exec, s[6:7]
	v_mov_b32_e32 v2, 0
	v_cndmask_b32_sdwa v2, v2, v1, vcc dst_sel:DWORD dst_unused:UNUSED_PAD src0_sel:DWORD src1_sel:WORD_1
	v_add_u16_e32 v1, v2, v1
	v_mbcnt_lo_u32_b32 v2, -1, 0
	v_mbcnt_hi_u32_b32 v2, -1, v2
	v_and_b32_e32 v4, 63, v2
	v_cmp_ne_u32_e32 vcc, 63, v4
	s_min_u32 s6, s8, 0x80
	v_and_b32_e32 v5, 64, v0
	v_addc_co_u32_e32 v3, vcc, 0, v2, vcc
	v_lshlrev_b32_e32 v3, 2, v3
	ds_bpermute_b32 v3, v3, v1
	v_sub_u32_e64 v5, s6, v5 clamp
	v_add_u32_e32 v6, 1, v4
	v_cmp_gt_u32_e64 s[4:5], 62, v4
	v_cmp_lt_u32_e32 vcc, v6, v5
	s_waitcnt lgkmcnt(0)
	v_add_u16_e32 v3, v1, v3
	v_cndmask_b32_e64 v6, 0, 2, s[4:5]
	v_cndmask_b32_e32 v3, v1, v3, vcc
	v_add_lshl_u32 v6, v6, v2, 2
	ds_bpermute_b32 v6, v6, v3
	v_add_u32_e32 v7, 2, v4
	v_cmp_lt_u32_e64 s[4:5], v7, v5
	v_add_u32_e32 v7, 4, v4
	s_waitcnt lgkmcnt(0)
	v_add_u16_e32 v6, v3, v6
	v_cndmask_b32_e64 v3, v3, v6, s[4:5]
	v_cmp_gt_u32_e64 s[4:5], 60, v4
	s_nop 1
	v_cndmask_b32_e64 v6, 0, 4, s[4:5]
	v_add_lshl_u32 v6, v6, v2, 2
	ds_bpermute_b32 v6, v6, v3
	v_cmp_lt_u32_e64 s[4:5], v7, v5
	v_add_u32_e32 v7, 8, v4
	s_waitcnt lgkmcnt(0)
	v_add_u16_e32 v6, v3, v6
	v_cndmask_b32_e64 v3, v3, v6, s[4:5]
	v_cmp_gt_u32_e64 s[4:5], 56, v4
	s_nop 1
	v_cndmask_b32_e64 v6, 0, 8, s[4:5]
	v_add_lshl_u32 v6, v6, v2, 2
	ds_bpermute_b32 v6, v6, v3
	v_cmp_lt_u32_e64 s[4:5], v7, v5
	v_add_u32_e32 v7, 16, v4
	s_waitcnt lgkmcnt(0)
	v_add_u16_e32 v6, v3, v6
	v_cndmask_b32_e64 v3, v3, v6, s[4:5]
	v_cmp_gt_u32_e64 s[4:5], 48, v4
	v_add_u32_e32 v4, 32, v4
	s_nop 0
	v_cndmask_b32_e64 v6, 0, 16, s[4:5]
	v_add_lshl_u32 v6, v6, v2, 2
	ds_bpermute_b32 v6, v6, v3
	v_cmp_lt_u32_e64 s[4:5], v7, v5
	s_waitcnt lgkmcnt(0)
	v_add_u16_e32 v6, v3, v6
	v_cndmask_b32_e64 v6, v3, v6, s[4:5]
	v_lshlrev_b32_e32 v3, 2, v2
	v_or_b32_e32 v7, 0x80, v3
	ds_bpermute_b32 v7, v7, v6
	v_cmp_lt_u32_e64 s[4:5], v4, v5
	s_waitcnt lgkmcnt(0)
	s_nop 0
	v_cndmask_b32_e64 v4, 0, v7, s[4:5]
	v_add_u16_e32 v4, v6, v4
	v_cndmask_b32_e32 v1, v1, v4, vcc
	v_cmp_eq_u32_e32 vcc, 0, v2
	s_and_saveexec_b64 s[4:5], vcc
; %bb.357:
	v_lshrrev_b32_e32 v4, 5, v0
	v_and_b32_e32 v4, 2, v4
	ds_write_b16 v4, v1 offset:28
; %bb.358:
	s_or_b64 exec, exec, s[4:5]
	v_cmp_gt_u32_e32 vcc, 2, v0
	s_waitcnt lgkmcnt(0)
	s_barrier
	s_and_saveexec_b64 s[4:5], vcc
	s_cbranch_execz .LBB270_360
; %bb.359:
	v_lshlrev_b32_e32 v1, 1, v2
	ds_read_u16 v1, v1 offset:28
	v_or_b32_e32 v3, 4, v3
	s_add_i32 s6, s6, 63
	v_and_b32_e32 v2, 1, v2
	s_lshr_b32 s6, s6, 6
	s_waitcnt lgkmcnt(0)
	v_and_b32_e32 v4, 0xffff, v1
	ds_bpermute_b32 v3, v3, v4
	v_add_u32_e32 v2, 1, v2
	v_cmp_gt_u32_e32 vcc, s6, v2
	s_waitcnt lgkmcnt(0)
	s_nop 0
	v_cndmask_b32_e32 v2, 0, v3, vcc
	v_add_u16_e32 v1, v2, v1
.LBB270_360:
	s_or_b64 exec, exec, s[4:5]
.LBB270_361:
	v_cmp_eq_u32_e64 s[4:5], 0, v0
	s_branch .LBB270_371
.LBB270_362:
	s_cmp_eq_u32 s33, 1
	s_cbranch_scc0 .LBB270_370
; %bb.363:
	s_mov_b32 s5, 0
	s_lshl_b32 s4, s2, 7
	s_mov_b32 s3, s5
	s_lshr_b64 s[6:7], s[70:71], 7
	s_cmp_lg_u64 s[6:7], s[2:3]
	v_mbcnt_lo_u32_b32 v2, -1, 0
	s_cbranch_scc0 .LBB270_374
; %bb.364:
	s_lshl_b64 s[6:7], s[4:5], 1
	s_add_u32 s6, s68, s6
	s_addc_u32 s7, s69, s7
	v_lshlrev_b32_e32 v1, 1, v0
	global_load_ushort v1, v1, s[6:7]
	v_mbcnt_hi_u32_b32 v3, -1, v2
	v_lshlrev_b32_e32 v4, 2, v3
	v_cmp_eq_u32_e32 vcc, 0, v3
	s_waitcnt vmcnt(0)
	v_and_b32_e32 v5, 0xffff, v1
	s_nop 1
	v_add_u16_dpp v1, v5, v1 quad_perm:[1,0,3,2] row_mask:0xf bank_mask:0xf bound_ctrl:1
	v_or_b32_e32 v5, 0xfc, v4
	s_nop 0
	v_add_u16_dpp v1, v1, v1 quad_perm:[2,3,0,1] row_mask:0xf bank_mask:0xf bound_ctrl:1
	s_nop 1
	v_add_u16_dpp v1, v1, v1 row_ror:4 row_mask:0xf bank_mask:0xf bound_ctrl:1
	s_nop 1
	v_add_u16_dpp v1, v1, v1 row_ror:8 row_mask:0xf bank_mask:0xf bound_ctrl:1
	s_nop 1
	v_add_u16_dpp v1, v1, v1 row_bcast:15 row_mask:0xf bank_mask:0xf bound_ctrl:1
	s_nop 1
	v_add_u16_dpp v1, v1, v1 row_bcast:31 row_mask:0xf bank_mask:0xf bound_ctrl:1
	ds_bpermute_b32 v1, v5, v1
	s_and_saveexec_b64 s[6:7], vcc
	s_cbranch_execz .LBB270_366
; %bb.365:
	v_lshrrev_b32_e32 v5, 5, v0
	v_and_b32_e32 v5, 2, v5
	s_waitcnt lgkmcnt(0)
	ds_write_b16 v5, v1 offset:4
.LBB270_366:
	s_or_b64 exec, exec, s[6:7]
	v_cmp_gt_u32_e32 vcc, 64, v0
	s_waitcnt lgkmcnt(0)
	s_barrier
	s_and_saveexec_b64 s[6:7], vcc
	s_cbranch_execz .LBB270_368
; %bb.367:
	v_and_b32_e32 v1, 1, v3
	v_lshlrev_b32_e32 v1, 1, v1
	ds_read_u16 v1, v1 offset:4
	v_or_b32_e32 v3, 4, v4
	s_waitcnt lgkmcnt(0)
	v_and_b32_e32 v4, 0xffff, v1
	ds_bpermute_b32 v3, v3, v4
	s_waitcnt lgkmcnt(0)
	v_add_u16_e32 v1, v1, v3
.LBB270_368:
	s_or_b64 exec, exec, s[6:7]
.LBB270_369:
	v_cmp_eq_u32_e64 s[4:5], 0, v0
	s_and_saveexec_b64 s[6:7], s[4:5]
	s_cbranch_execnz .LBB270_372
	s_branch .LBB270_373
.LBB270_370:
                                        ; implicit-def: $vgpr1
                                        ; implicit-def: $sgpr2_sgpr3
.LBB270_371:
	s_and_saveexec_b64 s[6:7], s[4:5]
	s_cbranch_execz .LBB270_373
.LBB270_372:
	s_load_dwordx2 s[4:5], s[0:1], 0x18
	s_load_dword s6, s[0:1], 0x20
	s_lshl_b64 s[0:1], s[2:3], 1
	v_mov_b32_e32 v0, 0
	s_waitcnt lgkmcnt(0)
	s_add_u32 s0, s4, s0
	s_addc_u32 s1, s5, s1
	s_cmp_lg_u64 s[70:71], 0
	s_cselect_b64 vcc, -1, 0
	v_cndmask_b32_e32 v1, 0, v1, vcc
	v_add_u16_e32 v1, s6, v1
	global_store_short v0, v1, s[0:1]
.LBB270_373:
	s_endpgm
.LBB270_374:
                                        ; implicit-def: $vgpr1
	s_cbranch_execz .LBB270_369
; %bb.375:
	s_sub_i32 s8, s70, s4
	v_cmp_gt_u32_e32 vcc, s8, v0
                                        ; implicit-def: $vgpr1
	s_and_saveexec_b64 s[6:7], vcc
	s_cbranch_execz .LBB270_377
; %bb.376:
	s_lshl_b64 s[4:5], s[4:5], 1
	s_add_u32 s4, s68, s4
	s_addc_u32 s5, s69, s5
	v_lshlrev_b32_e32 v1, 1, v0
	global_load_ushort v1, v1, s[4:5]
.LBB270_377:
	s_or_b64 exec, exec, s[6:7]
	v_mbcnt_hi_u32_b32 v2, -1, v2
	v_and_b32_e32 v4, 63, v2
	v_cmp_ne_u32_e32 vcc, 63, v4
	s_waitcnt vmcnt(0)
	v_and_b32_e32 v5, 0xffff, v1
	s_min_u32 s8, s8, 0x80
	v_addc_co_u32_e32 v3, vcc, 0, v2, vcc
	v_lshlrev_b32_e32 v3, 2, v3
	ds_bpermute_b32 v3, v3, v5
	v_and_b32_e32 v6, 64, v0
	v_sub_u32_e64 v6, s8, v6 clamp
	v_add_u32_e32 v7, 1, v4
	v_cmp_gt_u32_e64 s[4:5], 62, v4
	s_waitcnt lgkmcnt(0)
	v_add_u16_e32 v3, v1, v3
	v_cmp_lt_u32_e32 vcc, v7, v6
	v_cndmask_b32_e64 v7, 0, 2, s[4:5]
	v_add_lshl_u32 v7, v7, v2, 2
	v_cndmask_b32_e32 v5, v5, v3, vcc
	ds_bpermute_b32 v7, v7, v5
	v_cndmask_b32_e32 v3, v1, v3, vcc
	v_add_u32_e32 v8, 2, v4
	v_cmp_gt_u32_e64 s[6:7], 60, v4
	v_cmp_lt_u32_e64 s[4:5], v8, v6
	s_waitcnt lgkmcnt(0)
	v_add_u16_e32 v7, v3, v7
	v_cndmask_b32_e64 v8, 0, 4, s[6:7]
	v_cndmask_b32_e64 v5, v5, v7, s[4:5]
	v_add_lshl_u32 v8, v8, v2, 2
	ds_bpermute_b32 v8, v8, v5
	v_cndmask_b32_e64 v3, v3, v7, s[4:5]
	v_add_u32_e32 v7, 4, v4
	v_cmp_gt_u32_e64 s[6:7], 56, v4
	v_cmp_lt_u32_e64 s[4:5], v7, v6
	s_waitcnt lgkmcnt(0)
	v_add_u16_e32 v8, v3, v8
	v_cndmask_b32_e64 v7, 0, 8, s[6:7]
	v_cndmask_b32_e64 v5, v5, v8, s[4:5]
	v_add_lshl_u32 v7, v7, v2, 2
	ds_bpermute_b32 v7, v7, v5
	v_cndmask_b32_e64 v3, v3, v8, s[4:5]
	;; [unrolled: 10-line block ×3, first 2 shown]
	v_add_u32_e32 v3, 16, v4
	v_cmp_lt_u32_e64 s[4:5], v3, v6
	v_lshlrev_b32_e32 v3, 2, v2
	s_waitcnt lgkmcnt(0)
	v_add_u16_e32 v8, v7, v8
	v_cndmask_b32_e64 v5, v5, v8, s[4:5]
	v_or_b32_e32 v9, 0x80, v3
	ds_bpermute_b32 v5, v9, v5
	v_add_u32_e32 v4, 32, v4
	v_cndmask_b32_e64 v7, v7, v8, s[4:5]
	v_cmp_lt_u32_e64 s[4:5], v4, v6
	s_waitcnt lgkmcnt(0)
	s_nop 0
	v_cndmask_b32_e64 v4, 0, v5, s[4:5]
	v_add_u16_e32 v4, v7, v4
	v_cndmask_b32_e32 v1, v1, v4, vcc
	v_cmp_eq_u32_e32 vcc, 0, v2
	s_and_saveexec_b64 s[4:5], vcc
; %bb.378:
	v_lshrrev_b32_e32 v4, 5, v0
	v_and_b32_e32 v4, 2, v4
	ds_write_b16 v4, v1 offset:28
; %bb.379:
	s_or_b64 exec, exec, s[4:5]
	v_cmp_gt_u32_e32 vcc, 2, v0
	s_waitcnt lgkmcnt(0)
	s_barrier
	s_and_saveexec_b64 s[4:5], vcc
	s_cbranch_execz .LBB270_381
; %bb.380:
	v_lshlrev_b32_e32 v1, 1, v2
	ds_read_u16 v1, v1 offset:28
	v_or_b32_e32 v3, 4, v3
	s_add_i32 s8, s8, 63
	v_and_b32_e32 v2, 1, v2
	s_lshr_b32 s6, s8, 6
	s_waitcnt lgkmcnt(0)
	v_and_b32_e32 v4, 0xffff, v1
	ds_bpermute_b32 v3, v3, v4
	v_add_u32_e32 v2, 1, v2
	v_cmp_gt_u32_e32 vcc, s6, v2
	s_waitcnt lgkmcnt(0)
	s_nop 0
	v_cndmask_b32_e32 v2, 0, v3, vcc
	v_add_u16_e32 v1, v2, v1
.LBB270_381:
	s_or_b64 exec, exec, s[4:5]
	v_cmp_eq_u32_e64 s[4:5], 0, v0
	s_and_saveexec_b64 s[6:7], s[4:5]
	s_cbranch_execnz .LBB270_372
	s_branch .LBB270_373
	.section	.rodata,"a",@progbits
	.p2align	6, 0x0
	.amdhsa_kernel _ZN7rocprim17ROCPRIM_400000_NS6detail17trampoline_kernelINS0_14default_configENS1_22reduce_config_selectorIsEEZNS1_11reduce_implILb1ES3_PsS7_sN6thrust23THRUST_200600_302600_NS4plusIsEEEE10hipError_tPvRmT1_T2_T3_mT4_P12ihipStream_tbEUlT_E1_NS1_11comp_targetILNS1_3genE0ELNS1_11target_archE4294967295ELNS1_3gpuE0ELNS1_3repE0EEENS1_30default_config_static_selectorELNS0_4arch9wavefront6targetE1EEEvSF_
		.amdhsa_group_segment_fixed_size 32
		.amdhsa_private_segment_fixed_size 0
		.amdhsa_kernarg_size 40
		.amdhsa_user_sgpr_count 2
		.amdhsa_user_sgpr_dispatch_ptr 0
		.amdhsa_user_sgpr_queue_ptr 0
		.amdhsa_user_sgpr_kernarg_segment_ptr 1
		.amdhsa_user_sgpr_dispatch_id 0
		.amdhsa_user_sgpr_kernarg_preload_length 0
		.amdhsa_user_sgpr_kernarg_preload_offset 0
		.amdhsa_user_sgpr_private_segment_size 0
		.amdhsa_uses_dynamic_stack 0
		.amdhsa_enable_private_segment 0
		.amdhsa_system_sgpr_workgroup_id_x 1
		.amdhsa_system_sgpr_workgroup_id_y 0
		.amdhsa_system_sgpr_workgroup_id_z 0
		.amdhsa_system_sgpr_workgroup_info 0
		.amdhsa_system_vgpr_workitem_id 0
		.amdhsa_next_free_vgpr 67
		.amdhsa_next_free_sgpr 100
		.amdhsa_accum_offset 68
		.amdhsa_reserve_vcc 1
		.amdhsa_float_round_mode_32 0
		.amdhsa_float_round_mode_16_64 0
		.amdhsa_float_denorm_mode_32 3
		.amdhsa_float_denorm_mode_16_64 3
		.amdhsa_dx10_clamp 1
		.amdhsa_ieee_mode 1
		.amdhsa_fp16_overflow 0
		.amdhsa_tg_split 0
		.amdhsa_exception_fp_ieee_invalid_op 0
		.amdhsa_exception_fp_denorm_src 0
		.amdhsa_exception_fp_ieee_div_zero 0
		.amdhsa_exception_fp_ieee_overflow 0
		.amdhsa_exception_fp_ieee_underflow 0
		.amdhsa_exception_fp_ieee_inexact 0
		.amdhsa_exception_int_div_zero 0
	.end_amdhsa_kernel
	.section	.text._ZN7rocprim17ROCPRIM_400000_NS6detail17trampoline_kernelINS0_14default_configENS1_22reduce_config_selectorIsEEZNS1_11reduce_implILb1ES3_PsS7_sN6thrust23THRUST_200600_302600_NS4plusIsEEEE10hipError_tPvRmT1_T2_T3_mT4_P12ihipStream_tbEUlT_E1_NS1_11comp_targetILNS1_3genE0ELNS1_11target_archE4294967295ELNS1_3gpuE0ELNS1_3repE0EEENS1_30default_config_static_selectorELNS0_4arch9wavefront6targetE1EEEvSF_,"axG",@progbits,_ZN7rocprim17ROCPRIM_400000_NS6detail17trampoline_kernelINS0_14default_configENS1_22reduce_config_selectorIsEEZNS1_11reduce_implILb1ES3_PsS7_sN6thrust23THRUST_200600_302600_NS4plusIsEEEE10hipError_tPvRmT1_T2_T3_mT4_P12ihipStream_tbEUlT_E1_NS1_11comp_targetILNS1_3genE0ELNS1_11target_archE4294967295ELNS1_3gpuE0ELNS1_3repE0EEENS1_30default_config_static_selectorELNS0_4arch9wavefront6targetE1EEEvSF_,comdat
.Lfunc_end270:
	.size	_ZN7rocprim17ROCPRIM_400000_NS6detail17trampoline_kernelINS0_14default_configENS1_22reduce_config_selectorIsEEZNS1_11reduce_implILb1ES3_PsS7_sN6thrust23THRUST_200600_302600_NS4plusIsEEEE10hipError_tPvRmT1_T2_T3_mT4_P12ihipStream_tbEUlT_E1_NS1_11comp_targetILNS1_3genE0ELNS1_11target_archE4294967295ELNS1_3gpuE0ELNS1_3repE0EEENS1_30default_config_static_selectorELNS0_4arch9wavefront6targetE1EEEvSF_, .Lfunc_end270-_ZN7rocprim17ROCPRIM_400000_NS6detail17trampoline_kernelINS0_14default_configENS1_22reduce_config_selectorIsEEZNS1_11reduce_implILb1ES3_PsS7_sN6thrust23THRUST_200600_302600_NS4plusIsEEEE10hipError_tPvRmT1_T2_T3_mT4_P12ihipStream_tbEUlT_E1_NS1_11comp_targetILNS1_3genE0ELNS1_11target_archE4294967295ELNS1_3gpuE0ELNS1_3repE0EEENS1_30default_config_static_selectorELNS0_4arch9wavefront6targetE1EEEvSF_
                                        ; -- End function
	.set _ZN7rocprim17ROCPRIM_400000_NS6detail17trampoline_kernelINS0_14default_configENS1_22reduce_config_selectorIsEEZNS1_11reduce_implILb1ES3_PsS7_sN6thrust23THRUST_200600_302600_NS4plusIsEEEE10hipError_tPvRmT1_T2_T3_mT4_P12ihipStream_tbEUlT_E1_NS1_11comp_targetILNS1_3genE0ELNS1_11target_archE4294967295ELNS1_3gpuE0ELNS1_3repE0EEENS1_30default_config_static_selectorELNS0_4arch9wavefront6targetE1EEEvSF_.num_vgpr, 67
	.set _ZN7rocprim17ROCPRIM_400000_NS6detail17trampoline_kernelINS0_14default_configENS1_22reduce_config_selectorIsEEZNS1_11reduce_implILb1ES3_PsS7_sN6thrust23THRUST_200600_302600_NS4plusIsEEEE10hipError_tPvRmT1_T2_T3_mT4_P12ihipStream_tbEUlT_E1_NS1_11comp_targetILNS1_3genE0ELNS1_11target_archE4294967295ELNS1_3gpuE0ELNS1_3repE0EEENS1_30default_config_static_selectorELNS0_4arch9wavefront6targetE1EEEvSF_.num_agpr, 0
	.set _ZN7rocprim17ROCPRIM_400000_NS6detail17trampoline_kernelINS0_14default_configENS1_22reduce_config_selectorIsEEZNS1_11reduce_implILb1ES3_PsS7_sN6thrust23THRUST_200600_302600_NS4plusIsEEEE10hipError_tPvRmT1_T2_T3_mT4_P12ihipStream_tbEUlT_E1_NS1_11comp_targetILNS1_3genE0ELNS1_11target_archE4294967295ELNS1_3gpuE0ELNS1_3repE0EEENS1_30default_config_static_selectorELNS0_4arch9wavefront6targetE1EEEvSF_.numbered_sgpr, 100
	.set _ZN7rocprim17ROCPRIM_400000_NS6detail17trampoline_kernelINS0_14default_configENS1_22reduce_config_selectorIsEEZNS1_11reduce_implILb1ES3_PsS7_sN6thrust23THRUST_200600_302600_NS4plusIsEEEE10hipError_tPvRmT1_T2_T3_mT4_P12ihipStream_tbEUlT_E1_NS1_11comp_targetILNS1_3genE0ELNS1_11target_archE4294967295ELNS1_3gpuE0ELNS1_3repE0EEENS1_30default_config_static_selectorELNS0_4arch9wavefront6targetE1EEEvSF_.num_named_barrier, 0
	.set _ZN7rocprim17ROCPRIM_400000_NS6detail17trampoline_kernelINS0_14default_configENS1_22reduce_config_selectorIsEEZNS1_11reduce_implILb1ES3_PsS7_sN6thrust23THRUST_200600_302600_NS4plusIsEEEE10hipError_tPvRmT1_T2_T3_mT4_P12ihipStream_tbEUlT_E1_NS1_11comp_targetILNS1_3genE0ELNS1_11target_archE4294967295ELNS1_3gpuE0ELNS1_3repE0EEENS1_30default_config_static_selectorELNS0_4arch9wavefront6targetE1EEEvSF_.private_seg_size, 0
	.set _ZN7rocprim17ROCPRIM_400000_NS6detail17trampoline_kernelINS0_14default_configENS1_22reduce_config_selectorIsEEZNS1_11reduce_implILb1ES3_PsS7_sN6thrust23THRUST_200600_302600_NS4plusIsEEEE10hipError_tPvRmT1_T2_T3_mT4_P12ihipStream_tbEUlT_E1_NS1_11comp_targetILNS1_3genE0ELNS1_11target_archE4294967295ELNS1_3gpuE0ELNS1_3repE0EEENS1_30default_config_static_selectorELNS0_4arch9wavefront6targetE1EEEvSF_.uses_vcc, 1
	.set _ZN7rocprim17ROCPRIM_400000_NS6detail17trampoline_kernelINS0_14default_configENS1_22reduce_config_selectorIsEEZNS1_11reduce_implILb1ES3_PsS7_sN6thrust23THRUST_200600_302600_NS4plusIsEEEE10hipError_tPvRmT1_T2_T3_mT4_P12ihipStream_tbEUlT_E1_NS1_11comp_targetILNS1_3genE0ELNS1_11target_archE4294967295ELNS1_3gpuE0ELNS1_3repE0EEENS1_30default_config_static_selectorELNS0_4arch9wavefront6targetE1EEEvSF_.uses_flat_scratch, 0
	.set _ZN7rocprim17ROCPRIM_400000_NS6detail17trampoline_kernelINS0_14default_configENS1_22reduce_config_selectorIsEEZNS1_11reduce_implILb1ES3_PsS7_sN6thrust23THRUST_200600_302600_NS4plusIsEEEE10hipError_tPvRmT1_T2_T3_mT4_P12ihipStream_tbEUlT_E1_NS1_11comp_targetILNS1_3genE0ELNS1_11target_archE4294967295ELNS1_3gpuE0ELNS1_3repE0EEENS1_30default_config_static_selectorELNS0_4arch9wavefront6targetE1EEEvSF_.has_dyn_sized_stack, 0
	.set _ZN7rocprim17ROCPRIM_400000_NS6detail17trampoline_kernelINS0_14default_configENS1_22reduce_config_selectorIsEEZNS1_11reduce_implILb1ES3_PsS7_sN6thrust23THRUST_200600_302600_NS4plusIsEEEE10hipError_tPvRmT1_T2_T3_mT4_P12ihipStream_tbEUlT_E1_NS1_11comp_targetILNS1_3genE0ELNS1_11target_archE4294967295ELNS1_3gpuE0ELNS1_3repE0EEENS1_30default_config_static_selectorELNS0_4arch9wavefront6targetE1EEEvSF_.has_recursion, 0
	.set _ZN7rocprim17ROCPRIM_400000_NS6detail17trampoline_kernelINS0_14default_configENS1_22reduce_config_selectorIsEEZNS1_11reduce_implILb1ES3_PsS7_sN6thrust23THRUST_200600_302600_NS4plusIsEEEE10hipError_tPvRmT1_T2_T3_mT4_P12ihipStream_tbEUlT_E1_NS1_11comp_targetILNS1_3genE0ELNS1_11target_archE4294967295ELNS1_3gpuE0ELNS1_3repE0EEENS1_30default_config_static_selectorELNS0_4arch9wavefront6targetE1EEEvSF_.has_indirect_call, 0
	.section	.AMDGPU.csdata,"",@progbits
; Kernel info:
; codeLenInByte = 18848
; TotalNumSgprs: 106
; NumVgprs: 67
; NumAgprs: 0
; TotalNumVgprs: 67
; ScratchSize: 0
; MemoryBound: 0
; FloatMode: 240
; IeeeMode: 1
; LDSByteSize: 32 bytes/workgroup (compile time only)
; SGPRBlocks: 13
; VGPRBlocks: 8
; NumSGPRsForWavesPerEU: 106
; NumVGPRsForWavesPerEU: 67
; AccumOffset: 68
; Occupancy: 7
; WaveLimiterHint : 1
; COMPUTE_PGM_RSRC2:SCRATCH_EN: 0
; COMPUTE_PGM_RSRC2:USER_SGPR: 2
; COMPUTE_PGM_RSRC2:TRAP_HANDLER: 0
; COMPUTE_PGM_RSRC2:TGID_X_EN: 1
; COMPUTE_PGM_RSRC2:TGID_Y_EN: 0
; COMPUTE_PGM_RSRC2:TGID_Z_EN: 0
; COMPUTE_PGM_RSRC2:TIDIG_COMP_CNT: 0
; COMPUTE_PGM_RSRC3_GFX90A:ACCUM_OFFSET: 16
; COMPUTE_PGM_RSRC3_GFX90A:TG_SPLIT: 0
	.section	.text._ZN7rocprim17ROCPRIM_400000_NS6detail17trampoline_kernelINS0_14default_configENS1_22reduce_config_selectorIsEEZNS1_11reduce_implILb1ES3_PsS7_sN6thrust23THRUST_200600_302600_NS4plusIsEEEE10hipError_tPvRmT1_T2_T3_mT4_P12ihipStream_tbEUlT_E1_NS1_11comp_targetILNS1_3genE5ELNS1_11target_archE942ELNS1_3gpuE9ELNS1_3repE0EEENS1_30default_config_static_selectorELNS0_4arch9wavefront6targetE1EEEvSF_,"axG",@progbits,_ZN7rocprim17ROCPRIM_400000_NS6detail17trampoline_kernelINS0_14default_configENS1_22reduce_config_selectorIsEEZNS1_11reduce_implILb1ES3_PsS7_sN6thrust23THRUST_200600_302600_NS4plusIsEEEE10hipError_tPvRmT1_T2_T3_mT4_P12ihipStream_tbEUlT_E1_NS1_11comp_targetILNS1_3genE5ELNS1_11target_archE942ELNS1_3gpuE9ELNS1_3repE0EEENS1_30default_config_static_selectorELNS0_4arch9wavefront6targetE1EEEvSF_,comdat
	.protected	_ZN7rocprim17ROCPRIM_400000_NS6detail17trampoline_kernelINS0_14default_configENS1_22reduce_config_selectorIsEEZNS1_11reduce_implILb1ES3_PsS7_sN6thrust23THRUST_200600_302600_NS4plusIsEEEE10hipError_tPvRmT1_T2_T3_mT4_P12ihipStream_tbEUlT_E1_NS1_11comp_targetILNS1_3genE5ELNS1_11target_archE942ELNS1_3gpuE9ELNS1_3repE0EEENS1_30default_config_static_selectorELNS0_4arch9wavefront6targetE1EEEvSF_ ; -- Begin function _ZN7rocprim17ROCPRIM_400000_NS6detail17trampoline_kernelINS0_14default_configENS1_22reduce_config_selectorIsEEZNS1_11reduce_implILb1ES3_PsS7_sN6thrust23THRUST_200600_302600_NS4plusIsEEEE10hipError_tPvRmT1_T2_T3_mT4_P12ihipStream_tbEUlT_E1_NS1_11comp_targetILNS1_3genE5ELNS1_11target_archE942ELNS1_3gpuE9ELNS1_3repE0EEENS1_30default_config_static_selectorELNS0_4arch9wavefront6targetE1EEEvSF_
	.globl	_ZN7rocprim17ROCPRIM_400000_NS6detail17trampoline_kernelINS0_14default_configENS1_22reduce_config_selectorIsEEZNS1_11reduce_implILb1ES3_PsS7_sN6thrust23THRUST_200600_302600_NS4plusIsEEEE10hipError_tPvRmT1_T2_T3_mT4_P12ihipStream_tbEUlT_E1_NS1_11comp_targetILNS1_3genE5ELNS1_11target_archE942ELNS1_3gpuE9ELNS1_3repE0EEENS1_30default_config_static_selectorELNS0_4arch9wavefront6targetE1EEEvSF_
	.p2align	8
	.type	_ZN7rocprim17ROCPRIM_400000_NS6detail17trampoline_kernelINS0_14default_configENS1_22reduce_config_selectorIsEEZNS1_11reduce_implILb1ES3_PsS7_sN6thrust23THRUST_200600_302600_NS4plusIsEEEE10hipError_tPvRmT1_T2_T3_mT4_P12ihipStream_tbEUlT_E1_NS1_11comp_targetILNS1_3genE5ELNS1_11target_archE942ELNS1_3gpuE9ELNS1_3repE0EEENS1_30default_config_static_selectorELNS0_4arch9wavefront6targetE1EEEvSF_,@function
_ZN7rocprim17ROCPRIM_400000_NS6detail17trampoline_kernelINS0_14default_configENS1_22reduce_config_selectorIsEEZNS1_11reduce_implILb1ES3_PsS7_sN6thrust23THRUST_200600_302600_NS4plusIsEEEE10hipError_tPvRmT1_T2_T3_mT4_P12ihipStream_tbEUlT_E1_NS1_11comp_targetILNS1_3genE5ELNS1_11target_archE942ELNS1_3gpuE9ELNS1_3repE0EEENS1_30default_config_static_selectorELNS0_4arch9wavefront6targetE1EEEvSF_: ; @_ZN7rocprim17ROCPRIM_400000_NS6detail17trampoline_kernelINS0_14default_configENS1_22reduce_config_selectorIsEEZNS1_11reduce_implILb1ES3_PsS7_sN6thrust23THRUST_200600_302600_NS4plusIsEEEE10hipError_tPvRmT1_T2_T3_mT4_P12ihipStream_tbEUlT_E1_NS1_11comp_targetILNS1_3genE5ELNS1_11target_archE942ELNS1_3gpuE9ELNS1_3repE0EEENS1_30default_config_static_selectorELNS0_4arch9wavefront6targetE1EEEvSF_
; %bb.0:
	.section	.rodata,"a",@progbits
	.p2align	6, 0x0
	.amdhsa_kernel _ZN7rocprim17ROCPRIM_400000_NS6detail17trampoline_kernelINS0_14default_configENS1_22reduce_config_selectorIsEEZNS1_11reduce_implILb1ES3_PsS7_sN6thrust23THRUST_200600_302600_NS4plusIsEEEE10hipError_tPvRmT1_T2_T3_mT4_P12ihipStream_tbEUlT_E1_NS1_11comp_targetILNS1_3genE5ELNS1_11target_archE942ELNS1_3gpuE9ELNS1_3repE0EEENS1_30default_config_static_selectorELNS0_4arch9wavefront6targetE1EEEvSF_
		.amdhsa_group_segment_fixed_size 0
		.amdhsa_private_segment_fixed_size 0
		.amdhsa_kernarg_size 40
		.amdhsa_user_sgpr_count 2
		.amdhsa_user_sgpr_dispatch_ptr 0
		.amdhsa_user_sgpr_queue_ptr 0
		.amdhsa_user_sgpr_kernarg_segment_ptr 1
		.amdhsa_user_sgpr_dispatch_id 0
		.amdhsa_user_sgpr_kernarg_preload_length 0
		.amdhsa_user_sgpr_kernarg_preload_offset 0
		.amdhsa_user_sgpr_private_segment_size 0
		.amdhsa_uses_dynamic_stack 0
		.amdhsa_enable_private_segment 0
		.amdhsa_system_sgpr_workgroup_id_x 1
		.amdhsa_system_sgpr_workgroup_id_y 0
		.amdhsa_system_sgpr_workgroup_id_z 0
		.amdhsa_system_sgpr_workgroup_info 0
		.amdhsa_system_vgpr_workitem_id 0
		.amdhsa_next_free_vgpr 1
		.amdhsa_next_free_sgpr 0
		.amdhsa_accum_offset 4
		.amdhsa_reserve_vcc 0
		.amdhsa_float_round_mode_32 0
		.amdhsa_float_round_mode_16_64 0
		.amdhsa_float_denorm_mode_32 3
		.amdhsa_float_denorm_mode_16_64 3
		.amdhsa_dx10_clamp 1
		.amdhsa_ieee_mode 1
		.amdhsa_fp16_overflow 0
		.amdhsa_tg_split 0
		.amdhsa_exception_fp_ieee_invalid_op 0
		.amdhsa_exception_fp_denorm_src 0
		.amdhsa_exception_fp_ieee_div_zero 0
		.amdhsa_exception_fp_ieee_overflow 0
		.amdhsa_exception_fp_ieee_underflow 0
		.amdhsa_exception_fp_ieee_inexact 0
		.amdhsa_exception_int_div_zero 0
	.end_amdhsa_kernel
	.section	.text._ZN7rocprim17ROCPRIM_400000_NS6detail17trampoline_kernelINS0_14default_configENS1_22reduce_config_selectorIsEEZNS1_11reduce_implILb1ES3_PsS7_sN6thrust23THRUST_200600_302600_NS4plusIsEEEE10hipError_tPvRmT1_T2_T3_mT4_P12ihipStream_tbEUlT_E1_NS1_11comp_targetILNS1_3genE5ELNS1_11target_archE942ELNS1_3gpuE9ELNS1_3repE0EEENS1_30default_config_static_selectorELNS0_4arch9wavefront6targetE1EEEvSF_,"axG",@progbits,_ZN7rocprim17ROCPRIM_400000_NS6detail17trampoline_kernelINS0_14default_configENS1_22reduce_config_selectorIsEEZNS1_11reduce_implILb1ES3_PsS7_sN6thrust23THRUST_200600_302600_NS4plusIsEEEE10hipError_tPvRmT1_T2_T3_mT4_P12ihipStream_tbEUlT_E1_NS1_11comp_targetILNS1_3genE5ELNS1_11target_archE942ELNS1_3gpuE9ELNS1_3repE0EEENS1_30default_config_static_selectorELNS0_4arch9wavefront6targetE1EEEvSF_,comdat
.Lfunc_end271:
	.size	_ZN7rocprim17ROCPRIM_400000_NS6detail17trampoline_kernelINS0_14default_configENS1_22reduce_config_selectorIsEEZNS1_11reduce_implILb1ES3_PsS7_sN6thrust23THRUST_200600_302600_NS4plusIsEEEE10hipError_tPvRmT1_T2_T3_mT4_P12ihipStream_tbEUlT_E1_NS1_11comp_targetILNS1_3genE5ELNS1_11target_archE942ELNS1_3gpuE9ELNS1_3repE0EEENS1_30default_config_static_selectorELNS0_4arch9wavefront6targetE1EEEvSF_, .Lfunc_end271-_ZN7rocprim17ROCPRIM_400000_NS6detail17trampoline_kernelINS0_14default_configENS1_22reduce_config_selectorIsEEZNS1_11reduce_implILb1ES3_PsS7_sN6thrust23THRUST_200600_302600_NS4plusIsEEEE10hipError_tPvRmT1_T2_T3_mT4_P12ihipStream_tbEUlT_E1_NS1_11comp_targetILNS1_3genE5ELNS1_11target_archE942ELNS1_3gpuE9ELNS1_3repE0EEENS1_30default_config_static_selectorELNS0_4arch9wavefront6targetE1EEEvSF_
                                        ; -- End function
	.set _ZN7rocprim17ROCPRIM_400000_NS6detail17trampoline_kernelINS0_14default_configENS1_22reduce_config_selectorIsEEZNS1_11reduce_implILb1ES3_PsS7_sN6thrust23THRUST_200600_302600_NS4plusIsEEEE10hipError_tPvRmT1_T2_T3_mT4_P12ihipStream_tbEUlT_E1_NS1_11comp_targetILNS1_3genE5ELNS1_11target_archE942ELNS1_3gpuE9ELNS1_3repE0EEENS1_30default_config_static_selectorELNS0_4arch9wavefront6targetE1EEEvSF_.num_vgpr, 0
	.set _ZN7rocprim17ROCPRIM_400000_NS6detail17trampoline_kernelINS0_14default_configENS1_22reduce_config_selectorIsEEZNS1_11reduce_implILb1ES3_PsS7_sN6thrust23THRUST_200600_302600_NS4plusIsEEEE10hipError_tPvRmT1_T2_T3_mT4_P12ihipStream_tbEUlT_E1_NS1_11comp_targetILNS1_3genE5ELNS1_11target_archE942ELNS1_3gpuE9ELNS1_3repE0EEENS1_30default_config_static_selectorELNS0_4arch9wavefront6targetE1EEEvSF_.num_agpr, 0
	.set _ZN7rocprim17ROCPRIM_400000_NS6detail17trampoline_kernelINS0_14default_configENS1_22reduce_config_selectorIsEEZNS1_11reduce_implILb1ES3_PsS7_sN6thrust23THRUST_200600_302600_NS4plusIsEEEE10hipError_tPvRmT1_T2_T3_mT4_P12ihipStream_tbEUlT_E1_NS1_11comp_targetILNS1_3genE5ELNS1_11target_archE942ELNS1_3gpuE9ELNS1_3repE0EEENS1_30default_config_static_selectorELNS0_4arch9wavefront6targetE1EEEvSF_.numbered_sgpr, 0
	.set _ZN7rocprim17ROCPRIM_400000_NS6detail17trampoline_kernelINS0_14default_configENS1_22reduce_config_selectorIsEEZNS1_11reduce_implILb1ES3_PsS7_sN6thrust23THRUST_200600_302600_NS4plusIsEEEE10hipError_tPvRmT1_T2_T3_mT4_P12ihipStream_tbEUlT_E1_NS1_11comp_targetILNS1_3genE5ELNS1_11target_archE942ELNS1_3gpuE9ELNS1_3repE0EEENS1_30default_config_static_selectorELNS0_4arch9wavefront6targetE1EEEvSF_.num_named_barrier, 0
	.set _ZN7rocprim17ROCPRIM_400000_NS6detail17trampoline_kernelINS0_14default_configENS1_22reduce_config_selectorIsEEZNS1_11reduce_implILb1ES3_PsS7_sN6thrust23THRUST_200600_302600_NS4plusIsEEEE10hipError_tPvRmT1_T2_T3_mT4_P12ihipStream_tbEUlT_E1_NS1_11comp_targetILNS1_3genE5ELNS1_11target_archE942ELNS1_3gpuE9ELNS1_3repE0EEENS1_30default_config_static_selectorELNS0_4arch9wavefront6targetE1EEEvSF_.private_seg_size, 0
	.set _ZN7rocprim17ROCPRIM_400000_NS6detail17trampoline_kernelINS0_14default_configENS1_22reduce_config_selectorIsEEZNS1_11reduce_implILb1ES3_PsS7_sN6thrust23THRUST_200600_302600_NS4plusIsEEEE10hipError_tPvRmT1_T2_T3_mT4_P12ihipStream_tbEUlT_E1_NS1_11comp_targetILNS1_3genE5ELNS1_11target_archE942ELNS1_3gpuE9ELNS1_3repE0EEENS1_30default_config_static_selectorELNS0_4arch9wavefront6targetE1EEEvSF_.uses_vcc, 0
	.set _ZN7rocprim17ROCPRIM_400000_NS6detail17trampoline_kernelINS0_14default_configENS1_22reduce_config_selectorIsEEZNS1_11reduce_implILb1ES3_PsS7_sN6thrust23THRUST_200600_302600_NS4plusIsEEEE10hipError_tPvRmT1_T2_T3_mT4_P12ihipStream_tbEUlT_E1_NS1_11comp_targetILNS1_3genE5ELNS1_11target_archE942ELNS1_3gpuE9ELNS1_3repE0EEENS1_30default_config_static_selectorELNS0_4arch9wavefront6targetE1EEEvSF_.uses_flat_scratch, 0
	.set _ZN7rocprim17ROCPRIM_400000_NS6detail17trampoline_kernelINS0_14default_configENS1_22reduce_config_selectorIsEEZNS1_11reduce_implILb1ES3_PsS7_sN6thrust23THRUST_200600_302600_NS4plusIsEEEE10hipError_tPvRmT1_T2_T3_mT4_P12ihipStream_tbEUlT_E1_NS1_11comp_targetILNS1_3genE5ELNS1_11target_archE942ELNS1_3gpuE9ELNS1_3repE0EEENS1_30default_config_static_selectorELNS0_4arch9wavefront6targetE1EEEvSF_.has_dyn_sized_stack, 0
	.set _ZN7rocprim17ROCPRIM_400000_NS6detail17trampoline_kernelINS0_14default_configENS1_22reduce_config_selectorIsEEZNS1_11reduce_implILb1ES3_PsS7_sN6thrust23THRUST_200600_302600_NS4plusIsEEEE10hipError_tPvRmT1_T2_T3_mT4_P12ihipStream_tbEUlT_E1_NS1_11comp_targetILNS1_3genE5ELNS1_11target_archE942ELNS1_3gpuE9ELNS1_3repE0EEENS1_30default_config_static_selectorELNS0_4arch9wavefront6targetE1EEEvSF_.has_recursion, 0
	.set _ZN7rocprim17ROCPRIM_400000_NS6detail17trampoline_kernelINS0_14default_configENS1_22reduce_config_selectorIsEEZNS1_11reduce_implILb1ES3_PsS7_sN6thrust23THRUST_200600_302600_NS4plusIsEEEE10hipError_tPvRmT1_T2_T3_mT4_P12ihipStream_tbEUlT_E1_NS1_11comp_targetILNS1_3genE5ELNS1_11target_archE942ELNS1_3gpuE9ELNS1_3repE0EEENS1_30default_config_static_selectorELNS0_4arch9wavefront6targetE1EEEvSF_.has_indirect_call, 0
	.section	.AMDGPU.csdata,"",@progbits
; Kernel info:
; codeLenInByte = 0
; TotalNumSgprs: 6
; NumVgprs: 0
; NumAgprs: 0
; TotalNumVgprs: 0
; ScratchSize: 0
; MemoryBound: 0
; FloatMode: 240
; IeeeMode: 1
; LDSByteSize: 0 bytes/workgroup (compile time only)
; SGPRBlocks: 0
; VGPRBlocks: 0
; NumSGPRsForWavesPerEU: 6
; NumVGPRsForWavesPerEU: 1
; AccumOffset: 4
; Occupancy: 8
; WaveLimiterHint : 0
; COMPUTE_PGM_RSRC2:SCRATCH_EN: 0
; COMPUTE_PGM_RSRC2:USER_SGPR: 2
; COMPUTE_PGM_RSRC2:TRAP_HANDLER: 0
; COMPUTE_PGM_RSRC2:TGID_X_EN: 1
; COMPUTE_PGM_RSRC2:TGID_Y_EN: 0
; COMPUTE_PGM_RSRC2:TGID_Z_EN: 0
; COMPUTE_PGM_RSRC2:TIDIG_COMP_CNT: 0
; COMPUTE_PGM_RSRC3_GFX90A:ACCUM_OFFSET: 0
; COMPUTE_PGM_RSRC3_GFX90A:TG_SPLIT: 0
	.section	.text._ZN7rocprim17ROCPRIM_400000_NS6detail17trampoline_kernelINS0_14default_configENS1_22reduce_config_selectorIsEEZNS1_11reduce_implILb1ES3_PsS7_sN6thrust23THRUST_200600_302600_NS4plusIsEEEE10hipError_tPvRmT1_T2_T3_mT4_P12ihipStream_tbEUlT_E1_NS1_11comp_targetILNS1_3genE4ELNS1_11target_archE910ELNS1_3gpuE8ELNS1_3repE0EEENS1_30default_config_static_selectorELNS0_4arch9wavefront6targetE1EEEvSF_,"axG",@progbits,_ZN7rocprim17ROCPRIM_400000_NS6detail17trampoline_kernelINS0_14default_configENS1_22reduce_config_selectorIsEEZNS1_11reduce_implILb1ES3_PsS7_sN6thrust23THRUST_200600_302600_NS4plusIsEEEE10hipError_tPvRmT1_T2_T3_mT4_P12ihipStream_tbEUlT_E1_NS1_11comp_targetILNS1_3genE4ELNS1_11target_archE910ELNS1_3gpuE8ELNS1_3repE0EEENS1_30default_config_static_selectorELNS0_4arch9wavefront6targetE1EEEvSF_,comdat
	.protected	_ZN7rocprim17ROCPRIM_400000_NS6detail17trampoline_kernelINS0_14default_configENS1_22reduce_config_selectorIsEEZNS1_11reduce_implILb1ES3_PsS7_sN6thrust23THRUST_200600_302600_NS4plusIsEEEE10hipError_tPvRmT1_T2_T3_mT4_P12ihipStream_tbEUlT_E1_NS1_11comp_targetILNS1_3genE4ELNS1_11target_archE910ELNS1_3gpuE8ELNS1_3repE0EEENS1_30default_config_static_selectorELNS0_4arch9wavefront6targetE1EEEvSF_ ; -- Begin function _ZN7rocprim17ROCPRIM_400000_NS6detail17trampoline_kernelINS0_14default_configENS1_22reduce_config_selectorIsEEZNS1_11reduce_implILb1ES3_PsS7_sN6thrust23THRUST_200600_302600_NS4plusIsEEEE10hipError_tPvRmT1_T2_T3_mT4_P12ihipStream_tbEUlT_E1_NS1_11comp_targetILNS1_3genE4ELNS1_11target_archE910ELNS1_3gpuE8ELNS1_3repE0EEENS1_30default_config_static_selectorELNS0_4arch9wavefront6targetE1EEEvSF_
	.globl	_ZN7rocprim17ROCPRIM_400000_NS6detail17trampoline_kernelINS0_14default_configENS1_22reduce_config_selectorIsEEZNS1_11reduce_implILb1ES3_PsS7_sN6thrust23THRUST_200600_302600_NS4plusIsEEEE10hipError_tPvRmT1_T2_T3_mT4_P12ihipStream_tbEUlT_E1_NS1_11comp_targetILNS1_3genE4ELNS1_11target_archE910ELNS1_3gpuE8ELNS1_3repE0EEENS1_30default_config_static_selectorELNS0_4arch9wavefront6targetE1EEEvSF_
	.p2align	8
	.type	_ZN7rocprim17ROCPRIM_400000_NS6detail17trampoline_kernelINS0_14default_configENS1_22reduce_config_selectorIsEEZNS1_11reduce_implILb1ES3_PsS7_sN6thrust23THRUST_200600_302600_NS4plusIsEEEE10hipError_tPvRmT1_T2_T3_mT4_P12ihipStream_tbEUlT_E1_NS1_11comp_targetILNS1_3genE4ELNS1_11target_archE910ELNS1_3gpuE8ELNS1_3repE0EEENS1_30default_config_static_selectorELNS0_4arch9wavefront6targetE1EEEvSF_,@function
_ZN7rocprim17ROCPRIM_400000_NS6detail17trampoline_kernelINS0_14default_configENS1_22reduce_config_selectorIsEEZNS1_11reduce_implILb1ES3_PsS7_sN6thrust23THRUST_200600_302600_NS4plusIsEEEE10hipError_tPvRmT1_T2_T3_mT4_P12ihipStream_tbEUlT_E1_NS1_11comp_targetILNS1_3genE4ELNS1_11target_archE910ELNS1_3gpuE8ELNS1_3repE0EEENS1_30default_config_static_selectorELNS0_4arch9wavefront6targetE1EEEvSF_: ; @_ZN7rocprim17ROCPRIM_400000_NS6detail17trampoline_kernelINS0_14default_configENS1_22reduce_config_selectorIsEEZNS1_11reduce_implILb1ES3_PsS7_sN6thrust23THRUST_200600_302600_NS4plusIsEEEE10hipError_tPvRmT1_T2_T3_mT4_P12ihipStream_tbEUlT_E1_NS1_11comp_targetILNS1_3genE4ELNS1_11target_archE910ELNS1_3gpuE8ELNS1_3repE0EEENS1_30default_config_static_selectorELNS0_4arch9wavefront6targetE1EEEvSF_
; %bb.0:
	.section	.rodata,"a",@progbits
	.p2align	6, 0x0
	.amdhsa_kernel _ZN7rocprim17ROCPRIM_400000_NS6detail17trampoline_kernelINS0_14default_configENS1_22reduce_config_selectorIsEEZNS1_11reduce_implILb1ES3_PsS7_sN6thrust23THRUST_200600_302600_NS4plusIsEEEE10hipError_tPvRmT1_T2_T3_mT4_P12ihipStream_tbEUlT_E1_NS1_11comp_targetILNS1_3genE4ELNS1_11target_archE910ELNS1_3gpuE8ELNS1_3repE0EEENS1_30default_config_static_selectorELNS0_4arch9wavefront6targetE1EEEvSF_
		.amdhsa_group_segment_fixed_size 0
		.amdhsa_private_segment_fixed_size 0
		.amdhsa_kernarg_size 40
		.amdhsa_user_sgpr_count 2
		.amdhsa_user_sgpr_dispatch_ptr 0
		.amdhsa_user_sgpr_queue_ptr 0
		.amdhsa_user_sgpr_kernarg_segment_ptr 1
		.amdhsa_user_sgpr_dispatch_id 0
		.amdhsa_user_sgpr_kernarg_preload_length 0
		.amdhsa_user_sgpr_kernarg_preload_offset 0
		.amdhsa_user_sgpr_private_segment_size 0
		.amdhsa_uses_dynamic_stack 0
		.amdhsa_enable_private_segment 0
		.amdhsa_system_sgpr_workgroup_id_x 1
		.amdhsa_system_sgpr_workgroup_id_y 0
		.amdhsa_system_sgpr_workgroup_id_z 0
		.amdhsa_system_sgpr_workgroup_info 0
		.amdhsa_system_vgpr_workitem_id 0
		.amdhsa_next_free_vgpr 1
		.amdhsa_next_free_sgpr 0
		.amdhsa_accum_offset 4
		.amdhsa_reserve_vcc 0
		.amdhsa_float_round_mode_32 0
		.amdhsa_float_round_mode_16_64 0
		.amdhsa_float_denorm_mode_32 3
		.amdhsa_float_denorm_mode_16_64 3
		.amdhsa_dx10_clamp 1
		.amdhsa_ieee_mode 1
		.amdhsa_fp16_overflow 0
		.amdhsa_tg_split 0
		.amdhsa_exception_fp_ieee_invalid_op 0
		.amdhsa_exception_fp_denorm_src 0
		.amdhsa_exception_fp_ieee_div_zero 0
		.amdhsa_exception_fp_ieee_overflow 0
		.amdhsa_exception_fp_ieee_underflow 0
		.amdhsa_exception_fp_ieee_inexact 0
		.amdhsa_exception_int_div_zero 0
	.end_amdhsa_kernel
	.section	.text._ZN7rocprim17ROCPRIM_400000_NS6detail17trampoline_kernelINS0_14default_configENS1_22reduce_config_selectorIsEEZNS1_11reduce_implILb1ES3_PsS7_sN6thrust23THRUST_200600_302600_NS4plusIsEEEE10hipError_tPvRmT1_T2_T3_mT4_P12ihipStream_tbEUlT_E1_NS1_11comp_targetILNS1_3genE4ELNS1_11target_archE910ELNS1_3gpuE8ELNS1_3repE0EEENS1_30default_config_static_selectorELNS0_4arch9wavefront6targetE1EEEvSF_,"axG",@progbits,_ZN7rocprim17ROCPRIM_400000_NS6detail17trampoline_kernelINS0_14default_configENS1_22reduce_config_selectorIsEEZNS1_11reduce_implILb1ES3_PsS7_sN6thrust23THRUST_200600_302600_NS4plusIsEEEE10hipError_tPvRmT1_T2_T3_mT4_P12ihipStream_tbEUlT_E1_NS1_11comp_targetILNS1_3genE4ELNS1_11target_archE910ELNS1_3gpuE8ELNS1_3repE0EEENS1_30default_config_static_selectorELNS0_4arch9wavefront6targetE1EEEvSF_,comdat
.Lfunc_end272:
	.size	_ZN7rocprim17ROCPRIM_400000_NS6detail17trampoline_kernelINS0_14default_configENS1_22reduce_config_selectorIsEEZNS1_11reduce_implILb1ES3_PsS7_sN6thrust23THRUST_200600_302600_NS4plusIsEEEE10hipError_tPvRmT1_T2_T3_mT4_P12ihipStream_tbEUlT_E1_NS1_11comp_targetILNS1_3genE4ELNS1_11target_archE910ELNS1_3gpuE8ELNS1_3repE0EEENS1_30default_config_static_selectorELNS0_4arch9wavefront6targetE1EEEvSF_, .Lfunc_end272-_ZN7rocprim17ROCPRIM_400000_NS6detail17trampoline_kernelINS0_14default_configENS1_22reduce_config_selectorIsEEZNS1_11reduce_implILb1ES3_PsS7_sN6thrust23THRUST_200600_302600_NS4plusIsEEEE10hipError_tPvRmT1_T2_T3_mT4_P12ihipStream_tbEUlT_E1_NS1_11comp_targetILNS1_3genE4ELNS1_11target_archE910ELNS1_3gpuE8ELNS1_3repE0EEENS1_30default_config_static_selectorELNS0_4arch9wavefront6targetE1EEEvSF_
                                        ; -- End function
	.set _ZN7rocprim17ROCPRIM_400000_NS6detail17trampoline_kernelINS0_14default_configENS1_22reduce_config_selectorIsEEZNS1_11reduce_implILb1ES3_PsS7_sN6thrust23THRUST_200600_302600_NS4plusIsEEEE10hipError_tPvRmT1_T2_T3_mT4_P12ihipStream_tbEUlT_E1_NS1_11comp_targetILNS1_3genE4ELNS1_11target_archE910ELNS1_3gpuE8ELNS1_3repE0EEENS1_30default_config_static_selectorELNS0_4arch9wavefront6targetE1EEEvSF_.num_vgpr, 0
	.set _ZN7rocprim17ROCPRIM_400000_NS6detail17trampoline_kernelINS0_14default_configENS1_22reduce_config_selectorIsEEZNS1_11reduce_implILb1ES3_PsS7_sN6thrust23THRUST_200600_302600_NS4plusIsEEEE10hipError_tPvRmT1_T2_T3_mT4_P12ihipStream_tbEUlT_E1_NS1_11comp_targetILNS1_3genE4ELNS1_11target_archE910ELNS1_3gpuE8ELNS1_3repE0EEENS1_30default_config_static_selectorELNS0_4arch9wavefront6targetE1EEEvSF_.num_agpr, 0
	.set _ZN7rocprim17ROCPRIM_400000_NS6detail17trampoline_kernelINS0_14default_configENS1_22reduce_config_selectorIsEEZNS1_11reduce_implILb1ES3_PsS7_sN6thrust23THRUST_200600_302600_NS4plusIsEEEE10hipError_tPvRmT1_T2_T3_mT4_P12ihipStream_tbEUlT_E1_NS1_11comp_targetILNS1_3genE4ELNS1_11target_archE910ELNS1_3gpuE8ELNS1_3repE0EEENS1_30default_config_static_selectorELNS0_4arch9wavefront6targetE1EEEvSF_.numbered_sgpr, 0
	.set _ZN7rocprim17ROCPRIM_400000_NS6detail17trampoline_kernelINS0_14default_configENS1_22reduce_config_selectorIsEEZNS1_11reduce_implILb1ES3_PsS7_sN6thrust23THRUST_200600_302600_NS4plusIsEEEE10hipError_tPvRmT1_T2_T3_mT4_P12ihipStream_tbEUlT_E1_NS1_11comp_targetILNS1_3genE4ELNS1_11target_archE910ELNS1_3gpuE8ELNS1_3repE0EEENS1_30default_config_static_selectorELNS0_4arch9wavefront6targetE1EEEvSF_.num_named_barrier, 0
	.set _ZN7rocprim17ROCPRIM_400000_NS6detail17trampoline_kernelINS0_14default_configENS1_22reduce_config_selectorIsEEZNS1_11reduce_implILb1ES3_PsS7_sN6thrust23THRUST_200600_302600_NS4plusIsEEEE10hipError_tPvRmT1_T2_T3_mT4_P12ihipStream_tbEUlT_E1_NS1_11comp_targetILNS1_3genE4ELNS1_11target_archE910ELNS1_3gpuE8ELNS1_3repE0EEENS1_30default_config_static_selectorELNS0_4arch9wavefront6targetE1EEEvSF_.private_seg_size, 0
	.set _ZN7rocprim17ROCPRIM_400000_NS6detail17trampoline_kernelINS0_14default_configENS1_22reduce_config_selectorIsEEZNS1_11reduce_implILb1ES3_PsS7_sN6thrust23THRUST_200600_302600_NS4plusIsEEEE10hipError_tPvRmT1_T2_T3_mT4_P12ihipStream_tbEUlT_E1_NS1_11comp_targetILNS1_3genE4ELNS1_11target_archE910ELNS1_3gpuE8ELNS1_3repE0EEENS1_30default_config_static_selectorELNS0_4arch9wavefront6targetE1EEEvSF_.uses_vcc, 0
	.set _ZN7rocprim17ROCPRIM_400000_NS6detail17trampoline_kernelINS0_14default_configENS1_22reduce_config_selectorIsEEZNS1_11reduce_implILb1ES3_PsS7_sN6thrust23THRUST_200600_302600_NS4plusIsEEEE10hipError_tPvRmT1_T2_T3_mT4_P12ihipStream_tbEUlT_E1_NS1_11comp_targetILNS1_3genE4ELNS1_11target_archE910ELNS1_3gpuE8ELNS1_3repE0EEENS1_30default_config_static_selectorELNS0_4arch9wavefront6targetE1EEEvSF_.uses_flat_scratch, 0
	.set _ZN7rocprim17ROCPRIM_400000_NS6detail17trampoline_kernelINS0_14default_configENS1_22reduce_config_selectorIsEEZNS1_11reduce_implILb1ES3_PsS7_sN6thrust23THRUST_200600_302600_NS4plusIsEEEE10hipError_tPvRmT1_T2_T3_mT4_P12ihipStream_tbEUlT_E1_NS1_11comp_targetILNS1_3genE4ELNS1_11target_archE910ELNS1_3gpuE8ELNS1_3repE0EEENS1_30default_config_static_selectorELNS0_4arch9wavefront6targetE1EEEvSF_.has_dyn_sized_stack, 0
	.set _ZN7rocprim17ROCPRIM_400000_NS6detail17trampoline_kernelINS0_14default_configENS1_22reduce_config_selectorIsEEZNS1_11reduce_implILb1ES3_PsS7_sN6thrust23THRUST_200600_302600_NS4plusIsEEEE10hipError_tPvRmT1_T2_T3_mT4_P12ihipStream_tbEUlT_E1_NS1_11comp_targetILNS1_3genE4ELNS1_11target_archE910ELNS1_3gpuE8ELNS1_3repE0EEENS1_30default_config_static_selectorELNS0_4arch9wavefront6targetE1EEEvSF_.has_recursion, 0
	.set _ZN7rocprim17ROCPRIM_400000_NS6detail17trampoline_kernelINS0_14default_configENS1_22reduce_config_selectorIsEEZNS1_11reduce_implILb1ES3_PsS7_sN6thrust23THRUST_200600_302600_NS4plusIsEEEE10hipError_tPvRmT1_T2_T3_mT4_P12ihipStream_tbEUlT_E1_NS1_11comp_targetILNS1_3genE4ELNS1_11target_archE910ELNS1_3gpuE8ELNS1_3repE0EEENS1_30default_config_static_selectorELNS0_4arch9wavefront6targetE1EEEvSF_.has_indirect_call, 0
	.section	.AMDGPU.csdata,"",@progbits
; Kernel info:
; codeLenInByte = 0
; TotalNumSgprs: 6
; NumVgprs: 0
; NumAgprs: 0
; TotalNumVgprs: 0
; ScratchSize: 0
; MemoryBound: 0
; FloatMode: 240
; IeeeMode: 1
; LDSByteSize: 0 bytes/workgroup (compile time only)
; SGPRBlocks: 0
; VGPRBlocks: 0
; NumSGPRsForWavesPerEU: 6
; NumVGPRsForWavesPerEU: 1
; AccumOffset: 4
; Occupancy: 8
; WaveLimiterHint : 0
; COMPUTE_PGM_RSRC2:SCRATCH_EN: 0
; COMPUTE_PGM_RSRC2:USER_SGPR: 2
; COMPUTE_PGM_RSRC2:TRAP_HANDLER: 0
; COMPUTE_PGM_RSRC2:TGID_X_EN: 1
; COMPUTE_PGM_RSRC2:TGID_Y_EN: 0
; COMPUTE_PGM_RSRC2:TGID_Z_EN: 0
; COMPUTE_PGM_RSRC2:TIDIG_COMP_CNT: 0
; COMPUTE_PGM_RSRC3_GFX90A:ACCUM_OFFSET: 0
; COMPUTE_PGM_RSRC3_GFX90A:TG_SPLIT: 0
	.section	.text._ZN7rocprim17ROCPRIM_400000_NS6detail17trampoline_kernelINS0_14default_configENS1_22reduce_config_selectorIsEEZNS1_11reduce_implILb1ES3_PsS7_sN6thrust23THRUST_200600_302600_NS4plusIsEEEE10hipError_tPvRmT1_T2_T3_mT4_P12ihipStream_tbEUlT_E1_NS1_11comp_targetILNS1_3genE3ELNS1_11target_archE908ELNS1_3gpuE7ELNS1_3repE0EEENS1_30default_config_static_selectorELNS0_4arch9wavefront6targetE1EEEvSF_,"axG",@progbits,_ZN7rocprim17ROCPRIM_400000_NS6detail17trampoline_kernelINS0_14default_configENS1_22reduce_config_selectorIsEEZNS1_11reduce_implILb1ES3_PsS7_sN6thrust23THRUST_200600_302600_NS4plusIsEEEE10hipError_tPvRmT1_T2_T3_mT4_P12ihipStream_tbEUlT_E1_NS1_11comp_targetILNS1_3genE3ELNS1_11target_archE908ELNS1_3gpuE7ELNS1_3repE0EEENS1_30default_config_static_selectorELNS0_4arch9wavefront6targetE1EEEvSF_,comdat
	.protected	_ZN7rocprim17ROCPRIM_400000_NS6detail17trampoline_kernelINS0_14default_configENS1_22reduce_config_selectorIsEEZNS1_11reduce_implILb1ES3_PsS7_sN6thrust23THRUST_200600_302600_NS4plusIsEEEE10hipError_tPvRmT1_T2_T3_mT4_P12ihipStream_tbEUlT_E1_NS1_11comp_targetILNS1_3genE3ELNS1_11target_archE908ELNS1_3gpuE7ELNS1_3repE0EEENS1_30default_config_static_selectorELNS0_4arch9wavefront6targetE1EEEvSF_ ; -- Begin function _ZN7rocprim17ROCPRIM_400000_NS6detail17trampoline_kernelINS0_14default_configENS1_22reduce_config_selectorIsEEZNS1_11reduce_implILb1ES3_PsS7_sN6thrust23THRUST_200600_302600_NS4plusIsEEEE10hipError_tPvRmT1_T2_T3_mT4_P12ihipStream_tbEUlT_E1_NS1_11comp_targetILNS1_3genE3ELNS1_11target_archE908ELNS1_3gpuE7ELNS1_3repE0EEENS1_30default_config_static_selectorELNS0_4arch9wavefront6targetE1EEEvSF_
	.globl	_ZN7rocprim17ROCPRIM_400000_NS6detail17trampoline_kernelINS0_14default_configENS1_22reduce_config_selectorIsEEZNS1_11reduce_implILb1ES3_PsS7_sN6thrust23THRUST_200600_302600_NS4plusIsEEEE10hipError_tPvRmT1_T2_T3_mT4_P12ihipStream_tbEUlT_E1_NS1_11comp_targetILNS1_3genE3ELNS1_11target_archE908ELNS1_3gpuE7ELNS1_3repE0EEENS1_30default_config_static_selectorELNS0_4arch9wavefront6targetE1EEEvSF_
	.p2align	8
	.type	_ZN7rocprim17ROCPRIM_400000_NS6detail17trampoline_kernelINS0_14default_configENS1_22reduce_config_selectorIsEEZNS1_11reduce_implILb1ES3_PsS7_sN6thrust23THRUST_200600_302600_NS4plusIsEEEE10hipError_tPvRmT1_T2_T3_mT4_P12ihipStream_tbEUlT_E1_NS1_11comp_targetILNS1_3genE3ELNS1_11target_archE908ELNS1_3gpuE7ELNS1_3repE0EEENS1_30default_config_static_selectorELNS0_4arch9wavefront6targetE1EEEvSF_,@function
_ZN7rocprim17ROCPRIM_400000_NS6detail17trampoline_kernelINS0_14default_configENS1_22reduce_config_selectorIsEEZNS1_11reduce_implILb1ES3_PsS7_sN6thrust23THRUST_200600_302600_NS4plusIsEEEE10hipError_tPvRmT1_T2_T3_mT4_P12ihipStream_tbEUlT_E1_NS1_11comp_targetILNS1_3genE3ELNS1_11target_archE908ELNS1_3gpuE7ELNS1_3repE0EEENS1_30default_config_static_selectorELNS0_4arch9wavefront6targetE1EEEvSF_: ; @_ZN7rocprim17ROCPRIM_400000_NS6detail17trampoline_kernelINS0_14default_configENS1_22reduce_config_selectorIsEEZNS1_11reduce_implILb1ES3_PsS7_sN6thrust23THRUST_200600_302600_NS4plusIsEEEE10hipError_tPvRmT1_T2_T3_mT4_P12ihipStream_tbEUlT_E1_NS1_11comp_targetILNS1_3genE3ELNS1_11target_archE908ELNS1_3gpuE7ELNS1_3repE0EEENS1_30default_config_static_selectorELNS0_4arch9wavefront6targetE1EEEvSF_
; %bb.0:
	.section	.rodata,"a",@progbits
	.p2align	6, 0x0
	.amdhsa_kernel _ZN7rocprim17ROCPRIM_400000_NS6detail17trampoline_kernelINS0_14default_configENS1_22reduce_config_selectorIsEEZNS1_11reduce_implILb1ES3_PsS7_sN6thrust23THRUST_200600_302600_NS4plusIsEEEE10hipError_tPvRmT1_T2_T3_mT4_P12ihipStream_tbEUlT_E1_NS1_11comp_targetILNS1_3genE3ELNS1_11target_archE908ELNS1_3gpuE7ELNS1_3repE0EEENS1_30default_config_static_selectorELNS0_4arch9wavefront6targetE1EEEvSF_
		.amdhsa_group_segment_fixed_size 0
		.amdhsa_private_segment_fixed_size 0
		.amdhsa_kernarg_size 40
		.amdhsa_user_sgpr_count 2
		.amdhsa_user_sgpr_dispatch_ptr 0
		.amdhsa_user_sgpr_queue_ptr 0
		.amdhsa_user_sgpr_kernarg_segment_ptr 1
		.amdhsa_user_sgpr_dispatch_id 0
		.amdhsa_user_sgpr_kernarg_preload_length 0
		.amdhsa_user_sgpr_kernarg_preload_offset 0
		.amdhsa_user_sgpr_private_segment_size 0
		.amdhsa_uses_dynamic_stack 0
		.amdhsa_enable_private_segment 0
		.amdhsa_system_sgpr_workgroup_id_x 1
		.amdhsa_system_sgpr_workgroup_id_y 0
		.amdhsa_system_sgpr_workgroup_id_z 0
		.amdhsa_system_sgpr_workgroup_info 0
		.amdhsa_system_vgpr_workitem_id 0
		.amdhsa_next_free_vgpr 1
		.amdhsa_next_free_sgpr 0
		.amdhsa_accum_offset 4
		.amdhsa_reserve_vcc 0
		.amdhsa_float_round_mode_32 0
		.amdhsa_float_round_mode_16_64 0
		.amdhsa_float_denorm_mode_32 3
		.amdhsa_float_denorm_mode_16_64 3
		.amdhsa_dx10_clamp 1
		.amdhsa_ieee_mode 1
		.amdhsa_fp16_overflow 0
		.amdhsa_tg_split 0
		.amdhsa_exception_fp_ieee_invalid_op 0
		.amdhsa_exception_fp_denorm_src 0
		.amdhsa_exception_fp_ieee_div_zero 0
		.amdhsa_exception_fp_ieee_overflow 0
		.amdhsa_exception_fp_ieee_underflow 0
		.amdhsa_exception_fp_ieee_inexact 0
		.amdhsa_exception_int_div_zero 0
	.end_amdhsa_kernel
	.section	.text._ZN7rocprim17ROCPRIM_400000_NS6detail17trampoline_kernelINS0_14default_configENS1_22reduce_config_selectorIsEEZNS1_11reduce_implILb1ES3_PsS7_sN6thrust23THRUST_200600_302600_NS4plusIsEEEE10hipError_tPvRmT1_T2_T3_mT4_P12ihipStream_tbEUlT_E1_NS1_11comp_targetILNS1_3genE3ELNS1_11target_archE908ELNS1_3gpuE7ELNS1_3repE0EEENS1_30default_config_static_selectorELNS0_4arch9wavefront6targetE1EEEvSF_,"axG",@progbits,_ZN7rocprim17ROCPRIM_400000_NS6detail17trampoline_kernelINS0_14default_configENS1_22reduce_config_selectorIsEEZNS1_11reduce_implILb1ES3_PsS7_sN6thrust23THRUST_200600_302600_NS4plusIsEEEE10hipError_tPvRmT1_T2_T3_mT4_P12ihipStream_tbEUlT_E1_NS1_11comp_targetILNS1_3genE3ELNS1_11target_archE908ELNS1_3gpuE7ELNS1_3repE0EEENS1_30default_config_static_selectorELNS0_4arch9wavefront6targetE1EEEvSF_,comdat
.Lfunc_end273:
	.size	_ZN7rocprim17ROCPRIM_400000_NS6detail17trampoline_kernelINS0_14default_configENS1_22reduce_config_selectorIsEEZNS1_11reduce_implILb1ES3_PsS7_sN6thrust23THRUST_200600_302600_NS4plusIsEEEE10hipError_tPvRmT1_T2_T3_mT4_P12ihipStream_tbEUlT_E1_NS1_11comp_targetILNS1_3genE3ELNS1_11target_archE908ELNS1_3gpuE7ELNS1_3repE0EEENS1_30default_config_static_selectorELNS0_4arch9wavefront6targetE1EEEvSF_, .Lfunc_end273-_ZN7rocprim17ROCPRIM_400000_NS6detail17trampoline_kernelINS0_14default_configENS1_22reduce_config_selectorIsEEZNS1_11reduce_implILb1ES3_PsS7_sN6thrust23THRUST_200600_302600_NS4plusIsEEEE10hipError_tPvRmT1_T2_T3_mT4_P12ihipStream_tbEUlT_E1_NS1_11comp_targetILNS1_3genE3ELNS1_11target_archE908ELNS1_3gpuE7ELNS1_3repE0EEENS1_30default_config_static_selectorELNS0_4arch9wavefront6targetE1EEEvSF_
                                        ; -- End function
	.set _ZN7rocprim17ROCPRIM_400000_NS6detail17trampoline_kernelINS0_14default_configENS1_22reduce_config_selectorIsEEZNS1_11reduce_implILb1ES3_PsS7_sN6thrust23THRUST_200600_302600_NS4plusIsEEEE10hipError_tPvRmT1_T2_T3_mT4_P12ihipStream_tbEUlT_E1_NS1_11comp_targetILNS1_3genE3ELNS1_11target_archE908ELNS1_3gpuE7ELNS1_3repE0EEENS1_30default_config_static_selectorELNS0_4arch9wavefront6targetE1EEEvSF_.num_vgpr, 0
	.set _ZN7rocprim17ROCPRIM_400000_NS6detail17trampoline_kernelINS0_14default_configENS1_22reduce_config_selectorIsEEZNS1_11reduce_implILb1ES3_PsS7_sN6thrust23THRUST_200600_302600_NS4plusIsEEEE10hipError_tPvRmT1_T2_T3_mT4_P12ihipStream_tbEUlT_E1_NS1_11comp_targetILNS1_3genE3ELNS1_11target_archE908ELNS1_3gpuE7ELNS1_3repE0EEENS1_30default_config_static_selectorELNS0_4arch9wavefront6targetE1EEEvSF_.num_agpr, 0
	.set _ZN7rocprim17ROCPRIM_400000_NS6detail17trampoline_kernelINS0_14default_configENS1_22reduce_config_selectorIsEEZNS1_11reduce_implILb1ES3_PsS7_sN6thrust23THRUST_200600_302600_NS4plusIsEEEE10hipError_tPvRmT1_T2_T3_mT4_P12ihipStream_tbEUlT_E1_NS1_11comp_targetILNS1_3genE3ELNS1_11target_archE908ELNS1_3gpuE7ELNS1_3repE0EEENS1_30default_config_static_selectorELNS0_4arch9wavefront6targetE1EEEvSF_.numbered_sgpr, 0
	.set _ZN7rocprim17ROCPRIM_400000_NS6detail17trampoline_kernelINS0_14default_configENS1_22reduce_config_selectorIsEEZNS1_11reduce_implILb1ES3_PsS7_sN6thrust23THRUST_200600_302600_NS4plusIsEEEE10hipError_tPvRmT1_T2_T3_mT4_P12ihipStream_tbEUlT_E1_NS1_11comp_targetILNS1_3genE3ELNS1_11target_archE908ELNS1_3gpuE7ELNS1_3repE0EEENS1_30default_config_static_selectorELNS0_4arch9wavefront6targetE1EEEvSF_.num_named_barrier, 0
	.set _ZN7rocprim17ROCPRIM_400000_NS6detail17trampoline_kernelINS0_14default_configENS1_22reduce_config_selectorIsEEZNS1_11reduce_implILb1ES3_PsS7_sN6thrust23THRUST_200600_302600_NS4plusIsEEEE10hipError_tPvRmT1_T2_T3_mT4_P12ihipStream_tbEUlT_E1_NS1_11comp_targetILNS1_3genE3ELNS1_11target_archE908ELNS1_3gpuE7ELNS1_3repE0EEENS1_30default_config_static_selectorELNS0_4arch9wavefront6targetE1EEEvSF_.private_seg_size, 0
	.set _ZN7rocprim17ROCPRIM_400000_NS6detail17trampoline_kernelINS0_14default_configENS1_22reduce_config_selectorIsEEZNS1_11reduce_implILb1ES3_PsS7_sN6thrust23THRUST_200600_302600_NS4plusIsEEEE10hipError_tPvRmT1_T2_T3_mT4_P12ihipStream_tbEUlT_E1_NS1_11comp_targetILNS1_3genE3ELNS1_11target_archE908ELNS1_3gpuE7ELNS1_3repE0EEENS1_30default_config_static_selectorELNS0_4arch9wavefront6targetE1EEEvSF_.uses_vcc, 0
	.set _ZN7rocprim17ROCPRIM_400000_NS6detail17trampoline_kernelINS0_14default_configENS1_22reduce_config_selectorIsEEZNS1_11reduce_implILb1ES3_PsS7_sN6thrust23THRUST_200600_302600_NS4plusIsEEEE10hipError_tPvRmT1_T2_T3_mT4_P12ihipStream_tbEUlT_E1_NS1_11comp_targetILNS1_3genE3ELNS1_11target_archE908ELNS1_3gpuE7ELNS1_3repE0EEENS1_30default_config_static_selectorELNS0_4arch9wavefront6targetE1EEEvSF_.uses_flat_scratch, 0
	.set _ZN7rocprim17ROCPRIM_400000_NS6detail17trampoline_kernelINS0_14default_configENS1_22reduce_config_selectorIsEEZNS1_11reduce_implILb1ES3_PsS7_sN6thrust23THRUST_200600_302600_NS4plusIsEEEE10hipError_tPvRmT1_T2_T3_mT4_P12ihipStream_tbEUlT_E1_NS1_11comp_targetILNS1_3genE3ELNS1_11target_archE908ELNS1_3gpuE7ELNS1_3repE0EEENS1_30default_config_static_selectorELNS0_4arch9wavefront6targetE1EEEvSF_.has_dyn_sized_stack, 0
	.set _ZN7rocprim17ROCPRIM_400000_NS6detail17trampoline_kernelINS0_14default_configENS1_22reduce_config_selectorIsEEZNS1_11reduce_implILb1ES3_PsS7_sN6thrust23THRUST_200600_302600_NS4plusIsEEEE10hipError_tPvRmT1_T2_T3_mT4_P12ihipStream_tbEUlT_E1_NS1_11comp_targetILNS1_3genE3ELNS1_11target_archE908ELNS1_3gpuE7ELNS1_3repE0EEENS1_30default_config_static_selectorELNS0_4arch9wavefront6targetE1EEEvSF_.has_recursion, 0
	.set _ZN7rocprim17ROCPRIM_400000_NS6detail17trampoline_kernelINS0_14default_configENS1_22reduce_config_selectorIsEEZNS1_11reduce_implILb1ES3_PsS7_sN6thrust23THRUST_200600_302600_NS4plusIsEEEE10hipError_tPvRmT1_T2_T3_mT4_P12ihipStream_tbEUlT_E1_NS1_11comp_targetILNS1_3genE3ELNS1_11target_archE908ELNS1_3gpuE7ELNS1_3repE0EEENS1_30default_config_static_selectorELNS0_4arch9wavefront6targetE1EEEvSF_.has_indirect_call, 0
	.section	.AMDGPU.csdata,"",@progbits
; Kernel info:
; codeLenInByte = 0
; TotalNumSgprs: 6
; NumVgprs: 0
; NumAgprs: 0
; TotalNumVgprs: 0
; ScratchSize: 0
; MemoryBound: 0
; FloatMode: 240
; IeeeMode: 1
; LDSByteSize: 0 bytes/workgroup (compile time only)
; SGPRBlocks: 0
; VGPRBlocks: 0
; NumSGPRsForWavesPerEU: 6
; NumVGPRsForWavesPerEU: 1
; AccumOffset: 4
; Occupancy: 8
; WaveLimiterHint : 0
; COMPUTE_PGM_RSRC2:SCRATCH_EN: 0
; COMPUTE_PGM_RSRC2:USER_SGPR: 2
; COMPUTE_PGM_RSRC2:TRAP_HANDLER: 0
; COMPUTE_PGM_RSRC2:TGID_X_EN: 1
; COMPUTE_PGM_RSRC2:TGID_Y_EN: 0
; COMPUTE_PGM_RSRC2:TGID_Z_EN: 0
; COMPUTE_PGM_RSRC2:TIDIG_COMP_CNT: 0
; COMPUTE_PGM_RSRC3_GFX90A:ACCUM_OFFSET: 0
; COMPUTE_PGM_RSRC3_GFX90A:TG_SPLIT: 0
	.section	.text._ZN7rocprim17ROCPRIM_400000_NS6detail17trampoline_kernelINS0_14default_configENS1_22reduce_config_selectorIsEEZNS1_11reduce_implILb1ES3_PsS7_sN6thrust23THRUST_200600_302600_NS4plusIsEEEE10hipError_tPvRmT1_T2_T3_mT4_P12ihipStream_tbEUlT_E1_NS1_11comp_targetILNS1_3genE2ELNS1_11target_archE906ELNS1_3gpuE6ELNS1_3repE0EEENS1_30default_config_static_selectorELNS0_4arch9wavefront6targetE1EEEvSF_,"axG",@progbits,_ZN7rocprim17ROCPRIM_400000_NS6detail17trampoline_kernelINS0_14default_configENS1_22reduce_config_selectorIsEEZNS1_11reduce_implILb1ES3_PsS7_sN6thrust23THRUST_200600_302600_NS4plusIsEEEE10hipError_tPvRmT1_T2_T3_mT4_P12ihipStream_tbEUlT_E1_NS1_11comp_targetILNS1_3genE2ELNS1_11target_archE906ELNS1_3gpuE6ELNS1_3repE0EEENS1_30default_config_static_selectorELNS0_4arch9wavefront6targetE1EEEvSF_,comdat
	.protected	_ZN7rocprim17ROCPRIM_400000_NS6detail17trampoline_kernelINS0_14default_configENS1_22reduce_config_selectorIsEEZNS1_11reduce_implILb1ES3_PsS7_sN6thrust23THRUST_200600_302600_NS4plusIsEEEE10hipError_tPvRmT1_T2_T3_mT4_P12ihipStream_tbEUlT_E1_NS1_11comp_targetILNS1_3genE2ELNS1_11target_archE906ELNS1_3gpuE6ELNS1_3repE0EEENS1_30default_config_static_selectorELNS0_4arch9wavefront6targetE1EEEvSF_ ; -- Begin function _ZN7rocprim17ROCPRIM_400000_NS6detail17trampoline_kernelINS0_14default_configENS1_22reduce_config_selectorIsEEZNS1_11reduce_implILb1ES3_PsS7_sN6thrust23THRUST_200600_302600_NS4plusIsEEEE10hipError_tPvRmT1_T2_T3_mT4_P12ihipStream_tbEUlT_E1_NS1_11comp_targetILNS1_3genE2ELNS1_11target_archE906ELNS1_3gpuE6ELNS1_3repE0EEENS1_30default_config_static_selectorELNS0_4arch9wavefront6targetE1EEEvSF_
	.globl	_ZN7rocprim17ROCPRIM_400000_NS6detail17trampoline_kernelINS0_14default_configENS1_22reduce_config_selectorIsEEZNS1_11reduce_implILb1ES3_PsS7_sN6thrust23THRUST_200600_302600_NS4plusIsEEEE10hipError_tPvRmT1_T2_T3_mT4_P12ihipStream_tbEUlT_E1_NS1_11comp_targetILNS1_3genE2ELNS1_11target_archE906ELNS1_3gpuE6ELNS1_3repE0EEENS1_30default_config_static_selectorELNS0_4arch9wavefront6targetE1EEEvSF_
	.p2align	8
	.type	_ZN7rocprim17ROCPRIM_400000_NS6detail17trampoline_kernelINS0_14default_configENS1_22reduce_config_selectorIsEEZNS1_11reduce_implILb1ES3_PsS7_sN6thrust23THRUST_200600_302600_NS4plusIsEEEE10hipError_tPvRmT1_T2_T3_mT4_P12ihipStream_tbEUlT_E1_NS1_11comp_targetILNS1_3genE2ELNS1_11target_archE906ELNS1_3gpuE6ELNS1_3repE0EEENS1_30default_config_static_selectorELNS0_4arch9wavefront6targetE1EEEvSF_,@function
_ZN7rocprim17ROCPRIM_400000_NS6detail17trampoline_kernelINS0_14default_configENS1_22reduce_config_selectorIsEEZNS1_11reduce_implILb1ES3_PsS7_sN6thrust23THRUST_200600_302600_NS4plusIsEEEE10hipError_tPvRmT1_T2_T3_mT4_P12ihipStream_tbEUlT_E1_NS1_11comp_targetILNS1_3genE2ELNS1_11target_archE906ELNS1_3gpuE6ELNS1_3repE0EEENS1_30default_config_static_selectorELNS0_4arch9wavefront6targetE1EEEvSF_: ; @_ZN7rocprim17ROCPRIM_400000_NS6detail17trampoline_kernelINS0_14default_configENS1_22reduce_config_selectorIsEEZNS1_11reduce_implILb1ES3_PsS7_sN6thrust23THRUST_200600_302600_NS4plusIsEEEE10hipError_tPvRmT1_T2_T3_mT4_P12ihipStream_tbEUlT_E1_NS1_11comp_targetILNS1_3genE2ELNS1_11target_archE906ELNS1_3gpuE6ELNS1_3repE0EEENS1_30default_config_static_selectorELNS0_4arch9wavefront6targetE1EEEvSF_
; %bb.0:
	.section	.rodata,"a",@progbits
	.p2align	6, 0x0
	.amdhsa_kernel _ZN7rocprim17ROCPRIM_400000_NS6detail17trampoline_kernelINS0_14default_configENS1_22reduce_config_selectorIsEEZNS1_11reduce_implILb1ES3_PsS7_sN6thrust23THRUST_200600_302600_NS4plusIsEEEE10hipError_tPvRmT1_T2_T3_mT4_P12ihipStream_tbEUlT_E1_NS1_11comp_targetILNS1_3genE2ELNS1_11target_archE906ELNS1_3gpuE6ELNS1_3repE0EEENS1_30default_config_static_selectorELNS0_4arch9wavefront6targetE1EEEvSF_
		.amdhsa_group_segment_fixed_size 0
		.amdhsa_private_segment_fixed_size 0
		.amdhsa_kernarg_size 40
		.amdhsa_user_sgpr_count 2
		.amdhsa_user_sgpr_dispatch_ptr 0
		.amdhsa_user_sgpr_queue_ptr 0
		.amdhsa_user_sgpr_kernarg_segment_ptr 1
		.amdhsa_user_sgpr_dispatch_id 0
		.amdhsa_user_sgpr_kernarg_preload_length 0
		.amdhsa_user_sgpr_kernarg_preload_offset 0
		.amdhsa_user_sgpr_private_segment_size 0
		.amdhsa_uses_dynamic_stack 0
		.amdhsa_enable_private_segment 0
		.amdhsa_system_sgpr_workgroup_id_x 1
		.amdhsa_system_sgpr_workgroup_id_y 0
		.amdhsa_system_sgpr_workgroup_id_z 0
		.amdhsa_system_sgpr_workgroup_info 0
		.amdhsa_system_vgpr_workitem_id 0
		.amdhsa_next_free_vgpr 1
		.amdhsa_next_free_sgpr 0
		.amdhsa_accum_offset 4
		.amdhsa_reserve_vcc 0
		.amdhsa_float_round_mode_32 0
		.amdhsa_float_round_mode_16_64 0
		.amdhsa_float_denorm_mode_32 3
		.amdhsa_float_denorm_mode_16_64 3
		.amdhsa_dx10_clamp 1
		.amdhsa_ieee_mode 1
		.amdhsa_fp16_overflow 0
		.amdhsa_tg_split 0
		.amdhsa_exception_fp_ieee_invalid_op 0
		.amdhsa_exception_fp_denorm_src 0
		.amdhsa_exception_fp_ieee_div_zero 0
		.amdhsa_exception_fp_ieee_overflow 0
		.amdhsa_exception_fp_ieee_underflow 0
		.amdhsa_exception_fp_ieee_inexact 0
		.amdhsa_exception_int_div_zero 0
	.end_amdhsa_kernel
	.section	.text._ZN7rocprim17ROCPRIM_400000_NS6detail17trampoline_kernelINS0_14default_configENS1_22reduce_config_selectorIsEEZNS1_11reduce_implILb1ES3_PsS7_sN6thrust23THRUST_200600_302600_NS4plusIsEEEE10hipError_tPvRmT1_T2_T3_mT4_P12ihipStream_tbEUlT_E1_NS1_11comp_targetILNS1_3genE2ELNS1_11target_archE906ELNS1_3gpuE6ELNS1_3repE0EEENS1_30default_config_static_selectorELNS0_4arch9wavefront6targetE1EEEvSF_,"axG",@progbits,_ZN7rocprim17ROCPRIM_400000_NS6detail17trampoline_kernelINS0_14default_configENS1_22reduce_config_selectorIsEEZNS1_11reduce_implILb1ES3_PsS7_sN6thrust23THRUST_200600_302600_NS4plusIsEEEE10hipError_tPvRmT1_T2_T3_mT4_P12ihipStream_tbEUlT_E1_NS1_11comp_targetILNS1_3genE2ELNS1_11target_archE906ELNS1_3gpuE6ELNS1_3repE0EEENS1_30default_config_static_selectorELNS0_4arch9wavefront6targetE1EEEvSF_,comdat
.Lfunc_end274:
	.size	_ZN7rocprim17ROCPRIM_400000_NS6detail17trampoline_kernelINS0_14default_configENS1_22reduce_config_selectorIsEEZNS1_11reduce_implILb1ES3_PsS7_sN6thrust23THRUST_200600_302600_NS4plusIsEEEE10hipError_tPvRmT1_T2_T3_mT4_P12ihipStream_tbEUlT_E1_NS1_11comp_targetILNS1_3genE2ELNS1_11target_archE906ELNS1_3gpuE6ELNS1_3repE0EEENS1_30default_config_static_selectorELNS0_4arch9wavefront6targetE1EEEvSF_, .Lfunc_end274-_ZN7rocprim17ROCPRIM_400000_NS6detail17trampoline_kernelINS0_14default_configENS1_22reduce_config_selectorIsEEZNS1_11reduce_implILb1ES3_PsS7_sN6thrust23THRUST_200600_302600_NS4plusIsEEEE10hipError_tPvRmT1_T2_T3_mT4_P12ihipStream_tbEUlT_E1_NS1_11comp_targetILNS1_3genE2ELNS1_11target_archE906ELNS1_3gpuE6ELNS1_3repE0EEENS1_30default_config_static_selectorELNS0_4arch9wavefront6targetE1EEEvSF_
                                        ; -- End function
	.set _ZN7rocprim17ROCPRIM_400000_NS6detail17trampoline_kernelINS0_14default_configENS1_22reduce_config_selectorIsEEZNS1_11reduce_implILb1ES3_PsS7_sN6thrust23THRUST_200600_302600_NS4plusIsEEEE10hipError_tPvRmT1_T2_T3_mT4_P12ihipStream_tbEUlT_E1_NS1_11comp_targetILNS1_3genE2ELNS1_11target_archE906ELNS1_3gpuE6ELNS1_3repE0EEENS1_30default_config_static_selectorELNS0_4arch9wavefront6targetE1EEEvSF_.num_vgpr, 0
	.set _ZN7rocprim17ROCPRIM_400000_NS6detail17trampoline_kernelINS0_14default_configENS1_22reduce_config_selectorIsEEZNS1_11reduce_implILb1ES3_PsS7_sN6thrust23THRUST_200600_302600_NS4plusIsEEEE10hipError_tPvRmT1_T2_T3_mT4_P12ihipStream_tbEUlT_E1_NS1_11comp_targetILNS1_3genE2ELNS1_11target_archE906ELNS1_3gpuE6ELNS1_3repE0EEENS1_30default_config_static_selectorELNS0_4arch9wavefront6targetE1EEEvSF_.num_agpr, 0
	.set _ZN7rocprim17ROCPRIM_400000_NS6detail17trampoline_kernelINS0_14default_configENS1_22reduce_config_selectorIsEEZNS1_11reduce_implILb1ES3_PsS7_sN6thrust23THRUST_200600_302600_NS4plusIsEEEE10hipError_tPvRmT1_T2_T3_mT4_P12ihipStream_tbEUlT_E1_NS1_11comp_targetILNS1_3genE2ELNS1_11target_archE906ELNS1_3gpuE6ELNS1_3repE0EEENS1_30default_config_static_selectorELNS0_4arch9wavefront6targetE1EEEvSF_.numbered_sgpr, 0
	.set _ZN7rocprim17ROCPRIM_400000_NS6detail17trampoline_kernelINS0_14default_configENS1_22reduce_config_selectorIsEEZNS1_11reduce_implILb1ES3_PsS7_sN6thrust23THRUST_200600_302600_NS4plusIsEEEE10hipError_tPvRmT1_T2_T3_mT4_P12ihipStream_tbEUlT_E1_NS1_11comp_targetILNS1_3genE2ELNS1_11target_archE906ELNS1_3gpuE6ELNS1_3repE0EEENS1_30default_config_static_selectorELNS0_4arch9wavefront6targetE1EEEvSF_.num_named_barrier, 0
	.set _ZN7rocprim17ROCPRIM_400000_NS6detail17trampoline_kernelINS0_14default_configENS1_22reduce_config_selectorIsEEZNS1_11reduce_implILb1ES3_PsS7_sN6thrust23THRUST_200600_302600_NS4plusIsEEEE10hipError_tPvRmT1_T2_T3_mT4_P12ihipStream_tbEUlT_E1_NS1_11comp_targetILNS1_3genE2ELNS1_11target_archE906ELNS1_3gpuE6ELNS1_3repE0EEENS1_30default_config_static_selectorELNS0_4arch9wavefront6targetE1EEEvSF_.private_seg_size, 0
	.set _ZN7rocprim17ROCPRIM_400000_NS6detail17trampoline_kernelINS0_14default_configENS1_22reduce_config_selectorIsEEZNS1_11reduce_implILb1ES3_PsS7_sN6thrust23THRUST_200600_302600_NS4plusIsEEEE10hipError_tPvRmT1_T2_T3_mT4_P12ihipStream_tbEUlT_E1_NS1_11comp_targetILNS1_3genE2ELNS1_11target_archE906ELNS1_3gpuE6ELNS1_3repE0EEENS1_30default_config_static_selectorELNS0_4arch9wavefront6targetE1EEEvSF_.uses_vcc, 0
	.set _ZN7rocprim17ROCPRIM_400000_NS6detail17trampoline_kernelINS0_14default_configENS1_22reduce_config_selectorIsEEZNS1_11reduce_implILb1ES3_PsS7_sN6thrust23THRUST_200600_302600_NS4plusIsEEEE10hipError_tPvRmT1_T2_T3_mT4_P12ihipStream_tbEUlT_E1_NS1_11comp_targetILNS1_3genE2ELNS1_11target_archE906ELNS1_3gpuE6ELNS1_3repE0EEENS1_30default_config_static_selectorELNS0_4arch9wavefront6targetE1EEEvSF_.uses_flat_scratch, 0
	.set _ZN7rocprim17ROCPRIM_400000_NS6detail17trampoline_kernelINS0_14default_configENS1_22reduce_config_selectorIsEEZNS1_11reduce_implILb1ES3_PsS7_sN6thrust23THRUST_200600_302600_NS4plusIsEEEE10hipError_tPvRmT1_T2_T3_mT4_P12ihipStream_tbEUlT_E1_NS1_11comp_targetILNS1_3genE2ELNS1_11target_archE906ELNS1_3gpuE6ELNS1_3repE0EEENS1_30default_config_static_selectorELNS0_4arch9wavefront6targetE1EEEvSF_.has_dyn_sized_stack, 0
	.set _ZN7rocprim17ROCPRIM_400000_NS6detail17trampoline_kernelINS0_14default_configENS1_22reduce_config_selectorIsEEZNS1_11reduce_implILb1ES3_PsS7_sN6thrust23THRUST_200600_302600_NS4plusIsEEEE10hipError_tPvRmT1_T2_T3_mT4_P12ihipStream_tbEUlT_E1_NS1_11comp_targetILNS1_3genE2ELNS1_11target_archE906ELNS1_3gpuE6ELNS1_3repE0EEENS1_30default_config_static_selectorELNS0_4arch9wavefront6targetE1EEEvSF_.has_recursion, 0
	.set _ZN7rocprim17ROCPRIM_400000_NS6detail17trampoline_kernelINS0_14default_configENS1_22reduce_config_selectorIsEEZNS1_11reduce_implILb1ES3_PsS7_sN6thrust23THRUST_200600_302600_NS4plusIsEEEE10hipError_tPvRmT1_T2_T3_mT4_P12ihipStream_tbEUlT_E1_NS1_11comp_targetILNS1_3genE2ELNS1_11target_archE906ELNS1_3gpuE6ELNS1_3repE0EEENS1_30default_config_static_selectorELNS0_4arch9wavefront6targetE1EEEvSF_.has_indirect_call, 0
	.section	.AMDGPU.csdata,"",@progbits
; Kernel info:
; codeLenInByte = 0
; TotalNumSgprs: 6
; NumVgprs: 0
; NumAgprs: 0
; TotalNumVgprs: 0
; ScratchSize: 0
; MemoryBound: 0
; FloatMode: 240
; IeeeMode: 1
; LDSByteSize: 0 bytes/workgroup (compile time only)
; SGPRBlocks: 0
; VGPRBlocks: 0
; NumSGPRsForWavesPerEU: 6
; NumVGPRsForWavesPerEU: 1
; AccumOffset: 4
; Occupancy: 8
; WaveLimiterHint : 0
; COMPUTE_PGM_RSRC2:SCRATCH_EN: 0
; COMPUTE_PGM_RSRC2:USER_SGPR: 2
; COMPUTE_PGM_RSRC2:TRAP_HANDLER: 0
; COMPUTE_PGM_RSRC2:TGID_X_EN: 1
; COMPUTE_PGM_RSRC2:TGID_Y_EN: 0
; COMPUTE_PGM_RSRC2:TGID_Z_EN: 0
; COMPUTE_PGM_RSRC2:TIDIG_COMP_CNT: 0
; COMPUTE_PGM_RSRC3_GFX90A:ACCUM_OFFSET: 0
; COMPUTE_PGM_RSRC3_GFX90A:TG_SPLIT: 0
	.section	.text._ZN7rocprim17ROCPRIM_400000_NS6detail17trampoline_kernelINS0_14default_configENS1_22reduce_config_selectorIsEEZNS1_11reduce_implILb1ES3_PsS7_sN6thrust23THRUST_200600_302600_NS4plusIsEEEE10hipError_tPvRmT1_T2_T3_mT4_P12ihipStream_tbEUlT_E1_NS1_11comp_targetILNS1_3genE10ELNS1_11target_archE1201ELNS1_3gpuE5ELNS1_3repE0EEENS1_30default_config_static_selectorELNS0_4arch9wavefront6targetE1EEEvSF_,"axG",@progbits,_ZN7rocprim17ROCPRIM_400000_NS6detail17trampoline_kernelINS0_14default_configENS1_22reduce_config_selectorIsEEZNS1_11reduce_implILb1ES3_PsS7_sN6thrust23THRUST_200600_302600_NS4plusIsEEEE10hipError_tPvRmT1_T2_T3_mT4_P12ihipStream_tbEUlT_E1_NS1_11comp_targetILNS1_3genE10ELNS1_11target_archE1201ELNS1_3gpuE5ELNS1_3repE0EEENS1_30default_config_static_selectorELNS0_4arch9wavefront6targetE1EEEvSF_,comdat
	.protected	_ZN7rocprim17ROCPRIM_400000_NS6detail17trampoline_kernelINS0_14default_configENS1_22reduce_config_selectorIsEEZNS1_11reduce_implILb1ES3_PsS7_sN6thrust23THRUST_200600_302600_NS4plusIsEEEE10hipError_tPvRmT1_T2_T3_mT4_P12ihipStream_tbEUlT_E1_NS1_11comp_targetILNS1_3genE10ELNS1_11target_archE1201ELNS1_3gpuE5ELNS1_3repE0EEENS1_30default_config_static_selectorELNS0_4arch9wavefront6targetE1EEEvSF_ ; -- Begin function _ZN7rocprim17ROCPRIM_400000_NS6detail17trampoline_kernelINS0_14default_configENS1_22reduce_config_selectorIsEEZNS1_11reduce_implILb1ES3_PsS7_sN6thrust23THRUST_200600_302600_NS4plusIsEEEE10hipError_tPvRmT1_T2_T3_mT4_P12ihipStream_tbEUlT_E1_NS1_11comp_targetILNS1_3genE10ELNS1_11target_archE1201ELNS1_3gpuE5ELNS1_3repE0EEENS1_30default_config_static_selectorELNS0_4arch9wavefront6targetE1EEEvSF_
	.globl	_ZN7rocprim17ROCPRIM_400000_NS6detail17trampoline_kernelINS0_14default_configENS1_22reduce_config_selectorIsEEZNS1_11reduce_implILb1ES3_PsS7_sN6thrust23THRUST_200600_302600_NS4plusIsEEEE10hipError_tPvRmT1_T2_T3_mT4_P12ihipStream_tbEUlT_E1_NS1_11comp_targetILNS1_3genE10ELNS1_11target_archE1201ELNS1_3gpuE5ELNS1_3repE0EEENS1_30default_config_static_selectorELNS0_4arch9wavefront6targetE1EEEvSF_
	.p2align	8
	.type	_ZN7rocprim17ROCPRIM_400000_NS6detail17trampoline_kernelINS0_14default_configENS1_22reduce_config_selectorIsEEZNS1_11reduce_implILb1ES3_PsS7_sN6thrust23THRUST_200600_302600_NS4plusIsEEEE10hipError_tPvRmT1_T2_T3_mT4_P12ihipStream_tbEUlT_E1_NS1_11comp_targetILNS1_3genE10ELNS1_11target_archE1201ELNS1_3gpuE5ELNS1_3repE0EEENS1_30default_config_static_selectorELNS0_4arch9wavefront6targetE1EEEvSF_,@function
_ZN7rocprim17ROCPRIM_400000_NS6detail17trampoline_kernelINS0_14default_configENS1_22reduce_config_selectorIsEEZNS1_11reduce_implILb1ES3_PsS7_sN6thrust23THRUST_200600_302600_NS4plusIsEEEE10hipError_tPvRmT1_T2_T3_mT4_P12ihipStream_tbEUlT_E1_NS1_11comp_targetILNS1_3genE10ELNS1_11target_archE1201ELNS1_3gpuE5ELNS1_3repE0EEENS1_30default_config_static_selectorELNS0_4arch9wavefront6targetE1EEEvSF_: ; @_ZN7rocprim17ROCPRIM_400000_NS6detail17trampoline_kernelINS0_14default_configENS1_22reduce_config_selectorIsEEZNS1_11reduce_implILb1ES3_PsS7_sN6thrust23THRUST_200600_302600_NS4plusIsEEEE10hipError_tPvRmT1_T2_T3_mT4_P12ihipStream_tbEUlT_E1_NS1_11comp_targetILNS1_3genE10ELNS1_11target_archE1201ELNS1_3gpuE5ELNS1_3repE0EEENS1_30default_config_static_selectorELNS0_4arch9wavefront6targetE1EEEvSF_
; %bb.0:
	.section	.rodata,"a",@progbits
	.p2align	6, 0x0
	.amdhsa_kernel _ZN7rocprim17ROCPRIM_400000_NS6detail17trampoline_kernelINS0_14default_configENS1_22reduce_config_selectorIsEEZNS1_11reduce_implILb1ES3_PsS7_sN6thrust23THRUST_200600_302600_NS4plusIsEEEE10hipError_tPvRmT1_T2_T3_mT4_P12ihipStream_tbEUlT_E1_NS1_11comp_targetILNS1_3genE10ELNS1_11target_archE1201ELNS1_3gpuE5ELNS1_3repE0EEENS1_30default_config_static_selectorELNS0_4arch9wavefront6targetE1EEEvSF_
		.amdhsa_group_segment_fixed_size 0
		.amdhsa_private_segment_fixed_size 0
		.amdhsa_kernarg_size 40
		.amdhsa_user_sgpr_count 2
		.amdhsa_user_sgpr_dispatch_ptr 0
		.amdhsa_user_sgpr_queue_ptr 0
		.amdhsa_user_sgpr_kernarg_segment_ptr 1
		.amdhsa_user_sgpr_dispatch_id 0
		.amdhsa_user_sgpr_kernarg_preload_length 0
		.amdhsa_user_sgpr_kernarg_preload_offset 0
		.amdhsa_user_sgpr_private_segment_size 0
		.amdhsa_uses_dynamic_stack 0
		.amdhsa_enable_private_segment 0
		.amdhsa_system_sgpr_workgroup_id_x 1
		.amdhsa_system_sgpr_workgroup_id_y 0
		.amdhsa_system_sgpr_workgroup_id_z 0
		.amdhsa_system_sgpr_workgroup_info 0
		.amdhsa_system_vgpr_workitem_id 0
		.amdhsa_next_free_vgpr 1
		.amdhsa_next_free_sgpr 0
		.amdhsa_accum_offset 4
		.amdhsa_reserve_vcc 0
		.amdhsa_float_round_mode_32 0
		.amdhsa_float_round_mode_16_64 0
		.amdhsa_float_denorm_mode_32 3
		.amdhsa_float_denorm_mode_16_64 3
		.amdhsa_dx10_clamp 1
		.amdhsa_ieee_mode 1
		.amdhsa_fp16_overflow 0
		.amdhsa_tg_split 0
		.amdhsa_exception_fp_ieee_invalid_op 0
		.amdhsa_exception_fp_denorm_src 0
		.amdhsa_exception_fp_ieee_div_zero 0
		.amdhsa_exception_fp_ieee_overflow 0
		.amdhsa_exception_fp_ieee_underflow 0
		.amdhsa_exception_fp_ieee_inexact 0
		.amdhsa_exception_int_div_zero 0
	.end_amdhsa_kernel
	.section	.text._ZN7rocprim17ROCPRIM_400000_NS6detail17trampoline_kernelINS0_14default_configENS1_22reduce_config_selectorIsEEZNS1_11reduce_implILb1ES3_PsS7_sN6thrust23THRUST_200600_302600_NS4plusIsEEEE10hipError_tPvRmT1_T2_T3_mT4_P12ihipStream_tbEUlT_E1_NS1_11comp_targetILNS1_3genE10ELNS1_11target_archE1201ELNS1_3gpuE5ELNS1_3repE0EEENS1_30default_config_static_selectorELNS0_4arch9wavefront6targetE1EEEvSF_,"axG",@progbits,_ZN7rocprim17ROCPRIM_400000_NS6detail17trampoline_kernelINS0_14default_configENS1_22reduce_config_selectorIsEEZNS1_11reduce_implILb1ES3_PsS7_sN6thrust23THRUST_200600_302600_NS4plusIsEEEE10hipError_tPvRmT1_T2_T3_mT4_P12ihipStream_tbEUlT_E1_NS1_11comp_targetILNS1_3genE10ELNS1_11target_archE1201ELNS1_3gpuE5ELNS1_3repE0EEENS1_30default_config_static_selectorELNS0_4arch9wavefront6targetE1EEEvSF_,comdat
.Lfunc_end275:
	.size	_ZN7rocprim17ROCPRIM_400000_NS6detail17trampoline_kernelINS0_14default_configENS1_22reduce_config_selectorIsEEZNS1_11reduce_implILb1ES3_PsS7_sN6thrust23THRUST_200600_302600_NS4plusIsEEEE10hipError_tPvRmT1_T2_T3_mT4_P12ihipStream_tbEUlT_E1_NS1_11comp_targetILNS1_3genE10ELNS1_11target_archE1201ELNS1_3gpuE5ELNS1_3repE0EEENS1_30default_config_static_selectorELNS0_4arch9wavefront6targetE1EEEvSF_, .Lfunc_end275-_ZN7rocprim17ROCPRIM_400000_NS6detail17trampoline_kernelINS0_14default_configENS1_22reduce_config_selectorIsEEZNS1_11reduce_implILb1ES3_PsS7_sN6thrust23THRUST_200600_302600_NS4plusIsEEEE10hipError_tPvRmT1_T2_T3_mT4_P12ihipStream_tbEUlT_E1_NS1_11comp_targetILNS1_3genE10ELNS1_11target_archE1201ELNS1_3gpuE5ELNS1_3repE0EEENS1_30default_config_static_selectorELNS0_4arch9wavefront6targetE1EEEvSF_
                                        ; -- End function
	.set _ZN7rocprim17ROCPRIM_400000_NS6detail17trampoline_kernelINS0_14default_configENS1_22reduce_config_selectorIsEEZNS1_11reduce_implILb1ES3_PsS7_sN6thrust23THRUST_200600_302600_NS4plusIsEEEE10hipError_tPvRmT1_T2_T3_mT4_P12ihipStream_tbEUlT_E1_NS1_11comp_targetILNS1_3genE10ELNS1_11target_archE1201ELNS1_3gpuE5ELNS1_3repE0EEENS1_30default_config_static_selectorELNS0_4arch9wavefront6targetE1EEEvSF_.num_vgpr, 0
	.set _ZN7rocprim17ROCPRIM_400000_NS6detail17trampoline_kernelINS0_14default_configENS1_22reduce_config_selectorIsEEZNS1_11reduce_implILb1ES3_PsS7_sN6thrust23THRUST_200600_302600_NS4plusIsEEEE10hipError_tPvRmT1_T2_T3_mT4_P12ihipStream_tbEUlT_E1_NS1_11comp_targetILNS1_3genE10ELNS1_11target_archE1201ELNS1_3gpuE5ELNS1_3repE0EEENS1_30default_config_static_selectorELNS0_4arch9wavefront6targetE1EEEvSF_.num_agpr, 0
	.set _ZN7rocprim17ROCPRIM_400000_NS6detail17trampoline_kernelINS0_14default_configENS1_22reduce_config_selectorIsEEZNS1_11reduce_implILb1ES3_PsS7_sN6thrust23THRUST_200600_302600_NS4plusIsEEEE10hipError_tPvRmT1_T2_T3_mT4_P12ihipStream_tbEUlT_E1_NS1_11comp_targetILNS1_3genE10ELNS1_11target_archE1201ELNS1_3gpuE5ELNS1_3repE0EEENS1_30default_config_static_selectorELNS0_4arch9wavefront6targetE1EEEvSF_.numbered_sgpr, 0
	.set _ZN7rocprim17ROCPRIM_400000_NS6detail17trampoline_kernelINS0_14default_configENS1_22reduce_config_selectorIsEEZNS1_11reduce_implILb1ES3_PsS7_sN6thrust23THRUST_200600_302600_NS4plusIsEEEE10hipError_tPvRmT1_T2_T3_mT4_P12ihipStream_tbEUlT_E1_NS1_11comp_targetILNS1_3genE10ELNS1_11target_archE1201ELNS1_3gpuE5ELNS1_3repE0EEENS1_30default_config_static_selectorELNS0_4arch9wavefront6targetE1EEEvSF_.num_named_barrier, 0
	.set _ZN7rocprim17ROCPRIM_400000_NS6detail17trampoline_kernelINS0_14default_configENS1_22reduce_config_selectorIsEEZNS1_11reduce_implILb1ES3_PsS7_sN6thrust23THRUST_200600_302600_NS4plusIsEEEE10hipError_tPvRmT1_T2_T3_mT4_P12ihipStream_tbEUlT_E1_NS1_11comp_targetILNS1_3genE10ELNS1_11target_archE1201ELNS1_3gpuE5ELNS1_3repE0EEENS1_30default_config_static_selectorELNS0_4arch9wavefront6targetE1EEEvSF_.private_seg_size, 0
	.set _ZN7rocprim17ROCPRIM_400000_NS6detail17trampoline_kernelINS0_14default_configENS1_22reduce_config_selectorIsEEZNS1_11reduce_implILb1ES3_PsS7_sN6thrust23THRUST_200600_302600_NS4plusIsEEEE10hipError_tPvRmT1_T2_T3_mT4_P12ihipStream_tbEUlT_E1_NS1_11comp_targetILNS1_3genE10ELNS1_11target_archE1201ELNS1_3gpuE5ELNS1_3repE0EEENS1_30default_config_static_selectorELNS0_4arch9wavefront6targetE1EEEvSF_.uses_vcc, 0
	.set _ZN7rocprim17ROCPRIM_400000_NS6detail17trampoline_kernelINS0_14default_configENS1_22reduce_config_selectorIsEEZNS1_11reduce_implILb1ES3_PsS7_sN6thrust23THRUST_200600_302600_NS4plusIsEEEE10hipError_tPvRmT1_T2_T3_mT4_P12ihipStream_tbEUlT_E1_NS1_11comp_targetILNS1_3genE10ELNS1_11target_archE1201ELNS1_3gpuE5ELNS1_3repE0EEENS1_30default_config_static_selectorELNS0_4arch9wavefront6targetE1EEEvSF_.uses_flat_scratch, 0
	.set _ZN7rocprim17ROCPRIM_400000_NS6detail17trampoline_kernelINS0_14default_configENS1_22reduce_config_selectorIsEEZNS1_11reduce_implILb1ES3_PsS7_sN6thrust23THRUST_200600_302600_NS4plusIsEEEE10hipError_tPvRmT1_T2_T3_mT4_P12ihipStream_tbEUlT_E1_NS1_11comp_targetILNS1_3genE10ELNS1_11target_archE1201ELNS1_3gpuE5ELNS1_3repE0EEENS1_30default_config_static_selectorELNS0_4arch9wavefront6targetE1EEEvSF_.has_dyn_sized_stack, 0
	.set _ZN7rocprim17ROCPRIM_400000_NS6detail17trampoline_kernelINS0_14default_configENS1_22reduce_config_selectorIsEEZNS1_11reduce_implILb1ES3_PsS7_sN6thrust23THRUST_200600_302600_NS4plusIsEEEE10hipError_tPvRmT1_T2_T3_mT4_P12ihipStream_tbEUlT_E1_NS1_11comp_targetILNS1_3genE10ELNS1_11target_archE1201ELNS1_3gpuE5ELNS1_3repE0EEENS1_30default_config_static_selectorELNS0_4arch9wavefront6targetE1EEEvSF_.has_recursion, 0
	.set _ZN7rocprim17ROCPRIM_400000_NS6detail17trampoline_kernelINS0_14default_configENS1_22reduce_config_selectorIsEEZNS1_11reduce_implILb1ES3_PsS7_sN6thrust23THRUST_200600_302600_NS4plusIsEEEE10hipError_tPvRmT1_T2_T3_mT4_P12ihipStream_tbEUlT_E1_NS1_11comp_targetILNS1_3genE10ELNS1_11target_archE1201ELNS1_3gpuE5ELNS1_3repE0EEENS1_30default_config_static_selectorELNS0_4arch9wavefront6targetE1EEEvSF_.has_indirect_call, 0
	.section	.AMDGPU.csdata,"",@progbits
; Kernel info:
; codeLenInByte = 0
; TotalNumSgprs: 6
; NumVgprs: 0
; NumAgprs: 0
; TotalNumVgprs: 0
; ScratchSize: 0
; MemoryBound: 0
; FloatMode: 240
; IeeeMode: 1
; LDSByteSize: 0 bytes/workgroup (compile time only)
; SGPRBlocks: 0
; VGPRBlocks: 0
; NumSGPRsForWavesPerEU: 6
; NumVGPRsForWavesPerEU: 1
; AccumOffset: 4
; Occupancy: 8
; WaveLimiterHint : 0
; COMPUTE_PGM_RSRC2:SCRATCH_EN: 0
; COMPUTE_PGM_RSRC2:USER_SGPR: 2
; COMPUTE_PGM_RSRC2:TRAP_HANDLER: 0
; COMPUTE_PGM_RSRC2:TGID_X_EN: 1
; COMPUTE_PGM_RSRC2:TGID_Y_EN: 0
; COMPUTE_PGM_RSRC2:TGID_Z_EN: 0
; COMPUTE_PGM_RSRC2:TIDIG_COMP_CNT: 0
; COMPUTE_PGM_RSRC3_GFX90A:ACCUM_OFFSET: 0
; COMPUTE_PGM_RSRC3_GFX90A:TG_SPLIT: 0
	.section	.text._ZN7rocprim17ROCPRIM_400000_NS6detail17trampoline_kernelINS0_14default_configENS1_22reduce_config_selectorIsEEZNS1_11reduce_implILb1ES3_PsS7_sN6thrust23THRUST_200600_302600_NS4plusIsEEEE10hipError_tPvRmT1_T2_T3_mT4_P12ihipStream_tbEUlT_E1_NS1_11comp_targetILNS1_3genE10ELNS1_11target_archE1200ELNS1_3gpuE4ELNS1_3repE0EEENS1_30default_config_static_selectorELNS0_4arch9wavefront6targetE1EEEvSF_,"axG",@progbits,_ZN7rocprim17ROCPRIM_400000_NS6detail17trampoline_kernelINS0_14default_configENS1_22reduce_config_selectorIsEEZNS1_11reduce_implILb1ES3_PsS7_sN6thrust23THRUST_200600_302600_NS4plusIsEEEE10hipError_tPvRmT1_T2_T3_mT4_P12ihipStream_tbEUlT_E1_NS1_11comp_targetILNS1_3genE10ELNS1_11target_archE1200ELNS1_3gpuE4ELNS1_3repE0EEENS1_30default_config_static_selectorELNS0_4arch9wavefront6targetE1EEEvSF_,comdat
	.protected	_ZN7rocprim17ROCPRIM_400000_NS6detail17trampoline_kernelINS0_14default_configENS1_22reduce_config_selectorIsEEZNS1_11reduce_implILb1ES3_PsS7_sN6thrust23THRUST_200600_302600_NS4plusIsEEEE10hipError_tPvRmT1_T2_T3_mT4_P12ihipStream_tbEUlT_E1_NS1_11comp_targetILNS1_3genE10ELNS1_11target_archE1200ELNS1_3gpuE4ELNS1_3repE0EEENS1_30default_config_static_selectorELNS0_4arch9wavefront6targetE1EEEvSF_ ; -- Begin function _ZN7rocprim17ROCPRIM_400000_NS6detail17trampoline_kernelINS0_14default_configENS1_22reduce_config_selectorIsEEZNS1_11reduce_implILb1ES3_PsS7_sN6thrust23THRUST_200600_302600_NS4plusIsEEEE10hipError_tPvRmT1_T2_T3_mT4_P12ihipStream_tbEUlT_E1_NS1_11comp_targetILNS1_3genE10ELNS1_11target_archE1200ELNS1_3gpuE4ELNS1_3repE0EEENS1_30default_config_static_selectorELNS0_4arch9wavefront6targetE1EEEvSF_
	.globl	_ZN7rocprim17ROCPRIM_400000_NS6detail17trampoline_kernelINS0_14default_configENS1_22reduce_config_selectorIsEEZNS1_11reduce_implILb1ES3_PsS7_sN6thrust23THRUST_200600_302600_NS4plusIsEEEE10hipError_tPvRmT1_T2_T3_mT4_P12ihipStream_tbEUlT_E1_NS1_11comp_targetILNS1_3genE10ELNS1_11target_archE1200ELNS1_3gpuE4ELNS1_3repE0EEENS1_30default_config_static_selectorELNS0_4arch9wavefront6targetE1EEEvSF_
	.p2align	8
	.type	_ZN7rocprim17ROCPRIM_400000_NS6detail17trampoline_kernelINS0_14default_configENS1_22reduce_config_selectorIsEEZNS1_11reduce_implILb1ES3_PsS7_sN6thrust23THRUST_200600_302600_NS4plusIsEEEE10hipError_tPvRmT1_T2_T3_mT4_P12ihipStream_tbEUlT_E1_NS1_11comp_targetILNS1_3genE10ELNS1_11target_archE1200ELNS1_3gpuE4ELNS1_3repE0EEENS1_30default_config_static_selectorELNS0_4arch9wavefront6targetE1EEEvSF_,@function
_ZN7rocprim17ROCPRIM_400000_NS6detail17trampoline_kernelINS0_14default_configENS1_22reduce_config_selectorIsEEZNS1_11reduce_implILb1ES3_PsS7_sN6thrust23THRUST_200600_302600_NS4plusIsEEEE10hipError_tPvRmT1_T2_T3_mT4_P12ihipStream_tbEUlT_E1_NS1_11comp_targetILNS1_3genE10ELNS1_11target_archE1200ELNS1_3gpuE4ELNS1_3repE0EEENS1_30default_config_static_selectorELNS0_4arch9wavefront6targetE1EEEvSF_: ; @_ZN7rocprim17ROCPRIM_400000_NS6detail17trampoline_kernelINS0_14default_configENS1_22reduce_config_selectorIsEEZNS1_11reduce_implILb1ES3_PsS7_sN6thrust23THRUST_200600_302600_NS4plusIsEEEE10hipError_tPvRmT1_T2_T3_mT4_P12ihipStream_tbEUlT_E1_NS1_11comp_targetILNS1_3genE10ELNS1_11target_archE1200ELNS1_3gpuE4ELNS1_3repE0EEENS1_30default_config_static_selectorELNS0_4arch9wavefront6targetE1EEEvSF_
; %bb.0:
	.section	.rodata,"a",@progbits
	.p2align	6, 0x0
	.amdhsa_kernel _ZN7rocprim17ROCPRIM_400000_NS6detail17trampoline_kernelINS0_14default_configENS1_22reduce_config_selectorIsEEZNS1_11reduce_implILb1ES3_PsS7_sN6thrust23THRUST_200600_302600_NS4plusIsEEEE10hipError_tPvRmT1_T2_T3_mT4_P12ihipStream_tbEUlT_E1_NS1_11comp_targetILNS1_3genE10ELNS1_11target_archE1200ELNS1_3gpuE4ELNS1_3repE0EEENS1_30default_config_static_selectorELNS0_4arch9wavefront6targetE1EEEvSF_
		.amdhsa_group_segment_fixed_size 0
		.amdhsa_private_segment_fixed_size 0
		.amdhsa_kernarg_size 40
		.amdhsa_user_sgpr_count 2
		.amdhsa_user_sgpr_dispatch_ptr 0
		.amdhsa_user_sgpr_queue_ptr 0
		.amdhsa_user_sgpr_kernarg_segment_ptr 1
		.amdhsa_user_sgpr_dispatch_id 0
		.amdhsa_user_sgpr_kernarg_preload_length 0
		.amdhsa_user_sgpr_kernarg_preload_offset 0
		.amdhsa_user_sgpr_private_segment_size 0
		.amdhsa_uses_dynamic_stack 0
		.amdhsa_enable_private_segment 0
		.amdhsa_system_sgpr_workgroup_id_x 1
		.amdhsa_system_sgpr_workgroup_id_y 0
		.amdhsa_system_sgpr_workgroup_id_z 0
		.amdhsa_system_sgpr_workgroup_info 0
		.amdhsa_system_vgpr_workitem_id 0
		.amdhsa_next_free_vgpr 1
		.amdhsa_next_free_sgpr 0
		.amdhsa_accum_offset 4
		.amdhsa_reserve_vcc 0
		.amdhsa_float_round_mode_32 0
		.amdhsa_float_round_mode_16_64 0
		.amdhsa_float_denorm_mode_32 3
		.amdhsa_float_denorm_mode_16_64 3
		.amdhsa_dx10_clamp 1
		.amdhsa_ieee_mode 1
		.amdhsa_fp16_overflow 0
		.amdhsa_tg_split 0
		.amdhsa_exception_fp_ieee_invalid_op 0
		.amdhsa_exception_fp_denorm_src 0
		.amdhsa_exception_fp_ieee_div_zero 0
		.amdhsa_exception_fp_ieee_overflow 0
		.amdhsa_exception_fp_ieee_underflow 0
		.amdhsa_exception_fp_ieee_inexact 0
		.amdhsa_exception_int_div_zero 0
	.end_amdhsa_kernel
	.section	.text._ZN7rocprim17ROCPRIM_400000_NS6detail17trampoline_kernelINS0_14default_configENS1_22reduce_config_selectorIsEEZNS1_11reduce_implILb1ES3_PsS7_sN6thrust23THRUST_200600_302600_NS4plusIsEEEE10hipError_tPvRmT1_T2_T3_mT4_P12ihipStream_tbEUlT_E1_NS1_11comp_targetILNS1_3genE10ELNS1_11target_archE1200ELNS1_3gpuE4ELNS1_3repE0EEENS1_30default_config_static_selectorELNS0_4arch9wavefront6targetE1EEEvSF_,"axG",@progbits,_ZN7rocprim17ROCPRIM_400000_NS6detail17trampoline_kernelINS0_14default_configENS1_22reduce_config_selectorIsEEZNS1_11reduce_implILb1ES3_PsS7_sN6thrust23THRUST_200600_302600_NS4plusIsEEEE10hipError_tPvRmT1_T2_T3_mT4_P12ihipStream_tbEUlT_E1_NS1_11comp_targetILNS1_3genE10ELNS1_11target_archE1200ELNS1_3gpuE4ELNS1_3repE0EEENS1_30default_config_static_selectorELNS0_4arch9wavefront6targetE1EEEvSF_,comdat
.Lfunc_end276:
	.size	_ZN7rocprim17ROCPRIM_400000_NS6detail17trampoline_kernelINS0_14default_configENS1_22reduce_config_selectorIsEEZNS1_11reduce_implILb1ES3_PsS7_sN6thrust23THRUST_200600_302600_NS4plusIsEEEE10hipError_tPvRmT1_T2_T3_mT4_P12ihipStream_tbEUlT_E1_NS1_11comp_targetILNS1_3genE10ELNS1_11target_archE1200ELNS1_3gpuE4ELNS1_3repE0EEENS1_30default_config_static_selectorELNS0_4arch9wavefront6targetE1EEEvSF_, .Lfunc_end276-_ZN7rocprim17ROCPRIM_400000_NS6detail17trampoline_kernelINS0_14default_configENS1_22reduce_config_selectorIsEEZNS1_11reduce_implILb1ES3_PsS7_sN6thrust23THRUST_200600_302600_NS4plusIsEEEE10hipError_tPvRmT1_T2_T3_mT4_P12ihipStream_tbEUlT_E1_NS1_11comp_targetILNS1_3genE10ELNS1_11target_archE1200ELNS1_3gpuE4ELNS1_3repE0EEENS1_30default_config_static_selectorELNS0_4arch9wavefront6targetE1EEEvSF_
                                        ; -- End function
	.set _ZN7rocprim17ROCPRIM_400000_NS6detail17trampoline_kernelINS0_14default_configENS1_22reduce_config_selectorIsEEZNS1_11reduce_implILb1ES3_PsS7_sN6thrust23THRUST_200600_302600_NS4plusIsEEEE10hipError_tPvRmT1_T2_T3_mT4_P12ihipStream_tbEUlT_E1_NS1_11comp_targetILNS1_3genE10ELNS1_11target_archE1200ELNS1_3gpuE4ELNS1_3repE0EEENS1_30default_config_static_selectorELNS0_4arch9wavefront6targetE1EEEvSF_.num_vgpr, 0
	.set _ZN7rocprim17ROCPRIM_400000_NS6detail17trampoline_kernelINS0_14default_configENS1_22reduce_config_selectorIsEEZNS1_11reduce_implILb1ES3_PsS7_sN6thrust23THRUST_200600_302600_NS4plusIsEEEE10hipError_tPvRmT1_T2_T3_mT4_P12ihipStream_tbEUlT_E1_NS1_11comp_targetILNS1_3genE10ELNS1_11target_archE1200ELNS1_3gpuE4ELNS1_3repE0EEENS1_30default_config_static_selectorELNS0_4arch9wavefront6targetE1EEEvSF_.num_agpr, 0
	.set _ZN7rocprim17ROCPRIM_400000_NS6detail17trampoline_kernelINS0_14default_configENS1_22reduce_config_selectorIsEEZNS1_11reduce_implILb1ES3_PsS7_sN6thrust23THRUST_200600_302600_NS4plusIsEEEE10hipError_tPvRmT1_T2_T3_mT4_P12ihipStream_tbEUlT_E1_NS1_11comp_targetILNS1_3genE10ELNS1_11target_archE1200ELNS1_3gpuE4ELNS1_3repE0EEENS1_30default_config_static_selectorELNS0_4arch9wavefront6targetE1EEEvSF_.numbered_sgpr, 0
	.set _ZN7rocprim17ROCPRIM_400000_NS6detail17trampoline_kernelINS0_14default_configENS1_22reduce_config_selectorIsEEZNS1_11reduce_implILb1ES3_PsS7_sN6thrust23THRUST_200600_302600_NS4plusIsEEEE10hipError_tPvRmT1_T2_T3_mT4_P12ihipStream_tbEUlT_E1_NS1_11comp_targetILNS1_3genE10ELNS1_11target_archE1200ELNS1_3gpuE4ELNS1_3repE0EEENS1_30default_config_static_selectorELNS0_4arch9wavefront6targetE1EEEvSF_.num_named_barrier, 0
	.set _ZN7rocprim17ROCPRIM_400000_NS6detail17trampoline_kernelINS0_14default_configENS1_22reduce_config_selectorIsEEZNS1_11reduce_implILb1ES3_PsS7_sN6thrust23THRUST_200600_302600_NS4plusIsEEEE10hipError_tPvRmT1_T2_T3_mT4_P12ihipStream_tbEUlT_E1_NS1_11comp_targetILNS1_3genE10ELNS1_11target_archE1200ELNS1_3gpuE4ELNS1_3repE0EEENS1_30default_config_static_selectorELNS0_4arch9wavefront6targetE1EEEvSF_.private_seg_size, 0
	.set _ZN7rocprim17ROCPRIM_400000_NS6detail17trampoline_kernelINS0_14default_configENS1_22reduce_config_selectorIsEEZNS1_11reduce_implILb1ES3_PsS7_sN6thrust23THRUST_200600_302600_NS4plusIsEEEE10hipError_tPvRmT1_T2_T3_mT4_P12ihipStream_tbEUlT_E1_NS1_11comp_targetILNS1_3genE10ELNS1_11target_archE1200ELNS1_3gpuE4ELNS1_3repE0EEENS1_30default_config_static_selectorELNS0_4arch9wavefront6targetE1EEEvSF_.uses_vcc, 0
	.set _ZN7rocprim17ROCPRIM_400000_NS6detail17trampoline_kernelINS0_14default_configENS1_22reduce_config_selectorIsEEZNS1_11reduce_implILb1ES3_PsS7_sN6thrust23THRUST_200600_302600_NS4plusIsEEEE10hipError_tPvRmT1_T2_T3_mT4_P12ihipStream_tbEUlT_E1_NS1_11comp_targetILNS1_3genE10ELNS1_11target_archE1200ELNS1_3gpuE4ELNS1_3repE0EEENS1_30default_config_static_selectorELNS0_4arch9wavefront6targetE1EEEvSF_.uses_flat_scratch, 0
	.set _ZN7rocprim17ROCPRIM_400000_NS6detail17trampoline_kernelINS0_14default_configENS1_22reduce_config_selectorIsEEZNS1_11reduce_implILb1ES3_PsS7_sN6thrust23THRUST_200600_302600_NS4plusIsEEEE10hipError_tPvRmT1_T2_T3_mT4_P12ihipStream_tbEUlT_E1_NS1_11comp_targetILNS1_3genE10ELNS1_11target_archE1200ELNS1_3gpuE4ELNS1_3repE0EEENS1_30default_config_static_selectorELNS0_4arch9wavefront6targetE1EEEvSF_.has_dyn_sized_stack, 0
	.set _ZN7rocprim17ROCPRIM_400000_NS6detail17trampoline_kernelINS0_14default_configENS1_22reduce_config_selectorIsEEZNS1_11reduce_implILb1ES3_PsS7_sN6thrust23THRUST_200600_302600_NS4plusIsEEEE10hipError_tPvRmT1_T2_T3_mT4_P12ihipStream_tbEUlT_E1_NS1_11comp_targetILNS1_3genE10ELNS1_11target_archE1200ELNS1_3gpuE4ELNS1_3repE0EEENS1_30default_config_static_selectorELNS0_4arch9wavefront6targetE1EEEvSF_.has_recursion, 0
	.set _ZN7rocprim17ROCPRIM_400000_NS6detail17trampoline_kernelINS0_14default_configENS1_22reduce_config_selectorIsEEZNS1_11reduce_implILb1ES3_PsS7_sN6thrust23THRUST_200600_302600_NS4plusIsEEEE10hipError_tPvRmT1_T2_T3_mT4_P12ihipStream_tbEUlT_E1_NS1_11comp_targetILNS1_3genE10ELNS1_11target_archE1200ELNS1_3gpuE4ELNS1_3repE0EEENS1_30default_config_static_selectorELNS0_4arch9wavefront6targetE1EEEvSF_.has_indirect_call, 0
	.section	.AMDGPU.csdata,"",@progbits
; Kernel info:
; codeLenInByte = 0
; TotalNumSgprs: 6
; NumVgprs: 0
; NumAgprs: 0
; TotalNumVgprs: 0
; ScratchSize: 0
; MemoryBound: 0
; FloatMode: 240
; IeeeMode: 1
; LDSByteSize: 0 bytes/workgroup (compile time only)
; SGPRBlocks: 0
; VGPRBlocks: 0
; NumSGPRsForWavesPerEU: 6
; NumVGPRsForWavesPerEU: 1
; AccumOffset: 4
; Occupancy: 8
; WaveLimiterHint : 0
; COMPUTE_PGM_RSRC2:SCRATCH_EN: 0
; COMPUTE_PGM_RSRC2:USER_SGPR: 2
; COMPUTE_PGM_RSRC2:TRAP_HANDLER: 0
; COMPUTE_PGM_RSRC2:TGID_X_EN: 1
; COMPUTE_PGM_RSRC2:TGID_Y_EN: 0
; COMPUTE_PGM_RSRC2:TGID_Z_EN: 0
; COMPUTE_PGM_RSRC2:TIDIG_COMP_CNT: 0
; COMPUTE_PGM_RSRC3_GFX90A:ACCUM_OFFSET: 0
; COMPUTE_PGM_RSRC3_GFX90A:TG_SPLIT: 0
	.section	.text._ZN7rocprim17ROCPRIM_400000_NS6detail17trampoline_kernelINS0_14default_configENS1_22reduce_config_selectorIsEEZNS1_11reduce_implILb1ES3_PsS7_sN6thrust23THRUST_200600_302600_NS4plusIsEEEE10hipError_tPvRmT1_T2_T3_mT4_P12ihipStream_tbEUlT_E1_NS1_11comp_targetILNS1_3genE9ELNS1_11target_archE1100ELNS1_3gpuE3ELNS1_3repE0EEENS1_30default_config_static_selectorELNS0_4arch9wavefront6targetE1EEEvSF_,"axG",@progbits,_ZN7rocprim17ROCPRIM_400000_NS6detail17trampoline_kernelINS0_14default_configENS1_22reduce_config_selectorIsEEZNS1_11reduce_implILb1ES3_PsS7_sN6thrust23THRUST_200600_302600_NS4plusIsEEEE10hipError_tPvRmT1_T2_T3_mT4_P12ihipStream_tbEUlT_E1_NS1_11comp_targetILNS1_3genE9ELNS1_11target_archE1100ELNS1_3gpuE3ELNS1_3repE0EEENS1_30default_config_static_selectorELNS0_4arch9wavefront6targetE1EEEvSF_,comdat
	.protected	_ZN7rocprim17ROCPRIM_400000_NS6detail17trampoline_kernelINS0_14default_configENS1_22reduce_config_selectorIsEEZNS1_11reduce_implILb1ES3_PsS7_sN6thrust23THRUST_200600_302600_NS4plusIsEEEE10hipError_tPvRmT1_T2_T3_mT4_P12ihipStream_tbEUlT_E1_NS1_11comp_targetILNS1_3genE9ELNS1_11target_archE1100ELNS1_3gpuE3ELNS1_3repE0EEENS1_30default_config_static_selectorELNS0_4arch9wavefront6targetE1EEEvSF_ ; -- Begin function _ZN7rocprim17ROCPRIM_400000_NS6detail17trampoline_kernelINS0_14default_configENS1_22reduce_config_selectorIsEEZNS1_11reduce_implILb1ES3_PsS7_sN6thrust23THRUST_200600_302600_NS4plusIsEEEE10hipError_tPvRmT1_T2_T3_mT4_P12ihipStream_tbEUlT_E1_NS1_11comp_targetILNS1_3genE9ELNS1_11target_archE1100ELNS1_3gpuE3ELNS1_3repE0EEENS1_30default_config_static_selectorELNS0_4arch9wavefront6targetE1EEEvSF_
	.globl	_ZN7rocprim17ROCPRIM_400000_NS6detail17trampoline_kernelINS0_14default_configENS1_22reduce_config_selectorIsEEZNS1_11reduce_implILb1ES3_PsS7_sN6thrust23THRUST_200600_302600_NS4plusIsEEEE10hipError_tPvRmT1_T2_T3_mT4_P12ihipStream_tbEUlT_E1_NS1_11comp_targetILNS1_3genE9ELNS1_11target_archE1100ELNS1_3gpuE3ELNS1_3repE0EEENS1_30default_config_static_selectorELNS0_4arch9wavefront6targetE1EEEvSF_
	.p2align	8
	.type	_ZN7rocprim17ROCPRIM_400000_NS6detail17trampoline_kernelINS0_14default_configENS1_22reduce_config_selectorIsEEZNS1_11reduce_implILb1ES3_PsS7_sN6thrust23THRUST_200600_302600_NS4plusIsEEEE10hipError_tPvRmT1_T2_T3_mT4_P12ihipStream_tbEUlT_E1_NS1_11comp_targetILNS1_3genE9ELNS1_11target_archE1100ELNS1_3gpuE3ELNS1_3repE0EEENS1_30default_config_static_selectorELNS0_4arch9wavefront6targetE1EEEvSF_,@function
_ZN7rocprim17ROCPRIM_400000_NS6detail17trampoline_kernelINS0_14default_configENS1_22reduce_config_selectorIsEEZNS1_11reduce_implILb1ES3_PsS7_sN6thrust23THRUST_200600_302600_NS4plusIsEEEE10hipError_tPvRmT1_T2_T3_mT4_P12ihipStream_tbEUlT_E1_NS1_11comp_targetILNS1_3genE9ELNS1_11target_archE1100ELNS1_3gpuE3ELNS1_3repE0EEENS1_30default_config_static_selectorELNS0_4arch9wavefront6targetE1EEEvSF_: ; @_ZN7rocprim17ROCPRIM_400000_NS6detail17trampoline_kernelINS0_14default_configENS1_22reduce_config_selectorIsEEZNS1_11reduce_implILb1ES3_PsS7_sN6thrust23THRUST_200600_302600_NS4plusIsEEEE10hipError_tPvRmT1_T2_T3_mT4_P12ihipStream_tbEUlT_E1_NS1_11comp_targetILNS1_3genE9ELNS1_11target_archE1100ELNS1_3gpuE3ELNS1_3repE0EEENS1_30default_config_static_selectorELNS0_4arch9wavefront6targetE1EEEvSF_
; %bb.0:
	.section	.rodata,"a",@progbits
	.p2align	6, 0x0
	.amdhsa_kernel _ZN7rocprim17ROCPRIM_400000_NS6detail17trampoline_kernelINS0_14default_configENS1_22reduce_config_selectorIsEEZNS1_11reduce_implILb1ES3_PsS7_sN6thrust23THRUST_200600_302600_NS4plusIsEEEE10hipError_tPvRmT1_T2_T3_mT4_P12ihipStream_tbEUlT_E1_NS1_11comp_targetILNS1_3genE9ELNS1_11target_archE1100ELNS1_3gpuE3ELNS1_3repE0EEENS1_30default_config_static_selectorELNS0_4arch9wavefront6targetE1EEEvSF_
		.amdhsa_group_segment_fixed_size 0
		.amdhsa_private_segment_fixed_size 0
		.amdhsa_kernarg_size 40
		.amdhsa_user_sgpr_count 2
		.amdhsa_user_sgpr_dispatch_ptr 0
		.amdhsa_user_sgpr_queue_ptr 0
		.amdhsa_user_sgpr_kernarg_segment_ptr 1
		.amdhsa_user_sgpr_dispatch_id 0
		.amdhsa_user_sgpr_kernarg_preload_length 0
		.amdhsa_user_sgpr_kernarg_preload_offset 0
		.amdhsa_user_sgpr_private_segment_size 0
		.amdhsa_uses_dynamic_stack 0
		.amdhsa_enable_private_segment 0
		.amdhsa_system_sgpr_workgroup_id_x 1
		.amdhsa_system_sgpr_workgroup_id_y 0
		.amdhsa_system_sgpr_workgroup_id_z 0
		.amdhsa_system_sgpr_workgroup_info 0
		.amdhsa_system_vgpr_workitem_id 0
		.amdhsa_next_free_vgpr 1
		.amdhsa_next_free_sgpr 0
		.amdhsa_accum_offset 4
		.amdhsa_reserve_vcc 0
		.amdhsa_float_round_mode_32 0
		.amdhsa_float_round_mode_16_64 0
		.amdhsa_float_denorm_mode_32 3
		.amdhsa_float_denorm_mode_16_64 3
		.amdhsa_dx10_clamp 1
		.amdhsa_ieee_mode 1
		.amdhsa_fp16_overflow 0
		.amdhsa_tg_split 0
		.amdhsa_exception_fp_ieee_invalid_op 0
		.amdhsa_exception_fp_denorm_src 0
		.amdhsa_exception_fp_ieee_div_zero 0
		.amdhsa_exception_fp_ieee_overflow 0
		.amdhsa_exception_fp_ieee_underflow 0
		.amdhsa_exception_fp_ieee_inexact 0
		.amdhsa_exception_int_div_zero 0
	.end_amdhsa_kernel
	.section	.text._ZN7rocprim17ROCPRIM_400000_NS6detail17trampoline_kernelINS0_14default_configENS1_22reduce_config_selectorIsEEZNS1_11reduce_implILb1ES3_PsS7_sN6thrust23THRUST_200600_302600_NS4plusIsEEEE10hipError_tPvRmT1_T2_T3_mT4_P12ihipStream_tbEUlT_E1_NS1_11comp_targetILNS1_3genE9ELNS1_11target_archE1100ELNS1_3gpuE3ELNS1_3repE0EEENS1_30default_config_static_selectorELNS0_4arch9wavefront6targetE1EEEvSF_,"axG",@progbits,_ZN7rocprim17ROCPRIM_400000_NS6detail17trampoline_kernelINS0_14default_configENS1_22reduce_config_selectorIsEEZNS1_11reduce_implILb1ES3_PsS7_sN6thrust23THRUST_200600_302600_NS4plusIsEEEE10hipError_tPvRmT1_T2_T3_mT4_P12ihipStream_tbEUlT_E1_NS1_11comp_targetILNS1_3genE9ELNS1_11target_archE1100ELNS1_3gpuE3ELNS1_3repE0EEENS1_30default_config_static_selectorELNS0_4arch9wavefront6targetE1EEEvSF_,comdat
.Lfunc_end277:
	.size	_ZN7rocprim17ROCPRIM_400000_NS6detail17trampoline_kernelINS0_14default_configENS1_22reduce_config_selectorIsEEZNS1_11reduce_implILb1ES3_PsS7_sN6thrust23THRUST_200600_302600_NS4plusIsEEEE10hipError_tPvRmT1_T2_T3_mT4_P12ihipStream_tbEUlT_E1_NS1_11comp_targetILNS1_3genE9ELNS1_11target_archE1100ELNS1_3gpuE3ELNS1_3repE0EEENS1_30default_config_static_selectorELNS0_4arch9wavefront6targetE1EEEvSF_, .Lfunc_end277-_ZN7rocprim17ROCPRIM_400000_NS6detail17trampoline_kernelINS0_14default_configENS1_22reduce_config_selectorIsEEZNS1_11reduce_implILb1ES3_PsS7_sN6thrust23THRUST_200600_302600_NS4plusIsEEEE10hipError_tPvRmT1_T2_T3_mT4_P12ihipStream_tbEUlT_E1_NS1_11comp_targetILNS1_3genE9ELNS1_11target_archE1100ELNS1_3gpuE3ELNS1_3repE0EEENS1_30default_config_static_selectorELNS0_4arch9wavefront6targetE1EEEvSF_
                                        ; -- End function
	.set _ZN7rocprim17ROCPRIM_400000_NS6detail17trampoline_kernelINS0_14default_configENS1_22reduce_config_selectorIsEEZNS1_11reduce_implILb1ES3_PsS7_sN6thrust23THRUST_200600_302600_NS4plusIsEEEE10hipError_tPvRmT1_T2_T3_mT4_P12ihipStream_tbEUlT_E1_NS1_11comp_targetILNS1_3genE9ELNS1_11target_archE1100ELNS1_3gpuE3ELNS1_3repE0EEENS1_30default_config_static_selectorELNS0_4arch9wavefront6targetE1EEEvSF_.num_vgpr, 0
	.set _ZN7rocprim17ROCPRIM_400000_NS6detail17trampoline_kernelINS0_14default_configENS1_22reduce_config_selectorIsEEZNS1_11reduce_implILb1ES3_PsS7_sN6thrust23THRUST_200600_302600_NS4plusIsEEEE10hipError_tPvRmT1_T2_T3_mT4_P12ihipStream_tbEUlT_E1_NS1_11comp_targetILNS1_3genE9ELNS1_11target_archE1100ELNS1_3gpuE3ELNS1_3repE0EEENS1_30default_config_static_selectorELNS0_4arch9wavefront6targetE1EEEvSF_.num_agpr, 0
	.set _ZN7rocprim17ROCPRIM_400000_NS6detail17trampoline_kernelINS0_14default_configENS1_22reduce_config_selectorIsEEZNS1_11reduce_implILb1ES3_PsS7_sN6thrust23THRUST_200600_302600_NS4plusIsEEEE10hipError_tPvRmT1_T2_T3_mT4_P12ihipStream_tbEUlT_E1_NS1_11comp_targetILNS1_3genE9ELNS1_11target_archE1100ELNS1_3gpuE3ELNS1_3repE0EEENS1_30default_config_static_selectorELNS0_4arch9wavefront6targetE1EEEvSF_.numbered_sgpr, 0
	.set _ZN7rocprim17ROCPRIM_400000_NS6detail17trampoline_kernelINS0_14default_configENS1_22reduce_config_selectorIsEEZNS1_11reduce_implILb1ES3_PsS7_sN6thrust23THRUST_200600_302600_NS4plusIsEEEE10hipError_tPvRmT1_T2_T3_mT4_P12ihipStream_tbEUlT_E1_NS1_11comp_targetILNS1_3genE9ELNS1_11target_archE1100ELNS1_3gpuE3ELNS1_3repE0EEENS1_30default_config_static_selectorELNS0_4arch9wavefront6targetE1EEEvSF_.num_named_barrier, 0
	.set _ZN7rocprim17ROCPRIM_400000_NS6detail17trampoline_kernelINS0_14default_configENS1_22reduce_config_selectorIsEEZNS1_11reduce_implILb1ES3_PsS7_sN6thrust23THRUST_200600_302600_NS4plusIsEEEE10hipError_tPvRmT1_T2_T3_mT4_P12ihipStream_tbEUlT_E1_NS1_11comp_targetILNS1_3genE9ELNS1_11target_archE1100ELNS1_3gpuE3ELNS1_3repE0EEENS1_30default_config_static_selectorELNS0_4arch9wavefront6targetE1EEEvSF_.private_seg_size, 0
	.set _ZN7rocprim17ROCPRIM_400000_NS6detail17trampoline_kernelINS0_14default_configENS1_22reduce_config_selectorIsEEZNS1_11reduce_implILb1ES3_PsS7_sN6thrust23THRUST_200600_302600_NS4plusIsEEEE10hipError_tPvRmT1_T2_T3_mT4_P12ihipStream_tbEUlT_E1_NS1_11comp_targetILNS1_3genE9ELNS1_11target_archE1100ELNS1_3gpuE3ELNS1_3repE0EEENS1_30default_config_static_selectorELNS0_4arch9wavefront6targetE1EEEvSF_.uses_vcc, 0
	.set _ZN7rocprim17ROCPRIM_400000_NS6detail17trampoline_kernelINS0_14default_configENS1_22reduce_config_selectorIsEEZNS1_11reduce_implILb1ES3_PsS7_sN6thrust23THRUST_200600_302600_NS4plusIsEEEE10hipError_tPvRmT1_T2_T3_mT4_P12ihipStream_tbEUlT_E1_NS1_11comp_targetILNS1_3genE9ELNS1_11target_archE1100ELNS1_3gpuE3ELNS1_3repE0EEENS1_30default_config_static_selectorELNS0_4arch9wavefront6targetE1EEEvSF_.uses_flat_scratch, 0
	.set _ZN7rocprim17ROCPRIM_400000_NS6detail17trampoline_kernelINS0_14default_configENS1_22reduce_config_selectorIsEEZNS1_11reduce_implILb1ES3_PsS7_sN6thrust23THRUST_200600_302600_NS4plusIsEEEE10hipError_tPvRmT1_T2_T3_mT4_P12ihipStream_tbEUlT_E1_NS1_11comp_targetILNS1_3genE9ELNS1_11target_archE1100ELNS1_3gpuE3ELNS1_3repE0EEENS1_30default_config_static_selectorELNS0_4arch9wavefront6targetE1EEEvSF_.has_dyn_sized_stack, 0
	.set _ZN7rocprim17ROCPRIM_400000_NS6detail17trampoline_kernelINS0_14default_configENS1_22reduce_config_selectorIsEEZNS1_11reduce_implILb1ES3_PsS7_sN6thrust23THRUST_200600_302600_NS4plusIsEEEE10hipError_tPvRmT1_T2_T3_mT4_P12ihipStream_tbEUlT_E1_NS1_11comp_targetILNS1_3genE9ELNS1_11target_archE1100ELNS1_3gpuE3ELNS1_3repE0EEENS1_30default_config_static_selectorELNS0_4arch9wavefront6targetE1EEEvSF_.has_recursion, 0
	.set _ZN7rocprim17ROCPRIM_400000_NS6detail17trampoline_kernelINS0_14default_configENS1_22reduce_config_selectorIsEEZNS1_11reduce_implILb1ES3_PsS7_sN6thrust23THRUST_200600_302600_NS4plusIsEEEE10hipError_tPvRmT1_T2_T3_mT4_P12ihipStream_tbEUlT_E1_NS1_11comp_targetILNS1_3genE9ELNS1_11target_archE1100ELNS1_3gpuE3ELNS1_3repE0EEENS1_30default_config_static_selectorELNS0_4arch9wavefront6targetE1EEEvSF_.has_indirect_call, 0
	.section	.AMDGPU.csdata,"",@progbits
; Kernel info:
; codeLenInByte = 0
; TotalNumSgprs: 6
; NumVgprs: 0
; NumAgprs: 0
; TotalNumVgprs: 0
; ScratchSize: 0
; MemoryBound: 0
; FloatMode: 240
; IeeeMode: 1
; LDSByteSize: 0 bytes/workgroup (compile time only)
; SGPRBlocks: 0
; VGPRBlocks: 0
; NumSGPRsForWavesPerEU: 6
; NumVGPRsForWavesPerEU: 1
; AccumOffset: 4
; Occupancy: 8
; WaveLimiterHint : 0
; COMPUTE_PGM_RSRC2:SCRATCH_EN: 0
; COMPUTE_PGM_RSRC2:USER_SGPR: 2
; COMPUTE_PGM_RSRC2:TRAP_HANDLER: 0
; COMPUTE_PGM_RSRC2:TGID_X_EN: 1
; COMPUTE_PGM_RSRC2:TGID_Y_EN: 0
; COMPUTE_PGM_RSRC2:TGID_Z_EN: 0
; COMPUTE_PGM_RSRC2:TIDIG_COMP_CNT: 0
; COMPUTE_PGM_RSRC3_GFX90A:ACCUM_OFFSET: 0
; COMPUTE_PGM_RSRC3_GFX90A:TG_SPLIT: 0
	.section	.text._ZN7rocprim17ROCPRIM_400000_NS6detail17trampoline_kernelINS0_14default_configENS1_22reduce_config_selectorIsEEZNS1_11reduce_implILb1ES3_PsS7_sN6thrust23THRUST_200600_302600_NS4plusIsEEEE10hipError_tPvRmT1_T2_T3_mT4_P12ihipStream_tbEUlT_E1_NS1_11comp_targetILNS1_3genE8ELNS1_11target_archE1030ELNS1_3gpuE2ELNS1_3repE0EEENS1_30default_config_static_selectorELNS0_4arch9wavefront6targetE1EEEvSF_,"axG",@progbits,_ZN7rocprim17ROCPRIM_400000_NS6detail17trampoline_kernelINS0_14default_configENS1_22reduce_config_selectorIsEEZNS1_11reduce_implILb1ES3_PsS7_sN6thrust23THRUST_200600_302600_NS4plusIsEEEE10hipError_tPvRmT1_T2_T3_mT4_P12ihipStream_tbEUlT_E1_NS1_11comp_targetILNS1_3genE8ELNS1_11target_archE1030ELNS1_3gpuE2ELNS1_3repE0EEENS1_30default_config_static_selectorELNS0_4arch9wavefront6targetE1EEEvSF_,comdat
	.protected	_ZN7rocprim17ROCPRIM_400000_NS6detail17trampoline_kernelINS0_14default_configENS1_22reduce_config_selectorIsEEZNS1_11reduce_implILb1ES3_PsS7_sN6thrust23THRUST_200600_302600_NS4plusIsEEEE10hipError_tPvRmT1_T2_T3_mT4_P12ihipStream_tbEUlT_E1_NS1_11comp_targetILNS1_3genE8ELNS1_11target_archE1030ELNS1_3gpuE2ELNS1_3repE0EEENS1_30default_config_static_selectorELNS0_4arch9wavefront6targetE1EEEvSF_ ; -- Begin function _ZN7rocprim17ROCPRIM_400000_NS6detail17trampoline_kernelINS0_14default_configENS1_22reduce_config_selectorIsEEZNS1_11reduce_implILb1ES3_PsS7_sN6thrust23THRUST_200600_302600_NS4plusIsEEEE10hipError_tPvRmT1_T2_T3_mT4_P12ihipStream_tbEUlT_E1_NS1_11comp_targetILNS1_3genE8ELNS1_11target_archE1030ELNS1_3gpuE2ELNS1_3repE0EEENS1_30default_config_static_selectorELNS0_4arch9wavefront6targetE1EEEvSF_
	.globl	_ZN7rocprim17ROCPRIM_400000_NS6detail17trampoline_kernelINS0_14default_configENS1_22reduce_config_selectorIsEEZNS1_11reduce_implILb1ES3_PsS7_sN6thrust23THRUST_200600_302600_NS4plusIsEEEE10hipError_tPvRmT1_T2_T3_mT4_P12ihipStream_tbEUlT_E1_NS1_11comp_targetILNS1_3genE8ELNS1_11target_archE1030ELNS1_3gpuE2ELNS1_3repE0EEENS1_30default_config_static_selectorELNS0_4arch9wavefront6targetE1EEEvSF_
	.p2align	8
	.type	_ZN7rocprim17ROCPRIM_400000_NS6detail17trampoline_kernelINS0_14default_configENS1_22reduce_config_selectorIsEEZNS1_11reduce_implILb1ES3_PsS7_sN6thrust23THRUST_200600_302600_NS4plusIsEEEE10hipError_tPvRmT1_T2_T3_mT4_P12ihipStream_tbEUlT_E1_NS1_11comp_targetILNS1_3genE8ELNS1_11target_archE1030ELNS1_3gpuE2ELNS1_3repE0EEENS1_30default_config_static_selectorELNS0_4arch9wavefront6targetE1EEEvSF_,@function
_ZN7rocprim17ROCPRIM_400000_NS6detail17trampoline_kernelINS0_14default_configENS1_22reduce_config_selectorIsEEZNS1_11reduce_implILb1ES3_PsS7_sN6thrust23THRUST_200600_302600_NS4plusIsEEEE10hipError_tPvRmT1_T2_T3_mT4_P12ihipStream_tbEUlT_E1_NS1_11comp_targetILNS1_3genE8ELNS1_11target_archE1030ELNS1_3gpuE2ELNS1_3repE0EEENS1_30default_config_static_selectorELNS0_4arch9wavefront6targetE1EEEvSF_: ; @_ZN7rocprim17ROCPRIM_400000_NS6detail17trampoline_kernelINS0_14default_configENS1_22reduce_config_selectorIsEEZNS1_11reduce_implILb1ES3_PsS7_sN6thrust23THRUST_200600_302600_NS4plusIsEEEE10hipError_tPvRmT1_T2_T3_mT4_P12ihipStream_tbEUlT_E1_NS1_11comp_targetILNS1_3genE8ELNS1_11target_archE1030ELNS1_3gpuE2ELNS1_3repE0EEENS1_30default_config_static_selectorELNS0_4arch9wavefront6targetE1EEEvSF_
; %bb.0:
	.section	.rodata,"a",@progbits
	.p2align	6, 0x0
	.amdhsa_kernel _ZN7rocprim17ROCPRIM_400000_NS6detail17trampoline_kernelINS0_14default_configENS1_22reduce_config_selectorIsEEZNS1_11reduce_implILb1ES3_PsS7_sN6thrust23THRUST_200600_302600_NS4plusIsEEEE10hipError_tPvRmT1_T2_T3_mT4_P12ihipStream_tbEUlT_E1_NS1_11comp_targetILNS1_3genE8ELNS1_11target_archE1030ELNS1_3gpuE2ELNS1_3repE0EEENS1_30default_config_static_selectorELNS0_4arch9wavefront6targetE1EEEvSF_
		.amdhsa_group_segment_fixed_size 0
		.amdhsa_private_segment_fixed_size 0
		.amdhsa_kernarg_size 40
		.amdhsa_user_sgpr_count 2
		.amdhsa_user_sgpr_dispatch_ptr 0
		.amdhsa_user_sgpr_queue_ptr 0
		.amdhsa_user_sgpr_kernarg_segment_ptr 1
		.amdhsa_user_sgpr_dispatch_id 0
		.amdhsa_user_sgpr_kernarg_preload_length 0
		.amdhsa_user_sgpr_kernarg_preload_offset 0
		.amdhsa_user_sgpr_private_segment_size 0
		.amdhsa_uses_dynamic_stack 0
		.amdhsa_enable_private_segment 0
		.amdhsa_system_sgpr_workgroup_id_x 1
		.amdhsa_system_sgpr_workgroup_id_y 0
		.amdhsa_system_sgpr_workgroup_id_z 0
		.amdhsa_system_sgpr_workgroup_info 0
		.amdhsa_system_vgpr_workitem_id 0
		.amdhsa_next_free_vgpr 1
		.amdhsa_next_free_sgpr 0
		.amdhsa_accum_offset 4
		.amdhsa_reserve_vcc 0
		.amdhsa_float_round_mode_32 0
		.amdhsa_float_round_mode_16_64 0
		.amdhsa_float_denorm_mode_32 3
		.amdhsa_float_denorm_mode_16_64 3
		.amdhsa_dx10_clamp 1
		.amdhsa_ieee_mode 1
		.amdhsa_fp16_overflow 0
		.amdhsa_tg_split 0
		.amdhsa_exception_fp_ieee_invalid_op 0
		.amdhsa_exception_fp_denorm_src 0
		.amdhsa_exception_fp_ieee_div_zero 0
		.amdhsa_exception_fp_ieee_overflow 0
		.amdhsa_exception_fp_ieee_underflow 0
		.amdhsa_exception_fp_ieee_inexact 0
		.amdhsa_exception_int_div_zero 0
	.end_amdhsa_kernel
	.section	.text._ZN7rocprim17ROCPRIM_400000_NS6detail17trampoline_kernelINS0_14default_configENS1_22reduce_config_selectorIsEEZNS1_11reduce_implILb1ES3_PsS7_sN6thrust23THRUST_200600_302600_NS4plusIsEEEE10hipError_tPvRmT1_T2_T3_mT4_P12ihipStream_tbEUlT_E1_NS1_11comp_targetILNS1_3genE8ELNS1_11target_archE1030ELNS1_3gpuE2ELNS1_3repE0EEENS1_30default_config_static_selectorELNS0_4arch9wavefront6targetE1EEEvSF_,"axG",@progbits,_ZN7rocprim17ROCPRIM_400000_NS6detail17trampoline_kernelINS0_14default_configENS1_22reduce_config_selectorIsEEZNS1_11reduce_implILb1ES3_PsS7_sN6thrust23THRUST_200600_302600_NS4plusIsEEEE10hipError_tPvRmT1_T2_T3_mT4_P12ihipStream_tbEUlT_E1_NS1_11comp_targetILNS1_3genE8ELNS1_11target_archE1030ELNS1_3gpuE2ELNS1_3repE0EEENS1_30default_config_static_selectorELNS0_4arch9wavefront6targetE1EEEvSF_,comdat
.Lfunc_end278:
	.size	_ZN7rocprim17ROCPRIM_400000_NS6detail17trampoline_kernelINS0_14default_configENS1_22reduce_config_selectorIsEEZNS1_11reduce_implILb1ES3_PsS7_sN6thrust23THRUST_200600_302600_NS4plusIsEEEE10hipError_tPvRmT1_T2_T3_mT4_P12ihipStream_tbEUlT_E1_NS1_11comp_targetILNS1_3genE8ELNS1_11target_archE1030ELNS1_3gpuE2ELNS1_3repE0EEENS1_30default_config_static_selectorELNS0_4arch9wavefront6targetE1EEEvSF_, .Lfunc_end278-_ZN7rocprim17ROCPRIM_400000_NS6detail17trampoline_kernelINS0_14default_configENS1_22reduce_config_selectorIsEEZNS1_11reduce_implILb1ES3_PsS7_sN6thrust23THRUST_200600_302600_NS4plusIsEEEE10hipError_tPvRmT1_T2_T3_mT4_P12ihipStream_tbEUlT_E1_NS1_11comp_targetILNS1_3genE8ELNS1_11target_archE1030ELNS1_3gpuE2ELNS1_3repE0EEENS1_30default_config_static_selectorELNS0_4arch9wavefront6targetE1EEEvSF_
                                        ; -- End function
	.set _ZN7rocprim17ROCPRIM_400000_NS6detail17trampoline_kernelINS0_14default_configENS1_22reduce_config_selectorIsEEZNS1_11reduce_implILb1ES3_PsS7_sN6thrust23THRUST_200600_302600_NS4plusIsEEEE10hipError_tPvRmT1_T2_T3_mT4_P12ihipStream_tbEUlT_E1_NS1_11comp_targetILNS1_3genE8ELNS1_11target_archE1030ELNS1_3gpuE2ELNS1_3repE0EEENS1_30default_config_static_selectorELNS0_4arch9wavefront6targetE1EEEvSF_.num_vgpr, 0
	.set _ZN7rocprim17ROCPRIM_400000_NS6detail17trampoline_kernelINS0_14default_configENS1_22reduce_config_selectorIsEEZNS1_11reduce_implILb1ES3_PsS7_sN6thrust23THRUST_200600_302600_NS4plusIsEEEE10hipError_tPvRmT1_T2_T3_mT4_P12ihipStream_tbEUlT_E1_NS1_11comp_targetILNS1_3genE8ELNS1_11target_archE1030ELNS1_3gpuE2ELNS1_3repE0EEENS1_30default_config_static_selectorELNS0_4arch9wavefront6targetE1EEEvSF_.num_agpr, 0
	.set _ZN7rocprim17ROCPRIM_400000_NS6detail17trampoline_kernelINS0_14default_configENS1_22reduce_config_selectorIsEEZNS1_11reduce_implILb1ES3_PsS7_sN6thrust23THRUST_200600_302600_NS4plusIsEEEE10hipError_tPvRmT1_T2_T3_mT4_P12ihipStream_tbEUlT_E1_NS1_11comp_targetILNS1_3genE8ELNS1_11target_archE1030ELNS1_3gpuE2ELNS1_3repE0EEENS1_30default_config_static_selectorELNS0_4arch9wavefront6targetE1EEEvSF_.numbered_sgpr, 0
	.set _ZN7rocprim17ROCPRIM_400000_NS6detail17trampoline_kernelINS0_14default_configENS1_22reduce_config_selectorIsEEZNS1_11reduce_implILb1ES3_PsS7_sN6thrust23THRUST_200600_302600_NS4plusIsEEEE10hipError_tPvRmT1_T2_T3_mT4_P12ihipStream_tbEUlT_E1_NS1_11comp_targetILNS1_3genE8ELNS1_11target_archE1030ELNS1_3gpuE2ELNS1_3repE0EEENS1_30default_config_static_selectorELNS0_4arch9wavefront6targetE1EEEvSF_.num_named_barrier, 0
	.set _ZN7rocprim17ROCPRIM_400000_NS6detail17trampoline_kernelINS0_14default_configENS1_22reduce_config_selectorIsEEZNS1_11reduce_implILb1ES3_PsS7_sN6thrust23THRUST_200600_302600_NS4plusIsEEEE10hipError_tPvRmT1_T2_T3_mT4_P12ihipStream_tbEUlT_E1_NS1_11comp_targetILNS1_3genE8ELNS1_11target_archE1030ELNS1_3gpuE2ELNS1_3repE0EEENS1_30default_config_static_selectorELNS0_4arch9wavefront6targetE1EEEvSF_.private_seg_size, 0
	.set _ZN7rocprim17ROCPRIM_400000_NS6detail17trampoline_kernelINS0_14default_configENS1_22reduce_config_selectorIsEEZNS1_11reduce_implILb1ES3_PsS7_sN6thrust23THRUST_200600_302600_NS4plusIsEEEE10hipError_tPvRmT1_T2_T3_mT4_P12ihipStream_tbEUlT_E1_NS1_11comp_targetILNS1_3genE8ELNS1_11target_archE1030ELNS1_3gpuE2ELNS1_3repE0EEENS1_30default_config_static_selectorELNS0_4arch9wavefront6targetE1EEEvSF_.uses_vcc, 0
	.set _ZN7rocprim17ROCPRIM_400000_NS6detail17trampoline_kernelINS0_14default_configENS1_22reduce_config_selectorIsEEZNS1_11reduce_implILb1ES3_PsS7_sN6thrust23THRUST_200600_302600_NS4plusIsEEEE10hipError_tPvRmT1_T2_T3_mT4_P12ihipStream_tbEUlT_E1_NS1_11comp_targetILNS1_3genE8ELNS1_11target_archE1030ELNS1_3gpuE2ELNS1_3repE0EEENS1_30default_config_static_selectorELNS0_4arch9wavefront6targetE1EEEvSF_.uses_flat_scratch, 0
	.set _ZN7rocprim17ROCPRIM_400000_NS6detail17trampoline_kernelINS0_14default_configENS1_22reduce_config_selectorIsEEZNS1_11reduce_implILb1ES3_PsS7_sN6thrust23THRUST_200600_302600_NS4plusIsEEEE10hipError_tPvRmT1_T2_T3_mT4_P12ihipStream_tbEUlT_E1_NS1_11comp_targetILNS1_3genE8ELNS1_11target_archE1030ELNS1_3gpuE2ELNS1_3repE0EEENS1_30default_config_static_selectorELNS0_4arch9wavefront6targetE1EEEvSF_.has_dyn_sized_stack, 0
	.set _ZN7rocprim17ROCPRIM_400000_NS6detail17trampoline_kernelINS0_14default_configENS1_22reduce_config_selectorIsEEZNS1_11reduce_implILb1ES3_PsS7_sN6thrust23THRUST_200600_302600_NS4plusIsEEEE10hipError_tPvRmT1_T2_T3_mT4_P12ihipStream_tbEUlT_E1_NS1_11comp_targetILNS1_3genE8ELNS1_11target_archE1030ELNS1_3gpuE2ELNS1_3repE0EEENS1_30default_config_static_selectorELNS0_4arch9wavefront6targetE1EEEvSF_.has_recursion, 0
	.set _ZN7rocprim17ROCPRIM_400000_NS6detail17trampoline_kernelINS0_14default_configENS1_22reduce_config_selectorIsEEZNS1_11reduce_implILb1ES3_PsS7_sN6thrust23THRUST_200600_302600_NS4plusIsEEEE10hipError_tPvRmT1_T2_T3_mT4_P12ihipStream_tbEUlT_E1_NS1_11comp_targetILNS1_3genE8ELNS1_11target_archE1030ELNS1_3gpuE2ELNS1_3repE0EEENS1_30default_config_static_selectorELNS0_4arch9wavefront6targetE1EEEvSF_.has_indirect_call, 0
	.section	.AMDGPU.csdata,"",@progbits
; Kernel info:
; codeLenInByte = 0
; TotalNumSgprs: 6
; NumVgprs: 0
; NumAgprs: 0
; TotalNumVgprs: 0
; ScratchSize: 0
; MemoryBound: 0
; FloatMode: 240
; IeeeMode: 1
; LDSByteSize: 0 bytes/workgroup (compile time only)
; SGPRBlocks: 0
; VGPRBlocks: 0
; NumSGPRsForWavesPerEU: 6
; NumVGPRsForWavesPerEU: 1
; AccumOffset: 4
; Occupancy: 8
; WaveLimiterHint : 0
; COMPUTE_PGM_RSRC2:SCRATCH_EN: 0
; COMPUTE_PGM_RSRC2:USER_SGPR: 2
; COMPUTE_PGM_RSRC2:TRAP_HANDLER: 0
; COMPUTE_PGM_RSRC2:TGID_X_EN: 1
; COMPUTE_PGM_RSRC2:TGID_Y_EN: 0
; COMPUTE_PGM_RSRC2:TGID_Z_EN: 0
; COMPUTE_PGM_RSRC2:TIDIG_COMP_CNT: 0
; COMPUTE_PGM_RSRC3_GFX90A:ACCUM_OFFSET: 0
; COMPUTE_PGM_RSRC3_GFX90A:TG_SPLIT: 0
	.section	.text._ZN7rocprim17ROCPRIM_400000_NS6detail17trampoline_kernelINS0_14default_configENS1_22reduce_config_selectorIsEEZNS1_11reduce_implILb1ES3_N6thrust23THRUST_200600_302600_NS6detail15normal_iteratorINS8_10device_ptrIsEEEEPssNS8_4plusIsEEEE10hipError_tPvRmT1_T2_T3_mT4_P12ihipStream_tbEUlT_E0_NS1_11comp_targetILNS1_3genE0ELNS1_11target_archE4294967295ELNS1_3gpuE0ELNS1_3repE0EEENS1_30default_config_static_selectorELNS0_4arch9wavefront6targetE1EEEvSK_,"axG",@progbits,_ZN7rocprim17ROCPRIM_400000_NS6detail17trampoline_kernelINS0_14default_configENS1_22reduce_config_selectorIsEEZNS1_11reduce_implILb1ES3_N6thrust23THRUST_200600_302600_NS6detail15normal_iteratorINS8_10device_ptrIsEEEEPssNS8_4plusIsEEEE10hipError_tPvRmT1_T2_T3_mT4_P12ihipStream_tbEUlT_E0_NS1_11comp_targetILNS1_3genE0ELNS1_11target_archE4294967295ELNS1_3gpuE0ELNS1_3repE0EEENS1_30default_config_static_selectorELNS0_4arch9wavefront6targetE1EEEvSK_,comdat
	.protected	_ZN7rocprim17ROCPRIM_400000_NS6detail17trampoline_kernelINS0_14default_configENS1_22reduce_config_selectorIsEEZNS1_11reduce_implILb1ES3_N6thrust23THRUST_200600_302600_NS6detail15normal_iteratorINS8_10device_ptrIsEEEEPssNS8_4plusIsEEEE10hipError_tPvRmT1_T2_T3_mT4_P12ihipStream_tbEUlT_E0_NS1_11comp_targetILNS1_3genE0ELNS1_11target_archE4294967295ELNS1_3gpuE0ELNS1_3repE0EEENS1_30default_config_static_selectorELNS0_4arch9wavefront6targetE1EEEvSK_ ; -- Begin function _ZN7rocprim17ROCPRIM_400000_NS6detail17trampoline_kernelINS0_14default_configENS1_22reduce_config_selectorIsEEZNS1_11reduce_implILb1ES3_N6thrust23THRUST_200600_302600_NS6detail15normal_iteratorINS8_10device_ptrIsEEEEPssNS8_4plusIsEEEE10hipError_tPvRmT1_T2_T3_mT4_P12ihipStream_tbEUlT_E0_NS1_11comp_targetILNS1_3genE0ELNS1_11target_archE4294967295ELNS1_3gpuE0ELNS1_3repE0EEENS1_30default_config_static_selectorELNS0_4arch9wavefront6targetE1EEEvSK_
	.globl	_ZN7rocprim17ROCPRIM_400000_NS6detail17trampoline_kernelINS0_14default_configENS1_22reduce_config_selectorIsEEZNS1_11reduce_implILb1ES3_N6thrust23THRUST_200600_302600_NS6detail15normal_iteratorINS8_10device_ptrIsEEEEPssNS8_4plusIsEEEE10hipError_tPvRmT1_T2_T3_mT4_P12ihipStream_tbEUlT_E0_NS1_11comp_targetILNS1_3genE0ELNS1_11target_archE4294967295ELNS1_3gpuE0ELNS1_3repE0EEENS1_30default_config_static_selectorELNS0_4arch9wavefront6targetE1EEEvSK_
	.p2align	8
	.type	_ZN7rocprim17ROCPRIM_400000_NS6detail17trampoline_kernelINS0_14default_configENS1_22reduce_config_selectorIsEEZNS1_11reduce_implILb1ES3_N6thrust23THRUST_200600_302600_NS6detail15normal_iteratorINS8_10device_ptrIsEEEEPssNS8_4plusIsEEEE10hipError_tPvRmT1_T2_T3_mT4_P12ihipStream_tbEUlT_E0_NS1_11comp_targetILNS1_3genE0ELNS1_11target_archE4294967295ELNS1_3gpuE0ELNS1_3repE0EEENS1_30default_config_static_selectorELNS0_4arch9wavefront6targetE1EEEvSK_,@function
_ZN7rocprim17ROCPRIM_400000_NS6detail17trampoline_kernelINS0_14default_configENS1_22reduce_config_selectorIsEEZNS1_11reduce_implILb1ES3_N6thrust23THRUST_200600_302600_NS6detail15normal_iteratorINS8_10device_ptrIsEEEEPssNS8_4plusIsEEEE10hipError_tPvRmT1_T2_T3_mT4_P12ihipStream_tbEUlT_E0_NS1_11comp_targetILNS1_3genE0ELNS1_11target_archE4294967295ELNS1_3gpuE0ELNS1_3repE0EEENS1_30default_config_static_selectorELNS0_4arch9wavefront6targetE1EEEvSK_: ; @_ZN7rocprim17ROCPRIM_400000_NS6detail17trampoline_kernelINS0_14default_configENS1_22reduce_config_selectorIsEEZNS1_11reduce_implILb1ES3_N6thrust23THRUST_200600_302600_NS6detail15normal_iteratorINS8_10device_ptrIsEEEEPssNS8_4plusIsEEEE10hipError_tPvRmT1_T2_T3_mT4_P12ihipStream_tbEUlT_E0_NS1_11comp_targetILNS1_3genE0ELNS1_11target_archE4294967295ELNS1_3gpuE0ELNS1_3repE0EEENS1_30default_config_static_selectorELNS0_4arch9wavefront6targetE1EEEvSK_
; %bb.0:
	s_load_dwordx8 s[12:19], s[0:1], 0x0
	s_load_dwordx4 s[20:23], s[0:1], 0x20
	v_lshlrev_b32_e32 v6, 1, v0
	v_mbcnt_lo_u32_b32 v1, -1, 0
	s_waitcnt lgkmcnt(0)
	s_lshl_b64 s[4:5], s[14:15], 1
	s_add_u32 s10, s12, s4
	s_addc_u32 s11, s13, s5
	s_lshl_b32 s4, s2, 10
	s_mov_b32 s5, 0
	s_lshr_b64 s[6:7], s[16:17], 10
	s_lshl_b64 s[8:9], s[4:5], 1
	s_add_u32 s14, s10, s8
	s_mov_b32 s3, s5
	s_addc_u32 s15, s11, s9
	s_cmp_lg_u64 s[6:7], s[2:3]
	s_cbranch_scc0 .LBB279_6
; %bb.1:
	v_mov_b32_e32 v7, 0
	v_lshl_add_u64 v[2:3], s[14:15], 0, v[6:7]
	flat_load_ushort v5, v[2:3]
	flat_load_ushort v7, v[2:3] offset:256
	flat_load_ushort v8, v[2:3] offset:512
	;; [unrolled: 1-line block ×7, first 2 shown]
	v_mbcnt_hi_u32_b32 v3, -1, v1
	v_lshlrev_b32_e32 v4, 2, v3
	v_cmp_eq_u32_e32 vcc, 0, v3
	s_waitcnt vmcnt(0) lgkmcnt(0)
	v_add_u16_e32 v2, v7, v5
	v_add_u16_e32 v2, v2, v8
	;; [unrolled: 1-line block ×7, first 2 shown]
	v_or_b32_e32 v5, 0xfc, v4
	s_nop 0
	v_add_u16_dpp v2, v2, v2 quad_perm:[1,0,3,2] row_mask:0xf bank_mask:0xf bound_ctrl:1
	s_nop 1
	v_add_u16_dpp v2, v2, v2 quad_perm:[2,3,0,1] row_mask:0xf bank_mask:0xf bound_ctrl:1
	s_nop 1
	v_add_u16_dpp v2, v2, v2 row_ror:4 row_mask:0xf bank_mask:0xf bound_ctrl:1
	s_nop 1
	v_add_u16_dpp v2, v2, v2 row_ror:8 row_mask:0xf bank_mask:0xf bound_ctrl:1
	s_nop 1
	v_add_u16_dpp v2, v2, v2 row_bcast:15 row_mask:0xf bank_mask:0xf bound_ctrl:1
	s_nop 1
	v_add_u16_dpp v2, v2, v2 row_bcast:31 row_mask:0xf bank_mask:0xf bound_ctrl:1
	ds_bpermute_b32 v2, v5, v2
	s_and_saveexec_b64 s[6:7], vcc
	s_cbranch_execz .LBB279_3
; %bb.2:
	v_lshrrev_b32_e32 v5, 5, v0
	v_and_b32_e32 v5, 2, v5
	s_waitcnt lgkmcnt(0)
	ds_write_b16 v5, v2
.LBB279_3:
	s_or_b64 exec, exec, s[6:7]
	v_cmp_gt_u32_e32 vcc, 64, v0
	s_waitcnt lgkmcnt(0)
	s_barrier
	s_and_saveexec_b64 s[6:7], vcc
	s_cbranch_execz .LBB279_5
; %bb.4:
	v_and_b32_e32 v2, 1, v3
	v_lshlrev_b32_e32 v2, 1, v2
	ds_read_u16 v2, v2
	v_or_b32_e32 v3, 4, v4
	s_waitcnt lgkmcnt(0)
	v_and_b32_e32 v4, 0xffff, v2
	ds_bpermute_b32 v3, v3, v4
	s_waitcnt lgkmcnt(0)
	v_add_u16_e32 v2, v2, v3
.LBB279_5:
	s_or_b64 exec, exec, s[6:7]
	s_load_dword s26, s[0:1], 0x30
	s_branch .LBB279_28
.LBB279_6:
                                        ; implicit-def: $vgpr2
	s_load_dword s26, s[0:1], 0x30
	s_cbranch_execz .LBB279_28
; %bb.7:
	s_sub_i32 s27, s16, s4
	v_mov_b32_e32 v2, 0
	v_cmp_gt_u32_e32 vcc, s27, v0
	v_mov_b32_e32 v3, v2
	v_mov_b32_e32 v4, v2
	;; [unrolled: 1-line block ×3, first 2 shown]
	s_and_saveexec_b64 s[0:1], vcc
	s_cbranch_execz .LBB279_9
; %bb.8:
	v_mov_b32_e32 v7, v2
	v_lshl_add_u64 v[4:5], s[14:15], 0, v[6:7]
	flat_load_ushort v3, v[4:5]
	v_mov_b32_e32 v9, v2
	v_mov_b32_e32 v10, v2
	;; [unrolled: 1-line block ×3, first 2 shown]
	s_waitcnt vmcnt(0) lgkmcnt(0)
	v_and_b32_e32 v8, 0xffff, v3
	v_mov_b64_e32 v[2:3], v[8:9]
	v_mov_b64_e32 v[4:5], v[10:11]
.LBB279_9:
	s_or_b64 exec, exec, s[0:1]
	v_or_b32_e32 v7, 0x80, v0
	v_cmp_gt_u32_e32 vcc, s27, v7
	s_and_saveexec_b64 s[0:1], vcc
	s_cbranch_execz .LBB279_11
; %bb.10:
	v_mov_b32_e32 v7, 0
	v_lshl_add_u64 v[8:9], s[14:15], 0, v[6:7]
	flat_load_ushort v7, v[8:9] offset:256
	s_mov_b32 s4, 0x5040100
	s_waitcnt vmcnt(0) lgkmcnt(0)
	v_perm_b32 v2, v7, v2, s4
.LBB279_11:
	s_or_b64 exec, exec, s[0:1]
	v_or_b32_e32 v7, 0x100, v0
	v_cmp_gt_u32_e64 s[0:1], s27, v7
	s_and_saveexec_b64 s[4:5], s[0:1]
	s_cbranch_execz .LBB279_13
; %bb.12:
	v_mov_b32_e32 v7, 0
	v_lshl_add_u64 v[8:9], s[14:15], 0, v[6:7]
	flat_load_ushort v7, v[8:9] offset:512
	s_mov_b32 s6, 0xffff
	s_waitcnt vmcnt(0) lgkmcnt(0)
	v_bfi_b32 v3, s6, v7, v3
.LBB279_13:
	s_or_b64 exec, exec, s[4:5]
	v_or_b32_e32 v7, 0x180, v0
	v_cmp_gt_u32_e64 s[4:5], s27, v7
	s_and_saveexec_b64 s[6:7], s[4:5]
	s_cbranch_execz .LBB279_15
; %bb.14:
	v_mov_b32_e32 v7, 0
	v_lshl_add_u64 v[8:9], s[14:15], 0, v[6:7]
	flat_load_ushort v7, v[8:9] offset:768
	s_mov_b32 s8, 0x5040100
	s_waitcnt vmcnt(0) lgkmcnt(0)
	v_perm_b32 v3, v7, v3, s8
.LBB279_15:
	s_or_b64 exec, exec, s[6:7]
	v_or_b32_e32 v7, 0x200, v0
	v_cmp_gt_u32_e64 s[6:7], s27, v7
	s_and_saveexec_b64 s[8:9], s[6:7]
	s_cbranch_execz .LBB279_17
; %bb.16:
	v_mov_b32_e32 v7, 0
	v_lshl_add_u64 v[8:9], s[14:15], 0, v[6:7]
	flat_load_ushort v7, v[8:9] offset:1024
	s_mov_b32 s10, 0xffff
	s_waitcnt vmcnt(0) lgkmcnt(0)
	v_bfi_b32 v4, s10, v7, v4
.LBB279_17:
	s_or_b64 exec, exec, s[8:9]
	v_or_b32_e32 v7, 0x280, v0
	v_cmp_gt_u32_e64 s[8:9], s27, v7
	s_and_saveexec_b64 s[10:11], s[8:9]
	;; [unrolled: 26-line block ×3, first 2 shown]
	s_cbranch_execz .LBB279_23
; %bb.22:
	v_mov_b32_e32 v7, 0
	v_lshl_add_u64 v[6:7], s[14:15], 0, v[6:7]
	flat_load_ushort v6, v[6:7] offset:1792
	s_mov_b32 s14, 0x5040100
	s_waitcnt vmcnt(0) lgkmcnt(0)
	v_perm_b32 v5, v6, v5, s14
.LBB279_23:
	s_or_b64 exec, exec, s[24:25]
	v_mov_b32_e32 v6, 0
	v_cndmask_b32_sdwa v6, v6, v2, vcc dst_sel:DWORD dst_unused:UNUSED_PAD src0_sel:DWORD src1_sel:WORD_1
	v_add_u16_e32 v2, v6, v2
	v_cndmask_b32_e64 v6, 0, v3, s[0:1]
	v_lshrrev_b32_e32 v3, 16, v3
	v_add_u16_e32 v2, v2, v6
	v_cndmask_b32_e64 v3, 0, v3, s[4:5]
	v_add_u16_e32 v2, v2, v3
	v_cndmask_b32_e64 v3, 0, v4, s[6:7]
	v_add_u16_e32 v2, v2, v3
	v_lshrrev_b32_e32 v3, 16, v4
	v_cndmask_b32_e64 v3, 0, v3, s[8:9]
	v_add_u16_e32 v2, v2, v3
	v_cndmask_b32_e64 v3, 0, v5, s[10:11]
	v_mbcnt_hi_u32_b32 v1, -1, v1
	v_add_u16_e32 v2, v2, v3
	v_lshrrev_b32_e32 v3, 16, v5
	v_and_b32_e32 v4, 63, v1
	v_cndmask_b32_e64 v3, 0, v3, s[12:13]
	v_cmp_ne_u32_e32 vcc, 63, v4
	v_add_u16_e32 v2, v2, v3
	s_min_u32 s4, s27, 0x80
	v_addc_co_u32_e32 v3, vcc, 0, v1, vcc
	v_lshlrev_b32_e32 v3, 2, v3
	ds_bpermute_b32 v3, v3, v2
	v_and_b32_e32 v5, 64, v0
	v_sub_u32_e64 v5, s4, v5 clamp
	v_add_u32_e32 v6, 1, v4
	v_cmp_gt_u32_e64 s[0:1], 62, v4
	s_waitcnt lgkmcnt(0)
	v_add_u16_e32 v3, v2, v3
	v_cmp_lt_u32_e32 vcc, v6, v5
	v_cndmask_b32_e64 v6, 0, 2, s[0:1]
	v_add_lshl_u32 v6, v6, v1, 2
	v_cndmask_b32_e32 v3, v2, v3, vcc
	ds_bpermute_b32 v6, v6, v3
	v_add_u32_e32 v7, 2, v4
	v_cmp_lt_u32_e64 s[0:1], v7, v5
	v_add_u32_e32 v7, 4, v4
	s_waitcnt lgkmcnt(0)
	v_add_u16_e32 v6, v3, v6
	v_cndmask_b32_e64 v3, v3, v6, s[0:1]
	v_cmp_gt_u32_e64 s[0:1], 60, v4
	s_nop 1
	v_cndmask_b32_e64 v6, 0, 4, s[0:1]
	v_add_lshl_u32 v6, v6, v1, 2
	ds_bpermute_b32 v6, v6, v3
	v_cmp_lt_u32_e64 s[0:1], v7, v5
	v_add_u32_e32 v7, 8, v4
	s_waitcnt lgkmcnt(0)
	v_add_u16_e32 v6, v3, v6
	v_cndmask_b32_e64 v3, v3, v6, s[0:1]
	v_cmp_gt_u32_e64 s[0:1], 56, v4
	s_nop 1
	v_cndmask_b32_e64 v6, 0, 8, s[0:1]
	v_add_lshl_u32 v6, v6, v1, 2
	ds_bpermute_b32 v6, v6, v3
	v_cmp_lt_u32_e64 s[0:1], v7, v5
	v_add_u32_e32 v7, 16, v4
	s_waitcnt lgkmcnt(0)
	v_add_u16_e32 v6, v3, v6
	v_cndmask_b32_e64 v3, v3, v6, s[0:1]
	v_cmp_gt_u32_e64 s[0:1], 48, v4
	v_add_u32_e32 v4, 32, v4
	s_nop 0
	v_cndmask_b32_e64 v6, 0, 16, s[0:1]
	v_add_lshl_u32 v6, v6, v1, 2
	ds_bpermute_b32 v6, v6, v3
	v_cmp_lt_u32_e64 s[0:1], v7, v5
	s_waitcnt lgkmcnt(0)
	v_add_u16_e32 v6, v3, v6
	v_cndmask_b32_e64 v6, v3, v6, s[0:1]
	v_lshlrev_b32_e32 v3, 2, v1
	v_or_b32_e32 v7, 0x80, v3
	ds_bpermute_b32 v7, v7, v6
	v_cmp_lt_u32_e64 s[0:1], v4, v5
	s_waitcnt lgkmcnt(0)
	s_nop 0
	v_cndmask_b32_e64 v4, 0, v7, s[0:1]
	v_add_u16_e32 v4, v6, v4
	v_cndmask_b32_e32 v2, v2, v4, vcc
	v_cmp_eq_u32_e32 vcc, 0, v1
	s_and_saveexec_b64 s[0:1], vcc
; %bb.24:
	v_lshrrev_b32_e32 v4, 5, v0
	v_and_b32_e32 v4, 2, v4
	ds_write_b16 v4, v2 offset:4
; %bb.25:
	s_or_b64 exec, exec, s[0:1]
	v_cmp_gt_u32_e32 vcc, 2, v0
	s_waitcnt lgkmcnt(0)
	s_barrier
	s_and_saveexec_b64 s[0:1], vcc
	s_cbranch_execz .LBB279_27
; %bb.26:
	v_lshlrev_b32_e32 v2, 1, v1
	ds_read_u16 v2, v2 offset:4
	v_or_b32_e32 v3, 4, v3
	s_add_i32 s4, s4, 63
	v_and_b32_e32 v1, 1, v1
	s_lshr_b32 s4, s4, 6
	s_waitcnt lgkmcnt(0)
	v_and_b32_e32 v4, 0xffff, v2
	ds_bpermute_b32 v3, v3, v4
	v_add_u32_e32 v1, 1, v1
	v_cmp_gt_u32_e32 vcc, s4, v1
	s_waitcnt lgkmcnt(0)
	s_nop 0
	v_cndmask_b32_e32 v1, 0, v3, vcc
	v_add_u16_e32 v2, v1, v2
.LBB279_27:
	s_or_b64 exec, exec, s[0:1]
.LBB279_28:
	v_cmp_eq_u32_e32 vcc, 0, v0
	s_and_saveexec_b64 s[0:1], vcc
	s_cbranch_execnz .LBB279_30
; %bb.29:
	s_endpgm
.LBB279_30:
	s_mul_i32 s0, s22, s21
	s_mul_hi_u32 s1, s22, s20
	s_add_i32 s0, s1, s0
	s_mul_i32 s1, s23, s20
	s_add_i32 s1, s0, s1
	s_mul_i32 s0, s22, s20
	s_lshl_b64 s[0:1], s[0:1], 1
	s_add_u32 s4, s18, s0
	s_addc_u32 s5, s19, s1
	s_cmp_eq_u64 s[16:17], 0
	s_cselect_b64 vcc, -1, 0
	s_lshl_b64 s[0:1], s[2:3], 1
	s_waitcnt lgkmcnt(0)
	v_mov_b32_e32 v0, s26
	s_add_u32 s0, s4, s0
	v_cndmask_b32_e32 v0, v2, v0, vcc
	s_addc_u32 s1, s5, s1
	v_mov_b32_e32 v1, 0
	global_store_short v1, v0, s[0:1]
	s_endpgm
	.section	.rodata,"a",@progbits
	.p2align	6, 0x0
	.amdhsa_kernel _ZN7rocprim17ROCPRIM_400000_NS6detail17trampoline_kernelINS0_14default_configENS1_22reduce_config_selectorIsEEZNS1_11reduce_implILb1ES3_N6thrust23THRUST_200600_302600_NS6detail15normal_iteratorINS8_10device_ptrIsEEEEPssNS8_4plusIsEEEE10hipError_tPvRmT1_T2_T3_mT4_P12ihipStream_tbEUlT_E0_NS1_11comp_targetILNS1_3genE0ELNS1_11target_archE4294967295ELNS1_3gpuE0ELNS1_3repE0EEENS1_30default_config_static_selectorELNS0_4arch9wavefront6targetE1EEEvSK_
		.amdhsa_group_segment_fixed_size 8
		.amdhsa_private_segment_fixed_size 0
		.amdhsa_kernarg_size 56
		.amdhsa_user_sgpr_count 2
		.amdhsa_user_sgpr_dispatch_ptr 0
		.amdhsa_user_sgpr_queue_ptr 0
		.amdhsa_user_sgpr_kernarg_segment_ptr 1
		.amdhsa_user_sgpr_dispatch_id 0
		.amdhsa_user_sgpr_kernarg_preload_length 0
		.amdhsa_user_sgpr_kernarg_preload_offset 0
		.amdhsa_user_sgpr_private_segment_size 0
		.amdhsa_uses_dynamic_stack 0
		.amdhsa_enable_private_segment 0
		.amdhsa_system_sgpr_workgroup_id_x 1
		.amdhsa_system_sgpr_workgroup_id_y 0
		.amdhsa_system_sgpr_workgroup_id_z 0
		.amdhsa_system_sgpr_workgroup_info 0
		.amdhsa_system_vgpr_workitem_id 0
		.amdhsa_next_free_vgpr 14
		.amdhsa_next_free_sgpr 28
		.amdhsa_accum_offset 16
		.amdhsa_reserve_vcc 1
		.amdhsa_float_round_mode_32 0
		.amdhsa_float_round_mode_16_64 0
		.amdhsa_float_denorm_mode_32 3
		.amdhsa_float_denorm_mode_16_64 3
		.amdhsa_dx10_clamp 1
		.amdhsa_ieee_mode 1
		.amdhsa_fp16_overflow 0
		.amdhsa_tg_split 0
		.amdhsa_exception_fp_ieee_invalid_op 0
		.amdhsa_exception_fp_denorm_src 0
		.amdhsa_exception_fp_ieee_div_zero 0
		.amdhsa_exception_fp_ieee_overflow 0
		.amdhsa_exception_fp_ieee_underflow 0
		.amdhsa_exception_fp_ieee_inexact 0
		.amdhsa_exception_int_div_zero 0
	.end_amdhsa_kernel
	.section	.text._ZN7rocprim17ROCPRIM_400000_NS6detail17trampoline_kernelINS0_14default_configENS1_22reduce_config_selectorIsEEZNS1_11reduce_implILb1ES3_N6thrust23THRUST_200600_302600_NS6detail15normal_iteratorINS8_10device_ptrIsEEEEPssNS8_4plusIsEEEE10hipError_tPvRmT1_T2_T3_mT4_P12ihipStream_tbEUlT_E0_NS1_11comp_targetILNS1_3genE0ELNS1_11target_archE4294967295ELNS1_3gpuE0ELNS1_3repE0EEENS1_30default_config_static_selectorELNS0_4arch9wavefront6targetE1EEEvSK_,"axG",@progbits,_ZN7rocprim17ROCPRIM_400000_NS6detail17trampoline_kernelINS0_14default_configENS1_22reduce_config_selectorIsEEZNS1_11reduce_implILb1ES3_N6thrust23THRUST_200600_302600_NS6detail15normal_iteratorINS8_10device_ptrIsEEEEPssNS8_4plusIsEEEE10hipError_tPvRmT1_T2_T3_mT4_P12ihipStream_tbEUlT_E0_NS1_11comp_targetILNS1_3genE0ELNS1_11target_archE4294967295ELNS1_3gpuE0ELNS1_3repE0EEENS1_30default_config_static_selectorELNS0_4arch9wavefront6targetE1EEEvSK_,comdat
.Lfunc_end279:
	.size	_ZN7rocprim17ROCPRIM_400000_NS6detail17trampoline_kernelINS0_14default_configENS1_22reduce_config_selectorIsEEZNS1_11reduce_implILb1ES3_N6thrust23THRUST_200600_302600_NS6detail15normal_iteratorINS8_10device_ptrIsEEEEPssNS8_4plusIsEEEE10hipError_tPvRmT1_T2_T3_mT4_P12ihipStream_tbEUlT_E0_NS1_11comp_targetILNS1_3genE0ELNS1_11target_archE4294967295ELNS1_3gpuE0ELNS1_3repE0EEENS1_30default_config_static_selectorELNS0_4arch9wavefront6targetE1EEEvSK_, .Lfunc_end279-_ZN7rocprim17ROCPRIM_400000_NS6detail17trampoline_kernelINS0_14default_configENS1_22reduce_config_selectorIsEEZNS1_11reduce_implILb1ES3_N6thrust23THRUST_200600_302600_NS6detail15normal_iteratorINS8_10device_ptrIsEEEEPssNS8_4plusIsEEEE10hipError_tPvRmT1_T2_T3_mT4_P12ihipStream_tbEUlT_E0_NS1_11comp_targetILNS1_3genE0ELNS1_11target_archE4294967295ELNS1_3gpuE0ELNS1_3repE0EEENS1_30default_config_static_selectorELNS0_4arch9wavefront6targetE1EEEvSK_
                                        ; -- End function
	.set _ZN7rocprim17ROCPRIM_400000_NS6detail17trampoline_kernelINS0_14default_configENS1_22reduce_config_selectorIsEEZNS1_11reduce_implILb1ES3_N6thrust23THRUST_200600_302600_NS6detail15normal_iteratorINS8_10device_ptrIsEEEEPssNS8_4plusIsEEEE10hipError_tPvRmT1_T2_T3_mT4_P12ihipStream_tbEUlT_E0_NS1_11comp_targetILNS1_3genE0ELNS1_11target_archE4294967295ELNS1_3gpuE0ELNS1_3repE0EEENS1_30default_config_static_selectorELNS0_4arch9wavefront6targetE1EEEvSK_.num_vgpr, 14
	.set _ZN7rocprim17ROCPRIM_400000_NS6detail17trampoline_kernelINS0_14default_configENS1_22reduce_config_selectorIsEEZNS1_11reduce_implILb1ES3_N6thrust23THRUST_200600_302600_NS6detail15normal_iteratorINS8_10device_ptrIsEEEEPssNS8_4plusIsEEEE10hipError_tPvRmT1_T2_T3_mT4_P12ihipStream_tbEUlT_E0_NS1_11comp_targetILNS1_3genE0ELNS1_11target_archE4294967295ELNS1_3gpuE0ELNS1_3repE0EEENS1_30default_config_static_selectorELNS0_4arch9wavefront6targetE1EEEvSK_.num_agpr, 0
	.set _ZN7rocprim17ROCPRIM_400000_NS6detail17trampoline_kernelINS0_14default_configENS1_22reduce_config_selectorIsEEZNS1_11reduce_implILb1ES3_N6thrust23THRUST_200600_302600_NS6detail15normal_iteratorINS8_10device_ptrIsEEEEPssNS8_4plusIsEEEE10hipError_tPvRmT1_T2_T3_mT4_P12ihipStream_tbEUlT_E0_NS1_11comp_targetILNS1_3genE0ELNS1_11target_archE4294967295ELNS1_3gpuE0ELNS1_3repE0EEENS1_30default_config_static_selectorELNS0_4arch9wavefront6targetE1EEEvSK_.numbered_sgpr, 28
	.set _ZN7rocprim17ROCPRIM_400000_NS6detail17trampoline_kernelINS0_14default_configENS1_22reduce_config_selectorIsEEZNS1_11reduce_implILb1ES3_N6thrust23THRUST_200600_302600_NS6detail15normal_iteratorINS8_10device_ptrIsEEEEPssNS8_4plusIsEEEE10hipError_tPvRmT1_T2_T3_mT4_P12ihipStream_tbEUlT_E0_NS1_11comp_targetILNS1_3genE0ELNS1_11target_archE4294967295ELNS1_3gpuE0ELNS1_3repE0EEENS1_30default_config_static_selectorELNS0_4arch9wavefront6targetE1EEEvSK_.num_named_barrier, 0
	.set _ZN7rocprim17ROCPRIM_400000_NS6detail17trampoline_kernelINS0_14default_configENS1_22reduce_config_selectorIsEEZNS1_11reduce_implILb1ES3_N6thrust23THRUST_200600_302600_NS6detail15normal_iteratorINS8_10device_ptrIsEEEEPssNS8_4plusIsEEEE10hipError_tPvRmT1_T2_T3_mT4_P12ihipStream_tbEUlT_E0_NS1_11comp_targetILNS1_3genE0ELNS1_11target_archE4294967295ELNS1_3gpuE0ELNS1_3repE0EEENS1_30default_config_static_selectorELNS0_4arch9wavefront6targetE1EEEvSK_.private_seg_size, 0
	.set _ZN7rocprim17ROCPRIM_400000_NS6detail17trampoline_kernelINS0_14default_configENS1_22reduce_config_selectorIsEEZNS1_11reduce_implILb1ES3_N6thrust23THRUST_200600_302600_NS6detail15normal_iteratorINS8_10device_ptrIsEEEEPssNS8_4plusIsEEEE10hipError_tPvRmT1_T2_T3_mT4_P12ihipStream_tbEUlT_E0_NS1_11comp_targetILNS1_3genE0ELNS1_11target_archE4294967295ELNS1_3gpuE0ELNS1_3repE0EEENS1_30default_config_static_selectorELNS0_4arch9wavefront6targetE1EEEvSK_.uses_vcc, 1
	.set _ZN7rocprim17ROCPRIM_400000_NS6detail17trampoline_kernelINS0_14default_configENS1_22reduce_config_selectorIsEEZNS1_11reduce_implILb1ES3_N6thrust23THRUST_200600_302600_NS6detail15normal_iteratorINS8_10device_ptrIsEEEEPssNS8_4plusIsEEEE10hipError_tPvRmT1_T2_T3_mT4_P12ihipStream_tbEUlT_E0_NS1_11comp_targetILNS1_3genE0ELNS1_11target_archE4294967295ELNS1_3gpuE0ELNS1_3repE0EEENS1_30default_config_static_selectorELNS0_4arch9wavefront6targetE1EEEvSK_.uses_flat_scratch, 0
	.set _ZN7rocprim17ROCPRIM_400000_NS6detail17trampoline_kernelINS0_14default_configENS1_22reduce_config_selectorIsEEZNS1_11reduce_implILb1ES3_N6thrust23THRUST_200600_302600_NS6detail15normal_iteratorINS8_10device_ptrIsEEEEPssNS8_4plusIsEEEE10hipError_tPvRmT1_T2_T3_mT4_P12ihipStream_tbEUlT_E0_NS1_11comp_targetILNS1_3genE0ELNS1_11target_archE4294967295ELNS1_3gpuE0ELNS1_3repE0EEENS1_30default_config_static_selectorELNS0_4arch9wavefront6targetE1EEEvSK_.has_dyn_sized_stack, 0
	.set _ZN7rocprim17ROCPRIM_400000_NS6detail17trampoline_kernelINS0_14default_configENS1_22reduce_config_selectorIsEEZNS1_11reduce_implILb1ES3_N6thrust23THRUST_200600_302600_NS6detail15normal_iteratorINS8_10device_ptrIsEEEEPssNS8_4plusIsEEEE10hipError_tPvRmT1_T2_T3_mT4_P12ihipStream_tbEUlT_E0_NS1_11comp_targetILNS1_3genE0ELNS1_11target_archE4294967295ELNS1_3gpuE0ELNS1_3repE0EEENS1_30default_config_static_selectorELNS0_4arch9wavefront6targetE1EEEvSK_.has_recursion, 0
	.set _ZN7rocprim17ROCPRIM_400000_NS6detail17trampoline_kernelINS0_14default_configENS1_22reduce_config_selectorIsEEZNS1_11reduce_implILb1ES3_N6thrust23THRUST_200600_302600_NS6detail15normal_iteratorINS8_10device_ptrIsEEEEPssNS8_4plusIsEEEE10hipError_tPvRmT1_T2_T3_mT4_P12ihipStream_tbEUlT_E0_NS1_11comp_targetILNS1_3genE0ELNS1_11target_archE4294967295ELNS1_3gpuE0ELNS1_3repE0EEENS1_30default_config_static_selectorELNS0_4arch9wavefront6targetE1EEEvSK_.has_indirect_call, 0
	.section	.AMDGPU.csdata,"",@progbits
; Kernel info:
; codeLenInByte = 1684
; TotalNumSgprs: 34
; NumVgprs: 14
; NumAgprs: 0
; TotalNumVgprs: 14
; ScratchSize: 0
; MemoryBound: 0
; FloatMode: 240
; IeeeMode: 1
; LDSByteSize: 8 bytes/workgroup (compile time only)
; SGPRBlocks: 4
; VGPRBlocks: 1
; NumSGPRsForWavesPerEU: 34
; NumVGPRsForWavesPerEU: 14
; AccumOffset: 16
; Occupancy: 8
; WaveLimiterHint : 1
; COMPUTE_PGM_RSRC2:SCRATCH_EN: 0
; COMPUTE_PGM_RSRC2:USER_SGPR: 2
; COMPUTE_PGM_RSRC2:TRAP_HANDLER: 0
; COMPUTE_PGM_RSRC2:TGID_X_EN: 1
; COMPUTE_PGM_RSRC2:TGID_Y_EN: 0
; COMPUTE_PGM_RSRC2:TGID_Z_EN: 0
; COMPUTE_PGM_RSRC2:TIDIG_COMP_CNT: 0
; COMPUTE_PGM_RSRC3_GFX90A:ACCUM_OFFSET: 3
; COMPUTE_PGM_RSRC3_GFX90A:TG_SPLIT: 0
	.section	.text._ZN7rocprim17ROCPRIM_400000_NS6detail17trampoline_kernelINS0_14default_configENS1_22reduce_config_selectorIsEEZNS1_11reduce_implILb1ES3_N6thrust23THRUST_200600_302600_NS6detail15normal_iteratorINS8_10device_ptrIsEEEEPssNS8_4plusIsEEEE10hipError_tPvRmT1_T2_T3_mT4_P12ihipStream_tbEUlT_E0_NS1_11comp_targetILNS1_3genE5ELNS1_11target_archE942ELNS1_3gpuE9ELNS1_3repE0EEENS1_30default_config_static_selectorELNS0_4arch9wavefront6targetE1EEEvSK_,"axG",@progbits,_ZN7rocprim17ROCPRIM_400000_NS6detail17trampoline_kernelINS0_14default_configENS1_22reduce_config_selectorIsEEZNS1_11reduce_implILb1ES3_N6thrust23THRUST_200600_302600_NS6detail15normal_iteratorINS8_10device_ptrIsEEEEPssNS8_4plusIsEEEE10hipError_tPvRmT1_T2_T3_mT4_P12ihipStream_tbEUlT_E0_NS1_11comp_targetILNS1_3genE5ELNS1_11target_archE942ELNS1_3gpuE9ELNS1_3repE0EEENS1_30default_config_static_selectorELNS0_4arch9wavefront6targetE1EEEvSK_,comdat
	.protected	_ZN7rocprim17ROCPRIM_400000_NS6detail17trampoline_kernelINS0_14default_configENS1_22reduce_config_selectorIsEEZNS1_11reduce_implILb1ES3_N6thrust23THRUST_200600_302600_NS6detail15normal_iteratorINS8_10device_ptrIsEEEEPssNS8_4plusIsEEEE10hipError_tPvRmT1_T2_T3_mT4_P12ihipStream_tbEUlT_E0_NS1_11comp_targetILNS1_3genE5ELNS1_11target_archE942ELNS1_3gpuE9ELNS1_3repE0EEENS1_30default_config_static_selectorELNS0_4arch9wavefront6targetE1EEEvSK_ ; -- Begin function _ZN7rocprim17ROCPRIM_400000_NS6detail17trampoline_kernelINS0_14default_configENS1_22reduce_config_selectorIsEEZNS1_11reduce_implILb1ES3_N6thrust23THRUST_200600_302600_NS6detail15normal_iteratorINS8_10device_ptrIsEEEEPssNS8_4plusIsEEEE10hipError_tPvRmT1_T2_T3_mT4_P12ihipStream_tbEUlT_E0_NS1_11comp_targetILNS1_3genE5ELNS1_11target_archE942ELNS1_3gpuE9ELNS1_3repE0EEENS1_30default_config_static_selectorELNS0_4arch9wavefront6targetE1EEEvSK_
	.globl	_ZN7rocprim17ROCPRIM_400000_NS6detail17trampoline_kernelINS0_14default_configENS1_22reduce_config_selectorIsEEZNS1_11reduce_implILb1ES3_N6thrust23THRUST_200600_302600_NS6detail15normal_iteratorINS8_10device_ptrIsEEEEPssNS8_4plusIsEEEE10hipError_tPvRmT1_T2_T3_mT4_P12ihipStream_tbEUlT_E0_NS1_11comp_targetILNS1_3genE5ELNS1_11target_archE942ELNS1_3gpuE9ELNS1_3repE0EEENS1_30default_config_static_selectorELNS0_4arch9wavefront6targetE1EEEvSK_
	.p2align	8
	.type	_ZN7rocprim17ROCPRIM_400000_NS6detail17trampoline_kernelINS0_14default_configENS1_22reduce_config_selectorIsEEZNS1_11reduce_implILb1ES3_N6thrust23THRUST_200600_302600_NS6detail15normal_iteratorINS8_10device_ptrIsEEEEPssNS8_4plusIsEEEE10hipError_tPvRmT1_T2_T3_mT4_P12ihipStream_tbEUlT_E0_NS1_11comp_targetILNS1_3genE5ELNS1_11target_archE942ELNS1_3gpuE9ELNS1_3repE0EEENS1_30default_config_static_selectorELNS0_4arch9wavefront6targetE1EEEvSK_,@function
_ZN7rocprim17ROCPRIM_400000_NS6detail17trampoline_kernelINS0_14default_configENS1_22reduce_config_selectorIsEEZNS1_11reduce_implILb1ES3_N6thrust23THRUST_200600_302600_NS6detail15normal_iteratorINS8_10device_ptrIsEEEEPssNS8_4plusIsEEEE10hipError_tPvRmT1_T2_T3_mT4_P12ihipStream_tbEUlT_E0_NS1_11comp_targetILNS1_3genE5ELNS1_11target_archE942ELNS1_3gpuE9ELNS1_3repE0EEENS1_30default_config_static_selectorELNS0_4arch9wavefront6targetE1EEEvSK_: ; @_ZN7rocprim17ROCPRIM_400000_NS6detail17trampoline_kernelINS0_14default_configENS1_22reduce_config_selectorIsEEZNS1_11reduce_implILb1ES3_N6thrust23THRUST_200600_302600_NS6detail15normal_iteratorINS8_10device_ptrIsEEEEPssNS8_4plusIsEEEE10hipError_tPvRmT1_T2_T3_mT4_P12ihipStream_tbEUlT_E0_NS1_11comp_targetILNS1_3genE5ELNS1_11target_archE942ELNS1_3gpuE9ELNS1_3repE0EEENS1_30default_config_static_selectorELNS0_4arch9wavefront6targetE1EEEvSK_
; %bb.0:
	.section	.rodata,"a",@progbits
	.p2align	6, 0x0
	.amdhsa_kernel _ZN7rocprim17ROCPRIM_400000_NS6detail17trampoline_kernelINS0_14default_configENS1_22reduce_config_selectorIsEEZNS1_11reduce_implILb1ES3_N6thrust23THRUST_200600_302600_NS6detail15normal_iteratorINS8_10device_ptrIsEEEEPssNS8_4plusIsEEEE10hipError_tPvRmT1_T2_T3_mT4_P12ihipStream_tbEUlT_E0_NS1_11comp_targetILNS1_3genE5ELNS1_11target_archE942ELNS1_3gpuE9ELNS1_3repE0EEENS1_30default_config_static_selectorELNS0_4arch9wavefront6targetE1EEEvSK_
		.amdhsa_group_segment_fixed_size 0
		.amdhsa_private_segment_fixed_size 0
		.amdhsa_kernarg_size 56
		.amdhsa_user_sgpr_count 2
		.amdhsa_user_sgpr_dispatch_ptr 0
		.amdhsa_user_sgpr_queue_ptr 0
		.amdhsa_user_sgpr_kernarg_segment_ptr 1
		.amdhsa_user_sgpr_dispatch_id 0
		.amdhsa_user_sgpr_kernarg_preload_length 0
		.amdhsa_user_sgpr_kernarg_preload_offset 0
		.amdhsa_user_sgpr_private_segment_size 0
		.amdhsa_uses_dynamic_stack 0
		.amdhsa_enable_private_segment 0
		.amdhsa_system_sgpr_workgroup_id_x 1
		.amdhsa_system_sgpr_workgroup_id_y 0
		.amdhsa_system_sgpr_workgroup_id_z 0
		.amdhsa_system_sgpr_workgroup_info 0
		.amdhsa_system_vgpr_workitem_id 0
		.amdhsa_next_free_vgpr 1
		.amdhsa_next_free_sgpr 0
		.amdhsa_accum_offset 4
		.amdhsa_reserve_vcc 0
		.amdhsa_float_round_mode_32 0
		.amdhsa_float_round_mode_16_64 0
		.amdhsa_float_denorm_mode_32 3
		.amdhsa_float_denorm_mode_16_64 3
		.amdhsa_dx10_clamp 1
		.amdhsa_ieee_mode 1
		.amdhsa_fp16_overflow 0
		.amdhsa_tg_split 0
		.amdhsa_exception_fp_ieee_invalid_op 0
		.amdhsa_exception_fp_denorm_src 0
		.amdhsa_exception_fp_ieee_div_zero 0
		.amdhsa_exception_fp_ieee_overflow 0
		.amdhsa_exception_fp_ieee_underflow 0
		.amdhsa_exception_fp_ieee_inexact 0
		.amdhsa_exception_int_div_zero 0
	.end_amdhsa_kernel
	.section	.text._ZN7rocprim17ROCPRIM_400000_NS6detail17trampoline_kernelINS0_14default_configENS1_22reduce_config_selectorIsEEZNS1_11reduce_implILb1ES3_N6thrust23THRUST_200600_302600_NS6detail15normal_iteratorINS8_10device_ptrIsEEEEPssNS8_4plusIsEEEE10hipError_tPvRmT1_T2_T3_mT4_P12ihipStream_tbEUlT_E0_NS1_11comp_targetILNS1_3genE5ELNS1_11target_archE942ELNS1_3gpuE9ELNS1_3repE0EEENS1_30default_config_static_selectorELNS0_4arch9wavefront6targetE1EEEvSK_,"axG",@progbits,_ZN7rocprim17ROCPRIM_400000_NS6detail17trampoline_kernelINS0_14default_configENS1_22reduce_config_selectorIsEEZNS1_11reduce_implILb1ES3_N6thrust23THRUST_200600_302600_NS6detail15normal_iteratorINS8_10device_ptrIsEEEEPssNS8_4plusIsEEEE10hipError_tPvRmT1_T2_T3_mT4_P12ihipStream_tbEUlT_E0_NS1_11comp_targetILNS1_3genE5ELNS1_11target_archE942ELNS1_3gpuE9ELNS1_3repE0EEENS1_30default_config_static_selectorELNS0_4arch9wavefront6targetE1EEEvSK_,comdat
.Lfunc_end280:
	.size	_ZN7rocprim17ROCPRIM_400000_NS6detail17trampoline_kernelINS0_14default_configENS1_22reduce_config_selectorIsEEZNS1_11reduce_implILb1ES3_N6thrust23THRUST_200600_302600_NS6detail15normal_iteratorINS8_10device_ptrIsEEEEPssNS8_4plusIsEEEE10hipError_tPvRmT1_T2_T3_mT4_P12ihipStream_tbEUlT_E0_NS1_11comp_targetILNS1_3genE5ELNS1_11target_archE942ELNS1_3gpuE9ELNS1_3repE0EEENS1_30default_config_static_selectorELNS0_4arch9wavefront6targetE1EEEvSK_, .Lfunc_end280-_ZN7rocprim17ROCPRIM_400000_NS6detail17trampoline_kernelINS0_14default_configENS1_22reduce_config_selectorIsEEZNS1_11reduce_implILb1ES3_N6thrust23THRUST_200600_302600_NS6detail15normal_iteratorINS8_10device_ptrIsEEEEPssNS8_4plusIsEEEE10hipError_tPvRmT1_T2_T3_mT4_P12ihipStream_tbEUlT_E0_NS1_11comp_targetILNS1_3genE5ELNS1_11target_archE942ELNS1_3gpuE9ELNS1_3repE0EEENS1_30default_config_static_selectorELNS0_4arch9wavefront6targetE1EEEvSK_
                                        ; -- End function
	.set _ZN7rocprim17ROCPRIM_400000_NS6detail17trampoline_kernelINS0_14default_configENS1_22reduce_config_selectorIsEEZNS1_11reduce_implILb1ES3_N6thrust23THRUST_200600_302600_NS6detail15normal_iteratorINS8_10device_ptrIsEEEEPssNS8_4plusIsEEEE10hipError_tPvRmT1_T2_T3_mT4_P12ihipStream_tbEUlT_E0_NS1_11comp_targetILNS1_3genE5ELNS1_11target_archE942ELNS1_3gpuE9ELNS1_3repE0EEENS1_30default_config_static_selectorELNS0_4arch9wavefront6targetE1EEEvSK_.num_vgpr, 0
	.set _ZN7rocprim17ROCPRIM_400000_NS6detail17trampoline_kernelINS0_14default_configENS1_22reduce_config_selectorIsEEZNS1_11reduce_implILb1ES3_N6thrust23THRUST_200600_302600_NS6detail15normal_iteratorINS8_10device_ptrIsEEEEPssNS8_4plusIsEEEE10hipError_tPvRmT1_T2_T3_mT4_P12ihipStream_tbEUlT_E0_NS1_11comp_targetILNS1_3genE5ELNS1_11target_archE942ELNS1_3gpuE9ELNS1_3repE0EEENS1_30default_config_static_selectorELNS0_4arch9wavefront6targetE1EEEvSK_.num_agpr, 0
	.set _ZN7rocprim17ROCPRIM_400000_NS6detail17trampoline_kernelINS0_14default_configENS1_22reduce_config_selectorIsEEZNS1_11reduce_implILb1ES3_N6thrust23THRUST_200600_302600_NS6detail15normal_iteratorINS8_10device_ptrIsEEEEPssNS8_4plusIsEEEE10hipError_tPvRmT1_T2_T3_mT4_P12ihipStream_tbEUlT_E0_NS1_11comp_targetILNS1_3genE5ELNS1_11target_archE942ELNS1_3gpuE9ELNS1_3repE0EEENS1_30default_config_static_selectorELNS0_4arch9wavefront6targetE1EEEvSK_.numbered_sgpr, 0
	.set _ZN7rocprim17ROCPRIM_400000_NS6detail17trampoline_kernelINS0_14default_configENS1_22reduce_config_selectorIsEEZNS1_11reduce_implILb1ES3_N6thrust23THRUST_200600_302600_NS6detail15normal_iteratorINS8_10device_ptrIsEEEEPssNS8_4plusIsEEEE10hipError_tPvRmT1_T2_T3_mT4_P12ihipStream_tbEUlT_E0_NS1_11comp_targetILNS1_3genE5ELNS1_11target_archE942ELNS1_3gpuE9ELNS1_3repE0EEENS1_30default_config_static_selectorELNS0_4arch9wavefront6targetE1EEEvSK_.num_named_barrier, 0
	.set _ZN7rocprim17ROCPRIM_400000_NS6detail17trampoline_kernelINS0_14default_configENS1_22reduce_config_selectorIsEEZNS1_11reduce_implILb1ES3_N6thrust23THRUST_200600_302600_NS6detail15normal_iteratorINS8_10device_ptrIsEEEEPssNS8_4plusIsEEEE10hipError_tPvRmT1_T2_T3_mT4_P12ihipStream_tbEUlT_E0_NS1_11comp_targetILNS1_3genE5ELNS1_11target_archE942ELNS1_3gpuE9ELNS1_3repE0EEENS1_30default_config_static_selectorELNS0_4arch9wavefront6targetE1EEEvSK_.private_seg_size, 0
	.set _ZN7rocprim17ROCPRIM_400000_NS6detail17trampoline_kernelINS0_14default_configENS1_22reduce_config_selectorIsEEZNS1_11reduce_implILb1ES3_N6thrust23THRUST_200600_302600_NS6detail15normal_iteratorINS8_10device_ptrIsEEEEPssNS8_4plusIsEEEE10hipError_tPvRmT1_T2_T3_mT4_P12ihipStream_tbEUlT_E0_NS1_11comp_targetILNS1_3genE5ELNS1_11target_archE942ELNS1_3gpuE9ELNS1_3repE0EEENS1_30default_config_static_selectorELNS0_4arch9wavefront6targetE1EEEvSK_.uses_vcc, 0
	.set _ZN7rocprim17ROCPRIM_400000_NS6detail17trampoline_kernelINS0_14default_configENS1_22reduce_config_selectorIsEEZNS1_11reduce_implILb1ES3_N6thrust23THRUST_200600_302600_NS6detail15normal_iteratorINS8_10device_ptrIsEEEEPssNS8_4plusIsEEEE10hipError_tPvRmT1_T2_T3_mT4_P12ihipStream_tbEUlT_E0_NS1_11comp_targetILNS1_3genE5ELNS1_11target_archE942ELNS1_3gpuE9ELNS1_3repE0EEENS1_30default_config_static_selectorELNS0_4arch9wavefront6targetE1EEEvSK_.uses_flat_scratch, 0
	.set _ZN7rocprim17ROCPRIM_400000_NS6detail17trampoline_kernelINS0_14default_configENS1_22reduce_config_selectorIsEEZNS1_11reduce_implILb1ES3_N6thrust23THRUST_200600_302600_NS6detail15normal_iteratorINS8_10device_ptrIsEEEEPssNS8_4plusIsEEEE10hipError_tPvRmT1_T2_T3_mT4_P12ihipStream_tbEUlT_E0_NS1_11comp_targetILNS1_3genE5ELNS1_11target_archE942ELNS1_3gpuE9ELNS1_3repE0EEENS1_30default_config_static_selectorELNS0_4arch9wavefront6targetE1EEEvSK_.has_dyn_sized_stack, 0
	.set _ZN7rocprim17ROCPRIM_400000_NS6detail17trampoline_kernelINS0_14default_configENS1_22reduce_config_selectorIsEEZNS1_11reduce_implILb1ES3_N6thrust23THRUST_200600_302600_NS6detail15normal_iteratorINS8_10device_ptrIsEEEEPssNS8_4plusIsEEEE10hipError_tPvRmT1_T2_T3_mT4_P12ihipStream_tbEUlT_E0_NS1_11comp_targetILNS1_3genE5ELNS1_11target_archE942ELNS1_3gpuE9ELNS1_3repE0EEENS1_30default_config_static_selectorELNS0_4arch9wavefront6targetE1EEEvSK_.has_recursion, 0
	.set _ZN7rocprim17ROCPRIM_400000_NS6detail17trampoline_kernelINS0_14default_configENS1_22reduce_config_selectorIsEEZNS1_11reduce_implILb1ES3_N6thrust23THRUST_200600_302600_NS6detail15normal_iteratorINS8_10device_ptrIsEEEEPssNS8_4plusIsEEEE10hipError_tPvRmT1_T2_T3_mT4_P12ihipStream_tbEUlT_E0_NS1_11comp_targetILNS1_3genE5ELNS1_11target_archE942ELNS1_3gpuE9ELNS1_3repE0EEENS1_30default_config_static_selectorELNS0_4arch9wavefront6targetE1EEEvSK_.has_indirect_call, 0
	.section	.AMDGPU.csdata,"",@progbits
; Kernel info:
; codeLenInByte = 0
; TotalNumSgprs: 6
; NumVgprs: 0
; NumAgprs: 0
; TotalNumVgprs: 0
; ScratchSize: 0
; MemoryBound: 0
; FloatMode: 240
; IeeeMode: 1
; LDSByteSize: 0 bytes/workgroup (compile time only)
; SGPRBlocks: 0
; VGPRBlocks: 0
; NumSGPRsForWavesPerEU: 6
; NumVGPRsForWavesPerEU: 1
; AccumOffset: 4
; Occupancy: 8
; WaveLimiterHint : 0
; COMPUTE_PGM_RSRC2:SCRATCH_EN: 0
; COMPUTE_PGM_RSRC2:USER_SGPR: 2
; COMPUTE_PGM_RSRC2:TRAP_HANDLER: 0
; COMPUTE_PGM_RSRC2:TGID_X_EN: 1
; COMPUTE_PGM_RSRC2:TGID_Y_EN: 0
; COMPUTE_PGM_RSRC2:TGID_Z_EN: 0
; COMPUTE_PGM_RSRC2:TIDIG_COMP_CNT: 0
; COMPUTE_PGM_RSRC3_GFX90A:ACCUM_OFFSET: 0
; COMPUTE_PGM_RSRC3_GFX90A:TG_SPLIT: 0
	.section	.text._ZN7rocprim17ROCPRIM_400000_NS6detail17trampoline_kernelINS0_14default_configENS1_22reduce_config_selectorIsEEZNS1_11reduce_implILb1ES3_N6thrust23THRUST_200600_302600_NS6detail15normal_iteratorINS8_10device_ptrIsEEEEPssNS8_4plusIsEEEE10hipError_tPvRmT1_T2_T3_mT4_P12ihipStream_tbEUlT_E0_NS1_11comp_targetILNS1_3genE4ELNS1_11target_archE910ELNS1_3gpuE8ELNS1_3repE0EEENS1_30default_config_static_selectorELNS0_4arch9wavefront6targetE1EEEvSK_,"axG",@progbits,_ZN7rocprim17ROCPRIM_400000_NS6detail17trampoline_kernelINS0_14default_configENS1_22reduce_config_selectorIsEEZNS1_11reduce_implILb1ES3_N6thrust23THRUST_200600_302600_NS6detail15normal_iteratorINS8_10device_ptrIsEEEEPssNS8_4plusIsEEEE10hipError_tPvRmT1_T2_T3_mT4_P12ihipStream_tbEUlT_E0_NS1_11comp_targetILNS1_3genE4ELNS1_11target_archE910ELNS1_3gpuE8ELNS1_3repE0EEENS1_30default_config_static_selectorELNS0_4arch9wavefront6targetE1EEEvSK_,comdat
	.protected	_ZN7rocprim17ROCPRIM_400000_NS6detail17trampoline_kernelINS0_14default_configENS1_22reduce_config_selectorIsEEZNS1_11reduce_implILb1ES3_N6thrust23THRUST_200600_302600_NS6detail15normal_iteratorINS8_10device_ptrIsEEEEPssNS8_4plusIsEEEE10hipError_tPvRmT1_T2_T3_mT4_P12ihipStream_tbEUlT_E0_NS1_11comp_targetILNS1_3genE4ELNS1_11target_archE910ELNS1_3gpuE8ELNS1_3repE0EEENS1_30default_config_static_selectorELNS0_4arch9wavefront6targetE1EEEvSK_ ; -- Begin function _ZN7rocprim17ROCPRIM_400000_NS6detail17trampoline_kernelINS0_14default_configENS1_22reduce_config_selectorIsEEZNS1_11reduce_implILb1ES3_N6thrust23THRUST_200600_302600_NS6detail15normal_iteratorINS8_10device_ptrIsEEEEPssNS8_4plusIsEEEE10hipError_tPvRmT1_T2_T3_mT4_P12ihipStream_tbEUlT_E0_NS1_11comp_targetILNS1_3genE4ELNS1_11target_archE910ELNS1_3gpuE8ELNS1_3repE0EEENS1_30default_config_static_selectorELNS0_4arch9wavefront6targetE1EEEvSK_
	.globl	_ZN7rocprim17ROCPRIM_400000_NS6detail17trampoline_kernelINS0_14default_configENS1_22reduce_config_selectorIsEEZNS1_11reduce_implILb1ES3_N6thrust23THRUST_200600_302600_NS6detail15normal_iteratorINS8_10device_ptrIsEEEEPssNS8_4plusIsEEEE10hipError_tPvRmT1_T2_T3_mT4_P12ihipStream_tbEUlT_E0_NS1_11comp_targetILNS1_3genE4ELNS1_11target_archE910ELNS1_3gpuE8ELNS1_3repE0EEENS1_30default_config_static_selectorELNS0_4arch9wavefront6targetE1EEEvSK_
	.p2align	8
	.type	_ZN7rocprim17ROCPRIM_400000_NS6detail17trampoline_kernelINS0_14default_configENS1_22reduce_config_selectorIsEEZNS1_11reduce_implILb1ES3_N6thrust23THRUST_200600_302600_NS6detail15normal_iteratorINS8_10device_ptrIsEEEEPssNS8_4plusIsEEEE10hipError_tPvRmT1_T2_T3_mT4_P12ihipStream_tbEUlT_E0_NS1_11comp_targetILNS1_3genE4ELNS1_11target_archE910ELNS1_3gpuE8ELNS1_3repE0EEENS1_30default_config_static_selectorELNS0_4arch9wavefront6targetE1EEEvSK_,@function
_ZN7rocprim17ROCPRIM_400000_NS6detail17trampoline_kernelINS0_14default_configENS1_22reduce_config_selectorIsEEZNS1_11reduce_implILb1ES3_N6thrust23THRUST_200600_302600_NS6detail15normal_iteratorINS8_10device_ptrIsEEEEPssNS8_4plusIsEEEE10hipError_tPvRmT1_T2_T3_mT4_P12ihipStream_tbEUlT_E0_NS1_11comp_targetILNS1_3genE4ELNS1_11target_archE910ELNS1_3gpuE8ELNS1_3repE0EEENS1_30default_config_static_selectorELNS0_4arch9wavefront6targetE1EEEvSK_: ; @_ZN7rocprim17ROCPRIM_400000_NS6detail17trampoline_kernelINS0_14default_configENS1_22reduce_config_selectorIsEEZNS1_11reduce_implILb1ES3_N6thrust23THRUST_200600_302600_NS6detail15normal_iteratorINS8_10device_ptrIsEEEEPssNS8_4plusIsEEEE10hipError_tPvRmT1_T2_T3_mT4_P12ihipStream_tbEUlT_E0_NS1_11comp_targetILNS1_3genE4ELNS1_11target_archE910ELNS1_3gpuE8ELNS1_3repE0EEENS1_30default_config_static_selectorELNS0_4arch9wavefront6targetE1EEEvSK_
; %bb.0:
	.section	.rodata,"a",@progbits
	.p2align	6, 0x0
	.amdhsa_kernel _ZN7rocprim17ROCPRIM_400000_NS6detail17trampoline_kernelINS0_14default_configENS1_22reduce_config_selectorIsEEZNS1_11reduce_implILb1ES3_N6thrust23THRUST_200600_302600_NS6detail15normal_iteratorINS8_10device_ptrIsEEEEPssNS8_4plusIsEEEE10hipError_tPvRmT1_T2_T3_mT4_P12ihipStream_tbEUlT_E0_NS1_11comp_targetILNS1_3genE4ELNS1_11target_archE910ELNS1_3gpuE8ELNS1_3repE0EEENS1_30default_config_static_selectorELNS0_4arch9wavefront6targetE1EEEvSK_
		.amdhsa_group_segment_fixed_size 0
		.amdhsa_private_segment_fixed_size 0
		.amdhsa_kernarg_size 56
		.amdhsa_user_sgpr_count 2
		.amdhsa_user_sgpr_dispatch_ptr 0
		.amdhsa_user_sgpr_queue_ptr 0
		.amdhsa_user_sgpr_kernarg_segment_ptr 1
		.amdhsa_user_sgpr_dispatch_id 0
		.amdhsa_user_sgpr_kernarg_preload_length 0
		.amdhsa_user_sgpr_kernarg_preload_offset 0
		.amdhsa_user_sgpr_private_segment_size 0
		.amdhsa_uses_dynamic_stack 0
		.amdhsa_enable_private_segment 0
		.amdhsa_system_sgpr_workgroup_id_x 1
		.amdhsa_system_sgpr_workgroup_id_y 0
		.amdhsa_system_sgpr_workgroup_id_z 0
		.amdhsa_system_sgpr_workgroup_info 0
		.amdhsa_system_vgpr_workitem_id 0
		.amdhsa_next_free_vgpr 1
		.amdhsa_next_free_sgpr 0
		.amdhsa_accum_offset 4
		.amdhsa_reserve_vcc 0
		.amdhsa_float_round_mode_32 0
		.amdhsa_float_round_mode_16_64 0
		.amdhsa_float_denorm_mode_32 3
		.amdhsa_float_denorm_mode_16_64 3
		.amdhsa_dx10_clamp 1
		.amdhsa_ieee_mode 1
		.amdhsa_fp16_overflow 0
		.amdhsa_tg_split 0
		.amdhsa_exception_fp_ieee_invalid_op 0
		.amdhsa_exception_fp_denorm_src 0
		.amdhsa_exception_fp_ieee_div_zero 0
		.amdhsa_exception_fp_ieee_overflow 0
		.amdhsa_exception_fp_ieee_underflow 0
		.amdhsa_exception_fp_ieee_inexact 0
		.amdhsa_exception_int_div_zero 0
	.end_amdhsa_kernel
	.section	.text._ZN7rocprim17ROCPRIM_400000_NS6detail17trampoline_kernelINS0_14default_configENS1_22reduce_config_selectorIsEEZNS1_11reduce_implILb1ES3_N6thrust23THRUST_200600_302600_NS6detail15normal_iteratorINS8_10device_ptrIsEEEEPssNS8_4plusIsEEEE10hipError_tPvRmT1_T2_T3_mT4_P12ihipStream_tbEUlT_E0_NS1_11comp_targetILNS1_3genE4ELNS1_11target_archE910ELNS1_3gpuE8ELNS1_3repE0EEENS1_30default_config_static_selectorELNS0_4arch9wavefront6targetE1EEEvSK_,"axG",@progbits,_ZN7rocprim17ROCPRIM_400000_NS6detail17trampoline_kernelINS0_14default_configENS1_22reduce_config_selectorIsEEZNS1_11reduce_implILb1ES3_N6thrust23THRUST_200600_302600_NS6detail15normal_iteratorINS8_10device_ptrIsEEEEPssNS8_4plusIsEEEE10hipError_tPvRmT1_T2_T3_mT4_P12ihipStream_tbEUlT_E0_NS1_11comp_targetILNS1_3genE4ELNS1_11target_archE910ELNS1_3gpuE8ELNS1_3repE0EEENS1_30default_config_static_selectorELNS0_4arch9wavefront6targetE1EEEvSK_,comdat
.Lfunc_end281:
	.size	_ZN7rocprim17ROCPRIM_400000_NS6detail17trampoline_kernelINS0_14default_configENS1_22reduce_config_selectorIsEEZNS1_11reduce_implILb1ES3_N6thrust23THRUST_200600_302600_NS6detail15normal_iteratorINS8_10device_ptrIsEEEEPssNS8_4plusIsEEEE10hipError_tPvRmT1_T2_T3_mT4_P12ihipStream_tbEUlT_E0_NS1_11comp_targetILNS1_3genE4ELNS1_11target_archE910ELNS1_3gpuE8ELNS1_3repE0EEENS1_30default_config_static_selectorELNS0_4arch9wavefront6targetE1EEEvSK_, .Lfunc_end281-_ZN7rocprim17ROCPRIM_400000_NS6detail17trampoline_kernelINS0_14default_configENS1_22reduce_config_selectorIsEEZNS1_11reduce_implILb1ES3_N6thrust23THRUST_200600_302600_NS6detail15normal_iteratorINS8_10device_ptrIsEEEEPssNS8_4plusIsEEEE10hipError_tPvRmT1_T2_T3_mT4_P12ihipStream_tbEUlT_E0_NS1_11comp_targetILNS1_3genE4ELNS1_11target_archE910ELNS1_3gpuE8ELNS1_3repE0EEENS1_30default_config_static_selectorELNS0_4arch9wavefront6targetE1EEEvSK_
                                        ; -- End function
	.set _ZN7rocprim17ROCPRIM_400000_NS6detail17trampoline_kernelINS0_14default_configENS1_22reduce_config_selectorIsEEZNS1_11reduce_implILb1ES3_N6thrust23THRUST_200600_302600_NS6detail15normal_iteratorINS8_10device_ptrIsEEEEPssNS8_4plusIsEEEE10hipError_tPvRmT1_T2_T3_mT4_P12ihipStream_tbEUlT_E0_NS1_11comp_targetILNS1_3genE4ELNS1_11target_archE910ELNS1_3gpuE8ELNS1_3repE0EEENS1_30default_config_static_selectorELNS0_4arch9wavefront6targetE1EEEvSK_.num_vgpr, 0
	.set _ZN7rocprim17ROCPRIM_400000_NS6detail17trampoline_kernelINS0_14default_configENS1_22reduce_config_selectorIsEEZNS1_11reduce_implILb1ES3_N6thrust23THRUST_200600_302600_NS6detail15normal_iteratorINS8_10device_ptrIsEEEEPssNS8_4plusIsEEEE10hipError_tPvRmT1_T2_T3_mT4_P12ihipStream_tbEUlT_E0_NS1_11comp_targetILNS1_3genE4ELNS1_11target_archE910ELNS1_3gpuE8ELNS1_3repE0EEENS1_30default_config_static_selectorELNS0_4arch9wavefront6targetE1EEEvSK_.num_agpr, 0
	.set _ZN7rocprim17ROCPRIM_400000_NS6detail17trampoline_kernelINS0_14default_configENS1_22reduce_config_selectorIsEEZNS1_11reduce_implILb1ES3_N6thrust23THRUST_200600_302600_NS6detail15normal_iteratorINS8_10device_ptrIsEEEEPssNS8_4plusIsEEEE10hipError_tPvRmT1_T2_T3_mT4_P12ihipStream_tbEUlT_E0_NS1_11comp_targetILNS1_3genE4ELNS1_11target_archE910ELNS1_3gpuE8ELNS1_3repE0EEENS1_30default_config_static_selectorELNS0_4arch9wavefront6targetE1EEEvSK_.numbered_sgpr, 0
	.set _ZN7rocprim17ROCPRIM_400000_NS6detail17trampoline_kernelINS0_14default_configENS1_22reduce_config_selectorIsEEZNS1_11reduce_implILb1ES3_N6thrust23THRUST_200600_302600_NS6detail15normal_iteratorINS8_10device_ptrIsEEEEPssNS8_4plusIsEEEE10hipError_tPvRmT1_T2_T3_mT4_P12ihipStream_tbEUlT_E0_NS1_11comp_targetILNS1_3genE4ELNS1_11target_archE910ELNS1_3gpuE8ELNS1_3repE0EEENS1_30default_config_static_selectorELNS0_4arch9wavefront6targetE1EEEvSK_.num_named_barrier, 0
	.set _ZN7rocprim17ROCPRIM_400000_NS6detail17trampoline_kernelINS0_14default_configENS1_22reduce_config_selectorIsEEZNS1_11reduce_implILb1ES3_N6thrust23THRUST_200600_302600_NS6detail15normal_iteratorINS8_10device_ptrIsEEEEPssNS8_4plusIsEEEE10hipError_tPvRmT1_T2_T3_mT4_P12ihipStream_tbEUlT_E0_NS1_11comp_targetILNS1_3genE4ELNS1_11target_archE910ELNS1_3gpuE8ELNS1_3repE0EEENS1_30default_config_static_selectorELNS0_4arch9wavefront6targetE1EEEvSK_.private_seg_size, 0
	.set _ZN7rocprim17ROCPRIM_400000_NS6detail17trampoline_kernelINS0_14default_configENS1_22reduce_config_selectorIsEEZNS1_11reduce_implILb1ES3_N6thrust23THRUST_200600_302600_NS6detail15normal_iteratorINS8_10device_ptrIsEEEEPssNS8_4plusIsEEEE10hipError_tPvRmT1_T2_T3_mT4_P12ihipStream_tbEUlT_E0_NS1_11comp_targetILNS1_3genE4ELNS1_11target_archE910ELNS1_3gpuE8ELNS1_3repE0EEENS1_30default_config_static_selectorELNS0_4arch9wavefront6targetE1EEEvSK_.uses_vcc, 0
	.set _ZN7rocprim17ROCPRIM_400000_NS6detail17trampoline_kernelINS0_14default_configENS1_22reduce_config_selectorIsEEZNS1_11reduce_implILb1ES3_N6thrust23THRUST_200600_302600_NS6detail15normal_iteratorINS8_10device_ptrIsEEEEPssNS8_4plusIsEEEE10hipError_tPvRmT1_T2_T3_mT4_P12ihipStream_tbEUlT_E0_NS1_11comp_targetILNS1_3genE4ELNS1_11target_archE910ELNS1_3gpuE8ELNS1_3repE0EEENS1_30default_config_static_selectorELNS0_4arch9wavefront6targetE1EEEvSK_.uses_flat_scratch, 0
	.set _ZN7rocprim17ROCPRIM_400000_NS6detail17trampoline_kernelINS0_14default_configENS1_22reduce_config_selectorIsEEZNS1_11reduce_implILb1ES3_N6thrust23THRUST_200600_302600_NS6detail15normal_iteratorINS8_10device_ptrIsEEEEPssNS8_4plusIsEEEE10hipError_tPvRmT1_T2_T3_mT4_P12ihipStream_tbEUlT_E0_NS1_11comp_targetILNS1_3genE4ELNS1_11target_archE910ELNS1_3gpuE8ELNS1_3repE0EEENS1_30default_config_static_selectorELNS0_4arch9wavefront6targetE1EEEvSK_.has_dyn_sized_stack, 0
	.set _ZN7rocprim17ROCPRIM_400000_NS6detail17trampoline_kernelINS0_14default_configENS1_22reduce_config_selectorIsEEZNS1_11reduce_implILb1ES3_N6thrust23THRUST_200600_302600_NS6detail15normal_iteratorINS8_10device_ptrIsEEEEPssNS8_4plusIsEEEE10hipError_tPvRmT1_T2_T3_mT4_P12ihipStream_tbEUlT_E0_NS1_11comp_targetILNS1_3genE4ELNS1_11target_archE910ELNS1_3gpuE8ELNS1_3repE0EEENS1_30default_config_static_selectorELNS0_4arch9wavefront6targetE1EEEvSK_.has_recursion, 0
	.set _ZN7rocprim17ROCPRIM_400000_NS6detail17trampoline_kernelINS0_14default_configENS1_22reduce_config_selectorIsEEZNS1_11reduce_implILb1ES3_N6thrust23THRUST_200600_302600_NS6detail15normal_iteratorINS8_10device_ptrIsEEEEPssNS8_4plusIsEEEE10hipError_tPvRmT1_T2_T3_mT4_P12ihipStream_tbEUlT_E0_NS1_11comp_targetILNS1_3genE4ELNS1_11target_archE910ELNS1_3gpuE8ELNS1_3repE0EEENS1_30default_config_static_selectorELNS0_4arch9wavefront6targetE1EEEvSK_.has_indirect_call, 0
	.section	.AMDGPU.csdata,"",@progbits
; Kernel info:
; codeLenInByte = 0
; TotalNumSgprs: 6
; NumVgprs: 0
; NumAgprs: 0
; TotalNumVgprs: 0
; ScratchSize: 0
; MemoryBound: 0
; FloatMode: 240
; IeeeMode: 1
; LDSByteSize: 0 bytes/workgroup (compile time only)
; SGPRBlocks: 0
; VGPRBlocks: 0
; NumSGPRsForWavesPerEU: 6
; NumVGPRsForWavesPerEU: 1
; AccumOffset: 4
; Occupancy: 8
; WaveLimiterHint : 0
; COMPUTE_PGM_RSRC2:SCRATCH_EN: 0
; COMPUTE_PGM_RSRC2:USER_SGPR: 2
; COMPUTE_PGM_RSRC2:TRAP_HANDLER: 0
; COMPUTE_PGM_RSRC2:TGID_X_EN: 1
; COMPUTE_PGM_RSRC2:TGID_Y_EN: 0
; COMPUTE_PGM_RSRC2:TGID_Z_EN: 0
; COMPUTE_PGM_RSRC2:TIDIG_COMP_CNT: 0
; COMPUTE_PGM_RSRC3_GFX90A:ACCUM_OFFSET: 0
; COMPUTE_PGM_RSRC3_GFX90A:TG_SPLIT: 0
	.section	.text._ZN7rocprim17ROCPRIM_400000_NS6detail17trampoline_kernelINS0_14default_configENS1_22reduce_config_selectorIsEEZNS1_11reduce_implILb1ES3_N6thrust23THRUST_200600_302600_NS6detail15normal_iteratorINS8_10device_ptrIsEEEEPssNS8_4plusIsEEEE10hipError_tPvRmT1_T2_T3_mT4_P12ihipStream_tbEUlT_E0_NS1_11comp_targetILNS1_3genE3ELNS1_11target_archE908ELNS1_3gpuE7ELNS1_3repE0EEENS1_30default_config_static_selectorELNS0_4arch9wavefront6targetE1EEEvSK_,"axG",@progbits,_ZN7rocprim17ROCPRIM_400000_NS6detail17trampoline_kernelINS0_14default_configENS1_22reduce_config_selectorIsEEZNS1_11reduce_implILb1ES3_N6thrust23THRUST_200600_302600_NS6detail15normal_iteratorINS8_10device_ptrIsEEEEPssNS8_4plusIsEEEE10hipError_tPvRmT1_T2_T3_mT4_P12ihipStream_tbEUlT_E0_NS1_11comp_targetILNS1_3genE3ELNS1_11target_archE908ELNS1_3gpuE7ELNS1_3repE0EEENS1_30default_config_static_selectorELNS0_4arch9wavefront6targetE1EEEvSK_,comdat
	.protected	_ZN7rocprim17ROCPRIM_400000_NS6detail17trampoline_kernelINS0_14default_configENS1_22reduce_config_selectorIsEEZNS1_11reduce_implILb1ES3_N6thrust23THRUST_200600_302600_NS6detail15normal_iteratorINS8_10device_ptrIsEEEEPssNS8_4plusIsEEEE10hipError_tPvRmT1_T2_T3_mT4_P12ihipStream_tbEUlT_E0_NS1_11comp_targetILNS1_3genE3ELNS1_11target_archE908ELNS1_3gpuE7ELNS1_3repE0EEENS1_30default_config_static_selectorELNS0_4arch9wavefront6targetE1EEEvSK_ ; -- Begin function _ZN7rocprim17ROCPRIM_400000_NS6detail17trampoline_kernelINS0_14default_configENS1_22reduce_config_selectorIsEEZNS1_11reduce_implILb1ES3_N6thrust23THRUST_200600_302600_NS6detail15normal_iteratorINS8_10device_ptrIsEEEEPssNS8_4plusIsEEEE10hipError_tPvRmT1_T2_T3_mT4_P12ihipStream_tbEUlT_E0_NS1_11comp_targetILNS1_3genE3ELNS1_11target_archE908ELNS1_3gpuE7ELNS1_3repE0EEENS1_30default_config_static_selectorELNS0_4arch9wavefront6targetE1EEEvSK_
	.globl	_ZN7rocprim17ROCPRIM_400000_NS6detail17trampoline_kernelINS0_14default_configENS1_22reduce_config_selectorIsEEZNS1_11reduce_implILb1ES3_N6thrust23THRUST_200600_302600_NS6detail15normal_iteratorINS8_10device_ptrIsEEEEPssNS8_4plusIsEEEE10hipError_tPvRmT1_T2_T3_mT4_P12ihipStream_tbEUlT_E0_NS1_11comp_targetILNS1_3genE3ELNS1_11target_archE908ELNS1_3gpuE7ELNS1_3repE0EEENS1_30default_config_static_selectorELNS0_4arch9wavefront6targetE1EEEvSK_
	.p2align	8
	.type	_ZN7rocprim17ROCPRIM_400000_NS6detail17trampoline_kernelINS0_14default_configENS1_22reduce_config_selectorIsEEZNS1_11reduce_implILb1ES3_N6thrust23THRUST_200600_302600_NS6detail15normal_iteratorINS8_10device_ptrIsEEEEPssNS8_4plusIsEEEE10hipError_tPvRmT1_T2_T3_mT4_P12ihipStream_tbEUlT_E0_NS1_11comp_targetILNS1_3genE3ELNS1_11target_archE908ELNS1_3gpuE7ELNS1_3repE0EEENS1_30default_config_static_selectorELNS0_4arch9wavefront6targetE1EEEvSK_,@function
_ZN7rocprim17ROCPRIM_400000_NS6detail17trampoline_kernelINS0_14default_configENS1_22reduce_config_selectorIsEEZNS1_11reduce_implILb1ES3_N6thrust23THRUST_200600_302600_NS6detail15normal_iteratorINS8_10device_ptrIsEEEEPssNS8_4plusIsEEEE10hipError_tPvRmT1_T2_T3_mT4_P12ihipStream_tbEUlT_E0_NS1_11comp_targetILNS1_3genE3ELNS1_11target_archE908ELNS1_3gpuE7ELNS1_3repE0EEENS1_30default_config_static_selectorELNS0_4arch9wavefront6targetE1EEEvSK_: ; @_ZN7rocprim17ROCPRIM_400000_NS6detail17trampoline_kernelINS0_14default_configENS1_22reduce_config_selectorIsEEZNS1_11reduce_implILb1ES3_N6thrust23THRUST_200600_302600_NS6detail15normal_iteratorINS8_10device_ptrIsEEEEPssNS8_4plusIsEEEE10hipError_tPvRmT1_T2_T3_mT4_P12ihipStream_tbEUlT_E0_NS1_11comp_targetILNS1_3genE3ELNS1_11target_archE908ELNS1_3gpuE7ELNS1_3repE0EEENS1_30default_config_static_selectorELNS0_4arch9wavefront6targetE1EEEvSK_
; %bb.0:
	.section	.rodata,"a",@progbits
	.p2align	6, 0x0
	.amdhsa_kernel _ZN7rocprim17ROCPRIM_400000_NS6detail17trampoline_kernelINS0_14default_configENS1_22reduce_config_selectorIsEEZNS1_11reduce_implILb1ES3_N6thrust23THRUST_200600_302600_NS6detail15normal_iteratorINS8_10device_ptrIsEEEEPssNS8_4plusIsEEEE10hipError_tPvRmT1_T2_T3_mT4_P12ihipStream_tbEUlT_E0_NS1_11comp_targetILNS1_3genE3ELNS1_11target_archE908ELNS1_3gpuE7ELNS1_3repE0EEENS1_30default_config_static_selectorELNS0_4arch9wavefront6targetE1EEEvSK_
		.amdhsa_group_segment_fixed_size 0
		.amdhsa_private_segment_fixed_size 0
		.amdhsa_kernarg_size 56
		.amdhsa_user_sgpr_count 2
		.amdhsa_user_sgpr_dispatch_ptr 0
		.amdhsa_user_sgpr_queue_ptr 0
		.amdhsa_user_sgpr_kernarg_segment_ptr 1
		.amdhsa_user_sgpr_dispatch_id 0
		.amdhsa_user_sgpr_kernarg_preload_length 0
		.amdhsa_user_sgpr_kernarg_preload_offset 0
		.amdhsa_user_sgpr_private_segment_size 0
		.amdhsa_uses_dynamic_stack 0
		.amdhsa_enable_private_segment 0
		.amdhsa_system_sgpr_workgroup_id_x 1
		.amdhsa_system_sgpr_workgroup_id_y 0
		.amdhsa_system_sgpr_workgroup_id_z 0
		.amdhsa_system_sgpr_workgroup_info 0
		.amdhsa_system_vgpr_workitem_id 0
		.amdhsa_next_free_vgpr 1
		.amdhsa_next_free_sgpr 0
		.amdhsa_accum_offset 4
		.amdhsa_reserve_vcc 0
		.amdhsa_float_round_mode_32 0
		.amdhsa_float_round_mode_16_64 0
		.amdhsa_float_denorm_mode_32 3
		.amdhsa_float_denorm_mode_16_64 3
		.amdhsa_dx10_clamp 1
		.amdhsa_ieee_mode 1
		.amdhsa_fp16_overflow 0
		.amdhsa_tg_split 0
		.amdhsa_exception_fp_ieee_invalid_op 0
		.amdhsa_exception_fp_denorm_src 0
		.amdhsa_exception_fp_ieee_div_zero 0
		.amdhsa_exception_fp_ieee_overflow 0
		.amdhsa_exception_fp_ieee_underflow 0
		.amdhsa_exception_fp_ieee_inexact 0
		.amdhsa_exception_int_div_zero 0
	.end_amdhsa_kernel
	.section	.text._ZN7rocprim17ROCPRIM_400000_NS6detail17trampoline_kernelINS0_14default_configENS1_22reduce_config_selectorIsEEZNS1_11reduce_implILb1ES3_N6thrust23THRUST_200600_302600_NS6detail15normal_iteratorINS8_10device_ptrIsEEEEPssNS8_4plusIsEEEE10hipError_tPvRmT1_T2_T3_mT4_P12ihipStream_tbEUlT_E0_NS1_11comp_targetILNS1_3genE3ELNS1_11target_archE908ELNS1_3gpuE7ELNS1_3repE0EEENS1_30default_config_static_selectorELNS0_4arch9wavefront6targetE1EEEvSK_,"axG",@progbits,_ZN7rocprim17ROCPRIM_400000_NS6detail17trampoline_kernelINS0_14default_configENS1_22reduce_config_selectorIsEEZNS1_11reduce_implILb1ES3_N6thrust23THRUST_200600_302600_NS6detail15normal_iteratorINS8_10device_ptrIsEEEEPssNS8_4plusIsEEEE10hipError_tPvRmT1_T2_T3_mT4_P12ihipStream_tbEUlT_E0_NS1_11comp_targetILNS1_3genE3ELNS1_11target_archE908ELNS1_3gpuE7ELNS1_3repE0EEENS1_30default_config_static_selectorELNS0_4arch9wavefront6targetE1EEEvSK_,comdat
.Lfunc_end282:
	.size	_ZN7rocprim17ROCPRIM_400000_NS6detail17trampoline_kernelINS0_14default_configENS1_22reduce_config_selectorIsEEZNS1_11reduce_implILb1ES3_N6thrust23THRUST_200600_302600_NS6detail15normal_iteratorINS8_10device_ptrIsEEEEPssNS8_4plusIsEEEE10hipError_tPvRmT1_T2_T3_mT4_P12ihipStream_tbEUlT_E0_NS1_11comp_targetILNS1_3genE3ELNS1_11target_archE908ELNS1_3gpuE7ELNS1_3repE0EEENS1_30default_config_static_selectorELNS0_4arch9wavefront6targetE1EEEvSK_, .Lfunc_end282-_ZN7rocprim17ROCPRIM_400000_NS6detail17trampoline_kernelINS0_14default_configENS1_22reduce_config_selectorIsEEZNS1_11reduce_implILb1ES3_N6thrust23THRUST_200600_302600_NS6detail15normal_iteratorINS8_10device_ptrIsEEEEPssNS8_4plusIsEEEE10hipError_tPvRmT1_T2_T3_mT4_P12ihipStream_tbEUlT_E0_NS1_11comp_targetILNS1_3genE3ELNS1_11target_archE908ELNS1_3gpuE7ELNS1_3repE0EEENS1_30default_config_static_selectorELNS0_4arch9wavefront6targetE1EEEvSK_
                                        ; -- End function
	.set _ZN7rocprim17ROCPRIM_400000_NS6detail17trampoline_kernelINS0_14default_configENS1_22reduce_config_selectorIsEEZNS1_11reduce_implILb1ES3_N6thrust23THRUST_200600_302600_NS6detail15normal_iteratorINS8_10device_ptrIsEEEEPssNS8_4plusIsEEEE10hipError_tPvRmT1_T2_T3_mT4_P12ihipStream_tbEUlT_E0_NS1_11comp_targetILNS1_3genE3ELNS1_11target_archE908ELNS1_3gpuE7ELNS1_3repE0EEENS1_30default_config_static_selectorELNS0_4arch9wavefront6targetE1EEEvSK_.num_vgpr, 0
	.set _ZN7rocprim17ROCPRIM_400000_NS6detail17trampoline_kernelINS0_14default_configENS1_22reduce_config_selectorIsEEZNS1_11reduce_implILb1ES3_N6thrust23THRUST_200600_302600_NS6detail15normal_iteratorINS8_10device_ptrIsEEEEPssNS8_4plusIsEEEE10hipError_tPvRmT1_T2_T3_mT4_P12ihipStream_tbEUlT_E0_NS1_11comp_targetILNS1_3genE3ELNS1_11target_archE908ELNS1_3gpuE7ELNS1_3repE0EEENS1_30default_config_static_selectorELNS0_4arch9wavefront6targetE1EEEvSK_.num_agpr, 0
	.set _ZN7rocprim17ROCPRIM_400000_NS6detail17trampoline_kernelINS0_14default_configENS1_22reduce_config_selectorIsEEZNS1_11reduce_implILb1ES3_N6thrust23THRUST_200600_302600_NS6detail15normal_iteratorINS8_10device_ptrIsEEEEPssNS8_4plusIsEEEE10hipError_tPvRmT1_T2_T3_mT4_P12ihipStream_tbEUlT_E0_NS1_11comp_targetILNS1_3genE3ELNS1_11target_archE908ELNS1_3gpuE7ELNS1_3repE0EEENS1_30default_config_static_selectorELNS0_4arch9wavefront6targetE1EEEvSK_.numbered_sgpr, 0
	.set _ZN7rocprim17ROCPRIM_400000_NS6detail17trampoline_kernelINS0_14default_configENS1_22reduce_config_selectorIsEEZNS1_11reduce_implILb1ES3_N6thrust23THRUST_200600_302600_NS6detail15normal_iteratorINS8_10device_ptrIsEEEEPssNS8_4plusIsEEEE10hipError_tPvRmT1_T2_T3_mT4_P12ihipStream_tbEUlT_E0_NS1_11comp_targetILNS1_3genE3ELNS1_11target_archE908ELNS1_3gpuE7ELNS1_3repE0EEENS1_30default_config_static_selectorELNS0_4arch9wavefront6targetE1EEEvSK_.num_named_barrier, 0
	.set _ZN7rocprim17ROCPRIM_400000_NS6detail17trampoline_kernelINS0_14default_configENS1_22reduce_config_selectorIsEEZNS1_11reduce_implILb1ES3_N6thrust23THRUST_200600_302600_NS6detail15normal_iteratorINS8_10device_ptrIsEEEEPssNS8_4plusIsEEEE10hipError_tPvRmT1_T2_T3_mT4_P12ihipStream_tbEUlT_E0_NS1_11comp_targetILNS1_3genE3ELNS1_11target_archE908ELNS1_3gpuE7ELNS1_3repE0EEENS1_30default_config_static_selectorELNS0_4arch9wavefront6targetE1EEEvSK_.private_seg_size, 0
	.set _ZN7rocprim17ROCPRIM_400000_NS6detail17trampoline_kernelINS0_14default_configENS1_22reduce_config_selectorIsEEZNS1_11reduce_implILb1ES3_N6thrust23THRUST_200600_302600_NS6detail15normal_iteratorINS8_10device_ptrIsEEEEPssNS8_4plusIsEEEE10hipError_tPvRmT1_T2_T3_mT4_P12ihipStream_tbEUlT_E0_NS1_11comp_targetILNS1_3genE3ELNS1_11target_archE908ELNS1_3gpuE7ELNS1_3repE0EEENS1_30default_config_static_selectorELNS0_4arch9wavefront6targetE1EEEvSK_.uses_vcc, 0
	.set _ZN7rocprim17ROCPRIM_400000_NS6detail17trampoline_kernelINS0_14default_configENS1_22reduce_config_selectorIsEEZNS1_11reduce_implILb1ES3_N6thrust23THRUST_200600_302600_NS6detail15normal_iteratorINS8_10device_ptrIsEEEEPssNS8_4plusIsEEEE10hipError_tPvRmT1_T2_T3_mT4_P12ihipStream_tbEUlT_E0_NS1_11comp_targetILNS1_3genE3ELNS1_11target_archE908ELNS1_3gpuE7ELNS1_3repE0EEENS1_30default_config_static_selectorELNS0_4arch9wavefront6targetE1EEEvSK_.uses_flat_scratch, 0
	.set _ZN7rocprim17ROCPRIM_400000_NS6detail17trampoline_kernelINS0_14default_configENS1_22reduce_config_selectorIsEEZNS1_11reduce_implILb1ES3_N6thrust23THRUST_200600_302600_NS6detail15normal_iteratorINS8_10device_ptrIsEEEEPssNS8_4plusIsEEEE10hipError_tPvRmT1_T2_T3_mT4_P12ihipStream_tbEUlT_E0_NS1_11comp_targetILNS1_3genE3ELNS1_11target_archE908ELNS1_3gpuE7ELNS1_3repE0EEENS1_30default_config_static_selectorELNS0_4arch9wavefront6targetE1EEEvSK_.has_dyn_sized_stack, 0
	.set _ZN7rocprim17ROCPRIM_400000_NS6detail17trampoline_kernelINS0_14default_configENS1_22reduce_config_selectorIsEEZNS1_11reduce_implILb1ES3_N6thrust23THRUST_200600_302600_NS6detail15normal_iteratorINS8_10device_ptrIsEEEEPssNS8_4plusIsEEEE10hipError_tPvRmT1_T2_T3_mT4_P12ihipStream_tbEUlT_E0_NS1_11comp_targetILNS1_3genE3ELNS1_11target_archE908ELNS1_3gpuE7ELNS1_3repE0EEENS1_30default_config_static_selectorELNS0_4arch9wavefront6targetE1EEEvSK_.has_recursion, 0
	.set _ZN7rocprim17ROCPRIM_400000_NS6detail17trampoline_kernelINS0_14default_configENS1_22reduce_config_selectorIsEEZNS1_11reduce_implILb1ES3_N6thrust23THRUST_200600_302600_NS6detail15normal_iteratorINS8_10device_ptrIsEEEEPssNS8_4plusIsEEEE10hipError_tPvRmT1_T2_T3_mT4_P12ihipStream_tbEUlT_E0_NS1_11comp_targetILNS1_3genE3ELNS1_11target_archE908ELNS1_3gpuE7ELNS1_3repE0EEENS1_30default_config_static_selectorELNS0_4arch9wavefront6targetE1EEEvSK_.has_indirect_call, 0
	.section	.AMDGPU.csdata,"",@progbits
; Kernel info:
; codeLenInByte = 0
; TotalNumSgprs: 6
; NumVgprs: 0
; NumAgprs: 0
; TotalNumVgprs: 0
; ScratchSize: 0
; MemoryBound: 0
; FloatMode: 240
; IeeeMode: 1
; LDSByteSize: 0 bytes/workgroup (compile time only)
; SGPRBlocks: 0
; VGPRBlocks: 0
; NumSGPRsForWavesPerEU: 6
; NumVGPRsForWavesPerEU: 1
; AccumOffset: 4
; Occupancy: 8
; WaveLimiterHint : 0
; COMPUTE_PGM_RSRC2:SCRATCH_EN: 0
; COMPUTE_PGM_RSRC2:USER_SGPR: 2
; COMPUTE_PGM_RSRC2:TRAP_HANDLER: 0
; COMPUTE_PGM_RSRC2:TGID_X_EN: 1
; COMPUTE_PGM_RSRC2:TGID_Y_EN: 0
; COMPUTE_PGM_RSRC2:TGID_Z_EN: 0
; COMPUTE_PGM_RSRC2:TIDIG_COMP_CNT: 0
; COMPUTE_PGM_RSRC3_GFX90A:ACCUM_OFFSET: 0
; COMPUTE_PGM_RSRC3_GFX90A:TG_SPLIT: 0
	.section	.text._ZN7rocprim17ROCPRIM_400000_NS6detail17trampoline_kernelINS0_14default_configENS1_22reduce_config_selectorIsEEZNS1_11reduce_implILb1ES3_N6thrust23THRUST_200600_302600_NS6detail15normal_iteratorINS8_10device_ptrIsEEEEPssNS8_4plusIsEEEE10hipError_tPvRmT1_T2_T3_mT4_P12ihipStream_tbEUlT_E0_NS1_11comp_targetILNS1_3genE2ELNS1_11target_archE906ELNS1_3gpuE6ELNS1_3repE0EEENS1_30default_config_static_selectorELNS0_4arch9wavefront6targetE1EEEvSK_,"axG",@progbits,_ZN7rocprim17ROCPRIM_400000_NS6detail17trampoline_kernelINS0_14default_configENS1_22reduce_config_selectorIsEEZNS1_11reduce_implILb1ES3_N6thrust23THRUST_200600_302600_NS6detail15normal_iteratorINS8_10device_ptrIsEEEEPssNS8_4plusIsEEEE10hipError_tPvRmT1_T2_T3_mT4_P12ihipStream_tbEUlT_E0_NS1_11comp_targetILNS1_3genE2ELNS1_11target_archE906ELNS1_3gpuE6ELNS1_3repE0EEENS1_30default_config_static_selectorELNS0_4arch9wavefront6targetE1EEEvSK_,comdat
	.protected	_ZN7rocprim17ROCPRIM_400000_NS6detail17trampoline_kernelINS0_14default_configENS1_22reduce_config_selectorIsEEZNS1_11reduce_implILb1ES3_N6thrust23THRUST_200600_302600_NS6detail15normal_iteratorINS8_10device_ptrIsEEEEPssNS8_4plusIsEEEE10hipError_tPvRmT1_T2_T3_mT4_P12ihipStream_tbEUlT_E0_NS1_11comp_targetILNS1_3genE2ELNS1_11target_archE906ELNS1_3gpuE6ELNS1_3repE0EEENS1_30default_config_static_selectorELNS0_4arch9wavefront6targetE1EEEvSK_ ; -- Begin function _ZN7rocprim17ROCPRIM_400000_NS6detail17trampoline_kernelINS0_14default_configENS1_22reduce_config_selectorIsEEZNS1_11reduce_implILb1ES3_N6thrust23THRUST_200600_302600_NS6detail15normal_iteratorINS8_10device_ptrIsEEEEPssNS8_4plusIsEEEE10hipError_tPvRmT1_T2_T3_mT4_P12ihipStream_tbEUlT_E0_NS1_11comp_targetILNS1_3genE2ELNS1_11target_archE906ELNS1_3gpuE6ELNS1_3repE0EEENS1_30default_config_static_selectorELNS0_4arch9wavefront6targetE1EEEvSK_
	.globl	_ZN7rocprim17ROCPRIM_400000_NS6detail17trampoline_kernelINS0_14default_configENS1_22reduce_config_selectorIsEEZNS1_11reduce_implILb1ES3_N6thrust23THRUST_200600_302600_NS6detail15normal_iteratorINS8_10device_ptrIsEEEEPssNS8_4plusIsEEEE10hipError_tPvRmT1_T2_T3_mT4_P12ihipStream_tbEUlT_E0_NS1_11comp_targetILNS1_3genE2ELNS1_11target_archE906ELNS1_3gpuE6ELNS1_3repE0EEENS1_30default_config_static_selectorELNS0_4arch9wavefront6targetE1EEEvSK_
	.p2align	8
	.type	_ZN7rocprim17ROCPRIM_400000_NS6detail17trampoline_kernelINS0_14default_configENS1_22reduce_config_selectorIsEEZNS1_11reduce_implILb1ES3_N6thrust23THRUST_200600_302600_NS6detail15normal_iteratorINS8_10device_ptrIsEEEEPssNS8_4plusIsEEEE10hipError_tPvRmT1_T2_T3_mT4_P12ihipStream_tbEUlT_E0_NS1_11comp_targetILNS1_3genE2ELNS1_11target_archE906ELNS1_3gpuE6ELNS1_3repE0EEENS1_30default_config_static_selectorELNS0_4arch9wavefront6targetE1EEEvSK_,@function
_ZN7rocprim17ROCPRIM_400000_NS6detail17trampoline_kernelINS0_14default_configENS1_22reduce_config_selectorIsEEZNS1_11reduce_implILb1ES3_N6thrust23THRUST_200600_302600_NS6detail15normal_iteratorINS8_10device_ptrIsEEEEPssNS8_4plusIsEEEE10hipError_tPvRmT1_T2_T3_mT4_P12ihipStream_tbEUlT_E0_NS1_11comp_targetILNS1_3genE2ELNS1_11target_archE906ELNS1_3gpuE6ELNS1_3repE0EEENS1_30default_config_static_selectorELNS0_4arch9wavefront6targetE1EEEvSK_: ; @_ZN7rocprim17ROCPRIM_400000_NS6detail17trampoline_kernelINS0_14default_configENS1_22reduce_config_selectorIsEEZNS1_11reduce_implILb1ES3_N6thrust23THRUST_200600_302600_NS6detail15normal_iteratorINS8_10device_ptrIsEEEEPssNS8_4plusIsEEEE10hipError_tPvRmT1_T2_T3_mT4_P12ihipStream_tbEUlT_E0_NS1_11comp_targetILNS1_3genE2ELNS1_11target_archE906ELNS1_3gpuE6ELNS1_3repE0EEENS1_30default_config_static_selectorELNS0_4arch9wavefront6targetE1EEEvSK_
; %bb.0:
	.section	.rodata,"a",@progbits
	.p2align	6, 0x0
	.amdhsa_kernel _ZN7rocprim17ROCPRIM_400000_NS6detail17trampoline_kernelINS0_14default_configENS1_22reduce_config_selectorIsEEZNS1_11reduce_implILb1ES3_N6thrust23THRUST_200600_302600_NS6detail15normal_iteratorINS8_10device_ptrIsEEEEPssNS8_4plusIsEEEE10hipError_tPvRmT1_T2_T3_mT4_P12ihipStream_tbEUlT_E0_NS1_11comp_targetILNS1_3genE2ELNS1_11target_archE906ELNS1_3gpuE6ELNS1_3repE0EEENS1_30default_config_static_selectorELNS0_4arch9wavefront6targetE1EEEvSK_
		.amdhsa_group_segment_fixed_size 0
		.amdhsa_private_segment_fixed_size 0
		.amdhsa_kernarg_size 56
		.amdhsa_user_sgpr_count 2
		.amdhsa_user_sgpr_dispatch_ptr 0
		.amdhsa_user_sgpr_queue_ptr 0
		.amdhsa_user_sgpr_kernarg_segment_ptr 1
		.amdhsa_user_sgpr_dispatch_id 0
		.amdhsa_user_sgpr_kernarg_preload_length 0
		.amdhsa_user_sgpr_kernarg_preload_offset 0
		.amdhsa_user_sgpr_private_segment_size 0
		.amdhsa_uses_dynamic_stack 0
		.amdhsa_enable_private_segment 0
		.amdhsa_system_sgpr_workgroup_id_x 1
		.amdhsa_system_sgpr_workgroup_id_y 0
		.amdhsa_system_sgpr_workgroup_id_z 0
		.amdhsa_system_sgpr_workgroup_info 0
		.amdhsa_system_vgpr_workitem_id 0
		.amdhsa_next_free_vgpr 1
		.amdhsa_next_free_sgpr 0
		.amdhsa_accum_offset 4
		.amdhsa_reserve_vcc 0
		.amdhsa_float_round_mode_32 0
		.amdhsa_float_round_mode_16_64 0
		.amdhsa_float_denorm_mode_32 3
		.amdhsa_float_denorm_mode_16_64 3
		.amdhsa_dx10_clamp 1
		.amdhsa_ieee_mode 1
		.amdhsa_fp16_overflow 0
		.amdhsa_tg_split 0
		.amdhsa_exception_fp_ieee_invalid_op 0
		.amdhsa_exception_fp_denorm_src 0
		.amdhsa_exception_fp_ieee_div_zero 0
		.amdhsa_exception_fp_ieee_overflow 0
		.amdhsa_exception_fp_ieee_underflow 0
		.amdhsa_exception_fp_ieee_inexact 0
		.amdhsa_exception_int_div_zero 0
	.end_amdhsa_kernel
	.section	.text._ZN7rocprim17ROCPRIM_400000_NS6detail17trampoline_kernelINS0_14default_configENS1_22reduce_config_selectorIsEEZNS1_11reduce_implILb1ES3_N6thrust23THRUST_200600_302600_NS6detail15normal_iteratorINS8_10device_ptrIsEEEEPssNS8_4plusIsEEEE10hipError_tPvRmT1_T2_T3_mT4_P12ihipStream_tbEUlT_E0_NS1_11comp_targetILNS1_3genE2ELNS1_11target_archE906ELNS1_3gpuE6ELNS1_3repE0EEENS1_30default_config_static_selectorELNS0_4arch9wavefront6targetE1EEEvSK_,"axG",@progbits,_ZN7rocprim17ROCPRIM_400000_NS6detail17trampoline_kernelINS0_14default_configENS1_22reduce_config_selectorIsEEZNS1_11reduce_implILb1ES3_N6thrust23THRUST_200600_302600_NS6detail15normal_iteratorINS8_10device_ptrIsEEEEPssNS8_4plusIsEEEE10hipError_tPvRmT1_T2_T3_mT4_P12ihipStream_tbEUlT_E0_NS1_11comp_targetILNS1_3genE2ELNS1_11target_archE906ELNS1_3gpuE6ELNS1_3repE0EEENS1_30default_config_static_selectorELNS0_4arch9wavefront6targetE1EEEvSK_,comdat
.Lfunc_end283:
	.size	_ZN7rocprim17ROCPRIM_400000_NS6detail17trampoline_kernelINS0_14default_configENS1_22reduce_config_selectorIsEEZNS1_11reduce_implILb1ES3_N6thrust23THRUST_200600_302600_NS6detail15normal_iteratorINS8_10device_ptrIsEEEEPssNS8_4plusIsEEEE10hipError_tPvRmT1_T2_T3_mT4_P12ihipStream_tbEUlT_E0_NS1_11comp_targetILNS1_3genE2ELNS1_11target_archE906ELNS1_3gpuE6ELNS1_3repE0EEENS1_30default_config_static_selectorELNS0_4arch9wavefront6targetE1EEEvSK_, .Lfunc_end283-_ZN7rocprim17ROCPRIM_400000_NS6detail17trampoline_kernelINS0_14default_configENS1_22reduce_config_selectorIsEEZNS1_11reduce_implILb1ES3_N6thrust23THRUST_200600_302600_NS6detail15normal_iteratorINS8_10device_ptrIsEEEEPssNS8_4plusIsEEEE10hipError_tPvRmT1_T2_T3_mT4_P12ihipStream_tbEUlT_E0_NS1_11comp_targetILNS1_3genE2ELNS1_11target_archE906ELNS1_3gpuE6ELNS1_3repE0EEENS1_30default_config_static_selectorELNS0_4arch9wavefront6targetE1EEEvSK_
                                        ; -- End function
	.set _ZN7rocprim17ROCPRIM_400000_NS6detail17trampoline_kernelINS0_14default_configENS1_22reduce_config_selectorIsEEZNS1_11reduce_implILb1ES3_N6thrust23THRUST_200600_302600_NS6detail15normal_iteratorINS8_10device_ptrIsEEEEPssNS8_4plusIsEEEE10hipError_tPvRmT1_T2_T3_mT4_P12ihipStream_tbEUlT_E0_NS1_11comp_targetILNS1_3genE2ELNS1_11target_archE906ELNS1_3gpuE6ELNS1_3repE0EEENS1_30default_config_static_selectorELNS0_4arch9wavefront6targetE1EEEvSK_.num_vgpr, 0
	.set _ZN7rocprim17ROCPRIM_400000_NS6detail17trampoline_kernelINS0_14default_configENS1_22reduce_config_selectorIsEEZNS1_11reduce_implILb1ES3_N6thrust23THRUST_200600_302600_NS6detail15normal_iteratorINS8_10device_ptrIsEEEEPssNS8_4plusIsEEEE10hipError_tPvRmT1_T2_T3_mT4_P12ihipStream_tbEUlT_E0_NS1_11comp_targetILNS1_3genE2ELNS1_11target_archE906ELNS1_3gpuE6ELNS1_3repE0EEENS1_30default_config_static_selectorELNS0_4arch9wavefront6targetE1EEEvSK_.num_agpr, 0
	.set _ZN7rocprim17ROCPRIM_400000_NS6detail17trampoline_kernelINS0_14default_configENS1_22reduce_config_selectorIsEEZNS1_11reduce_implILb1ES3_N6thrust23THRUST_200600_302600_NS6detail15normal_iteratorINS8_10device_ptrIsEEEEPssNS8_4plusIsEEEE10hipError_tPvRmT1_T2_T3_mT4_P12ihipStream_tbEUlT_E0_NS1_11comp_targetILNS1_3genE2ELNS1_11target_archE906ELNS1_3gpuE6ELNS1_3repE0EEENS1_30default_config_static_selectorELNS0_4arch9wavefront6targetE1EEEvSK_.numbered_sgpr, 0
	.set _ZN7rocprim17ROCPRIM_400000_NS6detail17trampoline_kernelINS0_14default_configENS1_22reduce_config_selectorIsEEZNS1_11reduce_implILb1ES3_N6thrust23THRUST_200600_302600_NS6detail15normal_iteratorINS8_10device_ptrIsEEEEPssNS8_4plusIsEEEE10hipError_tPvRmT1_T2_T3_mT4_P12ihipStream_tbEUlT_E0_NS1_11comp_targetILNS1_3genE2ELNS1_11target_archE906ELNS1_3gpuE6ELNS1_3repE0EEENS1_30default_config_static_selectorELNS0_4arch9wavefront6targetE1EEEvSK_.num_named_barrier, 0
	.set _ZN7rocprim17ROCPRIM_400000_NS6detail17trampoline_kernelINS0_14default_configENS1_22reduce_config_selectorIsEEZNS1_11reduce_implILb1ES3_N6thrust23THRUST_200600_302600_NS6detail15normal_iteratorINS8_10device_ptrIsEEEEPssNS8_4plusIsEEEE10hipError_tPvRmT1_T2_T3_mT4_P12ihipStream_tbEUlT_E0_NS1_11comp_targetILNS1_3genE2ELNS1_11target_archE906ELNS1_3gpuE6ELNS1_3repE0EEENS1_30default_config_static_selectorELNS0_4arch9wavefront6targetE1EEEvSK_.private_seg_size, 0
	.set _ZN7rocprim17ROCPRIM_400000_NS6detail17trampoline_kernelINS0_14default_configENS1_22reduce_config_selectorIsEEZNS1_11reduce_implILb1ES3_N6thrust23THRUST_200600_302600_NS6detail15normal_iteratorINS8_10device_ptrIsEEEEPssNS8_4plusIsEEEE10hipError_tPvRmT1_T2_T3_mT4_P12ihipStream_tbEUlT_E0_NS1_11comp_targetILNS1_3genE2ELNS1_11target_archE906ELNS1_3gpuE6ELNS1_3repE0EEENS1_30default_config_static_selectorELNS0_4arch9wavefront6targetE1EEEvSK_.uses_vcc, 0
	.set _ZN7rocprim17ROCPRIM_400000_NS6detail17trampoline_kernelINS0_14default_configENS1_22reduce_config_selectorIsEEZNS1_11reduce_implILb1ES3_N6thrust23THRUST_200600_302600_NS6detail15normal_iteratorINS8_10device_ptrIsEEEEPssNS8_4plusIsEEEE10hipError_tPvRmT1_T2_T3_mT4_P12ihipStream_tbEUlT_E0_NS1_11comp_targetILNS1_3genE2ELNS1_11target_archE906ELNS1_3gpuE6ELNS1_3repE0EEENS1_30default_config_static_selectorELNS0_4arch9wavefront6targetE1EEEvSK_.uses_flat_scratch, 0
	.set _ZN7rocprim17ROCPRIM_400000_NS6detail17trampoline_kernelINS0_14default_configENS1_22reduce_config_selectorIsEEZNS1_11reduce_implILb1ES3_N6thrust23THRUST_200600_302600_NS6detail15normal_iteratorINS8_10device_ptrIsEEEEPssNS8_4plusIsEEEE10hipError_tPvRmT1_T2_T3_mT4_P12ihipStream_tbEUlT_E0_NS1_11comp_targetILNS1_3genE2ELNS1_11target_archE906ELNS1_3gpuE6ELNS1_3repE0EEENS1_30default_config_static_selectorELNS0_4arch9wavefront6targetE1EEEvSK_.has_dyn_sized_stack, 0
	.set _ZN7rocprim17ROCPRIM_400000_NS6detail17trampoline_kernelINS0_14default_configENS1_22reduce_config_selectorIsEEZNS1_11reduce_implILb1ES3_N6thrust23THRUST_200600_302600_NS6detail15normal_iteratorINS8_10device_ptrIsEEEEPssNS8_4plusIsEEEE10hipError_tPvRmT1_T2_T3_mT4_P12ihipStream_tbEUlT_E0_NS1_11comp_targetILNS1_3genE2ELNS1_11target_archE906ELNS1_3gpuE6ELNS1_3repE0EEENS1_30default_config_static_selectorELNS0_4arch9wavefront6targetE1EEEvSK_.has_recursion, 0
	.set _ZN7rocprim17ROCPRIM_400000_NS6detail17trampoline_kernelINS0_14default_configENS1_22reduce_config_selectorIsEEZNS1_11reduce_implILb1ES3_N6thrust23THRUST_200600_302600_NS6detail15normal_iteratorINS8_10device_ptrIsEEEEPssNS8_4plusIsEEEE10hipError_tPvRmT1_T2_T3_mT4_P12ihipStream_tbEUlT_E0_NS1_11comp_targetILNS1_3genE2ELNS1_11target_archE906ELNS1_3gpuE6ELNS1_3repE0EEENS1_30default_config_static_selectorELNS0_4arch9wavefront6targetE1EEEvSK_.has_indirect_call, 0
	.section	.AMDGPU.csdata,"",@progbits
; Kernel info:
; codeLenInByte = 0
; TotalNumSgprs: 6
; NumVgprs: 0
; NumAgprs: 0
; TotalNumVgprs: 0
; ScratchSize: 0
; MemoryBound: 0
; FloatMode: 240
; IeeeMode: 1
; LDSByteSize: 0 bytes/workgroup (compile time only)
; SGPRBlocks: 0
; VGPRBlocks: 0
; NumSGPRsForWavesPerEU: 6
; NumVGPRsForWavesPerEU: 1
; AccumOffset: 4
; Occupancy: 8
; WaveLimiterHint : 0
; COMPUTE_PGM_RSRC2:SCRATCH_EN: 0
; COMPUTE_PGM_RSRC2:USER_SGPR: 2
; COMPUTE_PGM_RSRC2:TRAP_HANDLER: 0
; COMPUTE_PGM_RSRC2:TGID_X_EN: 1
; COMPUTE_PGM_RSRC2:TGID_Y_EN: 0
; COMPUTE_PGM_RSRC2:TGID_Z_EN: 0
; COMPUTE_PGM_RSRC2:TIDIG_COMP_CNT: 0
; COMPUTE_PGM_RSRC3_GFX90A:ACCUM_OFFSET: 0
; COMPUTE_PGM_RSRC3_GFX90A:TG_SPLIT: 0
	.section	.text._ZN7rocprim17ROCPRIM_400000_NS6detail17trampoline_kernelINS0_14default_configENS1_22reduce_config_selectorIsEEZNS1_11reduce_implILb1ES3_N6thrust23THRUST_200600_302600_NS6detail15normal_iteratorINS8_10device_ptrIsEEEEPssNS8_4plusIsEEEE10hipError_tPvRmT1_T2_T3_mT4_P12ihipStream_tbEUlT_E0_NS1_11comp_targetILNS1_3genE10ELNS1_11target_archE1201ELNS1_3gpuE5ELNS1_3repE0EEENS1_30default_config_static_selectorELNS0_4arch9wavefront6targetE1EEEvSK_,"axG",@progbits,_ZN7rocprim17ROCPRIM_400000_NS6detail17trampoline_kernelINS0_14default_configENS1_22reduce_config_selectorIsEEZNS1_11reduce_implILb1ES3_N6thrust23THRUST_200600_302600_NS6detail15normal_iteratorINS8_10device_ptrIsEEEEPssNS8_4plusIsEEEE10hipError_tPvRmT1_T2_T3_mT4_P12ihipStream_tbEUlT_E0_NS1_11comp_targetILNS1_3genE10ELNS1_11target_archE1201ELNS1_3gpuE5ELNS1_3repE0EEENS1_30default_config_static_selectorELNS0_4arch9wavefront6targetE1EEEvSK_,comdat
	.protected	_ZN7rocprim17ROCPRIM_400000_NS6detail17trampoline_kernelINS0_14default_configENS1_22reduce_config_selectorIsEEZNS1_11reduce_implILb1ES3_N6thrust23THRUST_200600_302600_NS6detail15normal_iteratorINS8_10device_ptrIsEEEEPssNS8_4plusIsEEEE10hipError_tPvRmT1_T2_T3_mT4_P12ihipStream_tbEUlT_E0_NS1_11comp_targetILNS1_3genE10ELNS1_11target_archE1201ELNS1_3gpuE5ELNS1_3repE0EEENS1_30default_config_static_selectorELNS0_4arch9wavefront6targetE1EEEvSK_ ; -- Begin function _ZN7rocprim17ROCPRIM_400000_NS6detail17trampoline_kernelINS0_14default_configENS1_22reduce_config_selectorIsEEZNS1_11reduce_implILb1ES3_N6thrust23THRUST_200600_302600_NS6detail15normal_iteratorINS8_10device_ptrIsEEEEPssNS8_4plusIsEEEE10hipError_tPvRmT1_T2_T3_mT4_P12ihipStream_tbEUlT_E0_NS1_11comp_targetILNS1_3genE10ELNS1_11target_archE1201ELNS1_3gpuE5ELNS1_3repE0EEENS1_30default_config_static_selectorELNS0_4arch9wavefront6targetE1EEEvSK_
	.globl	_ZN7rocprim17ROCPRIM_400000_NS6detail17trampoline_kernelINS0_14default_configENS1_22reduce_config_selectorIsEEZNS1_11reduce_implILb1ES3_N6thrust23THRUST_200600_302600_NS6detail15normal_iteratorINS8_10device_ptrIsEEEEPssNS8_4plusIsEEEE10hipError_tPvRmT1_T2_T3_mT4_P12ihipStream_tbEUlT_E0_NS1_11comp_targetILNS1_3genE10ELNS1_11target_archE1201ELNS1_3gpuE5ELNS1_3repE0EEENS1_30default_config_static_selectorELNS0_4arch9wavefront6targetE1EEEvSK_
	.p2align	8
	.type	_ZN7rocprim17ROCPRIM_400000_NS6detail17trampoline_kernelINS0_14default_configENS1_22reduce_config_selectorIsEEZNS1_11reduce_implILb1ES3_N6thrust23THRUST_200600_302600_NS6detail15normal_iteratorINS8_10device_ptrIsEEEEPssNS8_4plusIsEEEE10hipError_tPvRmT1_T2_T3_mT4_P12ihipStream_tbEUlT_E0_NS1_11comp_targetILNS1_3genE10ELNS1_11target_archE1201ELNS1_3gpuE5ELNS1_3repE0EEENS1_30default_config_static_selectorELNS0_4arch9wavefront6targetE1EEEvSK_,@function
_ZN7rocprim17ROCPRIM_400000_NS6detail17trampoline_kernelINS0_14default_configENS1_22reduce_config_selectorIsEEZNS1_11reduce_implILb1ES3_N6thrust23THRUST_200600_302600_NS6detail15normal_iteratorINS8_10device_ptrIsEEEEPssNS8_4plusIsEEEE10hipError_tPvRmT1_T2_T3_mT4_P12ihipStream_tbEUlT_E0_NS1_11comp_targetILNS1_3genE10ELNS1_11target_archE1201ELNS1_3gpuE5ELNS1_3repE0EEENS1_30default_config_static_selectorELNS0_4arch9wavefront6targetE1EEEvSK_: ; @_ZN7rocprim17ROCPRIM_400000_NS6detail17trampoline_kernelINS0_14default_configENS1_22reduce_config_selectorIsEEZNS1_11reduce_implILb1ES3_N6thrust23THRUST_200600_302600_NS6detail15normal_iteratorINS8_10device_ptrIsEEEEPssNS8_4plusIsEEEE10hipError_tPvRmT1_T2_T3_mT4_P12ihipStream_tbEUlT_E0_NS1_11comp_targetILNS1_3genE10ELNS1_11target_archE1201ELNS1_3gpuE5ELNS1_3repE0EEENS1_30default_config_static_selectorELNS0_4arch9wavefront6targetE1EEEvSK_
; %bb.0:
	.section	.rodata,"a",@progbits
	.p2align	6, 0x0
	.amdhsa_kernel _ZN7rocprim17ROCPRIM_400000_NS6detail17trampoline_kernelINS0_14default_configENS1_22reduce_config_selectorIsEEZNS1_11reduce_implILb1ES3_N6thrust23THRUST_200600_302600_NS6detail15normal_iteratorINS8_10device_ptrIsEEEEPssNS8_4plusIsEEEE10hipError_tPvRmT1_T2_T3_mT4_P12ihipStream_tbEUlT_E0_NS1_11comp_targetILNS1_3genE10ELNS1_11target_archE1201ELNS1_3gpuE5ELNS1_3repE0EEENS1_30default_config_static_selectorELNS0_4arch9wavefront6targetE1EEEvSK_
		.amdhsa_group_segment_fixed_size 0
		.amdhsa_private_segment_fixed_size 0
		.amdhsa_kernarg_size 56
		.amdhsa_user_sgpr_count 2
		.amdhsa_user_sgpr_dispatch_ptr 0
		.amdhsa_user_sgpr_queue_ptr 0
		.amdhsa_user_sgpr_kernarg_segment_ptr 1
		.amdhsa_user_sgpr_dispatch_id 0
		.amdhsa_user_sgpr_kernarg_preload_length 0
		.amdhsa_user_sgpr_kernarg_preload_offset 0
		.amdhsa_user_sgpr_private_segment_size 0
		.amdhsa_uses_dynamic_stack 0
		.amdhsa_enable_private_segment 0
		.amdhsa_system_sgpr_workgroup_id_x 1
		.amdhsa_system_sgpr_workgroup_id_y 0
		.amdhsa_system_sgpr_workgroup_id_z 0
		.amdhsa_system_sgpr_workgroup_info 0
		.amdhsa_system_vgpr_workitem_id 0
		.amdhsa_next_free_vgpr 1
		.amdhsa_next_free_sgpr 0
		.amdhsa_accum_offset 4
		.amdhsa_reserve_vcc 0
		.amdhsa_float_round_mode_32 0
		.amdhsa_float_round_mode_16_64 0
		.amdhsa_float_denorm_mode_32 3
		.amdhsa_float_denorm_mode_16_64 3
		.amdhsa_dx10_clamp 1
		.amdhsa_ieee_mode 1
		.amdhsa_fp16_overflow 0
		.amdhsa_tg_split 0
		.amdhsa_exception_fp_ieee_invalid_op 0
		.amdhsa_exception_fp_denorm_src 0
		.amdhsa_exception_fp_ieee_div_zero 0
		.amdhsa_exception_fp_ieee_overflow 0
		.amdhsa_exception_fp_ieee_underflow 0
		.amdhsa_exception_fp_ieee_inexact 0
		.amdhsa_exception_int_div_zero 0
	.end_amdhsa_kernel
	.section	.text._ZN7rocprim17ROCPRIM_400000_NS6detail17trampoline_kernelINS0_14default_configENS1_22reduce_config_selectorIsEEZNS1_11reduce_implILb1ES3_N6thrust23THRUST_200600_302600_NS6detail15normal_iteratorINS8_10device_ptrIsEEEEPssNS8_4plusIsEEEE10hipError_tPvRmT1_T2_T3_mT4_P12ihipStream_tbEUlT_E0_NS1_11comp_targetILNS1_3genE10ELNS1_11target_archE1201ELNS1_3gpuE5ELNS1_3repE0EEENS1_30default_config_static_selectorELNS0_4arch9wavefront6targetE1EEEvSK_,"axG",@progbits,_ZN7rocprim17ROCPRIM_400000_NS6detail17trampoline_kernelINS0_14default_configENS1_22reduce_config_selectorIsEEZNS1_11reduce_implILb1ES3_N6thrust23THRUST_200600_302600_NS6detail15normal_iteratorINS8_10device_ptrIsEEEEPssNS8_4plusIsEEEE10hipError_tPvRmT1_T2_T3_mT4_P12ihipStream_tbEUlT_E0_NS1_11comp_targetILNS1_3genE10ELNS1_11target_archE1201ELNS1_3gpuE5ELNS1_3repE0EEENS1_30default_config_static_selectorELNS0_4arch9wavefront6targetE1EEEvSK_,comdat
.Lfunc_end284:
	.size	_ZN7rocprim17ROCPRIM_400000_NS6detail17trampoline_kernelINS0_14default_configENS1_22reduce_config_selectorIsEEZNS1_11reduce_implILb1ES3_N6thrust23THRUST_200600_302600_NS6detail15normal_iteratorINS8_10device_ptrIsEEEEPssNS8_4plusIsEEEE10hipError_tPvRmT1_T2_T3_mT4_P12ihipStream_tbEUlT_E0_NS1_11comp_targetILNS1_3genE10ELNS1_11target_archE1201ELNS1_3gpuE5ELNS1_3repE0EEENS1_30default_config_static_selectorELNS0_4arch9wavefront6targetE1EEEvSK_, .Lfunc_end284-_ZN7rocprim17ROCPRIM_400000_NS6detail17trampoline_kernelINS0_14default_configENS1_22reduce_config_selectorIsEEZNS1_11reduce_implILb1ES3_N6thrust23THRUST_200600_302600_NS6detail15normal_iteratorINS8_10device_ptrIsEEEEPssNS8_4plusIsEEEE10hipError_tPvRmT1_T2_T3_mT4_P12ihipStream_tbEUlT_E0_NS1_11comp_targetILNS1_3genE10ELNS1_11target_archE1201ELNS1_3gpuE5ELNS1_3repE0EEENS1_30default_config_static_selectorELNS0_4arch9wavefront6targetE1EEEvSK_
                                        ; -- End function
	.set _ZN7rocprim17ROCPRIM_400000_NS6detail17trampoline_kernelINS0_14default_configENS1_22reduce_config_selectorIsEEZNS1_11reduce_implILb1ES3_N6thrust23THRUST_200600_302600_NS6detail15normal_iteratorINS8_10device_ptrIsEEEEPssNS8_4plusIsEEEE10hipError_tPvRmT1_T2_T3_mT4_P12ihipStream_tbEUlT_E0_NS1_11comp_targetILNS1_3genE10ELNS1_11target_archE1201ELNS1_3gpuE5ELNS1_3repE0EEENS1_30default_config_static_selectorELNS0_4arch9wavefront6targetE1EEEvSK_.num_vgpr, 0
	.set _ZN7rocprim17ROCPRIM_400000_NS6detail17trampoline_kernelINS0_14default_configENS1_22reduce_config_selectorIsEEZNS1_11reduce_implILb1ES3_N6thrust23THRUST_200600_302600_NS6detail15normal_iteratorINS8_10device_ptrIsEEEEPssNS8_4plusIsEEEE10hipError_tPvRmT1_T2_T3_mT4_P12ihipStream_tbEUlT_E0_NS1_11comp_targetILNS1_3genE10ELNS1_11target_archE1201ELNS1_3gpuE5ELNS1_3repE0EEENS1_30default_config_static_selectorELNS0_4arch9wavefront6targetE1EEEvSK_.num_agpr, 0
	.set _ZN7rocprim17ROCPRIM_400000_NS6detail17trampoline_kernelINS0_14default_configENS1_22reduce_config_selectorIsEEZNS1_11reduce_implILb1ES3_N6thrust23THRUST_200600_302600_NS6detail15normal_iteratorINS8_10device_ptrIsEEEEPssNS8_4plusIsEEEE10hipError_tPvRmT1_T2_T3_mT4_P12ihipStream_tbEUlT_E0_NS1_11comp_targetILNS1_3genE10ELNS1_11target_archE1201ELNS1_3gpuE5ELNS1_3repE0EEENS1_30default_config_static_selectorELNS0_4arch9wavefront6targetE1EEEvSK_.numbered_sgpr, 0
	.set _ZN7rocprim17ROCPRIM_400000_NS6detail17trampoline_kernelINS0_14default_configENS1_22reduce_config_selectorIsEEZNS1_11reduce_implILb1ES3_N6thrust23THRUST_200600_302600_NS6detail15normal_iteratorINS8_10device_ptrIsEEEEPssNS8_4plusIsEEEE10hipError_tPvRmT1_T2_T3_mT4_P12ihipStream_tbEUlT_E0_NS1_11comp_targetILNS1_3genE10ELNS1_11target_archE1201ELNS1_3gpuE5ELNS1_3repE0EEENS1_30default_config_static_selectorELNS0_4arch9wavefront6targetE1EEEvSK_.num_named_barrier, 0
	.set _ZN7rocprim17ROCPRIM_400000_NS6detail17trampoline_kernelINS0_14default_configENS1_22reduce_config_selectorIsEEZNS1_11reduce_implILb1ES3_N6thrust23THRUST_200600_302600_NS6detail15normal_iteratorINS8_10device_ptrIsEEEEPssNS8_4plusIsEEEE10hipError_tPvRmT1_T2_T3_mT4_P12ihipStream_tbEUlT_E0_NS1_11comp_targetILNS1_3genE10ELNS1_11target_archE1201ELNS1_3gpuE5ELNS1_3repE0EEENS1_30default_config_static_selectorELNS0_4arch9wavefront6targetE1EEEvSK_.private_seg_size, 0
	.set _ZN7rocprim17ROCPRIM_400000_NS6detail17trampoline_kernelINS0_14default_configENS1_22reduce_config_selectorIsEEZNS1_11reduce_implILb1ES3_N6thrust23THRUST_200600_302600_NS6detail15normal_iteratorINS8_10device_ptrIsEEEEPssNS8_4plusIsEEEE10hipError_tPvRmT1_T2_T3_mT4_P12ihipStream_tbEUlT_E0_NS1_11comp_targetILNS1_3genE10ELNS1_11target_archE1201ELNS1_3gpuE5ELNS1_3repE0EEENS1_30default_config_static_selectorELNS0_4arch9wavefront6targetE1EEEvSK_.uses_vcc, 0
	.set _ZN7rocprim17ROCPRIM_400000_NS6detail17trampoline_kernelINS0_14default_configENS1_22reduce_config_selectorIsEEZNS1_11reduce_implILb1ES3_N6thrust23THRUST_200600_302600_NS6detail15normal_iteratorINS8_10device_ptrIsEEEEPssNS8_4plusIsEEEE10hipError_tPvRmT1_T2_T3_mT4_P12ihipStream_tbEUlT_E0_NS1_11comp_targetILNS1_3genE10ELNS1_11target_archE1201ELNS1_3gpuE5ELNS1_3repE0EEENS1_30default_config_static_selectorELNS0_4arch9wavefront6targetE1EEEvSK_.uses_flat_scratch, 0
	.set _ZN7rocprim17ROCPRIM_400000_NS6detail17trampoline_kernelINS0_14default_configENS1_22reduce_config_selectorIsEEZNS1_11reduce_implILb1ES3_N6thrust23THRUST_200600_302600_NS6detail15normal_iteratorINS8_10device_ptrIsEEEEPssNS8_4plusIsEEEE10hipError_tPvRmT1_T2_T3_mT4_P12ihipStream_tbEUlT_E0_NS1_11comp_targetILNS1_3genE10ELNS1_11target_archE1201ELNS1_3gpuE5ELNS1_3repE0EEENS1_30default_config_static_selectorELNS0_4arch9wavefront6targetE1EEEvSK_.has_dyn_sized_stack, 0
	.set _ZN7rocprim17ROCPRIM_400000_NS6detail17trampoline_kernelINS0_14default_configENS1_22reduce_config_selectorIsEEZNS1_11reduce_implILb1ES3_N6thrust23THRUST_200600_302600_NS6detail15normal_iteratorINS8_10device_ptrIsEEEEPssNS8_4plusIsEEEE10hipError_tPvRmT1_T2_T3_mT4_P12ihipStream_tbEUlT_E0_NS1_11comp_targetILNS1_3genE10ELNS1_11target_archE1201ELNS1_3gpuE5ELNS1_3repE0EEENS1_30default_config_static_selectorELNS0_4arch9wavefront6targetE1EEEvSK_.has_recursion, 0
	.set _ZN7rocprim17ROCPRIM_400000_NS6detail17trampoline_kernelINS0_14default_configENS1_22reduce_config_selectorIsEEZNS1_11reduce_implILb1ES3_N6thrust23THRUST_200600_302600_NS6detail15normal_iteratorINS8_10device_ptrIsEEEEPssNS8_4plusIsEEEE10hipError_tPvRmT1_T2_T3_mT4_P12ihipStream_tbEUlT_E0_NS1_11comp_targetILNS1_3genE10ELNS1_11target_archE1201ELNS1_3gpuE5ELNS1_3repE0EEENS1_30default_config_static_selectorELNS0_4arch9wavefront6targetE1EEEvSK_.has_indirect_call, 0
	.section	.AMDGPU.csdata,"",@progbits
; Kernel info:
; codeLenInByte = 0
; TotalNumSgprs: 6
; NumVgprs: 0
; NumAgprs: 0
; TotalNumVgprs: 0
; ScratchSize: 0
; MemoryBound: 0
; FloatMode: 240
; IeeeMode: 1
; LDSByteSize: 0 bytes/workgroup (compile time only)
; SGPRBlocks: 0
; VGPRBlocks: 0
; NumSGPRsForWavesPerEU: 6
; NumVGPRsForWavesPerEU: 1
; AccumOffset: 4
; Occupancy: 8
; WaveLimiterHint : 0
; COMPUTE_PGM_RSRC2:SCRATCH_EN: 0
; COMPUTE_PGM_RSRC2:USER_SGPR: 2
; COMPUTE_PGM_RSRC2:TRAP_HANDLER: 0
; COMPUTE_PGM_RSRC2:TGID_X_EN: 1
; COMPUTE_PGM_RSRC2:TGID_Y_EN: 0
; COMPUTE_PGM_RSRC2:TGID_Z_EN: 0
; COMPUTE_PGM_RSRC2:TIDIG_COMP_CNT: 0
; COMPUTE_PGM_RSRC3_GFX90A:ACCUM_OFFSET: 0
; COMPUTE_PGM_RSRC3_GFX90A:TG_SPLIT: 0
	.section	.text._ZN7rocprim17ROCPRIM_400000_NS6detail17trampoline_kernelINS0_14default_configENS1_22reduce_config_selectorIsEEZNS1_11reduce_implILb1ES3_N6thrust23THRUST_200600_302600_NS6detail15normal_iteratorINS8_10device_ptrIsEEEEPssNS8_4plusIsEEEE10hipError_tPvRmT1_T2_T3_mT4_P12ihipStream_tbEUlT_E0_NS1_11comp_targetILNS1_3genE10ELNS1_11target_archE1200ELNS1_3gpuE4ELNS1_3repE0EEENS1_30default_config_static_selectorELNS0_4arch9wavefront6targetE1EEEvSK_,"axG",@progbits,_ZN7rocprim17ROCPRIM_400000_NS6detail17trampoline_kernelINS0_14default_configENS1_22reduce_config_selectorIsEEZNS1_11reduce_implILb1ES3_N6thrust23THRUST_200600_302600_NS6detail15normal_iteratorINS8_10device_ptrIsEEEEPssNS8_4plusIsEEEE10hipError_tPvRmT1_T2_T3_mT4_P12ihipStream_tbEUlT_E0_NS1_11comp_targetILNS1_3genE10ELNS1_11target_archE1200ELNS1_3gpuE4ELNS1_3repE0EEENS1_30default_config_static_selectorELNS0_4arch9wavefront6targetE1EEEvSK_,comdat
	.protected	_ZN7rocprim17ROCPRIM_400000_NS6detail17trampoline_kernelINS0_14default_configENS1_22reduce_config_selectorIsEEZNS1_11reduce_implILb1ES3_N6thrust23THRUST_200600_302600_NS6detail15normal_iteratorINS8_10device_ptrIsEEEEPssNS8_4plusIsEEEE10hipError_tPvRmT1_T2_T3_mT4_P12ihipStream_tbEUlT_E0_NS1_11comp_targetILNS1_3genE10ELNS1_11target_archE1200ELNS1_3gpuE4ELNS1_3repE0EEENS1_30default_config_static_selectorELNS0_4arch9wavefront6targetE1EEEvSK_ ; -- Begin function _ZN7rocprim17ROCPRIM_400000_NS6detail17trampoline_kernelINS0_14default_configENS1_22reduce_config_selectorIsEEZNS1_11reduce_implILb1ES3_N6thrust23THRUST_200600_302600_NS6detail15normal_iteratorINS8_10device_ptrIsEEEEPssNS8_4plusIsEEEE10hipError_tPvRmT1_T2_T3_mT4_P12ihipStream_tbEUlT_E0_NS1_11comp_targetILNS1_3genE10ELNS1_11target_archE1200ELNS1_3gpuE4ELNS1_3repE0EEENS1_30default_config_static_selectorELNS0_4arch9wavefront6targetE1EEEvSK_
	.globl	_ZN7rocprim17ROCPRIM_400000_NS6detail17trampoline_kernelINS0_14default_configENS1_22reduce_config_selectorIsEEZNS1_11reduce_implILb1ES3_N6thrust23THRUST_200600_302600_NS6detail15normal_iteratorINS8_10device_ptrIsEEEEPssNS8_4plusIsEEEE10hipError_tPvRmT1_T2_T3_mT4_P12ihipStream_tbEUlT_E0_NS1_11comp_targetILNS1_3genE10ELNS1_11target_archE1200ELNS1_3gpuE4ELNS1_3repE0EEENS1_30default_config_static_selectorELNS0_4arch9wavefront6targetE1EEEvSK_
	.p2align	8
	.type	_ZN7rocprim17ROCPRIM_400000_NS6detail17trampoline_kernelINS0_14default_configENS1_22reduce_config_selectorIsEEZNS1_11reduce_implILb1ES3_N6thrust23THRUST_200600_302600_NS6detail15normal_iteratorINS8_10device_ptrIsEEEEPssNS8_4plusIsEEEE10hipError_tPvRmT1_T2_T3_mT4_P12ihipStream_tbEUlT_E0_NS1_11comp_targetILNS1_3genE10ELNS1_11target_archE1200ELNS1_3gpuE4ELNS1_3repE0EEENS1_30default_config_static_selectorELNS0_4arch9wavefront6targetE1EEEvSK_,@function
_ZN7rocprim17ROCPRIM_400000_NS6detail17trampoline_kernelINS0_14default_configENS1_22reduce_config_selectorIsEEZNS1_11reduce_implILb1ES3_N6thrust23THRUST_200600_302600_NS6detail15normal_iteratorINS8_10device_ptrIsEEEEPssNS8_4plusIsEEEE10hipError_tPvRmT1_T2_T3_mT4_P12ihipStream_tbEUlT_E0_NS1_11comp_targetILNS1_3genE10ELNS1_11target_archE1200ELNS1_3gpuE4ELNS1_3repE0EEENS1_30default_config_static_selectorELNS0_4arch9wavefront6targetE1EEEvSK_: ; @_ZN7rocprim17ROCPRIM_400000_NS6detail17trampoline_kernelINS0_14default_configENS1_22reduce_config_selectorIsEEZNS1_11reduce_implILb1ES3_N6thrust23THRUST_200600_302600_NS6detail15normal_iteratorINS8_10device_ptrIsEEEEPssNS8_4plusIsEEEE10hipError_tPvRmT1_T2_T3_mT4_P12ihipStream_tbEUlT_E0_NS1_11comp_targetILNS1_3genE10ELNS1_11target_archE1200ELNS1_3gpuE4ELNS1_3repE0EEENS1_30default_config_static_selectorELNS0_4arch9wavefront6targetE1EEEvSK_
; %bb.0:
	.section	.rodata,"a",@progbits
	.p2align	6, 0x0
	.amdhsa_kernel _ZN7rocprim17ROCPRIM_400000_NS6detail17trampoline_kernelINS0_14default_configENS1_22reduce_config_selectorIsEEZNS1_11reduce_implILb1ES3_N6thrust23THRUST_200600_302600_NS6detail15normal_iteratorINS8_10device_ptrIsEEEEPssNS8_4plusIsEEEE10hipError_tPvRmT1_T2_T3_mT4_P12ihipStream_tbEUlT_E0_NS1_11comp_targetILNS1_3genE10ELNS1_11target_archE1200ELNS1_3gpuE4ELNS1_3repE0EEENS1_30default_config_static_selectorELNS0_4arch9wavefront6targetE1EEEvSK_
		.amdhsa_group_segment_fixed_size 0
		.amdhsa_private_segment_fixed_size 0
		.amdhsa_kernarg_size 56
		.amdhsa_user_sgpr_count 2
		.amdhsa_user_sgpr_dispatch_ptr 0
		.amdhsa_user_sgpr_queue_ptr 0
		.amdhsa_user_sgpr_kernarg_segment_ptr 1
		.amdhsa_user_sgpr_dispatch_id 0
		.amdhsa_user_sgpr_kernarg_preload_length 0
		.amdhsa_user_sgpr_kernarg_preload_offset 0
		.amdhsa_user_sgpr_private_segment_size 0
		.amdhsa_uses_dynamic_stack 0
		.amdhsa_enable_private_segment 0
		.amdhsa_system_sgpr_workgroup_id_x 1
		.amdhsa_system_sgpr_workgroup_id_y 0
		.amdhsa_system_sgpr_workgroup_id_z 0
		.amdhsa_system_sgpr_workgroup_info 0
		.amdhsa_system_vgpr_workitem_id 0
		.amdhsa_next_free_vgpr 1
		.amdhsa_next_free_sgpr 0
		.amdhsa_accum_offset 4
		.amdhsa_reserve_vcc 0
		.amdhsa_float_round_mode_32 0
		.amdhsa_float_round_mode_16_64 0
		.amdhsa_float_denorm_mode_32 3
		.amdhsa_float_denorm_mode_16_64 3
		.amdhsa_dx10_clamp 1
		.amdhsa_ieee_mode 1
		.amdhsa_fp16_overflow 0
		.amdhsa_tg_split 0
		.amdhsa_exception_fp_ieee_invalid_op 0
		.amdhsa_exception_fp_denorm_src 0
		.amdhsa_exception_fp_ieee_div_zero 0
		.amdhsa_exception_fp_ieee_overflow 0
		.amdhsa_exception_fp_ieee_underflow 0
		.amdhsa_exception_fp_ieee_inexact 0
		.amdhsa_exception_int_div_zero 0
	.end_amdhsa_kernel
	.section	.text._ZN7rocprim17ROCPRIM_400000_NS6detail17trampoline_kernelINS0_14default_configENS1_22reduce_config_selectorIsEEZNS1_11reduce_implILb1ES3_N6thrust23THRUST_200600_302600_NS6detail15normal_iteratorINS8_10device_ptrIsEEEEPssNS8_4plusIsEEEE10hipError_tPvRmT1_T2_T3_mT4_P12ihipStream_tbEUlT_E0_NS1_11comp_targetILNS1_3genE10ELNS1_11target_archE1200ELNS1_3gpuE4ELNS1_3repE0EEENS1_30default_config_static_selectorELNS0_4arch9wavefront6targetE1EEEvSK_,"axG",@progbits,_ZN7rocprim17ROCPRIM_400000_NS6detail17trampoline_kernelINS0_14default_configENS1_22reduce_config_selectorIsEEZNS1_11reduce_implILb1ES3_N6thrust23THRUST_200600_302600_NS6detail15normal_iteratorINS8_10device_ptrIsEEEEPssNS8_4plusIsEEEE10hipError_tPvRmT1_T2_T3_mT4_P12ihipStream_tbEUlT_E0_NS1_11comp_targetILNS1_3genE10ELNS1_11target_archE1200ELNS1_3gpuE4ELNS1_3repE0EEENS1_30default_config_static_selectorELNS0_4arch9wavefront6targetE1EEEvSK_,comdat
.Lfunc_end285:
	.size	_ZN7rocprim17ROCPRIM_400000_NS6detail17trampoline_kernelINS0_14default_configENS1_22reduce_config_selectorIsEEZNS1_11reduce_implILb1ES3_N6thrust23THRUST_200600_302600_NS6detail15normal_iteratorINS8_10device_ptrIsEEEEPssNS8_4plusIsEEEE10hipError_tPvRmT1_T2_T3_mT4_P12ihipStream_tbEUlT_E0_NS1_11comp_targetILNS1_3genE10ELNS1_11target_archE1200ELNS1_3gpuE4ELNS1_3repE0EEENS1_30default_config_static_selectorELNS0_4arch9wavefront6targetE1EEEvSK_, .Lfunc_end285-_ZN7rocprim17ROCPRIM_400000_NS6detail17trampoline_kernelINS0_14default_configENS1_22reduce_config_selectorIsEEZNS1_11reduce_implILb1ES3_N6thrust23THRUST_200600_302600_NS6detail15normal_iteratorINS8_10device_ptrIsEEEEPssNS8_4plusIsEEEE10hipError_tPvRmT1_T2_T3_mT4_P12ihipStream_tbEUlT_E0_NS1_11comp_targetILNS1_3genE10ELNS1_11target_archE1200ELNS1_3gpuE4ELNS1_3repE0EEENS1_30default_config_static_selectorELNS0_4arch9wavefront6targetE1EEEvSK_
                                        ; -- End function
	.set _ZN7rocprim17ROCPRIM_400000_NS6detail17trampoline_kernelINS0_14default_configENS1_22reduce_config_selectorIsEEZNS1_11reduce_implILb1ES3_N6thrust23THRUST_200600_302600_NS6detail15normal_iteratorINS8_10device_ptrIsEEEEPssNS8_4plusIsEEEE10hipError_tPvRmT1_T2_T3_mT4_P12ihipStream_tbEUlT_E0_NS1_11comp_targetILNS1_3genE10ELNS1_11target_archE1200ELNS1_3gpuE4ELNS1_3repE0EEENS1_30default_config_static_selectorELNS0_4arch9wavefront6targetE1EEEvSK_.num_vgpr, 0
	.set _ZN7rocprim17ROCPRIM_400000_NS6detail17trampoline_kernelINS0_14default_configENS1_22reduce_config_selectorIsEEZNS1_11reduce_implILb1ES3_N6thrust23THRUST_200600_302600_NS6detail15normal_iteratorINS8_10device_ptrIsEEEEPssNS8_4plusIsEEEE10hipError_tPvRmT1_T2_T3_mT4_P12ihipStream_tbEUlT_E0_NS1_11comp_targetILNS1_3genE10ELNS1_11target_archE1200ELNS1_3gpuE4ELNS1_3repE0EEENS1_30default_config_static_selectorELNS0_4arch9wavefront6targetE1EEEvSK_.num_agpr, 0
	.set _ZN7rocprim17ROCPRIM_400000_NS6detail17trampoline_kernelINS0_14default_configENS1_22reduce_config_selectorIsEEZNS1_11reduce_implILb1ES3_N6thrust23THRUST_200600_302600_NS6detail15normal_iteratorINS8_10device_ptrIsEEEEPssNS8_4plusIsEEEE10hipError_tPvRmT1_T2_T3_mT4_P12ihipStream_tbEUlT_E0_NS1_11comp_targetILNS1_3genE10ELNS1_11target_archE1200ELNS1_3gpuE4ELNS1_3repE0EEENS1_30default_config_static_selectorELNS0_4arch9wavefront6targetE1EEEvSK_.numbered_sgpr, 0
	.set _ZN7rocprim17ROCPRIM_400000_NS6detail17trampoline_kernelINS0_14default_configENS1_22reduce_config_selectorIsEEZNS1_11reduce_implILb1ES3_N6thrust23THRUST_200600_302600_NS6detail15normal_iteratorINS8_10device_ptrIsEEEEPssNS8_4plusIsEEEE10hipError_tPvRmT1_T2_T3_mT4_P12ihipStream_tbEUlT_E0_NS1_11comp_targetILNS1_3genE10ELNS1_11target_archE1200ELNS1_3gpuE4ELNS1_3repE0EEENS1_30default_config_static_selectorELNS0_4arch9wavefront6targetE1EEEvSK_.num_named_barrier, 0
	.set _ZN7rocprim17ROCPRIM_400000_NS6detail17trampoline_kernelINS0_14default_configENS1_22reduce_config_selectorIsEEZNS1_11reduce_implILb1ES3_N6thrust23THRUST_200600_302600_NS6detail15normal_iteratorINS8_10device_ptrIsEEEEPssNS8_4plusIsEEEE10hipError_tPvRmT1_T2_T3_mT4_P12ihipStream_tbEUlT_E0_NS1_11comp_targetILNS1_3genE10ELNS1_11target_archE1200ELNS1_3gpuE4ELNS1_3repE0EEENS1_30default_config_static_selectorELNS0_4arch9wavefront6targetE1EEEvSK_.private_seg_size, 0
	.set _ZN7rocprim17ROCPRIM_400000_NS6detail17trampoline_kernelINS0_14default_configENS1_22reduce_config_selectorIsEEZNS1_11reduce_implILb1ES3_N6thrust23THRUST_200600_302600_NS6detail15normal_iteratorINS8_10device_ptrIsEEEEPssNS8_4plusIsEEEE10hipError_tPvRmT1_T2_T3_mT4_P12ihipStream_tbEUlT_E0_NS1_11comp_targetILNS1_3genE10ELNS1_11target_archE1200ELNS1_3gpuE4ELNS1_3repE0EEENS1_30default_config_static_selectorELNS0_4arch9wavefront6targetE1EEEvSK_.uses_vcc, 0
	.set _ZN7rocprim17ROCPRIM_400000_NS6detail17trampoline_kernelINS0_14default_configENS1_22reduce_config_selectorIsEEZNS1_11reduce_implILb1ES3_N6thrust23THRUST_200600_302600_NS6detail15normal_iteratorINS8_10device_ptrIsEEEEPssNS8_4plusIsEEEE10hipError_tPvRmT1_T2_T3_mT4_P12ihipStream_tbEUlT_E0_NS1_11comp_targetILNS1_3genE10ELNS1_11target_archE1200ELNS1_3gpuE4ELNS1_3repE0EEENS1_30default_config_static_selectorELNS0_4arch9wavefront6targetE1EEEvSK_.uses_flat_scratch, 0
	.set _ZN7rocprim17ROCPRIM_400000_NS6detail17trampoline_kernelINS0_14default_configENS1_22reduce_config_selectorIsEEZNS1_11reduce_implILb1ES3_N6thrust23THRUST_200600_302600_NS6detail15normal_iteratorINS8_10device_ptrIsEEEEPssNS8_4plusIsEEEE10hipError_tPvRmT1_T2_T3_mT4_P12ihipStream_tbEUlT_E0_NS1_11comp_targetILNS1_3genE10ELNS1_11target_archE1200ELNS1_3gpuE4ELNS1_3repE0EEENS1_30default_config_static_selectorELNS0_4arch9wavefront6targetE1EEEvSK_.has_dyn_sized_stack, 0
	.set _ZN7rocprim17ROCPRIM_400000_NS6detail17trampoline_kernelINS0_14default_configENS1_22reduce_config_selectorIsEEZNS1_11reduce_implILb1ES3_N6thrust23THRUST_200600_302600_NS6detail15normal_iteratorINS8_10device_ptrIsEEEEPssNS8_4plusIsEEEE10hipError_tPvRmT1_T2_T3_mT4_P12ihipStream_tbEUlT_E0_NS1_11comp_targetILNS1_3genE10ELNS1_11target_archE1200ELNS1_3gpuE4ELNS1_3repE0EEENS1_30default_config_static_selectorELNS0_4arch9wavefront6targetE1EEEvSK_.has_recursion, 0
	.set _ZN7rocprim17ROCPRIM_400000_NS6detail17trampoline_kernelINS0_14default_configENS1_22reduce_config_selectorIsEEZNS1_11reduce_implILb1ES3_N6thrust23THRUST_200600_302600_NS6detail15normal_iteratorINS8_10device_ptrIsEEEEPssNS8_4plusIsEEEE10hipError_tPvRmT1_T2_T3_mT4_P12ihipStream_tbEUlT_E0_NS1_11comp_targetILNS1_3genE10ELNS1_11target_archE1200ELNS1_3gpuE4ELNS1_3repE0EEENS1_30default_config_static_selectorELNS0_4arch9wavefront6targetE1EEEvSK_.has_indirect_call, 0
	.section	.AMDGPU.csdata,"",@progbits
; Kernel info:
; codeLenInByte = 0
; TotalNumSgprs: 6
; NumVgprs: 0
; NumAgprs: 0
; TotalNumVgprs: 0
; ScratchSize: 0
; MemoryBound: 0
; FloatMode: 240
; IeeeMode: 1
; LDSByteSize: 0 bytes/workgroup (compile time only)
; SGPRBlocks: 0
; VGPRBlocks: 0
; NumSGPRsForWavesPerEU: 6
; NumVGPRsForWavesPerEU: 1
; AccumOffset: 4
; Occupancy: 8
; WaveLimiterHint : 0
; COMPUTE_PGM_RSRC2:SCRATCH_EN: 0
; COMPUTE_PGM_RSRC2:USER_SGPR: 2
; COMPUTE_PGM_RSRC2:TRAP_HANDLER: 0
; COMPUTE_PGM_RSRC2:TGID_X_EN: 1
; COMPUTE_PGM_RSRC2:TGID_Y_EN: 0
; COMPUTE_PGM_RSRC2:TGID_Z_EN: 0
; COMPUTE_PGM_RSRC2:TIDIG_COMP_CNT: 0
; COMPUTE_PGM_RSRC3_GFX90A:ACCUM_OFFSET: 0
; COMPUTE_PGM_RSRC3_GFX90A:TG_SPLIT: 0
	.section	.text._ZN7rocprim17ROCPRIM_400000_NS6detail17trampoline_kernelINS0_14default_configENS1_22reduce_config_selectorIsEEZNS1_11reduce_implILb1ES3_N6thrust23THRUST_200600_302600_NS6detail15normal_iteratorINS8_10device_ptrIsEEEEPssNS8_4plusIsEEEE10hipError_tPvRmT1_T2_T3_mT4_P12ihipStream_tbEUlT_E0_NS1_11comp_targetILNS1_3genE9ELNS1_11target_archE1100ELNS1_3gpuE3ELNS1_3repE0EEENS1_30default_config_static_selectorELNS0_4arch9wavefront6targetE1EEEvSK_,"axG",@progbits,_ZN7rocprim17ROCPRIM_400000_NS6detail17trampoline_kernelINS0_14default_configENS1_22reduce_config_selectorIsEEZNS1_11reduce_implILb1ES3_N6thrust23THRUST_200600_302600_NS6detail15normal_iteratorINS8_10device_ptrIsEEEEPssNS8_4plusIsEEEE10hipError_tPvRmT1_T2_T3_mT4_P12ihipStream_tbEUlT_E0_NS1_11comp_targetILNS1_3genE9ELNS1_11target_archE1100ELNS1_3gpuE3ELNS1_3repE0EEENS1_30default_config_static_selectorELNS0_4arch9wavefront6targetE1EEEvSK_,comdat
	.protected	_ZN7rocprim17ROCPRIM_400000_NS6detail17trampoline_kernelINS0_14default_configENS1_22reduce_config_selectorIsEEZNS1_11reduce_implILb1ES3_N6thrust23THRUST_200600_302600_NS6detail15normal_iteratorINS8_10device_ptrIsEEEEPssNS8_4plusIsEEEE10hipError_tPvRmT1_T2_T3_mT4_P12ihipStream_tbEUlT_E0_NS1_11comp_targetILNS1_3genE9ELNS1_11target_archE1100ELNS1_3gpuE3ELNS1_3repE0EEENS1_30default_config_static_selectorELNS0_4arch9wavefront6targetE1EEEvSK_ ; -- Begin function _ZN7rocprim17ROCPRIM_400000_NS6detail17trampoline_kernelINS0_14default_configENS1_22reduce_config_selectorIsEEZNS1_11reduce_implILb1ES3_N6thrust23THRUST_200600_302600_NS6detail15normal_iteratorINS8_10device_ptrIsEEEEPssNS8_4plusIsEEEE10hipError_tPvRmT1_T2_T3_mT4_P12ihipStream_tbEUlT_E0_NS1_11comp_targetILNS1_3genE9ELNS1_11target_archE1100ELNS1_3gpuE3ELNS1_3repE0EEENS1_30default_config_static_selectorELNS0_4arch9wavefront6targetE1EEEvSK_
	.globl	_ZN7rocprim17ROCPRIM_400000_NS6detail17trampoline_kernelINS0_14default_configENS1_22reduce_config_selectorIsEEZNS1_11reduce_implILb1ES3_N6thrust23THRUST_200600_302600_NS6detail15normal_iteratorINS8_10device_ptrIsEEEEPssNS8_4plusIsEEEE10hipError_tPvRmT1_T2_T3_mT4_P12ihipStream_tbEUlT_E0_NS1_11comp_targetILNS1_3genE9ELNS1_11target_archE1100ELNS1_3gpuE3ELNS1_3repE0EEENS1_30default_config_static_selectorELNS0_4arch9wavefront6targetE1EEEvSK_
	.p2align	8
	.type	_ZN7rocprim17ROCPRIM_400000_NS6detail17trampoline_kernelINS0_14default_configENS1_22reduce_config_selectorIsEEZNS1_11reduce_implILb1ES3_N6thrust23THRUST_200600_302600_NS6detail15normal_iteratorINS8_10device_ptrIsEEEEPssNS8_4plusIsEEEE10hipError_tPvRmT1_T2_T3_mT4_P12ihipStream_tbEUlT_E0_NS1_11comp_targetILNS1_3genE9ELNS1_11target_archE1100ELNS1_3gpuE3ELNS1_3repE0EEENS1_30default_config_static_selectorELNS0_4arch9wavefront6targetE1EEEvSK_,@function
_ZN7rocprim17ROCPRIM_400000_NS6detail17trampoline_kernelINS0_14default_configENS1_22reduce_config_selectorIsEEZNS1_11reduce_implILb1ES3_N6thrust23THRUST_200600_302600_NS6detail15normal_iteratorINS8_10device_ptrIsEEEEPssNS8_4plusIsEEEE10hipError_tPvRmT1_T2_T3_mT4_P12ihipStream_tbEUlT_E0_NS1_11comp_targetILNS1_3genE9ELNS1_11target_archE1100ELNS1_3gpuE3ELNS1_3repE0EEENS1_30default_config_static_selectorELNS0_4arch9wavefront6targetE1EEEvSK_: ; @_ZN7rocprim17ROCPRIM_400000_NS6detail17trampoline_kernelINS0_14default_configENS1_22reduce_config_selectorIsEEZNS1_11reduce_implILb1ES3_N6thrust23THRUST_200600_302600_NS6detail15normal_iteratorINS8_10device_ptrIsEEEEPssNS8_4plusIsEEEE10hipError_tPvRmT1_T2_T3_mT4_P12ihipStream_tbEUlT_E0_NS1_11comp_targetILNS1_3genE9ELNS1_11target_archE1100ELNS1_3gpuE3ELNS1_3repE0EEENS1_30default_config_static_selectorELNS0_4arch9wavefront6targetE1EEEvSK_
; %bb.0:
	.section	.rodata,"a",@progbits
	.p2align	6, 0x0
	.amdhsa_kernel _ZN7rocprim17ROCPRIM_400000_NS6detail17trampoline_kernelINS0_14default_configENS1_22reduce_config_selectorIsEEZNS1_11reduce_implILb1ES3_N6thrust23THRUST_200600_302600_NS6detail15normal_iteratorINS8_10device_ptrIsEEEEPssNS8_4plusIsEEEE10hipError_tPvRmT1_T2_T3_mT4_P12ihipStream_tbEUlT_E0_NS1_11comp_targetILNS1_3genE9ELNS1_11target_archE1100ELNS1_3gpuE3ELNS1_3repE0EEENS1_30default_config_static_selectorELNS0_4arch9wavefront6targetE1EEEvSK_
		.amdhsa_group_segment_fixed_size 0
		.amdhsa_private_segment_fixed_size 0
		.amdhsa_kernarg_size 56
		.amdhsa_user_sgpr_count 2
		.amdhsa_user_sgpr_dispatch_ptr 0
		.amdhsa_user_sgpr_queue_ptr 0
		.amdhsa_user_sgpr_kernarg_segment_ptr 1
		.amdhsa_user_sgpr_dispatch_id 0
		.amdhsa_user_sgpr_kernarg_preload_length 0
		.amdhsa_user_sgpr_kernarg_preload_offset 0
		.amdhsa_user_sgpr_private_segment_size 0
		.amdhsa_uses_dynamic_stack 0
		.amdhsa_enable_private_segment 0
		.amdhsa_system_sgpr_workgroup_id_x 1
		.amdhsa_system_sgpr_workgroup_id_y 0
		.amdhsa_system_sgpr_workgroup_id_z 0
		.amdhsa_system_sgpr_workgroup_info 0
		.amdhsa_system_vgpr_workitem_id 0
		.amdhsa_next_free_vgpr 1
		.amdhsa_next_free_sgpr 0
		.amdhsa_accum_offset 4
		.amdhsa_reserve_vcc 0
		.amdhsa_float_round_mode_32 0
		.amdhsa_float_round_mode_16_64 0
		.amdhsa_float_denorm_mode_32 3
		.amdhsa_float_denorm_mode_16_64 3
		.amdhsa_dx10_clamp 1
		.amdhsa_ieee_mode 1
		.amdhsa_fp16_overflow 0
		.amdhsa_tg_split 0
		.amdhsa_exception_fp_ieee_invalid_op 0
		.amdhsa_exception_fp_denorm_src 0
		.amdhsa_exception_fp_ieee_div_zero 0
		.amdhsa_exception_fp_ieee_overflow 0
		.amdhsa_exception_fp_ieee_underflow 0
		.amdhsa_exception_fp_ieee_inexact 0
		.amdhsa_exception_int_div_zero 0
	.end_amdhsa_kernel
	.section	.text._ZN7rocprim17ROCPRIM_400000_NS6detail17trampoline_kernelINS0_14default_configENS1_22reduce_config_selectorIsEEZNS1_11reduce_implILb1ES3_N6thrust23THRUST_200600_302600_NS6detail15normal_iteratorINS8_10device_ptrIsEEEEPssNS8_4plusIsEEEE10hipError_tPvRmT1_T2_T3_mT4_P12ihipStream_tbEUlT_E0_NS1_11comp_targetILNS1_3genE9ELNS1_11target_archE1100ELNS1_3gpuE3ELNS1_3repE0EEENS1_30default_config_static_selectorELNS0_4arch9wavefront6targetE1EEEvSK_,"axG",@progbits,_ZN7rocprim17ROCPRIM_400000_NS6detail17trampoline_kernelINS0_14default_configENS1_22reduce_config_selectorIsEEZNS1_11reduce_implILb1ES3_N6thrust23THRUST_200600_302600_NS6detail15normal_iteratorINS8_10device_ptrIsEEEEPssNS8_4plusIsEEEE10hipError_tPvRmT1_T2_T3_mT4_P12ihipStream_tbEUlT_E0_NS1_11comp_targetILNS1_3genE9ELNS1_11target_archE1100ELNS1_3gpuE3ELNS1_3repE0EEENS1_30default_config_static_selectorELNS0_4arch9wavefront6targetE1EEEvSK_,comdat
.Lfunc_end286:
	.size	_ZN7rocprim17ROCPRIM_400000_NS6detail17trampoline_kernelINS0_14default_configENS1_22reduce_config_selectorIsEEZNS1_11reduce_implILb1ES3_N6thrust23THRUST_200600_302600_NS6detail15normal_iteratorINS8_10device_ptrIsEEEEPssNS8_4plusIsEEEE10hipError_tPvRmT1_T2_T3_mT4_P12ihipStream_tbEUlT_E0_NS1_11comp_targetILNS1_3genE9ELNS1_11target_archE1100ELNS1_3gpuE3ELNS1_3repE0EEENS1_30default_config_static_selectorELNS0_4arch9wavefront6targetE1EEEvSK_, .Lfunc_end286-_ZN7rocprim17ROCPRIM_400000_NS6detail17trampoline_kernelINS0_14default_configENS1_22reduce_config_selectorIsEEZNS1_11reduce_implILb1ES3_N6thrust23THRUST_200600_302600_NS6detail15normal_iteratorINS8_10device_ptrIsEEEEPssNS8_4plusIsEEEE10hipError_tPvRmT1_T2_T3_mT4_P12ihipStream_tbEUlT_E0_NS1_11comp_targetILNS1_3genE9ELNS1_11target_archE1100ELNS1_3gpuE3ELNS1_3repE0EEENS1_30default_config_static_selectorELNS0_4arch9wavefront6targetE1EEEvSK_
                                        ; -- End function
	.set _ZN7rocprim17ROCPRIM_400000_NS6detail17trampoline_kernelINS0_14default_configENS1_22reduce_config_selectorIsEEZNS1_11reduce_implILb1ES3_N6thrust23THRUST_200600_302600_NS6detail15normal_iteratorINS8_10device_ptrIsEEEEPssNS8_4plusIsEEEE10hipError_tPvRmT1_T2_T3_mT4_P12ihipStream_tbEUlT_E0_NS1_11comp_targetILNS1_3genE9ELNS1_11target_archE1100ELNS1_3gpuE3ELNS1_3repE0EEENS1_30default_config_static_selectorELNS0_4arch9wavefront6targetE1EEEvSK_.num_vgpr, 0
	.set _ZN7rocprim17ROCPRIM_400000_NS6detail17trampoline_kernelINS0_14default_configENS1_22reduce_config_selectorIsEEZNS1_11reduce_implILb1ES3_N6thrust23THRUST_200600_302600_NS6detail15normal_iteratorINS8_10device_ptrIsEEEEPssNS8_4plusIsEEEE10hipError_tPvRmT1_T2_T3_mT4_P12ihipStream_tbEUlT_E0_NS1_11comp_targetILNS1_3genE9ELNS1_11target_archE1100ELNS1_3gpuE3ELNS1_3repE0EEENS1_30default_config_static_selectorELNS0_4arch9wavefront6targetE1EEEvSK_.num_agpr, 0
	.set _ZN7rocprim17ROCPRIM_400000_NS6detail17trampoline_kernelINS0_14default_configENS1_22reduce_config_selectorIsEEZNS1_11reduce_implILb1ES3_N6thrust23THRUST_200600_302600_NS6detail15normal_iteratorINS8_10device_ptrIsEEEEPssNS8_4plusIsEEEE10hipError_tPvRmT1_T2_T3_mT4_P12ihipStream_tbEUlT_E0_NS1_11comp_targetILNS1_3genE9ELNS1_11target_archE1100ELNS1_3gpuE3ELNS1_3repE0EEENS1_30default_config_static_selectorELNS0_4arch9wavefront6targetE1EEEvSK_.numbered_sgpr, 0
	.set _ZN7rocprim17ROCPRIM_400000_NS6detail17trampoline_kernelINS0_14default_configENS1_22reduce_config_selectorIsEEZNS1_11reduce_implILb1ES3_N6thrust23THRUST_200600_302600_NS6detail15normal_iteratorINS8_10device_ptrIsEEEEPssNS8_4plusIsEEEE10hipError_tPvRmT1_T2_T3_mT4_P12ihipStream_tbEUlT_E0_NS1_11comp_targetILNS1_3genE9ELNS1_11target_archE1100ELNS1_3gpuE3ELNS1_3repE0EEENS1_30default_config_static_selectorELNS0_4arch9wavefront6targetE1EEEvSK_.num_named_barrier, 0
	.set _ZN7rocprim17ROCPRIM_400000_NS6detail17trampoline_kernelINS0_14default_configENS1_22reduce_config_selectorIsEEZNS1_11reduce_implILb1ES3_N6thrust23THRUST_200600_302600_NS6detail15normal_iteratorINS8_10device_ptrIsEEEEPssNS8_4plusIsEEEE10hipError_tPvRmT1_T2_T3_mT4_P12ihipStream_tbEUlT_E0_NS1_11comp_targetILNS1_3genE9ELNS1_11target_archE1100ELNS1_3gpuE3ELNS1_3repE0EEENS1_30default_config_static_selectorELNS0_4arch9wavefront6targetE1EEEvSK_.private_seg_size, 0
	.set _ZN7rocprim17ROCPRIM_400000_NS6detail17trampoline_kernelINS0_14default_configENS1_22reduce_config_selectorIsEEZNS1_11reduce_implILb1ES3_N6thrust23THRUST_200600_302600_NS6detail15normal_iteratorINS8_10device_ptrIsEEEEPssNS8_4plusIsEEEE10hipError_tPvRmT1_T2_T3_mT4_P12ihipStream_tbEUlT_E0_NS1_11comp_targetILNS1_3genE9ELNS1_11target_archE1100ELNS1_3gpuE3ELNS1_3repE0EEENS1_30default_config_static_selectorELNS0_4arch9wavefront6targetE1EEEvSK_.uses_vcc, 0
	.set _ZN7rocprim17ROCPRIM_400000_NS6detail17trampoline_kernelINS0_14default_configENS1_22reduce_config_selectorIsEEZNS1_11reduce_implILb1ES3_N6thrust23THRUST_200600_302600_NS6detail15normal_iteratorINS8_10device_ptrIsEEEEPssNS8_4plusIsEEEE10hipError_tPvRmT1_T2_T3_mT4_P12ihipStream_tbEUlT_E0_NS1_11comp_targetILNS1_3genE9ELNS1_11target_archE1100ELNS1_3gpuE3ELNS1_3repE0EEENS1_30default_config_static_selectorELNS0_4arch9wavefront6targetE1EEEvSK_.uses_flat_scratch, 0
	.set _ZN7rocprim17ROCPRIM_400000_NS6detail17trampoline_kernelINS0_14default_configENS1_22reduce_config_selectorIsEEZNS1_11reduce_implILb1ES3_N6thrust23THRUST_200600_302600_NS6detail15normal_iteratorINS8_10device_ptrIsEEEEPssNS8_4plusIsEEEE10hipError_tPvRmT1_T2_T3_mT4_P12ihipStream_tbEUlT_E0_NS1_11comp_targetILNS1_3genE9ELNS1_11target_archE1100ELNS1_3gpuE3ELNS1_3repE0EEENS1_30default_config_static_selectorELNS0_4arch9wavefront6targetE1EEEvSK_.has_dyn_sized_stack, 0
	.set _ZN7rocprim17ROCPRIM_400000_NS6detail17trampoline_kernelINS0_14default_configENS1_22reduce_config_selectorIsEEZNS1_11reduce_implILb1ES3_N6thrust23THRUST_200600_302600_NS6detail15normal_iteratorINS8_10device_ptrIsEEEEPssNS8_4plusIsEEEE10hipError_tPvRmT1_T2_T3_mT4_P12ihipStream_tbEUlT_E0_NS1_11comp_targetILNS1_3genE9ELNS1_11target_archE1100ELNS1_3gpuE3ELNS1_3repE0EEENS1_30default_config_static_selectorELNS0_4arch9wavefront6targetE1EEEvSK_.has_recursion, 0
	.set _ZN7rocprim17ROCPRIM_400000_NS6detail17trampoline_kernelINS0_14default_configENS1_22reduce_config_selectorIsEEZNS1_11reduce_implILb1ES3_N6thrust23THRUST_200600_302600_NS6detail15normal_iteratorINS8_10device_ptrIsEEEEPssNS8_4plusIsEEEE10hipError_tPvRmT1_T2_T3_mT4_P12ihipStream_tbEUlT_E0_NS1_11comp_targetILNS1_3genE9ELNS1_11target_archE1100ELNS1_3gpuE3ELNS1_3repE0EEENS1_30default_config_static_selectorELNS0_4arch9wavefront6targetE1EEEvSK_.has_indirect_call, 0
	.section	.AMDGPU.csdata,"",@progbits
; Kernel info:
; codeLenInByte = 0
; TotalNumSgprs: 6
; NumVgprs: 0
; NumAgprs: 0
; TotalNumVgprs: 0
; ScratchSize: 0
; MemoryBound: 0
; FloatMode: 240
; IeeeMode: 1
; LDSByteSize: 0 bytes/workgroup (compile time only)
; SGPRBlocks: 0
; VGPRBlocks: 0
; NumSGPRsForWavesPerEU: 6
; NumVGPRsForWavesPerEU: 1
; AccumOffset: 4
; Occupancy: 8
; WaveLimiterHint : 0
; COMPUTE_PGM_RSRC2:SCRATCH_EN: 0
; COMPUTE_PGM_RSRC2:USER_SGPR: 2
; COMPUTE_PGM_RSRC2:TRAP_HANDLER: 0
; COMPUTE_PGM_RSRC2:TGID_X_EN: 1
; COMPUTE_PGM_RSRC2:TGID_Y_EN: 0
; COMPUTE_PGM_RSRC2:TGID_Z_EN: 0
; COMPUTE_PGM_RSRC2:TIDIG_COMP_CNT: 0
; COMPUTE_PGM_RSRC3_GFX90A:ACCUM_OFFSET: 0
; COMPUTE_PGM_RSRC3_GFX90A:TG_SPLIT: 0
	.section	.text._ZN7rocprim17ROCPRIM_400000_NS6detail17trampoline_kernelINS0_14default_configENS1_22reduce_config_selectorIsEEZNS1_11reduce_implILb1ES3_N6thrust23THRUST_200600_302600_NS6detail15normal_iteratorINS8_10device_ptrIsEEEEPssNS8_4plusIsEEEE10hipError_tPvRmT1_T2_T3_mT4_P12ihipStream_tbEUlT_E0_NS1_11comp_targetILNS1_3genE8ELNS1_11target_archE1030ELNS1_3gpuE2ELNS1_3repE0EEENS1_30default_config_static_selectorELNS0_4arch9wavefront6targetE1EEEvSK_,"axG",@progbits,_ZN7rocprim17ROCPRIM_400000_NS6detail17trampoline_kernelINS0_14default_configENS1_22reduce_config_selectorIsEEZNS1_11reduce_implILb1ES3_N6thrust23THRUST_200600_302600_NS6detail15normal_iteratorINS8_10device_ptrIsEEEEPssNS8_4plusIsEEEE10hipError_tPvRmT1_T2_T3_mT4_P12ihipStream_tbEUlT_E0_NS1_11comp_targetILNS1_3genE8ELNS1_11target_archE1030ELNS1_3gpuE2ELNS1_3repE0EEENS1_30default_config_static_selectorELNS0_4arch9wavefront6targetE1EEEvSK_,comdat
	.protected	_ZN7rocprim17ROCPRIM_400000_NS6detail17trampoline_kernelINS0_14default_configENS1_22reduce_config_selectorIsEEZNS1_11reduce_implILb1ES3_N6thrust23THRUST_200600_302600_NS6detail15normal_iteratorINS8_10device_ptrIsEEEEPssNS8_4plusIsEEEE10hipError_tPvRmT1_T2_T3_mT4_P12ihipStream_tbEUlT_E0_NS1_11comp_targetILNS1_3genE8ELNS1_11target_archE1030ELNS1_3gpuE2ELNS1_3repE0EEENS1_30default_config_static_selectorELNS0_4arch9wavefront6targetE1EEEvSK_ ; -- Begin function _ZN7rocprim17ROCPRIM_400000_NS6detail17trampoline_kernelINS0_14default_configENS1_22reduce_config_selectorIsEEZNS1_11reduce_implILb1ES3_N6thrust23THRUST_200600_302600_NS6detail15normal_iteratorINS8_10device_ptrIsEEEEPssNS8_4plusIsEEEE10hipError_tPvRmT1_T2_T3_mT4_P12ihipStream_tbEUlT_E0_NS1_11comp_targetILNS1_3genE8ELNS1_11target_archE1030ELNS1_3gpuE2ELNS1_3repE0EEENS1_30default_config_static_selectorELNS0_4arch9wavefront6targetE1EEEvSK_
	.globl	_ZN7rocprim17ROCPRIM_400000_NS6detail17trampoline_kernelINS0_14default_configENS1_22reduce_config_selectorIsEEZNS1_11reduce_implILb1ES3_N6thrust23THRUST_200600_302600_NS6detail15normal_iteratorINS8_10device_ptrIsEEEEPssNS8_4plusIsEEEE10hipError_tPvRmT1_T2_T3_mT4_P12ihipStream_tbEUlT_E0_NS1_11comp_targetILNS1_3genE8ELNS1_11target_archE1030ELNS1_3gpuE2ELNS1_3repE0EEENS1_30default_config_static_selectorELNS0_4arch9wavefront6targetE1EEEvSK_
	.p2align	8
	.type	_ZN7rocprim17ROCPRIM_400000_NS6detail17trampoline_kernelINS0_14default_configENS1_22reduce_config_selectorIsEEZNS1_11reduce_implILb1ES3_N6thrust23THRUST_200600_302600_NS6detail15normal_iteratorINS8_10device_ptrIsEEEEPssNS8_4plusIsEEEE10hipError_tPvRmT1_T2_T3_mT4_P12ihipStream_tbEUlT_E0_NS1_11comp_targetILNS1_3genE8ELNS1_11target_archE1030ELNS1_3gpuE2ELNS1_3repE0EEENS1_30default_config_static_selectorELNS0_4arch9wavefront6targetE1EEEvSK_,@function
_ZN7rocprim17ROCPRIM_400000_NS6detail17trampoline_kernelINS0_14default_configENS1_22reduce_config_selectorIsEEZNS1_11reduce_implILb1ES3_N6thrust23THRUST_200600_302600_NS6detail15normal_iteratorINS8_10device_ptrIsEEEEPssNS8_4plusIsEEEE10hipError_tPvRmT1_T2_T3_mT4_P12ihipStream_tbEUlT_E0_NS1_11comp_targetILNS1_3genE8ELNS1_11target_archE1030ELNS1_3gpuE2ELNS1_3repE0EEENS1_30default_config_static_selectorELNS0_4arch9wavefront6targetE1EEEvSK_: ; @_ZN7rocprim17ROCPRIM_400000_NS6detail17trampoline_kernelINS0_14default_configENS1_22reduce_config_selectorIsEEZNS1_11reduce_implILb1ES3_N6thrust23THRUST_200600_302600_NS6detail15normal_iteratorINS8_10device_ptrIsEEEEPssNS8_4plusIsEEEE10hipError_tPvRmT1_T2_T3_mT4_P12ihipStream_tbEUlT_E0_NS1_11comp_targetILNS1_3genE8ELNS1_11target_archE1030ELNS1_3gpuE2ELNS1_3repE0EEENS1_30default_config_static_selectorELNS0_4arch9wavefront6targetE1EEEvSK_
; %bb.0:
	.section	.rodata,"a",@progbits
	.p2align	6, 0x0
	.amdhsa_kernel _ZN7rocprim17ROCPRIM_400000_NS6detail17trampoline_kernelINS0_14default_configENS1_22reduce_config_selectorIsEEZNS1_11reduce_implILb1ES3_N6thrust23THRUST_200600_302600_NS6detail15normal_iteratorINS8_10device_ptrIsEEEEPssNS8_4plusIsEEEE10hipError_tPvRmT1_T2_T3_mT4_P12ihipStream_tbEUlT_E0_NS1_11comp_targetILNS1_3genE8ELNS1_11target_archE1030ELNS1_3gpuE2ELNS1_3repE0EEENS1_30default_config_static_selectorELNS0_4arch9wavefront6targetE1EEEvSK_
		.amdhsa_group_segment_fixed_size 0
		.amdhsa_private_segment_fixed_size 0
		.amdhsa_kernarg_size 56
		.amdhsa_user_sgpr_count 2
		.amdhsa_user_sgpr_dispatch_ptr 0
		.amdhsa_user_sgpr_queue_ptr 0
		.amdhsa_user_sgpr_kernarg_segment_ptr 1
		.amdhsa_user_sgpr_dispatch_id 0
		.amdhsa_user_sgpr_kernarg_preload_length 0
		.amdhsa_user_sgpr_kernarg_preload_offset 0
		.amdhsa_user_sgpr_private_segment_size 0
		.amdhsa_uses_dynamic_stack 0
		.amdhsa_enable_private_segment 0
		.amdhsa_system_sgpr_workgroup_id_x 1
		.amdhsa_system_sgpr_workgroup_id_y 0
		.amdhsa_system_sgpr_workgroup_id_z 0
		.amdhsa_system_sgpr_workgroup_info 0
		.amdhsa_system_vgpr_workitem_id 0
		.amdhsa_next_free_vgpr 1
		.amdhsa_next_free_sgpr 0
		.amdhsa_accum_offset 4
		.amdhsa_reserve_vcc 0
		.amdhsa_float_round_mode_32 0
		.amdhsa_float_round_mode_16_64 0
		.amdhsa_float_denorm_mode_32 3
		.amdhsa_float_denorm_mode_16_64 3
		.amdhsa_dx10_clamp 1
		.amdhsa_ieee_mode 1
		.amdhsa_fp16_overflow 0
		.amdhsa_tg_split 0
		.amdhsa_exception_fp_ieee_invalid_op 0
		.amdhsa_exception_fp_denorm_src 0
		.amdhsa_exception_fp_ieee_div_zero 0
		.amdhsa_exception_fp_ieee_overflow 0
		.amdhsa_exception_fp_ieee_underflow 0
		.amdhsa_exception_fp_ieee_inexact 0
		.amdhsa_exception_int_div_zero 0
	.end_amdhsa_kernel
	.section	.text._ZN7rocprim17ROCPRIM_400000_NS6detail17trampoline_kernelINS0_14default_configENS1_22reduce_config_selectorIsEEZNS1_11reduce_implILb1ES3_N6thrust23THRUST_200600_302600_NS6detail15normal_iteratorINS8_10device_ptrIsEEEEPssNS8_4plusIsEEEE10hipError_tPvRmT1_T2_T3_mT4_P12ihipStream_tbEUlT_E0_NS1_11comp_targetILNS1_3genE8ELNS1_11target_archE1030ELNS1_3gpuE2ELNS1_3repE0EEENS1_30default_config_static_selectorELNS0_4arch9wavefront6targetE1EEEvSK_,"axG",@progbits,_ZN7rocprim17ROCPRIM_400000_NS6detail17trampoline_kernelINS0_14default_configENS1_22reduce_config_selectorIsEEZNS1_11reduce_implILb1ES3_N6thrust23THRUST_200600_302600_NS6detail15normal_iteratorINS8_10device_ptrIsEEEEPssNS8_4plusIsEEEE10hipError_tPvRmT1_T2_T3_mT4_P12ihipStream_tbEUlT_E0_NS1_11comp_targetILNS1_3genE8ELNS1_11target_archE1030ELNS1_3gpuE2ELNS1_3repE0EEENS1_30default_config_static_selectorELNS0_4arch9wavefront6targetE1EEEvSK_,comdat
.Lfunc_end287:
	.size	_ZN7rocprim17ROCPRIM_400000_NS6detail17trampoline_kernelINS0_14default_configENS1_22reduce_config_selectorIsEEZNS1_11reduce_implILb1ES3_N6thrust23THRUST_200600_302600_NS6detail15normal_iteratorINS8_10device_ptrIsEEEEPssNS8_4plusIsEEEE10hipError_tPvRmT1_T2_T3_mT4_P12ihipStream_tbEUlT_E0_NS1_11comp_targetILNS1_3genE8ELNS1_11target_archE1030ELNS1_3gpuE2ELNS1_3repE0EEENS1_30default_config_static_selectorELNS0_4arch9wavefront6targetE1EEEvSK_, .Lfunc_end287-_ZN7rocprim17ROCPRIM_400000_NS6detail17trampoline_kernelINS0_14default_configENS1_22reduce_config_selectorIsEEZNS1_11reduce_implILb1ES3_N6thrust23THRUST_200600_302600_NS6detail15normal_iteratorINS8_10device_ptrIsEEEEPssNS8_4plusIsEEEE10hipError_tPvRmT1_T2_T3_mT4_P12ihipStream_tbEUlT_E0_NS1_11comp_targetILNS1_3genE8ELNS1_11target_archE1030ELNS1_3gpuE2ELNS1_3repE0EEENS1_30default_config_static_selectorELNS0_4arch9wavefront6targetE1EEEvSK_
                                        ; -- End function
	.set _ZN7rocprim17ROCPRIM_400000_NS6detail17trampoline_kernelINS0_14default_configENS1_22reduce_config_selectorIsEEZNS1_11reduce_implILb1ES3_N6thrust23THRUST_200600_302600_NS6detail15normal_iteratorINS8_10device_ptrIsEEEEPssNS8_4plusIsEEEE10hipError_tPvRmT1_T2_T3_mT4_P12ihipStream_tbEUlT_E0_NS1_11comp_targetILNS1_3genE8ELNS1_11target_archE1030ELNS1_3gpuE2ELNS1_3repE0EEENS1_30default_config_static_selectorELNS0_4arch9wavefront6targetE1EEEvSK_.num_vgpr, 0
	.set _ZN7rocprim17ROCPRIM_400000_NS6detail17trampoline_kernelINS0_14default_configENS1_22reduce_config_selectorIsEEZNS1_11reduce_implILb1ES3_N6thrust23THRUST_200600_302600_NS6detail15normal_iteratorINS8_10device_ptrIsEEEEPssNS8_4plusIsEEEE10hipError_tPvRmT1_T2_T3_mT4_P12ihipStream_tbEUlT_E0_NS1_11comp_targetILNS1_3genE8ELNS1_11target_archE1030ELNS1_3gpuE2ELNS1_3repE0EEENS1_30default_config_static_selectorELNS0_4arch9wavefront6targetE1EEEvSK_.num_agpr, 0
	.set _ZN7rocprim17ROCPRIM_400000_NS6detail17trampoline_kernelINS0_14default_configENS1_22reduce_config_selectorIsEEZNS1_11reduce_implILb1ES3_N6thrust23THRUST_200600_302600_NS6detail15normal_iteratorINS8_10device_ptrIsEEEEPssNS8_4plusIsEEEE10hipError_tPvRmT1_T2_T3_mT4_P12ihipStream_tbEUlT_E0_NS1_11comp_targetILNS1_3genE8ELNS1_11target_archE1030ELNS1_3gpuE2ELNS1_3repE0EEENS1_30default_config_static_selectorELNS0_4arch9wavefront6targetE1EEEvSK_.numbered_sgpr, 0
	.set _ZN7rocprim17ROCPRIM_400000_NS6detail17trampoline_kernelINS0_14default_configENS1_22reduce_config_selectorIsEEZNS1_11reduce_implILb1ES3_N6thrust23THRUST_200600_302600_NS6detail15normal_iteratorINS8_10device_ptrIsEEEEPssNS8_4plusIsEEEE10hipError_tPvRmT1_T2_T3_mT4_P12ihipStream_tbEUlT_E0_NS1_11comp_targetILNS1_3genE8ELNS1_11target_archE1030ELNS1_3gpuE2ELNS1_3repE0EEENS1_30default_config_static_selectorELNS0_4arch9wavefront6targetE1EEEvSK_.num_named_barrier, 0
	.set _ZN7rocprim17ROCPRIM_400000_NS6detail17trampoline_kernelINS0_14default_configENS1_22reduce_config_selectorIsEEZNS1_11reduce_implILb1ES3_N6thrust23THRUST_200600_302600_NS6detail15normal_iteratorINS8_10device_ptrIsEEEEPssNS8_4plusIsEEEE10hipError_tPvRmT1_T2_T3_mT4_P12ihipStream_tbEUlT_E0_NS1_11comp_targetILNS1_3genE8ELNS1_11target_archE1030ELNS1_3gpuE2ELNS1_3repE0EEENS1_30default_config_static_selectorELNS0_4arch9wavefront6targetE1EEEvSK_.private_seg_size, 0
	.set _ZN7rocprim17ROCPRIM_400000_NS6detail17trampoline_kernelINS0_14default_configENS1_22reduce_config_selectorIsEEZNS1_11reduce_implILb1ES3_N6thrust23THRUST_200600_302600_NS6detail15normal_iteratorINS8_10device_ptrIsEEEEPssNS8_4plusIsEEEE10hipError_tPvRmT1_T2_T3_mT4_P12ihipStream_tbEUlT_E0_NS1_11comp_targetILNS1_3genE8ELNS1_11target_archE1030ELNS1_3gpuE2ELNS1_3repE0EEENS1_30default_config_static_selectorELNS0_4arch9wavefront6targetE1EEEvSK_.uses_vcc, 0
	.set _ZN7rocprim17ROCPRIM_400000_NS6detail17trampoline_kernelINS0_14default_configENS1_22reduce_config_selectorIsEEZNS1_11reduce_implILb1ES3_N6thrust23THRUST_200600_302600_NS6detail15normal_iteratorINS8_10device_ptrIsEEEEPssNS8_4plusIsEEEE10hipError_tPvRmT1_T2_T3_mT4_P12ihipStream_tbEUlT_E0_NS1_11comp_targetILNS1_3genE8ELNS1_11target_archE1030ELNS1_3gpuE2ELNS1_3repE0EEENS1_30default_config_static_selectorELNS0_4arch9wavefront6targetE1EEEvSK_.uses_flat_scratch, 0
	.set _ZN7rocprim17ROCPRIM_400000_NS6detail17trampoline_kernelINS0_14default_configENS1_22reduce_config_selectorIsEEZNS1_11reduce_implILb1ES3_N6thrust23THRUST_200600_302600_NS6detail15normal_iteratorINS8_10device_ptrIsEEEEPssNS8_4plusIsEEEE10hipError_tPvRmT1_T2_T3_mT4_P12ihipStream_tbEUlT_E0_NS1_11comp_targetILNS1_3genE8ELNS1_11target_archE1030ELNS1_3gpuE2ELNS1_3repE0EEENS1_30default_config_static_selectorELNS0_4arch9wavefront6targetE1EEEvSK_.has_dyn_sized_stack, 0
	.set _ZN7rocprim17ROCPRIM_400000_NS6detail17trampoline_kernelINS0_14default_configENS1_22reduce_config_selectorIsEEZNS1_11reduce_implILb1ES3_N6thrust23THRUST_200600_302600_NS6detail15normal_iteratorINS8_10device_ptrIsEEEEPssNS8_4plusIsEEEE10hipError_tPvRmT1_T2_T3_mT4_P12ihipStream_tbEUlT_E0_NS1_11comp_targetILNS1_3genE8ELNS1_11target_archE1030ELNS1_3gpuE2ELNS1_3repE0EEENS1_30default_config_static_selectorELNS0_4arch9wavefront6targetE1EEEvSK_.has_recursion, 0
	.set _ZN7rocprim17ROCPRIM_400000_NS6detail17trampoline_kernelINS0_14default_configENS1_22reduce_config_selectorIsEEZNS1_11reduce_implILb1ES3_N6thrust23THRUST_200600_302600_NS6detail15normal_iteratorINS8_10device_ptrIsEEEEPssNS8_4plusIsEEEE10hipError_tPvRmT1_T2_T3_mT4_P12ihipStream_tbEUlT_E0_NS1_11comp_targetILNS1_3genE8ELNS1_11target_archE1030ELNS1_3gpuE2ELNS1_3repE0EEENS1_30default_config_static_selectorELNS0_4arch9wavefront6targetE1EEEvSK_.has_indirect_call, 0
	.section	.AMDGPU.csdata,"",@progbits
; Kernel info:
; codeLenInByte = 0
; TotalNumSgprs: 6
; NumVgprs: 0
; NumAgprs: 0
; TotalNumVgprs: 0
; ScratchSize: 0
; MemoryBound: 0
; FloatMode: 240
; IeeeMode: 1
; LDSByteSize: 0 bytes/workgroup (compile time only)
; SGPRBlocks: 0
; VGPRBlocks: 0
; NumSGPRsForWavesPerEU: 6
; NumVGPRsForWavesPerEU: 1
; AccumOffset: 4
; Occupancy: 8
; WaveLimiterHint : 0
; COMPUTE_PGM_RSRC2:SCRATCH_EN: 0
; COMPUTE_PGM_RSRC2:USER_SGPR: 2
; COMPUTE_PGM_RSRC2:TRAP_HANDLER: 0
; COMPUTE_PGM_RSRC2:TGID_X_EN: 1
; COMPUTE_PGM_RSRC2:TGID_Y_EN: 0
; COMPUTE_PGM_RSRC2:TGID_Z_EN: 0
; COMPUTE_PGM_RSRC2:TIDIG_COMP_CNT: 0
; COMPUTE_PGM_RSRC3_GFX90A:ACCUM_OFFSET: 0
; COMPUTE_PGM_RSRC3_GFX90A:TG_SPLIT: 0
	.section	.text._ZN7rocprim17ROCPRIM_400000_NS6detail17trampoline_kernelINS0_14default_configENS1_22reduce_config_selectorIsEEZNS1_11reduce_implILb1ES3_N6thrust23THRUST_200600_302600_NS6detail15normal_iteratorINS8_10device_ptrIsEEEEPssNS8_4plusIsEEEE10hipError_tPvRmT1_T2_T3_mT4_P12ihipStream_tbEUlT_E1_NS1_11comp_targetILNS1_3genE0ELNS1_11target_archE4294967295ELNS1_3gpuE0ELNS1_3repE0EEENS1_30default_config_static_selectorELNS0_4arch9wavefront6targetE1EEEvSK_,"axG",@progbits,_ZN7rocprim17ROCPRIM_400000_NS6detail17trampoline_kernelINS0_14default_configENS1_22reduce_config_selectorIsEEZNS1_11reduce_implILb1ES3_N6thrust23THRUST_200600_302600_NS6detail15normal_iteratorINS8_10device_ptrIsEEEEPssNS8_4plusIsEEEE10hipError_tPvRmT1_T2_T3_mT4_P12ihipStream_tbEUlT_E1_NS1_11comp_targetILNS1_3genE0ELNS1_11target_archE4294967295ELNS1_3gpuE0ELNS1_3repE0EEENS1_30default_config_static_selectorELNS0_4arch9wavefront6targetE1EEEvSK_,comdat
	.protected	_ZN7rocprim17ROCPRIM_400000_NS6detail17trampoline_kernelINS0_14default_configENS1_22reduce_config_selectorIsEEZNS1_11reduce_implILb1ES3_N6thrust23THRUST_200600_302600_NS6detail15normal_iteratorINS8_10device_ptrIsEEEEPssNS8_4plusIsEEEE10hipError_tPvRmT1_T2_T3_mT4_P12ihipStream_tbEUlT_E1_NS1_11comp_targetILNS1_3genE0ELNS1_11target_archE4294967295ELNS1_3gpuE0ELNS1_3repE0EEENS1_30default_config_static_selectorELNS0_4arch9wavefront6targetE1EEEvSK_ ; -- Begin function _ZN7rocprim17ROCPRIM_400000_NS6detail17trampoline_kernelINS0_14default_configENS1_22reduce_config_selectorIsEEZNS1_11reduce_implILb1ES3_N6thrust23THRUST_200600_302600_NS6detail15normal_iteratorINS8_10device_ptrIsEEEEPssNS8_4plusIsEEEE10hipError_tPvRmT1_T2_T3_mT4_P12ihipStream_tbEUlT_E1_NS1_11comp_targetILNS1_3genE0ELNS1_11target_archE4294967295ELNS1_3gpuE0ELNS1_3repE0EEENS1_30default_config_static_selectorELNS0_4arch9wavefront6targetE1EEEvSK_
	.globl	_ZN7rocprim17ROCPRIM_400000_NS6detail17trampoline_kernelINS0_14default_configENS1_22reduce_config_selectorIsEEZNS1_11reduce_implILb1ES3_N6thrust23THRUST_200600_302600_NS6detail15normal_iteratorINS8_10device_ptrIsEEEEPssNS8_4plusIsEEEE10hipError_tPvRmT1_T2_T3_mT4_P12ihipStream_tbEUlT_E1_NS1_11comp_targetILNS1_3genE0ELNS1_11target_archE4294967295ELNS1_3gpuE0ELNS1_3repE0EEENS1_30default_config_static_selectorELNS0_4arch9wavefront6targetE1EEEvSK_
	.p2align	8
	.type	_ZN7rocprim17ROCPRIM_400000_NS6detail17trampoline_kernelINS0_14default_configENS1_22reduce_config_selectorIsEEZNS1_11reduce_implILb1ES3_N6thrust23THRUST_200600_302600_NS6detail15normal_iteratorINS8_10device_ptrIsEEEEPssNS8_4plusIsEEEE10hipError_tPvRmT1_T2_T3_mT4_P12ihipStream_tbEUlT_E1_NS1_11comp_targetILNS1_3genE0ELNS1_11target_archE4294967295ELNS1_3gpuE0ELNS1_3repE0EEENS1_30default_config_static_selectorELNS0_4arch9wavefront6targetE1EEEvSK_,@function
_ZN7rocprim17ROCPRIM_400000_NS6detail17trampoline_kernelINS0_14default_configENS1_22reduce_config_selectorIsEEZNS1_11reduce_implILb1ES3_N6thrust23THRUST_200600_302600_NS6detail15normal_iteratorINS8_10device_ptrIsEEEEPssNS8_4plusIsEEEE10hipError_tPvRmT1_T2_T3_mT4_P12ihipStream_tbEUlT_E1_NS1_11comp_targetILNS1_3genE0ELNS1_11target_archE4294967295ELNS1_3gpuE0ELNS1_3repE0EEENS1_30default_config_static_selectorELNS0_4arch9wavefront6targetE1EEEvSK_: ; @_ZN7rocprim17ROCPRIM_400000_NS6detail17trampoline_kernelINS0_14default_configENS1_22reduce_config_selectorIsEEZNS1_11reduce_implILb1ES3_N6thrust23THRUST_200600_302600_NS6detail15normal_iteratorINS8_10device_ptrIsEEEEPssNS8_4plusIsEEEE10hipError_tPvRmT1_T2_T3_mT4_P12ihipStream_tbEUlT_E1_NS1_11comp_targetILNS1_3genE0ELNS1_11target_archE4294967295ELNS1_3gpuE0ELNS1_3repE0EEENS1_30default_config_static_selectorELNS0_4arch9wavefront6targetE1EEEvSK_
; %bb.0:
	s_load_dword s33, s[0:1], 0x4
	s_load_dwordx4 s[68:71], s[0:1], 0x8
	s_waitcnt lgkmcnt(0)
	s_cmp_lt_i32 s33, 8
	s_cbranch_scc1 .LBB288_12
; %bb.1:
	s_cmp_gt_i32 s33, 31
	s_cbranch_scc0 .LBB288_13
; %bb.2:
	s_cmp_gt_i32 s33, 63
	s_cbranch_scc0 .LBB288_22
; %bb.3:
	s_cmp_eq_u32 s33, 64
	s_mov_b64 s[40:41], 0
	s_cbranch_scc0 .LBB288_23
; %bb.4:
	s_mov_b32 s3, 0
	s_lshl_b32 s4, s2, 13
	s_mov_b32 s5, s3
	s_lshr_b64 s[6:7], s[70:71], 13
	s_lshl_b64 s[8:9], s[4:5], 1
	s_add_u32 s42, s68, s8
	s_addc_u32 s43, s69, s9
	s_cmp_lg_u64 s[6:7], s[2:3]
	s_cbranch_scc0 .LBB288_34
; %bb.5:
	v_lshlrev_b32_e32 v2, 1, v0
	global_load_ushort v1, v2, s[42:43]
	global_load_ushort v10, v2, s[42:43] offset:256
	global_load_ushort v11, v2, s[42:43] offset:512
	;; [unrolled: 1-line block ×8, first 2 shown]
	v_mov_b32_e32 v3, 0
	v_lshl_add_u64 v[4:5], s[42:43], 0, v[2:3]
	s_movk_i32 s5, 0x1000
	v_add_co_u32_e32 v6, vcc, s5, v4
	s_movk_i32 s5, 0x2000
	s_nop 0
	v_addc_co_u32_e32 v7, vcc, 0, v5, vcc
	v_add_co_u32_e32 v8, vcc, s5, v4
	s_movk_i32 s5, 0x3000
	s_nop 0
	v_addc_co_u32_e32 v9, vcc, 0, v5, vcc
	global_load_ushort v18, v2, s[42:43] offset:2304
	global_load_ushort v19, v2, s[42:43] offset:2560
	;; [unrolled: 1-line block ×7, first 2 shown]
	global_load_ushort v25, v[8:9], off offset:-4096
	global_load_ushort v26, v[6:7], off offset:256
	global_load_ushort v27, v[6:7], off offset:512
	;; [unrolled: 1-line block ×7, first 2 shown]
                                        ; kill: killed $vgpr2
	global_load_ushort v33, v[6:7], off offset:2048
	global_load_ushort v34, v[6:7], off offset:2304
	;; [unrolled: 1-line block ×8, first 2 shown]
	global_load_ushort v41, v[8:9], off
	global_load_ushort v42, v[8:9], off offset:256
	global_load_ushort v43, v[8:9], off offset:512
	;; [unrolled: 1-line block ×6, first 2 shown]
                                        ; kill: killed $vgpr6 killed $vgpr7
	global_load_ushort v6, v[8:9], off offset:1792
	global_load_ushort v7, v[8:9], off offset:2048
	;; [unrolled: 1-line block ×9, first 2 shown]
	v_add_co_u32_e32 v2, vcc, s5, v4
	s_waitcnt vmcnt(46)
	v_add_u16_e32 v1, v10, v1
	v_addc_co_u32_e32 v3, vcc, 0, v5, vcc
	global_load_ushort v4, v[2:3], off
	global_load_ushort v5, v[2:3], off offset:256
	global_load_ushort v8, v[2:3], off offset:512
	global_load_ushort v9, v[2:3], off offset:768
	global_load_ushort v55, v[2:3], off offset:1024
	global_load_ushort v56, v[2:3], off offset:1280
	global_load_ushort v57, v[2:3], off offset:1536
	global_load_ushort v58, v[2:3], off offset:1792
	global_load_ushort v59, v[2:3], off offset:2048
	global_load_ushort v60, v[2:3], off offset:2304
	global_load_ushort v61, v[2:3], off offset:2560
	global_load_ushort v62, v[2:3], off offset:2816
	global_load_ushort v63, v[2:3], off offset:3072
	global_load_ushort v64, v[2:3], off offset:3328
	global_load_ushort v65, v[2:3], off offset:3584
	s_nop 0
	global_load_ushort v2, v[2:3], off offset:3840
	s_waitcnt vmcnt(61)
	v_add_u16_e32 v1, v1, v11
	s_waitcnt vmcnt(60)
	v_add_u16_e32 v1, v1, v12
	;; [unrolled: 2-line block ×62, first 2 shown]
	v_mbcnt_lo_u32_b32 v2, -1, 0
	v_mbcnt_hi_u32_b32 v2, -1, v2
	v_add_u16_dpp v1, v1, v1 quad_perm:[1,0,3,2] row_mask:0xf bank_mask:0xf bound_ctrl:1
	v_lshlrev_b32_e32 v3, 2, v2
	v_or_b32_e32 v4, 0xfc, v3
	v_add_u16_dpp v1, v1, v1 quad_perm:[2,3,0,1] row_mask:0xf bank_mask:0xf bound_ctrl:1
	v_cmp_eq_u32_e32 vcc, 0, v2
	s_nop 0
	v_add_u16_dpp v1, v1, v1 row_ror:4 row_mask:0xf bank_mask:0xf bound_ctrl:1
	s_nop 1
	v_add_u16_dpp v1, v1, v1 row_ror:8 row_mask:0xf bank_mask:0xf bound_ctrl:1
	s_nop 1
	v_add_u16_dpp v1, v1, v1 row_bcast:15 row_mask:0xf bank_mask:0xf bound_ctrl:1
	s_nop 1
	v_add_u16_dpp v1, v1, v1 row_bcast:31 row_mask:0xf bank_mask:0xf bound_ctrl:1
	ds_bpermute_b32 v1, v4, v1
	s_and_saveexec_b64 s[6:7], vcc
	s_cbranch_execz .LBB288_7
; %bb.6:
	v_lshrrev_b32_e32 v4, 5, v0
	v_and_b32_e32 v4, 2, v4
	s_waitcnt lgkmcnt(0)
	ds_write_b16 v4, v1 offset:20
.LBB288_7:
	s_or_b64 exec, exec, s[6:7]
	v_cmp_gt_u32_e32 vcc, 64, v0
	s_waitcnt lgkmcnt(0)
	s_barrier
	s_and_saveexec_b64 s[6:7], vcc
	s_cbranch_execz .LBB288_9
; %bb.8:
	v_and_b32_e32 v1, 1, v2
	v_lshlrev_b32_e32 v1, 1, v1
	ds_read_u16 v1, v1 offset:20
	v_or_b32_e32 v2, 4, v3
	s_waitcnt lgkmcnt(0)
	v_and_b32_e32 v3, 0xffff, v1
	ds_bpermute_b32 v2, v2, v3
	s_waitcnt lgkmcnt(0)
	v_add_u16_e32 v1, v1, v2
.LBB288_9:
	s_or_b64 exec, exec, s[6:7]
.LBB288_10:
	v_cmp_eq_u32_e64 s[4:5], 0, v0
	s_and_b64 vcc, exec, s[40:41]
	s_cbranch_vccnz .LBB288_24
.LBB288_11:
	s_branch .LBB288_288
.LBB288_12:
	s_mov_b64 s[4:5], 0
                                        ; implicit-def: $vgpr1
	s_cbranch_execz .LBB288_371
	s_branch .LBB288_289
.LBB288_13:
	s_mov_b64 s[4:5], 0
                                        ; implicit-def: $vgpr1
	s_cbranch_execz .LBB288_288
; %bb.14:
	s_cmp_gt_i32 s33, 15
	s_cbranch_scc0 .LBB288_31
; %bb.15:
	s_cmp_eq_u32 s33, 16
	s_cbranch_scc0 .LBB288_32
; %bb.16:
	s_mov_b32 s3, 0
	s_lshl_b32 s4, s2, 11
	s_mov_b32 s5, s3
	s_lshr_b64 s[6:7], s[70:71], 11
	s_lshl_b64 s[8:9], s[4:5], 1
	s_add_u32 s34, s68, s8
	s_addc_u32 s35, s69, s9
	s_cmp_lg_u64 s[6:7], s[2:3]
	s_cbranch_scc0 .LBB288_168
; %bb.17:
	v_lshlrev_b32_e32 v1, 1, v0
	global_load_ushort v4, v1, s[34:35]
	global_load_ushort v5, v1, s[34:35] offset:256
	global_load_ushort v6, v1, s[34:35] offset:512
	;; [unrolled: 1-line block ×14, first 2 shown]
	s_nop 0
	global_load_ushort v1, v1, s[34:35] offset:3840
	v_mbcnt_lo_u32_b32 v2, -1, 0
	v_mbcnt_hi_u32_b32 v2, -1, v2
	v_lshlrev_b32_e32 v3, 2, v2
	v_cmp_eq_u32_e32 vcc, 0, v2
	s_waitcnt vmcnt(14)
	v_add_u16_e32 v4, v5, v4
	s_waitcnt vmcnt(13)
	v_add_u16_e32 v4, v4, v6
	s_waitcnt vmcnt(12)
	v_add_u16_e32 v4, v4, v7
	s_waitcnt vmcnt(11)
	v_add_u16_e32 v4, v4, v8
	s_waitcnt vmcnt(10)
	v_add_u16_e32 v4, v4, v9
	s_waitcnt vmcnt(9)
	v_add_u16_e32 v4, v4, v10
	s_waitcnt vmcnt(8)
	v_add_u16_e32 v4, v4, v11
	s_waitcnt vmcnt(7)
	v_add_u16_e32 v4, v4, v12
	s_waitcnt vmcnt(6)
	v_add_u16_e32 v4, v4, v13
	s_waitcnt vmcnt(5)
	v_add_u16_e32 v4, v4, v14
	s_waitcnt vmcnt(4)
	v_add_u16_e32 v4, v4, v15
	s_waitcnt vmcnt(3)
	v_add_u16_e32 v4, v4, v16
	s_waitcnt vmcnt(2)
	v_add_u16_e32 v4, v4, v17
	s_waitcnt vmcnt(1)
	v_add_u16_e32 v4, v4, v18
	s_waitcnt vmcnt(0)
	v_add_u16_e32 v1, v4, v1
	v_or_b32_e32 v4, 0xfc, v3
	s_nop 0
	v_add_u16_dpp v1, v1, v1 quad_perm:[1,0,3,2] row_mask:0xf bank_mask:0xf bound_ctrl:1
	s_nop 1
	v_add_u16_dpp v1, v1, v1 quad_perm:[2,3,0,1] row_mask:0xf bank_mask:0xf bound_ctrl:1
	s_nop 1
	v_add_u16_dpp v1, v1, v1 row_ror:4 row_mask:0xf bank_mask:0xf bound_ctrl:1
	s_nop 1
	v_add_u16_dpp v1, v1, v1 row_ror:8 row_mask:0xf bank_mask:0xf bound_ctrl:1
	s_nop 1
	v_add_u16_dpp v1, v1, v1 row_bcast:15 row_mask:0xf bank_mask:0xf bound_ctrl:1
	s_nop 1
	v_add_u16_dpp v1, v1, v1 row_bcast:31 row_mask:0xf bank_mask:0xf bound_ctrl:1
	ds_bpermute_b32 v1, v4, v1
	s_and_saveexec_b64 s[6:7], vcc
	s_cbranch_execz .LBB288_19
; %bb.18:
	v_lshrrev_b32_e32 v4, 5, v0
	v_and_b32_e32 v4, 2, v4
	s_waitcnt lgkmcnt(0)
	ds_write_b16 v4, v1
.LBB288_19:
	s_or_b64 exec, exec, s[6:7]
	v_cmp_gt_u32_e32 vcc, 64, v0
	s_waitcnt lgkmcnt(0)
	s_barrier
	s_and_saveexec_b64 s[6:7], vcc
	s_cbranch_execz .LBB288_21
; %bb.20:
	v_and_b32_e32 v1, 1, v2
	v_lshlrev_b32_e32 v1, 1, v1
	ds_read_u16 v1, v1
	v_or_b32_e32 v2, 4, v3
	s_waitcnt lgkmcnt(0)
	v_and_b32_e32 v3, 0xffff, v1
	ds_bpermute_b32 v2, v2, v3
	s_waitcnt lgkmcnt(0)
	v_add_u16_e32 v1, v1, v2
.LBB288_21:
	s_or_b64 exec, exec, s[6:7]
	s_mov_b64 s[6:7], 0
	s_branch .LBB288_169
.LBB288_22:
	s_mov_b64 s[40:41], -1
.LBB288_23:
	s_mov_b64 s[4:5], 0
                                        ; implicit-def: $vgpr1
	s_and_b64 vcc, exec, s[40:41]
	s_cbranch_vccz .LBB288_11
.LBB288_24:
	s_cmp_eq_u32 s33, 32
	s_cbranch_scc0 .LBB288_33
; %bb.25:
	s_mov_b32 s3, 0
	s_lshl_b32 s4, s2, 12
	s_mov_b32 s5, s3
	s_lshr_b64 s[6:7], s[70:71], 12
	s_lshl_b64 s[8:9], s[4:5], 1
	s_add_u32 s66, s68, s8
	s_addc_u32 s67, s69, s9
	s_cmp_lg_u64 s[6:7], s[2:3]
	s_cbranch_scc0 .LBB288_216
; %bb.26:
	v_lshlrev_b32_e32 v2, 1, v0
	global_load_ushort v1, v2, s[66:67]
	global_load_ushort v6, v2, s[66:67] offset:256
	global_load_ushort v7, v2, s[66:67] offset:512
	;; [unrolled: 1-line block ×15, first 2 shown]
	v_mov_b32_e32 v3, 0
	v_lshl_add_u64 v[4:5], s[66:67], 0, v[2:3]
	s_movk_i32 s5, 0x1000
	v_add_co_u32_e32 v2, vcc, s5, v4
	s_waitcnt vmcnt(14)
	v_add_u16_e32 v1, v6, v1
	v_addc_co_u32_e32 v3, vcc, 0, v5, vcc
	global_load_ushort v4, v[2:3], off
	global_load_ushort v5, v[2:3], off offset:256
	global_load_ushort v21, v[2:3], off offset:512
	;; [unrolled: 1-line block ×15, first 2 shown]
	s_waitcnt vmcnt(29)
	v_add_u16_e32 v1, v1, v7
	s_waitcnt vmcnt(28)
	v_add_u16_e32 v1, v1, v8
	;; [unrolled: 2-line block ×14, first 2 shown]
	v_mbcnt_lo_u32_b32 v2, -1, 0
	v_mbcnt_hi_u32_b32 v2, -1, v2
	v_lshlrev_b32_e32 v3, 2, v2
	v_cmp_eq_u32_e32 vcc, 0, v2
	s_waitcnt vmcnt(15)
	v_add_u16_e32 v1, v1, v4
	s_waitcnt vmcnt(14)
	v_add_u16_e32 v1, v1, v5
	;; [unrolled: 2-line block ×16, first 2 shown]
	v_or_b32_e32 v4, 0xfc, v3
	s_nop 0
	v_add_u16_dpp v1, v1, v1 quad_perm:[1,0,3,2] row_mask:0xf bank_mask:0xf bound_ctrl:1
	s_nop 1
	v_add_u16_dpp v1, v1, v1 quad_perm:[2,3,0,1] row_mask:0xf bank_mask:0xf bound_ctrl:1
	s_nop 1
	v_add_u16_dpp v1, v1, v1 row_ror:4 row_mask:0xf bank_mask:0xf bound_ctrl:1
	s_nop 1
	v_add_u16_dpp v1, v1, v1 row_ror:8 row_mask:0xf bank_mask:0xf bound_ctrl:1
	s_nop 1
	v_add_u16_dpp v1, v1, v1 row_bcast:15 row_mask:0xf bank_mask:0xf bound_ctrl:1
	s_nop 1
	v_add_u16_dpp v1, v1, v1 row_bcast:31 row_mask:0xf bank_mask:0xf bound_ctrl:1
	ds_bpermute_b32 v1, v4, v1
	s_and_saveexec_b64 s[6:7], vcc
	s_cbranch_execz .LBB288_28
; %bb.27:
	v_lshrrev_b32_e32 v4, 5, v0
	v_and_b32_e32 v4, 2, v4
	s_waitcnt lgkmcnt(0)
	ds_write_b16 v4, v1 offset:12
.LBB288_28:
	s_or_b64 exec, exec, s[6:7]
	v_cmp_gt_u32_e32 vcc, 64, v0
	s_waitcnt lgkmcnt(0)
	s_barrier
	s_and_saveexec_b64 s[6:7], vcc
	s_cbranch_execz .LBB288_30
; %bb.29:
	v_and_b32_e32 v1, 1, v2
	v_lshlrev_b32_e32 v1, 1, v1
	ds_read_u16 v1, v1 offset:12
	v_or_b32_e32 v2, 4, v3
	s_waitcnt lgkmcnt(0)
	v_and_b32_e32 v3, 0xffff, v1
	ds_bpermute_b32 v2, v2, v3
	s_waitcnt lgkmcnt(0)
	v_add_u16_e32 v1, v1, v2
.LBB288_30:
	s_or_b64 exec, exec, s[6:7]
	s_mov_b64 s[6:7], 0
	s_branch .LBB288_217
.LBB288_31:
                                        ; implicit-def: $vgpr1
	s_cbranch_execz .LBB288_288
	s_branch .LBB288_208
.LBB288_32:
                                        ; implicit-def: $vgpr1
	s_branch .LBB288_288
.LBB288_33:
                                        ; implicit-def: $vgpr1
	s_branch .LBB288_288
.LBB288_34:
                                        ; implicit-def: $vgpr1
	s_cbranch_execz .LBB288_10
; %bb.35:
	s_sub_i32 s46, s70, s4
	s_mov_b32 s4, 0
	s_mov_b32 s18, s4
	;; [unrolled: 1-line block ×16, first 2 shown]
	v_mov_b64_e32 v[32:33], s[18:19]
	v_mov_b64_e32 v[18:19], s[4:5]
	;; [unrolled: 1-line block ×9, first 2 shown]
	v_cmp_gt_u32_e32 vcc, s46, v0
	v_mov_b64_e32 v[4:5], v[20:21]
	v_mov_b64_e32 v[6:7], v[22:23]
	;; [unrolled: 1-line block ×7, first 2 shown]
	s_and_saveexec_b64 s[4:5], vcc
	s_cbranch_execz .LBB288_37
; %bb.36:
	v_lshlrev_b32_e32 v1, 1, v0
	global_load_ushort v1, v1, s[42:43]
	v_mov_b32_e32 v19, 0
	v_mov_b32_e32 v20, v19
	;; [unrolled: 1-line block ×31, first 2 shown]
	s_waitcnt vmcnt(0)
	v_and_b32_e32 v18, 0xffff, v1
.LBB288_37:
	s_or_b64 exec, exec, s[4:5]
	v_or_b32_e32 v1, 0x80, v0
	v_cmp_gt_u32_e32 vcc, s46, v1
	s_and_saveexec_b64 s[4:5], vcc
	s_cbranch_execz .LBB288_39
; %bb.38:
	v_lshlrev_b32_e32 v1, 1, v0
	global_load_ushort v1, v1, s[42:43] offset:256
	s_mov_b32 s6, 0x5040100
	s_waitcnt vmcnt(0)
	v_perm_b32 v18, v1, v18, s6
.LBB288_39:
	s_or_b64 exec, exec, s[4:5]
	v_or_b32_e32 v1, 0x100, v0
	v_cmp_gt_u32_e64 s[6:7], s46, v1
	s_mov_b64 s[4:5], exec
                                        ; implicit-def: $vgpr66 : SGPR spill to VGPR lane
	s_nop 0
	v_writelane_b32 v66, s6, 0
	s_nop 1
	v_writelane_b32 v66, s7, 1
	s_and_b64 s[6:7], s[4:5], s[6:7]
	s_mov_b64 exec, s[6:7]
	s_cbranch_execz .LBB288_41
; %bb.40:
	v_lshlrev_b32_e32 v1, 1, v0
	global_load_ushort v1, v1, s[42:43] offset:512
	s_mov_b32 s6, 0xffff
	s_waitcnt vmcnt(0)
	v_bfi_b32 v19, s6, v1, v19
.LBB288_41:
	s_or_b64 exec, exec, s[4:5]
	v_or_b32_e32 v1, 0x180, v0
	v_cmp_gt_u32_e64 s[6:7], s46, v1
	s_mov_b64 s[4:5], exec
	s_nop 0
	v_writelane_b32 v66, s6, 2
	s_nop 1
	v_writelane_b32 v66, s7, 3
	s_and_b64 s[6:7], s[4:5], s[6:7]
	s_mov_b64 exec, s[6:7]
	s_cbranch_execz .LBB288_43
; %bb.42:
	v_lshlrev_b32_e32 v1, 1, v0
	global_load_ushort v1, v1, s[42:43] offset:768
	s_mov_b32 s6, 0x5040100
	s_waitcnt vmcnt(0)
	v_perm_b32 v19, v1, v19, s6
.LBB288_43:
	s_or_b64 exec, exec, s[4:5]
	v_or_b32_e32 v1, 0x200, v0
	v_cmp_gt_u32_e64 s[6:7], s46, v1
	s_mov_b64 s[4:5], exec
	s_nop 0
	v_writelane_b32 v66, s6, 4
	s_nop 1
	v_writelane_b32 v66, s7, 5
	s_and_b64 s[6:7], s[4:5], s[6:7]
	s_mov_b64 exec, s[6:7]
	s_cbranch_execz .LBB288_45
; %bb.44:
	v_lshlrev_b32_e32 v1, 1, v0
	global_load_ushort v1, v1, s[42:43] offset:1024
	s_mov_b32 s6, 0xffff
	s_waitcnt vmcnt(0)
	v_bfi_b32 v20, s6, v1, v20
.LBB288_45:
	s_or_b64 exec, exec, s[4:5]
	v_or_b32_e32 v1, 0x280, v0
	v_cmp_gt_u32_e64 s[6:7], s46, v1
	s_mov_b64 s[4:5], exec
	s_nop 0
	v_writelane_b32 v66, s6, 6
	s_nop 1
	v_writelane_b32 v66, s7, 7
	s_and_b64 s[6:7], s[4:5], s[6:7]
	s_mov_b64 exec, s[6:7]
	s_cbranch_execz .LBB288_47
; %bb.46:
	v_lshlrev_b32_e32 v1, 1, v0
	global_load_ushort v1, v1, s[42:43] offset:1280
	s_mov_b32 s6, 0x5040100
	s_waitcnt vmcnt(0)
	v_perm_b32 v20, v1, v20, s6
.LBB288_47:
	s_or_b64 exec, exec, s[4:5]
	v_or_b32_e32 v1, 0x300, v0
	v_cmp_gt_u32_e64 s[6:7], s46, v1
	s_mov_b64 s[4:5], exec
	;; [unrolled: 36-line block ×7, first 2 shown]
	s_nop 0
	v_writelane_b32 v66, s6, 28
	s_nop 1
	v_writelane_b32 v66, s7, 29
	s_and_b64 s[6:7], s[4:5], s[6:7]
	s_mov_b64 exec, s[6:7]
	s_cbranch_execz .LBB288_69
; %bb.68:
	v_lshlrev_b32_e32 v1, 1, v1
	global_load_ushort v1, v1, s[42:43]
	s_mov_b32 s6, 0xffff
	s_waitcnt vmcnt(0)
	v_bfi_b32 v26, s6, v1, v26
.LBB288_69:
	s_or_b64 exec, exec, s[4:5]
	v_or_b32_e32 v1, 0x880, v0
	v_cmp_gt_u32_e64 s[6:7], s46, v1
	s_mov_b64 s[4:5], exec
	s_nop 0
	v_writelane_b32 v66, s6, 30
	s_nop 1
	v_writelane_b32 v66, s7, 31
	s_and_b64 s[6:7], s[4:5], s[6:7]
	s_mov_b64 exec, s[6:7]
	s_cbranch_execz .LBB288_71
; %bb.70:
	v_lshlrev_b32_e32 v1, 1, v1
	global_load_ushort v1, v1, s[42:43]
	s_mov_b32 s6, 0x5040100
	s_waitcnt vmcnt(0)
	v_perm_b32 v26, v1, v26, s6
.LBB288_71:
	s_or_b64 exec, exec, s[4:5]
	v_or_b32_e32 v1, 0x900, v0
	v_cmp_gt_u32_e64 s[6:7], s46, v1
	s_mov_b64 s[4:5], exec
	s_nop 0
	v_writelane_b32 v66, s6, 32
	s_nop 1
	v_writelane_b32 v66, s7, 33
	s_and_b64 s[6:7], s[4:5], s[6:7]
	s_mov_b64 exec, s[6:7]
	s_cbranch_execz .LBB288_73
; %bb.72:
	v_lshlrev_b32_e32 v1, 1, v1
	global_load_ushort v1, v1, s[42:43]
	s_mov_b32 s6, 0xffff
	s_waitcnt vmcnt(0)
	v_bfi_b32 v27, s6, v1, v27
.LBB288_73:
	s_or_b64 exec, exec, s[4:5]
	v_or_b32_e32 v1, 0x980, v0
	v_cmp_gt_u32_e64 s[6:7], s46, v1
	s_mov_b64 s[4:5], exec
	s_nop 0
	v_writelane_b32 v66, s6, 34
	s_nop 1
	v_writelane_b32 v66, s7, 35
	s_and_b64 s[6:7], s[4:5], s[6:7]
	s_mov_b64 exec, s[6:7]
	s_cbranch_execz .LBB288_75
; %bb.74:
	v_lshlrev_b32_e32 v1, 1, v1
	global_load_ushort v1, v1, s[42:43]
	s_mov_b32 s6, 0x5040100
	s_waitcnt vmcnt(0)
	v_perm_b32 v27, v1, v27, s6
.LBB288_75:
	s_or_b64 exec, exec, s[4:5]
	v_or_b32_e32 v1, 0xa00, v0
	v_cmp_gt_u32_e64 s[6:7], s46, v1
	s_mov_b64 s[4:5], exec
	;; [unrolled: 36-line block ×3, first 2 shown]
	s_nop 0
	v_writelane_b32 v66, s6, 40
	s_nop 1
	v_writelane_b32 v66, s7, 41
	s_and_b64 s[6:7], s[4:5], s[6:7]
	s_mov_b64 exec, s[6:7]
	s_cbranch_execz .LBB288_81
; %bb.80:
	v_lshlrev_b32_e32 v1, 1, v1
	global_load_ushort v1, v1, s[42:43]
	s_mov_b32 s6, 0xffff
	s_waitcnt vmcnt(0)
	v_bfi_b32 v29, s6, v1, v29
.LBB288_81:
	s_or_b64 exec, exec, s[4:5]
	v_or_b32_e32 v1, 0xb80, v0
	v_cmp_gt_u32_e64 s[6:7], s46, v1
	s_mov_b64 s[4:5], exec
	s_nop 0
	v_writelane_b32 v66, s6, 42
	s_nop 1
	v_writelane_b32 v66, s7, 43
	s_and_b64 s[6:7], s[4:5], s[6:7]
	s_mov_b64 exec, s[6:7]
	s_cbranch_execz .LBB288_83
; %bb.82:
	v_lshlrev_b32_e32 v1, 1, v1
	global_load_ushort v1, v1, s[42:43]
	s_mov_b32 s6, 0x5040100
	s_waitcnt vmcnt(0)
	v_perm_b32 v29, v1, v29, s6
.LBB288_83:
	s_or_b64 exec, exec, s[4:5]
	v_or_b32_e32 v1, 0xc00, v0
	v_cmp_gt_u32_e64 s[50:51], s46, v1
	s_and_saveexec_b64 s[4:5], s[50:51]
	s_cbranch_execz .LBB288_85
; %bb.84:
	v_lshlrev_b32_e32 v1, 1, v1
	global_load_ushort v1, v1, s[42:43]
	s_mov_b32 s6, 0xffff
	s_waitcnt vmcnt(0)
	v_bfi_b32 v30, s6, v1, v30
.LBB288_85:
	s_or_b64 exec, exec, s[4:5]
	v_or_b32_e32 v1, 0xc80, v0
	v_cmp_gt_u32_e64 s[52:53], s46, v1
	s_and_saveexec_b64 s[4:5], s[52:53]
	s_cbranch_execz .LBB288_87
; %bb.86:
	v_lshlrev_b32_e32 v1, 1, v1
	global_load_ushort v1, v1, s[42:43]
	s_mov_b32 s6, 0x5040100
	s_waitcnt vmcnt(0)
	v_perm_b32 v30, v1, v30, s6
.LBB288_87:
	s_or_b64 exec, exec, s[4:5]
	v_or_b32_e32 v1, 0xd00, v0
	v_cmp_gt_u32_e64 s[54:55], s46, v1
	s_and_saveexec_b64 s[4:5], s[54:55]
	s_cbranch_execz .LBB288_89
; %bb.88:
	v_lshlrev_b32_e32 v1, 1, v1
	global_load_ushort v1, v1, s[42:43]
	s_mov_b32 s6, 0xffff
	s_waitcnt vmcnt(0)
	v_bfi_b32 v31, s6, v1, v31
.LBB288_89:
	s_or_b64 exec, exec, s[4:5]
	v_or_b32_e32 v1, 0xd80, v0
	v_cmp_gt_u32_e64 s[56:57], s46, v1
	s_and_saveexec_b64 s[4:5], s[56:57]
	;; [unrolled: 24-line block ×20, first 2 shown]
	s_cbranch_execz .LBB288_163
; %bb.162:
	v_lshlrev_b32_e32 v1, 1, v1
	global_load_ushort v1, v1, s[42:43]
	s_mov_b32 s42, 0x5040100
	s_waitcnt vmcnt(0)
	v_perm_b32 v17, v1, v17, s42
.LBB288_163:
	s_or_b64 exec, exec, s[44:45]
	v_readlane_b32 s42, v66, 0
	v_readlane_b32 s43, v66, 1
	v_mov_b32_e32 v1, 0
	v_cndmask_b32_sdwa v1, v1, v18, vcc dst_sel:DWORD dst_unused:UNUSED_PAD src0_sel:DWORD src1_sel:WORD_1
	v_cndmask_b32_e64 v34, 0, v19, s[42:43]
	v_readlane_b32 s42, v66, 2
	v_lshrrev_b32_e32 v19, 16, v19
	v_readlane_b32 s43, v66, 3
	v_add_u16_e32 v1, v1, v18
	v_add_u16_e32 v1, v1, v34
	v_cndmask_b32_e64 v19, 0, v19, s[42:43]
	v_readlane_b32 s42, v66, 4
	v_readlane_b32 s43, v66, 5
	v_add_u16_e32 v1, v1, v19
	s_nop 0
	v_cndmask_b32_e64 v35, 0, v20, s[42:43]
	v_readlane_b32 s42, v66, 6
	v_lshrrev_b32_e32 v20, 16, v20
	v_readlane_b32 s43, v66, 7
	v_add_u16_e32 v1, v1, v35
	s_nop 0
	v_cndmask_b32_e64 v20, 0, v20, s[42:43]
	v_readlane_b32 s42, v66, 8
	v_readlane_b32 s43, v66, 9
	v_add_u16_e32 v1, v1, v20
	s_nop 0
	v_cndmask_b32_e64 v36, 0, v21, s[42:43]
	v_readlane_b32 s42, v66, 10
	v_lshrrev_b32_e32 v21, 16, v21
	v_readlane_b32 s43, v66, 11
	v_add_u16_e32 v1, v1, v36
	s_nop 0
	;; [unrolled: 11-line block ×9, first 2 shown]
	v_cndmask_b32_e64 v28, 0, v28, s[42:43]
	v_readlane_b32 s42, v66, 40
	v_readlane_b32 s43, v66, 41
	v_add_u16_e32 v1, v1, v28
	s_nop 0
	v_cndmask_b32_e64 v18, 0, v29, s[42:43]
	v_readlane_b32 s42, v66, 42
	v_add_u16_e32 v1, v1, v18
	v_lshrrev_b32_e32 v18, 16, v29
	v_readlane_b32 s43, v66, 43
	s_nop 1
	v_cndmask_b32_e64 v18, 0, v18, s[42:43]
	v_add_u16_e32 v1, v1, v18
	v_cndmask_b32_e64 v18, 0, v30, s[50:51]
	v_add_u16_e32 v1, v1, v18
	v_lshrrev_b32_e32 v18, 16, v30
	v_cndmask_b32_e64 v18, 0, v18, s[52:53]
	v_add_u16_e32 v1, v1, v18
	v_cndmask_b32_e64 v18, 0, v31, s[54:55]
	v_add_u16_e32 v1, v1, v18
	v_lshrrev_b32_e32 v18, 16, v31
	;; [unrolled: 5-line block ×4, first 2 shown]
	v_cndmask_b32_e64 v18, 0, v18, s[64:65]
	v_add_u16_e32 v1, v1, v18
	v_cndmask_b32_e64 v18, 0, v2, s[66:67]
	v_lshrrev_b32_e32 v2, 16, v2
	v_add_u16_e32 v1, v1, v18
	v_cndmask_b32_e64 v2, 0, v2, s[36:37]
	v_add_u16_e32 v1, v1, v2
	v_cndmask_b32_e64 v2, 0, v3, s[38:39]
	v_add_u16_e32 v1, v1, v2
	v_lshrrev_b32_e32 v2, 16, v3
	v_cndmask_b32_e64 v2, 0, v2, s[72:73]
	v_add_u16_e32 v1, v1, v2
	v_cndmask_b32_e64 v2, 0, v4, s[74:75]
	v_add_u16_e32 v1, v1, v2
	v_lshrrev_b32_e32 v2, 16, v4
	;; [unrolled: 5-line block ×15, first 2 shown]
	v_cndmask_b32_e64 v2, 0, v2, s[34:35]
	v_add_u16_e32 v1, v1, v2
	v_mbcnt_lo_u32_b32 v2, -1, 0
	v_mbcnt_hi_u32_b32 v2, -1, v2
	v_and_b32_e32 v4, 63, v2
	v_cmp_ne_u32_e32 vcc, 63, v4
	s_min_u32 s6, s46, 0x80
	v_and_b32_e32 v5, 64, v0
	v_addc_co_u32_e32 v3, vcc, 0, v2, vcc
	v_lshlrev_b32_e32 v3, 2, v3
	ds_bpermute_b32 v3, v3, v1
	v_sub_u32_e64 v5, s6, v5 clamp
	v_add_u32_e32 v6, 1, v4
	v_cmp_gt_u32_e64 s[4:5], 62, v4
	v_cmp_lt_u32_e32 vcc, v6, v5
	s_waitcnt lgkmcnt(0)
	v_add_u16_e32 v3, v1, v3
	v_cndmask_b32_e64 v6, 0, 2, s[4:5]
	v_cndmask_b32_e32 v3, v1, v3, vcc
	v_add_lshl_u32 v6, v6, v2, 2
	ds_bpermute_b32 v6, v6, v3
	v_add_u32_e32 v7, 2, v4
	v_cmp_lt_u32_e64 s[4:5], v7, v5
	v_add_u32_e32 v7, 4, v4
	s_waitcnt lgkmcnt(0)
	v_add_u16_e32 v6, v3, v6
	v_cndmask_b32_e64 v3, v3, v6, s[4:5]
	v_cmp_gt_u32_e64 s[4:5], 60, v4
	s_nop 1
	v_cndmask_b32_e64 v6, 0, 4, s[4:5]
	v_add_lshl_u32 v6, v6, v2, 2
	ds_bpermute_b32 v6, v6, v3
	v_cmp_lt_u32_e64 s[4:5], v7, v5
	v_add_u32_e32 v7, 8, v4
	s_waitcnt lgkmcnt(0)
	v_add_u16_e32 v6, v3, v6
	v_cndmask_b32_e64 v3, v3, v6, s[4:5]
	v_cmp_gt_u32_e64 s[4:5], 56, v4
	s_nop 1
	v_cndmask_b32_e64 v6, 0, 8, s[4:5]
	v_add_lshl_u32 v6, v6, v2, 2
	ds_bpermute_b32 v6, v6, v3
	v_cmp_lt_u32_e64 s[4:5], v7, v5
	v_add_u32_e32 v7, 16, v4
	s_waitcnt lgkmcnt(0)
	v_add_u16_e32 v6, v3, v6
	v_cndmask_b32_e64 v3, v3, v6, s[4:5]
	v_cmp_gt_u32_e64 s[4:5], 48, v4
	v_add_u32_e32 v4, 32, v4
	s_nop 0
	v_cndmask_b32_e64 v6, 0, 16, s[4:5]
	v_add_lshl_u32 v6, v6, v2, 2
	ds_bpermute_b32 v6, v6, v3
	v_cmp_lt_u32_e64 s[4:5], v7, v5
	s_waitcnt lgkmcnt(0)
	v_add_u16_e32 v6, v3, v6
	v_cndmask_b32_e64 v6, v3, v6, s[4:5]
	v_lshlrev_b32_e32 v3, 2, v2
	v_or_b32_e32 v7, 0x80, v3
	ds_bpermute_b32 v7, v7, v6
	v_cmp_lt_u32_e64 s[4:5], v4, v5
	s_waitcnt lgkmcnt(0)
	s_nop 0
	v_cndmask_b32_e64 v4, 0, v7, s[4:5]
	v_add_u16_e32 v4, v6, v4
	v_cndmask_b32_e32 v1, v1, v4, vcc
	v_cmp_eq_u32_e32 vcc, 0, v2
	s_and_saveexec_b64 s[4:5], vcc
; %bb.164:
	v_lshrrev_b32_e32 v4, 5, v0
	v_and_b32_e32 v4, 2, v4
	ds_write_b16 v4, v1 offset:28
; %bb.165:
	s_or_b64 exec, exec, s[4:5]
	v_cmp_gt_u32_e32 vcc, 2, v0
	s_waitcnt lgkmcnt(0)
	s_barrier
	s_and_saveexec_b64 s[4:5], vcc
	s_cbranch_execz .LBB288_167
; %bb.166:
	v_lshlrev_b32_e32 v1, 1, v2
	ds_read_u16 v1, v1 offset:28
	v_or_b32_e32 v3, 4, v3
	s_add_i32 s6, s6, 63
	v_and_b32_e32 v2, 1, v2
	s_lshr_b32 s6, s6, 6
	s_waitcnt lgkmcnt(0)
	v_and_b32_e32 v4, 0xffff, v1
	ds_bpermute_b32 v3, v3, v4
	v_add_u32_e32 v2, 1, v2
	v_cmp_gt_u32_e32 vcc, s6, v2
	s_waitcnt lgkmcnt(0)
	s_nop 0
	v_cndmask_b32_e32 v2, 0, v3, vcc
	v_add_u16_e32 v1, v2, v1
.LBB288_167:
	s_or_b64 exec, exec, s[4:5]
	v_cmp_eq_u32_e64 s[4:5], 0, v0
	s_and_b64 vcc, exec, s[40:41]
	s_cbranch_vccnz .LBB288_24
	s_branch .LBB288_11
.LBB288_168:
	s_mov_b64 s[6:7], -1
                                        ; implicit-def: $vgpr1
.LBB288_169:
	s_and_b64 vcc, exec, s[6:7]
	s_cbranch_vccz .LBB288_207
; %bb.170:
	s_sub_i32 s38, s70, s4
	v_mov_b32_e32 v2, 0
	v_cmp_gt_u32_e32 vcc, s38, v0
	v_mov_b32_e32 v3, v2
	v_mov_b32_e32 v4, v2
	;; [unrolled: 1-line block ×7, first 2 shown]
	s_and_saveexec_b64 s[4:5], vcc
	s_cbranch_execz .LBB288_172
; %bb.171:
	v_lshlrev_b32_e32 v1, 1, v0
	global_load_ushort v1, v1, s[34:35]
	v_mov_b32_e32 v5, v2
	v_mov_b32_e32 v6, v2
	;; [unrolled: 1-line block ×7, first 2 shown]
	s_waitcnt vmcnt(0)
	v_and_b32_e32 v4, 0xffff, v1
	v_mov_b64_e32 v[2:3], v[4:5]
	v_mov_b64_e32 v[4:5], v[6:7]
	;; [unrolled: 1-line block ×4, first 2 shown]
.LBB288_172:
	s_or_b64 exec, exec, s[4:5]
	v_or_b32_e32 v1, 0x80, v0
	v_cmp_gt_u32_e32 vcc, s38, v1
	s_and_saveexec_b64 s[4:5], vcc
	s_cbranch_execz .LBB288_174
; %bb.173:
	v_lshlrev_b32_e32 v1, 1, v0
	global_load_ushort v1, v1, s[34:35] offset:256
	s_mov_b32 s6, 0x5040100
	s_waitcnt vmcnt(0)
	v_perm_b32 v2, v1, v2, s6
.LBB288_174:
	s_or_b64 exec, exec, s[4:5]
	v_or_b32_e32 v1, 0x100, v0
	v_cmp_gt_u32_e64 s[4:5], s38, v1
	s_and_saveexec_b64 s[6:7], s[4:5]
	s_cbranch_execz .LBB288_176
; %bb.175:
	v_lshlrev_b32_e32 v1, 1, v0
	global_load_ushort v1, v1, s[34:35] offset:512
	s_mov_b32 s8, 0xffff
	s_waitcnt vmcnt(0)
	v_bfi_b32 v3, s8, v1, v3
.LBB288_176:
	s_or_b64 exec, exec, s[6:7]
	v_or_b32_e32 v1, 0x180, v0
	v_cmp_gt_u32_e64 s[6:7], s38, v1
	s_and_saveexec_b64 s[8:9], s[6:7]
	s_cbranch_execz .LBB288_178
; %bb.177:
	v_lshlrev_b32_e32 v1, 1, v0
	global_load_ushort v1, v1, s[34:35] offset:768
	s_mov_b32 s10, 0x5040100
	s_waitcnt vmcnt(0)
	v_perm_b32 v3, v1, v3, s10
.LBB288_178:
	s_or_b64 exec, exec, s[8:9]
	v_or_b32_e32 v1, 0x200, v0
	v_cmp_gt_u32_e64 s[8:9], s38, v1
	s_and_saveexec_b64 s[10:11], s[8:9]
	s_cbranch_execz .LBB288_180
; %bb.179:
	v_lshlrev_b32_e32 v1, 1, v0
	global_load_ushort v1, v1, s[34:35] offset:1024
	s_mov_b32 s12, 0xffff
	s_waitcnt vmcnt(0)
	v_bfi_b32 v4, s12, v1, v4
.LBB288_180:
	s_or_b64 exec, exec, s[10:11]
	v_or_b32_e32 v1, 0x280, v0
	v_cmp_gt_u32_e64 s[10:11], s38, v1
	s_and_saveexec_b64 s[12:13], s[10:11]
	;; [unrolled: 24-line block ×7, first 2 shown]
	s_cbranch_execz .LBB288_202
; %bb.201:
	v_lshlrev_b32_e32 v1, 1, v0
	global_load_ushort v1, v1, s[34:35] offset:3840
	s_mov_b32 s34, 0x5040100
	s_waitcnt vmcnt(0)
	v_perm_b32 v9, v1, v9, s34
.LBB288_202:
	s_or_b64 exec, exec, s[36:37]
	v_mov_b32_e32 v1, 0
	v_cndmask_b32_sdwa v1, v1, v2, vcc dst_sel:DWORD dst_unused:UNUSED_PAD src0_sel:DWORD src1_sel:WORD_1
	v_add_u16_e32 v1, v1, v2
	v_cndmask_b32_e64 v2, 0, v3, s[4:5]
	v_add_u16_e32 v1, v1, v2
	v_lshrrev_b32_e32 v2, 16, v3
	v_cndmask_b32_e64 v2, 0, v2, s[6:7]
	v_add_u16_e32 v1, v1, v2
	v_cndmask_b32_e64 v2, 0, v4, s[8:9]
	v_add_u16_e32 v1, v1, v2
	v_lshrrev_b32_e32 v2, 16, v4
	v_cndmask_b32_e64 v2, 0, v2, s[10:11]
	;; [unrolled: 5-line block ×7, first 2 shown]
	v_add_u16_e32 v1, v1, v2
	v_mbcnt_lo_u32_b32 v2, -1, 0
	v_mbcnt_hi_u32_b32 v2, -1, v2
	v_and_b32_e32 v4, 63, v2
	v_cmp_ne_u32_e32 vcc, 63, v4
	s_min_u32 s6, s38, 0x80
	v_and_b32_e32 v5, 64, v0
	v_addc_co_u32_e32 v3, vcc, 0, v2, vcc
	v_lshlrev_b32_e32 v3, 2, v3
	ds_bpermute_b32 v3, v3, v1
	v_sub_u32_e64 v5, s6, v5 clamp
	v_add_u32_e32 v6, 1, v4
	v_cmp_gt_u32_e64 s[4:5], 62, v4
	v_cmp_lt_u32_e32 vcc, v6, v5
	s_waitcnt lgkmcnt(0)
	v_add_u16_e32 v3, v1, v3
	v_cndmask_b32_e64 v6, 0, 2, s[4:5]
	v_cndmask_b32_e32 v3, v1, v3, vcc
	v_add_lshl_u32 v6, v6, v2, 2
	ds_bpermute_b32 v6, v6, v3
	v_add_u32_e32 v7, 2, v4
	v_cmp_lt_u32_e64 s[4:5], v7, v5
	v_add_u32_e32 v7, 4, v4
	s_waitcnt lgkmcnt(0)
	v_add_u16_e32 v6, v3, v6
	v_cndmask_b32_e64 v3, v3, v6, s[4:5]
	v_cmp_gt_u32_e64 s[4:5], 60, v4
	s_nop 1
	v_cndmask_b32_e64 v6, 0, 4, s[4:5]
	v_add_lshl_u32 v6, v6, v2, 2
	ds_bpermute_b32 v6, v6, v3
	v_cmp_lt_u32_e64 s[4:5], v7, v5
	v_add_u32_e32 v7, 8, v4
	s_waitcnt lgkmcnt(0)
	v_add_u16_e32 v6, v3, v6
	v_cndmask_b32_e64 v3, v3, v6, s[4:5]
	v_cmp_gt_u32_e64 s[4:5], 56, v4
	s_nop 1
	v_cndmask_b32_e64 v6, 0, 8, s[4:5]
	v_add_lshl_u32 v6, v6, v2, 2
	ds_bpermute_b32 v6, v6, v3
	v_cmp_lt_u32_e64 s[4:5], v7, v5
	v_add_u32_e32 v7, 16, v4
	s_waitcnt lgkmcnt(0)
	v_add_u16_e32 v6, v3, v6
	v_cndmask_b32_e64 v3, v3, v6, s[4:5]
	v_cmp_gt_u32_e64 s[4:5], 48, v4
	v_add_u32_e32 v4, 32, v4
	s_nop 0
	v_cndmask_b32_e64 v6, 0, 16, s[4:5]
	v_add_lshl_u32 v6, v6, v2, 2
	ds_bpermute_b32 v6, v6, v3
	v_cmp_lt_u32_e64 s[4:5], v7, v5
	s_waitcnt lgkmcnt(0)
	v_add_u16_e32 v6, v3, v6
	v_cndmask_b32_e64 v6, v3, v6, s[4:5]
	v_lshlrev_b32_e32 v3, 2, v2
	v_or_b32_e32 v7, 0x80, v3
	ds_bpermute_b32 v7, v7, v6
	v_cmp_lt_u32_e64 s[4:5], v4, v5
	s_waitcnt lgkmcnt(0)
	s_nop 0
	v_cndmask_b32_e64 v4, 0, v7, s[4:5]
	v_add_u16_e32 v4, v6, v4
	v_cndmask_b32_e32 v1, v1, v4, vcc
	v_cmp_eq_u32_e32 vcc, 0, v2
	s_and_saveexec_b64 s[4:5], vcc
; %bb.203:
	v_lshrrev_b32_e32 v4, 5, v0
	v_and_b32_e32 v4, 2, v4
	ds_write_b16 v4, v1 offset:28
; %bb.204:
	s_or_b64 exec, exec, s[4:5]
	v_cmp_gt_u32_e32 vcc, 2, v0
	s_waitcnt lgkmcnt(0)
	s_barrier
	s_and_saveexec_b64 s[4:5], vcc
	s_cbranch_execz .LBB288_206
; %bb.205:
	v_lshlrev_b32_e32 v1, 1, v2
	ds_read_u16 v1, v1 offset:28
	v_or_b32_e32 v3, 4, v3
	s_add_i32 s6, s6, 63
	v_and_b32_e32 v2, 1, v2
	s_lshr_b32 s6, s6, 6
	s_waitcnt lgkmcnt(0)
	v_and_b32_e32 v4, 0xffff, v1
	ds_bpermute_b32 v3, v3, v4
	v_add_u32_e32 v2, 1, v2
	v_cmp_gt_u32_e32 vcc, s6, v2
	s_waitcnt lgkmcnt(0)
	s_nop 0
	v_cndmask_b32_e32 v2, 0, v3, vcc
	v_add_u16_e32 v1, v2, v1
.LBB288_206:
	s_or_b64 exec, exec, s[4:5]
.LBB288_207:
	v_cmp_eq_u32_e64 s[4:5], 0, v0
	s_branch .LBB288_288
.LBB288_208:
	s_cmp_eq_u32 s33, 8
	s_cbranch_scc0 .LBB288_215
; %bb.209:
	s_mov_b32 s3, 0
	s_lshl_b32 s4, s2, 10
	s_mov_b32 s5, s3
	s_lshr_b64 s[6:7], s[70:71], 10
	s_lshl_b64 s[8:9], s[4:5], 1
	s_add_u32 s16, s68, s8
	s_addc_u32 s17, s69, s9
	s_cmp_lg_u64 s[6:7], s[2:3]
	s_cbranch_scc0 .LBB288_309
; %bb.210:
	v_lshlrev_b32_e32 v1, 1, v0
	global_load_ushort v4, v1, s[16:17]
	global_load_ushort v5, v1, s[16:17] offset:256
	global_load_ushort v6, v1, s[16:17] offset:512
	global_load_ushort v7, v1, s[16:17] offset:768
	global_load_ushort v8, v1, s[16:17] offset:1024
	global_load_ushort v9, v1, s[16:17] offset:1280
	global_load_ushort v10, v1, s[16:17] offset:1536
	global_load_ushort v11, v1, s[16:17] offset:1792
	v_mbcnt_lo_u32_b32 v1, -1, 0
	v_mbcnt_hi_u32_b32 v2, -1, v1
	v_lshlrev_b32_e32 v3, 2, v2
	v_cmp_eq_u32_e32 vcc, 0, v2
	s_waitcnt vmcnt(6)
	v_add_u16_e32 v1, v5, v4
	s_waitcnt vmcnt(5)
	v_add_u16_e32 v1, v1, v6
	;; [unrolled: 2-line block ×7, first 2 shown]
	v_or_b32_e32 v4, 0xfc, v3
	s_nop 0
	v_add_u16_dpp v1, v1, v1 quad_perm:[1,0,3,2] row_mask:0xf bank_mask:0xf bound_ctrl:1
	s_nop 1
	v_add_u16_dpp v1, v1, v1 quad_perm:[2,3,0,1] row_mask:0xf bank_mask:0xf bound_ctrl:1
	s_nop 1
	v_add_u16_dpp v1, v1, v1 row_ror:4 row_mask:0xf bank_mask:0xf bound_ctrl:1
	s_nop 1
	v_add_u16_dpp v1, v1, v1 row_ror:8 row_mask:0xf bank_mask:0xf bound_ctrl:1
	s_nop 1
	v_add_u16_dpp v1, v1, v1 row_bcast:15 row_mask:0xf bank_mask:0xf bound_ctrl:1
	s_nop 1
	v_add_u16_dpp v1, v1, v1 row_bcast:31 row_mask:0xf bank_mask:0xf bound_ctrl:1
	ds_bpermute_b32 v1, v4, v1
	s_and_saveexec_b64 s[6:7], vcc
	s_cbranch_execz .LBB288_212
; %bb.211:
	v_lshrrev_b32_e32 v4, 5, v0
	v_and_b32_e32 v4, 2, v4
	s_waitcnt lgkmcnt(0)
	ds_write_b16 v4, v1 offset:24
.LBB288_212:
	s_or_b64 exec, exec, s[6:7]
	v_cmp_gt_u32_e32 vcc, 64, v0
	s_waitcnt lgkmcnt(0)
	s_barrier
	s_and_saveexec_b64 s[6:7], vcc
	s_cbranch_execz .LBB288_214
; %bb.213:
	v_and_b32_e32 v1, 1, v2
	v_lshlrev_b32_e32 v1, 1, v1
	ds_read_u16 v1, v1 offset:24
	v_or_b32_e32 v2, 4, v3
	s_waitcnt lgkmcnt(0)
	v_and_b32_e32 v3, 0xffff, v1
	ds_bpermute_b32 v2, v2, v3
	s_waitcnt lgkmcnt(0)
	v_add_u16_e32 v1, v1, v2
.LBB288_214:
	s_or_b64 exec, exec, s[6:7]
	s_mov_b64 s[6:7], 0
	s_branch .LBB288_310
.LBB288_215:
                                        ; implicit-def: $vgpr1
	s_branch .LBB288_371
.LBB288_216:
	s_mov_b64 s[6:7], -1
                                        ; implicit-def: $vgpr1
.LBB288_217:
	s_and_b64 vcc, exec, s[6:7]
	s_cbranch_vccz .LBB288_287
; %bb.218:
	s_sub_i32 s74, s70, s4
	v_mov_b32_e32 v2, 0
	v_cmp_gt_u32_e32 vcc, s74, v0
	v_mov_b32_e32 v3, v2
	v_mov_b32_e32 v4, v2
	;; [unrolled: 1-line block ×15, first 2 shown]
	s_and_saveexec_b64 s[4:5], vcc
	s_cbranch_execz .LBB288_220
; %bb.219:
	v_lshlrev_b32_e32 v1, 1, v0
	global_load_ushort v1, v1, s[66:67]
	v_mov_b32_e32 v5, v2
	v_mov_b32_e32 v6, v2
	;; [unrolled: 1-line block ×15, first 2 shown]
	s_waitcnt vmcnt(0)
	v_and_b32_e32 v4, 0xffff, v1
	v_mov_b64_e32 v[2:3], v[4:5]
	v_mov_b64_e32 v[4:5], v[6:7]
	;; [unrolled: 1-line block ×8, first 2 shown]
.LBB288_220:
	s_or_b64 exec, exec, s[4:5]
	v_or_b32_e32 v1, 0x80, v0
	v_cmp_gt_u32_e32 vcc, s74, v1
	s_and_saveexec_b64 s[4:5], vcc
	s_cbranch_execz .LBB288_222
; %bb.221:
	v_lshlrev_b32_e32 v1, 1, v0
	global_load_ushort v1, v1, s[66:67] offset:256
	s_mov_b32 s6, 0x5040100
	s_waitcnt vmcnt(0)
	v_perm_b32 v2, v1, v2, s6
.LBB288_222:
	s_or_b64 exec, exec, s[4:5]
	v_or_b32_e32 v1, 0x100, v0
	v_cmp_gt_u32_e64 s[4:5], s74, v1
	s_and_saveexec_b64 s[6:7], s[4:5]
	s_cbranch_execz .LBB288_224
; %bb.223:
	v_lshlrev_b32_e32 v1, 1, v0
	global_load_ushort v1, v1, s[66:67] offset:512
	s_mov_b32 s8, 0xffff
	s_waitcnt vmcnt(0)
	v_bfi_b32 v3, s8, v1, v3
.LBB288_224:
	s_or_b64 exec, exec, s[6:7]
	v_or_b32_e32 v1, 0x180, v0
	v_cmp_gt_u32_e64 s[6:7], s74, v1
	s_and_saveexec_b64 s[8:9], s[6:7]
	s_cbranch_execz .LBB288_226
; %bb.225:
	v_lshlrev_b32_e32 v1, 1, v0
	global_load_ushort v1, v1, s[66:67] offset:768
	s_mov_b32 s10, 0x5040100
	s_waitcnt vmcnt(0)
	v_perm_b32 v3, v1, v3, s10
.LBB288_226:
	s_or_b64 exec, exec, s[8:9]
	v_or_b32_e32 v1, 0x200, v0
	v_cmp_gt_u32_e64 s[8:9], s74, v1
	s_and_saveexec_b64 s[10:11], s[8:9]
	s_cbranch_execz .LBB288_228
; %bb.227:
	v_lshlrev_b32_e32 v1, 1, v0
	global_load_ushort v1, v1, s[66:67] offset:1024
	s_mov_b32 s12, 0xffff
	s_waitcnt vmcnt(0)
	v_bfi_b32 v4, s12, v1, v4
.LBB288_228:
	s_or_b64 exec, exec, s[10:11]
	v_or_b32_e32 v1, 0x280, v0
	v_cmp_gt_u32_e64 s[10:11], s74, v1
	s_and_saveexec_b64 s[12:13], s[10:11]
	;; [unrolled: 24-line block ×7, first 2 shown]
	s_cbranch_execz .LBB288_250
; %bb.249:
	v_lshlrev_b32_e32 v1, 1, v0
	global_load_ushort v1, v1, s[66:67] offset:3840
	s_mov_b32 s36, 0x5040100
	s_waitcnt vmcnt(0)
	v_perm_b32 v9, v1, v9, s36
.LBB288_250:
	s_or_b64 exec, exec, s[34:35]
	v_or_b32_e32 v1, 0x800, v0
	v_cmp_gt_u32_e64 s[34:35], s74, v1
	s_and_saveexec_b64 s[36:37], s[34:35]
	s_cbranch_execz .LBB288_252
; %bb.251:
	v_lshlrev_b32_e32 v1, 1, v1
	global_load_ushort v1, v1, s[66:67]
	s_mov_b32 s38, 0xffff
	s_waitcnt vmcnt(0)
	v_bfi_b32 v10, s38, v1, v10
.LBB288_252:
	s_or_b64 exec, exec, s[36:37]
	v_or_b32_e32 v1, 0x880, v0
	v_cmp_gt_u32_e64 s[36:37], s74, v1
	s_and_saveexec_b64 s[38:39], s[36:37]
	s_cbranch_execz .LBB288_254
; %bb.253:
	v_lshlrev_b32_e32 v1, 1, v1
	global_load_ushort v1, v1, s[66:67]
	s_mov_b32 s40, 0x5040100
	s_waitcnt vmcnt(0)
	v_perm_b32 v10, v1, v10, s40
.LBB288_254:
	s_or_b64 exec, exec, s[38:39]
	v_or_b32_e32 v1, 0x900, v0
	v_cmp_gt_u32_e64 s[38:39], s74, v1
	s_and_saveexec_b64 s[40:41], s[38:39]
	s_cbranch_execz .LBB288_256
; %bb.255:
	v_lshlrev_b32_e32 v1, 1, v1
	global_load_ushort v1, v1, s[66:67]
	s_mov_b32 s42, 0xffff
	s_waitcnt vmcnt(0)
	v_bfi_b32 v11, s42, v1, v11
.LBB288_256:
	s_or_b64 exec, exec, s[40:41]
	v_or_b32_e32 v1, 0x980, v0
	v_cmp_gt_u32_e64 s[40:41], s74, v1
	s_and_saveexec_b64 s[42:43], s[40:41]
	s_cbranch_execz .LBB288_258
; %bb.257:
	v_lshlrev_b32_e32 v1, 1, v1
	global_load_ushort v1, v1, s[66:67]
	s_mov_b32 s44, 0x5040100
	s_waitcnt vmcnt(0)
	v_perm_b32 v11, v1, v11, s44
.LBB288_258:
	;; [unrolled: 24-line block ×8, first 2 shown]
	s_or_b64 exec, exec, s[72:73]
	v_mov_b32_e32 v1, 0
	v_cndmask_b32_sdwa v1, v1, v2, vcc dst_sel:DWORD dst_unused:UNUSED_PAD src0_sel:DWORD src1_sel:WORD_1
	v_add_u16_e32 v1, v1, v2
	v_cndmask_b32_e64 v2, 0, v3, s[4:5]
	v_add_u16_e32 v1, v1, v2
	v_lshrrev_b32_e32 v2, 16, v3
	v_cndmask_b32_e64 v2, 0, v2, s[6:7]
	v_add_u16_e32 v1, v1, v2
	v_cndmask_b32_e64 v2, 0, v4, s[8:9]
	v_add_u16_e32 v1, v1, v2
	v_lshrrev_b32_e32 v2, 16, v4
	v_cndmask_b32_e64 v2, 0, v2, s[10:11]
	;; [unrolled: 5-line block ×15, first 2 shown]
	v_add_u16_e32 v1, v1, v2
	v_mbcnt_lo_u32_b32 v2, -1, 0
	v_mbcnt_hi_u32_b32 v2, -1, v2
	v_and_b32_e32 v4, 63, v2
	v_cmp_ne_u32_e32 vcc, 63, v4
	s_min_u32 s6, s74, 0x80
	v_and_b32_e32 v5, 64, v0
	v_addc_co_u32_e32 v3, vcc, 0, v2, vcc
	v_lshlrev_b32_e32 v3, 2, v3
	ds_bpermute_b32 v3, v3, v1
	v_sub_u32_e64 v5, s6, v5 clamp
	v_add_u32_e32 v6, 1, v4
	v_cmp_gt_u32_e64 s[4:5], 62, v4
	v_cmp_lt_u32_e32 vcc, v6, v5
	s_waitcnt lgkmcnt(0)
	v_add_u16_e32 v3, v1, v3
	v_cndmask_b32_e64 v6, 0, 2, s[4:5]
	v_cndmask_b32_e32 v3, v1, v3, vcc
	v_add_lshl_u32 v6, v6, v2, 2
	ds_bpermute_b32 v6, v6, v3
	v_add_u32_e32 v7, 2, v4
	v_cmp_lt_u32_e64 s[4:5], v7, v5
	v_add_u32_e32 v7, 4, v4
	s_waitcnt lgkmcnt(0)
	v_add_u16_e32 v6, v3, v6
	v_cndmask_b32_e64 v3, v3, v6, s[4:5]
	v_cmp_gt_u32_e64 s[4:5], 60, v4
	s_nop 1
	v_cndmask_b32_e64 v6, 0, 4, s[4:5]
	v_add_lshl_u32 v6, v6, v2, 2
	ds_bpermute_b32 v6, v6, v3
	v_cmp_lt_u32_e64 s[4:5], v7, v5
	v_add_u32_e32 v7, 8, v4
	s_waitcnt lgkmcnt(0)
	v_add_u16_e32 v6, v3, v6
	v_cndmask_b32_e64 v3, v3, v6, s[4:5]
	v_cmp_gt_u32_e64 s[4:5], 56, v4
	s_nop 1
	v_cndmask_b32_e64 v6, 0, 8, s[4:5]
	v_add_lshl_u32 v6, v6, v2, 2
	ds_bpermute_b32 v6, v6, v3
	v_cmp_lt_u32_e64 s[4:5], v7, v5
	v_add_u32_e32 v7, 16, v4
	s_waitcnt lgkmcnt(0)
	v_add_u16_e32 v6, v3, v6
	v_cndmask_b32_e64 v3, v3, v6, s[4:5]
	v_cmp_gt_u32_e64 s[4:5], 48, v4
	v_add_u32_e32 v4, 32, v4
	s_nop 0
	v_cndmask_b32_e64 v6, 0, 16, s[4:5]
	v_add_lshl_u32 v6, v6, v2, 2
	ds_bpermute_b32 v6, v6, v3
	v_cmp_lt_u32_e64 s[4:5], v7, v5
	s_waitcnt lgkmcnt(0)
	v_add_u16_e32 v6, v3, v6
	v_cndmask_b32_e64 v6, v3, v6, s[4:5]
	v_lshlrev_b32_e32 v3, 2, v2
	v_or_b32_e32 v7, 0x80, v3
	ds_bpermute_b32 v7, v7, v6
	v_cmp_lt_u32_e64 s[4:5], v4, v5
	s_waitcnt lgkmcnt(0)
	s_nop 0
	v_cndmask_b32_e64 v4, 0, v7, s[4:5]
	v_add_u16_e32 v4, v6, v4
	v_cndmask_b32_e32 v1, v1, v4, vcc
	v_cmp_eq_u32_e32 vcc, 0, v2
	s_and_saveexec_b64 s[4:5], vcc
; %bb.283:
	v_lshrrev_b32_e32 v4, 5, v0
	v_and_b32_e32 v4, 2, v4
	ds_write_b16 v4, v1 offset:28
; %bb.284:
	s_or_b64 exec, exec, s[4:5]
	v_cmp_gt_u32_e32 vcc, 2, v0
	s_waitcnt lgkmcnt(0)
	s_barrier
	s_and_saveexec_b64 s[4:5], vcc
	s_cbranch_execz .LBB288_286
; %bb.285:
	v_lshlrev_b32_e32 v1, 1, v2
	ds_read_u16 v1, v1 offset:28
	v_or_b32_e32 v3, 4, v3
	s_add_i32 s6, s6, 63
	v_and_b32_e32 v2, 1, v2
	s_lshr_b32 s6, s6, 6
	s_waitcnt lgkmcnt(0)
	v_and_b32_e32 v4, 0xffff, v1
	ds_bpermute_b32 v3, v3, v4
	v_add_u32_e32 v2, 1, v2
	v_cmp_gt_u32_e32 vcc, s6, v2
	s_waitcnt lgkmcnt(0)
	s_nop 0
	v_cndmask_b32_e32 v2, 0, v3, vcc
	v_add_u16_e32 v1, v2, v1
.LBB288_286:
	s_or_b64 exec, exec, s[4:5]
.LBB288_287:
	v_cmp_eq_u32_e64 s[4:5], 0, v0
.LBB288_288:
	s_branch .LBB288_371
.LBB288_289:
	s_cmp_gt_i32 s33, 1
	s_cbranch_scc0 .LBB288_298
; %bb.290:
	s_cmp_gt_i32 s33, 3
	s_cbranch_scc0 .LBB288_299
; %bb.291:
	s_cmp_eq_u32 s33, 4
	s_cbranch_scc0 .LBB288_307
; %bb.292:
	s_mov_b32 s3, 0
	s_lshl_b32 s4, s2, 9
	s_mov_b32 s5, s3
	s_lshr_b64 s[6:7], s[70:71], 9
	s_lshl_b64 s[8:9], s[4:5], 1
	s_add_u32 s8, s68, s8
	s_addc_u32 s9, s69, s9
	s_cmp_lg_u64 s[6:7], s[2:3]
	s_cbranch_scc0 .LBB288_333
; %bb.293:
	v_lshlrev_b32_e32 v1, 1, v0
	global_load_ushort v4, v1, s[8:9]
	global_load_ushort v5, v1, s[8:9] offset:256
	global_load_ushort v6, v1, s[8:9] offset:512
	;; [unrolled: 1-line block ×3, first 2 shown]
	v_mbcnt_lo_u32_b32 v1, -1, 0
	v_mbcnt_hi_u32_b32 v2, -1, v1
	v_lshlrev_b32_e32 v3, 2, v2
	v_cmp_eq_u32_e32 vcc, 0, v2
	s_waitcnt vmcnt(2)
	v_add_u16_e32 v1, v5, v4
	s_waitcnt vmcnt(1)
	v_add_u16_e32 v1, v1, v6
	;; [unrolled: 2-line block ×3, first 2 shown]
	v_or_b32_e32 v4, 0xfc, v3
	s_nop 0
	v_add_u16_dpp v1, v1, v1 quad_perm:[1,0,3,2] row_mask:0xf bank_mask:0xf bound_ctrl:1
	s_nop 1
	v_add_u16_dpp v1, v1, v1 quad_perm:[2,3,0,1] row_mask:0xf bank_mask:0xf bound_ctrl:1
	s_nop 1
	v_add_u16_dpp v1, v1, v1 row_ror:4 row_mask:0xf bank_mask:0xf bound_ctrl:1
	s_nop 1
	v_add_u16_dpp v1, v1, v1 row_ror:8 row_mask:0xf bank_mask:0xf bound_ctrl:1
	s_nop 1
	v_add_u16_dpp v1, v1, v1 row_bcast:15 row_mask:0xf bank_mask:0xf bound_ctrl:1
	s_nop 1
	v_add_u16_dpp v1, v1, v1 row_bcast:31 row_mask:0xf bank_mask:0xf bound_ctrl:1
	ds_bpermute_b32 v1, v4, v1
	s_and_saveexec_b64 s[6:7], vcc
	s_cbranch_execz .LBB288_295
; %bb.294:
	v_lshrrev_b32_e32 v4, 5, v0
	v_and_b32_e32 v4, 2, v4
	s_waitcnt lgkmcnt(0)
	ds_write_b16 v4, v1 offset:16
.LBB288_295:
	s_or_b64 exec, exec, s[6:7]
	v_cmp_gt_u32_e32 vcc, 64, v0
	s_waitcnt lgkmcnt(0)
	s_barrier
	s_and_saveexec_b64 s[6:7], vcc
	s_cbranch_execz .LBB288_297
; %bb.296:
	v_and_b32_e32 v1, 1, v2
	v_lshlrev_b32_e32 v1, 1, v1
	ds_read_u16 v1, v1 offset:16
	v_or_b32_e32 v2, 4, v3
	s_waitcnt lgkmcnt(0)
	v_and_b32_e32 v3, 0xffff, v1
	ds_bpermute_b32 v2, v2, v3
	s_waitcnt lgkmcnt(0)
	v_add_u16_e32 v1, v1, v2
.LBB288_297:
	s_or_b64 exec, exec, s[6:7]
	s_mov_b64 s[6:7], 0
	s_branch .LBB288_334
.LBB288_298:
                                        ; implicit-def: $vgpr1
	s_cbranch_execnz .LBB288_362
	s_branch .LBB288_371
.LBB288_299:
                                        ; implicit-def: $vgpr1
	s_cbranch_execz .LBB288_349
; %bb.300:
	s_cmp_eq_u32 s33, 2
	s_cbranch_scc0 .LBB288_308
; %bb.301:
	s_mov_b32 s3, 0
	s_lshl_b32 s6, s2, 8
	s_mov_b32 s7, s3
	s_lshr_b64 s[8:9], s[70:71], 8
	s_lshl_b64 s[4:5], s[6:7], 1
	s_add_u32 s4, s68, s4
	s_addc_u32 s5, s69, s5
	s_cmp_lg_u64 s[8:9], s[2:3]
	s_cbranch_scc0 .LBB288_350
; %bb.302:
	v_lshlrev_b32_e32 v1, 1, v0
	global_load_ushort v4, v1, s[4:5]
	global_load_ushort v5, v1, s[4:5] offset:256
	v_mbcnt_lo_u32_b32 v1, -1, 0
	v_mbcnt_hi_u32_b32 v2, -1, v1
	v_lshlrev_b32_e32 v3, 2, v2
	v_cmp_eq_u32_e32 vcc, 0, v2
	s_waitcnt vmcnt(0)
	v_add_u16_e32 v1, v5, v4
	s_nop 1
	v_add_u16_dpp v1, v1, v1 quad_perm:[1,0,3,2] row_mask:0xf bank_mask:0xf bound_ctrl:1
	v_or_b32_e32 v4, 0xfc, v3
	s_nop 0
	v_add_u16_dpp v1, v1, v1 quad_perm:[2,3,0,1] row_mask:0xf bank_mask:0xf bound_ctrl:1
	s_nop 1
	v_add_u16_dpp v1, v1, v1 row_ror:4 row_mask:0xf bank_mask:0xf bound_ctrl:1
	s_nop 1
	v_add_u16_dpp v1, v1, v1 row_ror:8 row_mask:0xf bank_mask:0xf bound_ctrl:1
	s_nop 1
	v_add_u16_dpp v1, v1, v1 row_bcast:15 row_mask:0xf bank_mask:0xf bound_ctrl:1
	s_nop 1
	v_add_u16_dpp v1, v1, v1 row_bcast:31 row_mask:0xf bank_mask:0xf bound_ctrl:1
	ds_bpermute_b32 v1, v4, v1
	s_and_saveexec_b64 s[8:9], vcc
	s_cbranch_execz .LBB288_304
; %bb.303:
	v_lshrrev_b32_e32 v4, 5, v0
	v_and_b32_e32 v4, 2, v4
	s_waitcnt lgkmcnt(0)
	ds_write_b16 v4, v1 offset:8
.LBB288_304:
	s_or_b64 exec, exec, s[8:9]
	v_cmp_gt_u32_e32 vcc, 64, v0
	s_waitcnt lgkmcnt(0)
	s_barrier
	s_and_saveexec_b64 s[8:9], vcc
	s_cbranch_execz .LBB288_306
; %bb.305:
	v_and_b32_e32 v1, 1, v2
	v_lshlrev_b32_e32 v1, 1, v1
	ds_read_u16 v1, v1 offset:8
	v_or_b32_e32 v2, 4, v3
	s_waitcnt lgkmcnt(0)
	v_and_b32_e32 v3, 0xffff, v1
	ds_bpermute_b32 v2, v2, v3
	s_waitcnt lgkmcnt(0)
	v_add_u16_e32 v1, v1, v2
.LBB288_306:
	s_or_b64 exec, exec, s[8:9]
	s_mov_b64 s[8:9], 0
	s_branch .LBB288_351
.LBB288_307:
                                        ; implicit-def: $vgpr1
	s_branch .LBB288_349
.LBB288_308:
                                        ; implicit-def: $vgpr1
	s_branch .LBB288_371
.LBB288_309:
	s_mov_b64 s[6:7], -1
                                        ; implicit-def: $vgpr1
.LBB288_310:
	s_and_b64 vcc, exec, s[6:7]
	s_cbranch_vccz .LBB288_332
; %bb.311:
	s_sub_i32 s20, s70, s4
	v_mov_b32_e32 v2, 0
	v_cmp_gt_u32_e32 vcc, s20, v0
	v_mov_b32_e32 v3, v2
	v_mov_b32_e32 v4, v2
	;; [unrolled: 1-line block ×3, first 2 shown]
	s_and_saveexec_b64 s[4:5], vcc
	s_cbranch_execz .LBB288_313
; %bb.312:
	v_lshlrev_b32_e32 v1, 1, v0
	global_load_ushort v1, v1, s[16:17]
	v_mov_b32_e32 v5, v2
	v_mov_b32_e32 v6, v2
	v_mov_b32_e32 v7, v2
	s_waitcnt vmcnt(0)
	v_and_b32_e32 v4, 0xffff, v1
	v_mov_b64_e32 v[2:3], v[4:5]
	v_mov_b64_e32 v[4:5], v[6:7]
.LBB288_313:
	s_or_b64 exec, exec, s[4:5]
	v_or_b32_e32 v1, 0x80, v0
	v_cmp_gt_u32_e32 vcc, s20, v1
	s_and_saveexec_b64 s[4:5], vcc
	s_cbranch_execz .LBB288_315
; %bb.314:
	v_lshlrev_b32_e32 v1, 1, v0
	global_load_ushort v1, v1, s[16:17] offset:256
	s_mov_b32 s6, 0x5040100
	s_waitcnt vmcnt(0)
	v_perm_b32 v2, v1, v2, s6
.LBB288_315:
	s_or_b64 exec, exec, s[4:5]
	v_or_b32_e32 v1, 0x100, v0
	v_cmp_gt_u32_e64 s[4:5], s20, v1
	s_and_saveexec_b64 s[6:7], s[4:5]
	s_cbranch_execz .LBB288_317
; %bb.316:
	v_lshlrev_b32_e32 v1, 1, v0
	global_load_ushort v1, v1, s[16:17] offset:512
	s_mov_b32 s8, 0xffff
	s_waitcnt vmcnt(0)
	v_bfi_b32 v3, s8, v1, v3
.LBB288_317:
	s_or_b64 exec, exec, s[6:7]
	v_or_b32_e32 v1, 0x180, v0
	v_cmp_gt_u32_e64 s[6:7], s20, v1
	s_and_saveexec_b64 s[8:9], s[6:7]
	s_cbranch_execz .LBB288_319
; %bb.318:
	v_lshlrev_b32_e32 v1, 1, v0
	global_load_ushort v1, v1, s[16:17] offset:768
	s_mov_b32 s10, 0x5040100
	s_waitcnt vmcnt(0)
	v_perm_b32 v3, v1, v3, s10
.LBB288_319:
	s_or_b64 exec, exec, s[8:9]
	v_or_b32_e32 v1, 0x200, v0
	v_cmp_gt_u32_e64 s[8:9], s20, v1
	s_and_saveexec_b64 s[10:11], s[8:9]
	s_cbranch_execz .LBB288_321
; %bb.320:
	v_lshlrev_b32_e32 v1, 1, v0
	global_load_ushort v1, v1, s[16:17] offset:1024
	s_mov_b32 s12, 0xffff
	s_waitcnt vmcnt(0)
	v_bfi_b32 v4, s12, v1, v4
.LBB288_321:
	s_or_b64 exec, exec, s[10:11]
	v_or_b32_e32 v1, 0x280, v0
	v_cmp_gt_u32_e64 s[10:11], s20, v1
	s_and_saveexec_b64 s[12:13], s[10:11]
	;; [unrolled: 24-line block ×3, first 2 shown]
	s_cbranch_execz .LBB288_327
; %bb.326:
	v_lshlrev_b32_e32 v1, 1, v0
	global_load_ushort v1, v1, s[16:17] offset:1792
	s_mov_b32 s16, 0x5040100
	s_waitcnt vmcnt(0)
	v_perm_b32 v5, v1, v5, s16
.LBB288_327:
	s_or_b64 exec, exec, s[18:19]
	v_mov_b32_e32 v1, 0
	v_cndmask_b32_sdwa v1, v1, v2, vcc dst_sel:DWORD dst_unused:UNUSED_PAD src0_sel:DWORD src1_sel:WORD_1
	v_add_u16_e32 v1, v1, v2
	v_cndmask_b32_e64 v2, 0, v3, s[4:5]
	v_add_u16_e32 v1, v1, v2
	v_lshrrev_b32_e32 v2, 16, v3
	v_cndmask_b32_e64 v2, 0, v2, s[6:7]
	v_add_u16_e32 v1, v1, v2
	v_cndmask_b32_e64 v2, 0, v4, s[8:9]
	v_add_u16_e32 v1, v1, v2
	v_lshrrev_b32_e32 v2, 16, v4
	v_cndmask_b32_e64 v2, 0, v2, s[10:11]
	;; [unrolled: 5-line block ×3, first 2 shown]
	v_add_u16_e32 v1, v1, v2
	v_mbcnt_lo_u32_b32 v2, -1, 0
	v_mbcnt_hi_u32_b32 v2, -1, v2
	v_and_b32_e32 v4, 63, v2
	v_cmp_ne_u32_e32 vcc, 63, v4
	s_min_u32 s6, s20, 0x80
	v_and_b32_e32 v5, 64, v0
	v_addc_co_u32_e32 v3, vcc, 0, v2, vcc
	v_lshlrev_b32_e32 v3, 2, v3
	ds_bpermute_b32 v3, v3, v1
	v_sub_u32_e64 v5, s6, v5 clamp
	v_add_u32_e32 v6, 1, v4
	v_cmp_gt_u32_e64 s[4:5], 62, v4
	v_cmp_lt_u32_e32 vcc, v6, v5
	s_waitcnt lgkmcnt(0)
	v_add_u16_e32 v3, v1, v3
	v_cndmask_b32_e64 v6, 0, 2, s[4:5]
	v_cndmask_b32_e32 v3, v1, v3, vcc
	v_add_lshl_u32 v6, v6, v2, 2
	ds_bpermute_b32 v6, v6, v3
	v_add_u32_e32 v7, 2, v4
	v_cmp_lt_u32_e64 s[4:5], v7, v5
	v_add_u32_e32 v7, 4, v4
	s_waitcnt lgkmcnt(0)
	v_add_u16_e32 v6, v3, v6
	v_cndmask_b32_e64 v3, v3, v6, s[4:5]
	v_cmp_gt_u32_e64 s[4:5], 60, v4
	s_nop 1
	v_cndmask_b32_e64 v6, 0, 4, s[4:5]
	v_add_lshl_u32 v6, v6, v2, 2
	ds_bpermute_b32 v6, v6, v3
	v_cmp_lt_u32_e64 s[4:5], v7, v5
	v_add_u32_e32 v7, 8, v4
	s_waitcnt lgkmcnt(0)
	v_add_u16_e32 v6, v3, v6
	v_cndmask_b32_e64 v3, v3, v6, s[4:5]
	v_cmp_gt_u32_e64 s[4:5], 56, v4
	s_nop 1
	v_cndmask_b32_e64 v6, 0, 8, s[4:5]
	v_add_lshl_u32 v6, v6, v2, 2
	ds_bpermute_b32 v6, v6, v3
	v_cmp_lt_u32_e64 s[4:5], v7, v5
	v_add_u32_e32 v7, 16, v4
	s_waitcnt lgkmcnt(0)
	v_add_u16_e32 v6, v3, v6
	v_cndmask_b32_e64 v3, v3, v6, s[4:5]
	v_cmp_gt_u32_e64 s[4:5], 48, v4
	v_add_u32_e32 v4, 32, v4
	s_nop 0
	v_cndmask_b32_e64 v6, 0, 16, s[4:5]
	v_add_lshl_u32 v6, v6, v2, 2
	ds_bpermute_b32 v6, v6, v3
	v_cmp_lt_u32_e64 s[4:5], v7, v5
	s_waitcnt lgkmcnt(0)
	v_add_u16_e32 v6, v3, v6
	v_cndmask_b32_e64 v6, v3, v6, s[4:5]
	v_lshlrev_b32_e32 v3, 2, v2
	v_or_b32_e32 v7, 0x80, v3
	ds_bpermute_b32 v7, v7, v6
	v_cmp_lt_u32_e64 s[4:5], v4, v5
	s_waitcnt lgkmcnt(0)
	s_nop 0
	v_cndmask_b32_e64 v4, 0, v7, s[4:5]
	v_add_u16_e32 v4, v6, v4
	v_cndmask_b32_e32 v1, v1, v4, vcc
	v_cmp_eq_u32_e32 vcc, 0, v2
	s_and_saveexec_b64 s[4:5], vcc
; %bb.328:
	v_lshrrev_b32_e32 v4, 5, v0
	v_and_b32_e32 v4, 2, v4
	ds_write_b16 v4, v1 offset:28
; %bb.329:
	s_or_b64 exec, exec, s[4:5]
	v_cmp_gt_u32_e32 vcc, 2, v0
	s_waitcnt lgkmcnt(0)
	s_barrier
	s_and_saveexec_b64 s[4:5], vcc
	s_cbranch_execz .LBB288_331
; %bb.330:
	v_lshlrev_b32_e32 v1, 1, v2
	ds_read_u16 v1, v1 offset:28
	v_or_b32_e32 v3, 4, v3
	s_add_i32 s6, s6, 63
	v_and_b32_e32 v2, 1, v2
	s_lshr_b32 s6, s6, 6
	s_waitcnt lgkmcnt(0)
	v_and_b32_e32 v4, 0xffff, v1
	ds_bpermute_b32 v3, v3, v4
	v_add_u32_e32 v2, 1, v2
	v_cmp_gt_u32_e32 vcc, s6, v2
	s_waitcnt lgkmcnt(0)
	s_nop 0
	v_cndmask_b32_e32 v2, 0, v3, vcc
	v_add_u16_e32 v1, v2, v1
.LBB288_331:
	s_or_b64 exec, exec, s[4:5]
.LBB288_332:
	v_cmp_eq_u32_e64 s[4:5], 0, v0
	s_branch .LBB288_371
.LBB288_333:
	s_mov_b64 s[6:7], -1
                                        ; implicit-def: $vgpr1
.LBB288_334:
	s_and_b64 vcc, exec, s[6:7]
	s_cbranch_vccz .LBB288_348
; %bb.335:
	s_sub_i32 s12, s70, s4
	v_mov_b32_e32 v2, 0
	v_cmp_gt_u32_e32 vcc, s12, v0
	v_mov_b32_e32 v3, v2
	s_and_saveexec_b64 s[4:5], vcc
	s_cbranch_execz .LBB288_337
; %bb.336:
	v_lshlrev_b32_e32 v1, 1, v0
	global_load_ushort v1, v1, s[8:9]
	v_mov_b32_e32 v5, v2
	s_waitcnt vmcnt(0)
	v_and_b32_e32 v4, 0xffff, v1
	v_mov_b64_e32 v[2:3], v[4:5]
.LBB288_337:
	s_or_b64 exec, exec, s[4:5]
	v_or_b32_e32 v1, 0x80, v0
	v_cmp_gt_u32_e32 vcc, s12, v1
	s_and_saveexec_b64 s[4:5], vcc
	s_cbranch_execz .LBB288_339
; %bb.338:
	v_lshlrev_b32_e32 v1, 1, v0
	global_load_ushort v1, v1, s[8:9] offset:256
	s_mov_b32 s6, 0x5040100
	s_waitcnt vmcnt(0)
	v_perm_b32 v2, v1, v2, s6
.LBB288_339:
	s_or_b64 exec, exec, s[4:5]
	v_or_b32_e32 v1, 0x100, v0
	v_cmp_gt_u32_e64 s[4:5], s12, v1
	s_and_saveexec_b64 s[6:7], s[4:5]
	s_cbranch_execz .LBB288_341
; %bb.340:
	v_lshlrev_b32_e32 v1, 1, v0
	global_load_ushort v1, v1, s[8:9] offset:512
	s_mov_b32 s10, 0xffff
	s_waitcnt vmcnt(0)
	v_bfi_b32 v3, s10, v1, v3
.LBB288_341:
	s_or_b64 exec, exec, s[6:7]
	v_or_b32_e32 v1, 0x180, v0
	v_cmp_gt_u32_e64 s[6:7], s12, v1
	s_and_saveexec_b64 s[10:11], s[6:7]
	s_cbranch_execz .LBB288_343
; %bb.342:
	v_lshlrev_b32_e32 v1, 1, v0
	global_load_ushort v1, v1, s[8:9] offset:768
	s_mov_b32 s8, 0x5040100
	s_waitcnt vmcnt(0)
	v_perm_b32 v3, v1, v3, s8
.LBB288_343:
	s_or_b64 exec, exec, s[10:11]
	v_mov_b32_e32 v1, 0
	v_cndmask_b32_sdwa v1, v1, v2, vcc dst_sel:DWORD dst_unused:UNUSED_PAD src0_sel:DWORD src1_sel:WORD_1
	v_add_u16_e32 v1, v1, v2
	v_cndmask_b32_e64 v2, 0, v3, s[4:5]
	v_add_u16_e32 v1, v1, v2
	v_lshrrev_b32_e32 v2, 16, v3
	v_cndmask_b32_e64 v2, 0, v2, s[6:7]
	v_add_u16_e32 v1, v1, v2
	v_mbcnt_lo_u32_b32 v2, -1, 0
	v_mbcnt_hi_u32_b32 v2, -1, v2
	v_and_b32_e32 v4, 63, v2
	v_cmp_ne_u32_e32 vcc, 63, v4
	s_min_u32 s6, s12, 0x80
	v_and_b32_e32 v5, 64, v0
	v_addc_co_u32_e32 v3, vcc, 0, v2, vcc
	v_lshlrev_b32_e32 v3, 2, v3
	ds_bpermute_b32 v3, v3, v1
	v_sub_u32_e64 v5, s6, v5 clamp
	v_add_u32_e32 v6, 1, v4
	v_cmp_gt_u32_e64 s[4:5], 62, v4
	v_cmp_lt_u32_e32 vcc, v6, v5
	s_waitcnt lgkmcnt(0)
	v_add_u16_e32 v3, v1, v3
	v_cndmask_b32_e64 v6, 0, 2, s[4:5]
	v_cndmask_b32_e32 v3, v1, v3, vcc
	v_add_lshl_u32 v6, v6, v2, 2
	ds_bpermute_b32 v6, v6, v3
	v_add_u32_e32 v7, 2, v4
	v_cmp_lt_u32_e64 s[4:5], v7, v5
	v_add_u32_e32 v7, 4, v4
	s_waitcnt lgkmcnt(0)
	v_add_u16_e32 v6, v3, v6
	v_cndmask_b32_e64 v3, v3, v6, s[4:5]
	v_cmp_gt_u32_e64 s[4:5], 60, v4
	s_nop 1
	v_cndmask_b32_e64 v6, 0, 4, s[4:5]
	v_add_lshl_u32 v6, v6, v2, 2
	ds_bpermute_b32 v6, v6, v3
	v_cmp_lt_u32_e64 s[4:5], v7, v5
	v_add_u32_e32 v7, 8, v4
	s_waitcnt lgkmcnt(0)
	v_add_u16_e32 v6, v3, v6
	v_cndmask_b32_e64 v3, v3, v6, s[4:5]
	v_cmp_gt_u32_e64 s[4:5], 56, v4
	s_nop 1
	v_cndmask_b32_e64 v6, 0, 8, s[4:5]
	v_add_lshl_u32 v6, v6, v2, 2
	ds_bpermute_b32 v6, v6, v3
	v_cmp_lt_u32_e64 s[4:5], v7, v5
	v_add_u32_e32 v7, 16, v4
	s_waitcnt lgkmcnt(0)
	v_add_u16_e32 v6, v3, v6
	v_cndmask_b32_e64 v3, v3, v6, s[4:5]
	v_cmp_gt_u32_e64 s[4:5], 48, v4
	v_add_u32_e32 v4, 32, v4
	s_nop 0
	v_cndmask_b32_e64 v6, 0, 16, s[4:5]
	v_add_lshl_u32 v6, v6, v2, 2
	ds_bpermute_b32 v6, v6, v3
	v_cmp_lt_u32_e64 s[4:5], v7, v5
	s_waitcnt lgkmcnt(0)
	v_add_u16_e32 v6, v3, v6
	v_cndmask_b32_e64 v6, v3, v6, s[4:5]
	v_lshlrev_b32_e32 v3, 2, v2
	v_or_b32_e32 v7, 0x80, v3
	ds_bpermute_b32 v7, v7, v6
	v_cmp_lt_u32_e64 s[4:5], v4, v5
	s_waitcnt lgkmcnt(0)
	s_nop 0
	v_cndmask_b32_e64 v4, 0, v7, s[4:5]
	v_add_u16_e32 v4, v6, v4
	v_cndmask_b32_e32 v1, v1, v4, vcc
	v_cmp_eq_u32_e32 vcc, 0, v2
	s_and_saveexec_b64 s[4:5], vcc
; %bb.344:
	v_lshrrev_b32_e32 v4, 5, v0
	v_and_b32_e32 v4, 2, v4
	ds_write_b16 v4, v1 offset:28
; %bb.345:
	s_or_b64 exec, exec, s[4:5]
	v_cmp_gt_u32_e32 vcc, 2, v0
	s_waitcnt lgkmcnt(0)
	s_barrier
	s_and_saveexec_b64 s[4:5], vcc
	s_cbranch_execz .LBB288_347
; %bb.346:
	v_lshlrev_b32_e32 v1, 1, v2
	ds_read_u16 v1, v1 offset:28
	v_or_b32_e32 v3, 4, v3
	s_add_i32 s6, s6, 63
	v_and_b32_e32 v2, 1, v2
	s_lshr_b32 s6, s6, 6
	s_waitcnt lgkmcnt(0)
	v_and_b32_e32 v4, 0xffff, v1
	ds_bpermute_b32 v3, v3, v4
	v_add_u32_e32 v2, 1, v2
	v_cmp_gt_u32_e32 vcc, s6, v2
	s_waitcnt lgkmcnt(0)
	s_nop 0
	v_cndmask_b32_e32 v2, 0, v3, vcc
	v_add_u16_e32 v1, v2, v1
.LBB288_347:
	s_or_b64 exec, exec, s[4:5]
.LBB288_348:
	v_cmp_eq_u32_e64 s[4:5], 0, v0
.LBB288_349:
	s_branch .LBB288_371
.LBB288_350:
	s_mov_b64 s[8:9], -1
                                        ; implicit-def: $vgpr1
.LBB288_351:
	s_and_b64 vcc, exec, s[8:9]
	s_cbranch_vccz .LBB288_361
; %bb.352:
	s_sub_i32 s8, s70, s6
	v_cmp_gt_u32_e32 vcc, s8, v0
	v_mov_b32_e32 v1, 0
	s_and_saveexec_b64 s[6:7], vcc
	s_cbranch_execz .LBB288_354
; %bb.353:
	v_lshlrev_b32_e32 v1, 1, v0
	global_load_ushort v1, v1, s[4:5]
	s_waitcnt vmcnt(0)
	v_and_b32_e32 v1, 0xffff, v1
.LBB288_354:
	s_or_b64 exec, exec, s[6:7]
	v_or_b32_e32 v2, 0x80, v0
	v_cmp_gt_u32_e32 vcc, s8, v2
	s_and_saveexec_b64 s[6:7], vcc
	s_cbranch_execz .LBB288_356
; %bb.355:
	v_lshlrev_b32_e32 v2, 1, v0
	global_load_ushort v2, v2, s[4:5] offset:256
	s_mov_b32 s4, 0x5040100
	s_waitcnt vmcnt(0)
	v_perm_b32 v1, v2, v1, s4
.LBB288_356:
	s_or_b64 exec, exec, s[6:7]
	v_mov_b32_e32 v2, 0
	v_cndmask_b32_sdwa v2, v2, v1, vcc dst_sel:DWORD dst_unused:UNUSED_PAD src0_sel:DWORD src1_sel:WORD_1
	v_add_u16_e32 v1, v2, v1
	v_mbcnt_lo_u32_b32 v2, -1, 0
	v_mbcnt_hi_u32_b32 v2, -1, v2
	v_and_b32_e32 v4, 63, v2
	v_cmp_ne_u32_e32 vcc, 63, v4
	s_min_u32 s6, s8, 0x80
	v_and_b32_e32 v5, 64, v0
	v_addc_co_u32_e32 v3, vcc, 0, v2, vcc
	v_lshlrev_b32_e32 v3, 2, v3
	ds_bpermute_b32 v3, v3, v1
	v_sub_u32_e64 v5, s6, v5 clamp
	v_add_u32_e32 v6, 1, v4
	v_cmp_gt_u32_e64 s[4:5], 62, v4
	v_cmp_lt_u32_e32 vcc, v6, v5
	s_waitcnt lgkmcnt(0)
	v_add_u16_e32 v3, v1, v3
	v_cndmask_b32_e64 v6, 0, 2, s[4:5]
	v_cndmask_b32_e32 v3, v1, v3, vcc
	v_add_lshl_u32 v6, v6, v2, 2
	ds_bpermute_b32 v6, v6, v3
	v_add_u32_e32 v7, 2, v4
	v_cmp_lt_u32_e64 s[4:5], v7, v5
	v_add_u32_e32 v7, 4, v4
	s_waitcnt lgkmcnt(0)
	v_add_u16_e32 v6, v3, v6
	v_cndmask_b32_e64 v3, v3, v6, s[4:5]
	v_cmp_gt_u32_e64 s[4:5], 60, v4
	s_nop 1
	v_cndmask_b32_e64 v6, 0, 4, s[4:5]
	v_add_lshl_u32 v6, v6, v2, 2
	ds_bpermute_b32 v6, v6, v3
	v_cmp_lt_u32_e64 s[4:5], v7, v5
	v_add_u32_e32 v7, 8, v4
	s_waitcnt lgkmcnt(0)
	v_add_u16_e32 v6, v3, v6
	v_cndmask_b32_e64 v3, v3, v6, s[4:5]
	v_cmp_gt_u32_e64 s[4:5], 56, v4
	s_nop 1
	v_cndmask_b32_e64 v6, 0, 8, s[4:5]
	v_add_lshl_u32 v6, v6, v2, 2
	ds_bpermute_b32 v6, v6, v3
	v_cmp_lt_u32_e64 s[4:5], v7, v5
	v_add_u32_e32 v7, 16, v4
	s_waitcnt lgkmcnt(0)
	v_add_u16_e32 v6, v3, v6
	v_cndmask_b32_e64 v3, v3, v6, s[4:5]
	v_cmp_gt_u32_e64 s[4:5], 48, v4
	v_add_u32_e32 v4, 32, v4
	s_nop 0
	v_cndmask_b32_e64 v6, 0, 16, s[4:5]
	v_add_lshl_u32 v6, v6, v2, 2
	ds_bpermute_b32 v6, v6, v3
	v_cmp_lt_u32_e64 s[4:5], v7, v5
	s_waitcnt lgkmcnt(0)
	v_add_u16_e32 v6, v3, v6
	v_cndmask_b32_e64 v6, v3, v6, s[4:5]
	v_lshlrev_b32_e32 v3, 2, v2
	v_or_b32_e32 v7, 0x80, v3
	ds_bpermute_b32 v7, v7, v6
	v_cmp_lt_u32_e64 s[4:5], v4, v5
	s_waitcnt lgkmcnt(0)
	s_nop 0
	v_cndmask_b32_e64 v4, 0, v7, s[4:5]
	v_add_u16_e32 v4, v6, v4
	v_cndmask_b32_e32 v1, v1, v4, vcc
	v_cmp_eq_u32_e32 vcc, 0, v2
	s_and_saveexec_b64 s[4:5], vcc
; %bb.357:
	v_lshrrev_b32_e32 v4, 5, v0
	v_and_b32_e32 v4, 2, v4
	ds_write_b16 v4, v1 offset:28
; %bb.358:
	s_or_b64 exec, exec, s[4:5]
	v_cmp_gt_u32_e32 vcc, 2, v0
	s_waitcnt lgkmcnt(0)
	s_barrier
	s_and_saveexec_b64 s[4:5], vcc
	s_cbranch_execz .LBB288_360
; %bb.359:
	v_lshlrev_b32_e32 v1, 1, v2
	ds_read_u16 v1, v1 offset:28
	v_or_b32_e32 v3, 4, v3
	s_add_i32 s6, s6, 63
	v_and_b32_e32 v2, 1, v2
	s_lshr_b32 s6, s6, 6
	s_waitcnt lgkmcnt(0)
	v_and_b32_e32 v4, 0xffff, v1
	ds_bpermute_b32 v3, v3, v4
	v_add_u32_e32 v2, 1, v2
	v_cmp_gt_u32_e32 vcc, s6, v2
	s_waitcnt lgkmcnt(0)
	s_nop 0
	v_cndmask_b32_e32 v2, 0, v3, vcc
	v_add_u16_e32 v1, v2, v1
.LBB288_360:
	s_or_b64 exec, exec, s[4:5]
.LBB288_361:
	v_cmp_eq_u32_e64 s[4:5], 0, v0
	s_branch .LBB288_371
.LBB288_362:
	s_cmp_eq_u32 s33, 1
	s_cbranch_scc0 .LBB288_370
; %bb.363:
	s_mov_b32 s5, 0
	s_lshl_b32 s4, s2, 7
	s_mov_b32 s3, s5
	s_lshr_b64 s[6:7], s[70:71], 7
	s_cmp_lg_u64 s[6:7], s[2:3]
	v_mbcnt_lo_u32_b32 v2, -1, 0
	s_cbranch_scc0 .LBB288_374
; %bb.364:
	s_lshl_b64 s[6:7], s[4:5], 1
	s_add_u32 s6, s68, s6
	s_addc_u32 s7, s69, s7
	v_lshlrev_b32_e32 v1, 1, v0
	global_load_ushort v1, v1, s[6:7]
	v_mbcnt_hi_u32_b32 v3, -1, v2
	v_lshlrev_b32_e32 v4, 2, v3
	v_cmp_eq_u32_e32 vcc, 0, v3
	s_waitcnt vmcnt(0)
	v_and_b32_e32 v5, 0xffff, v1
	s_nop 1
	v_add_u16_dpp v1, v5, v1 quad_perm:[1,0,3,2] row_mask:0xf bank_mask:0xf bound_ctrl:1
	v_or_b32_e32 v5, 0xfc, v4
	s_nop 0
	v_add_u16_dpp v1, v1, v1 quad_perm:[2,3,0,1] row_mask:0xf bank_mask:0xf bound_ctrl:1
	s_nop 1
	v_add_u16_dpp v1, v1, v1 row_ror:4 row_mask:0xf bank_mask:0xf bound_ctrl:1
	s_nop 1
	v_add_u16_dpp v1, v1, v1 row_ror:8 row_mask:0xf bank_mask:0xf bound_ctrl:1
	s_nop 1
	v_add_u16_dpp v1, v1, v1 row_bcast:15 row_mask:0xf bank_mask:0xf bound_ctrl:1
	s_nop 1
	v_add_u16_dpp v1, v1, v1 row_bcast:31 row_mask:0xf bank_mask:0xf bound_ctrl:1
	ds_bpermute_b32 v1, v5, v1
	s_and_saveexec_b64 s[6:7], vcc
	s_cbranch_execz .LBB288_366
; %bb.365:
	v_lshrrev_b32_e32 v5, 5, v0
	v_and_b32_e32 v5, 2, v5
	s_waitcnt lgkmcnt(0)
	ds_write_b16 v5, v1 offset:4
.LBB288_366:
	s_or_b64 exec, exec, s[6:7]
	v_cmp_gt_u32_e32 vcc, 64, v0
	s_waitcnt lgkmcnt(0)
	s_barrier
	s_and_saveexec_b64 s[6:7], vcc
	s_cbranch_execz .LBB288_368
; %bb.367:
	v_and_b32_e32 v1, 1, v3
	v_lshlrev_b32_e32 v1, 1, v1
	ds_read_u16 v1, v1 offset:4
	v_or_b32_e32 v3, 4, v4
	s_waitcnt lgkmcnt(0)
	v_and_b32_e32 v4, 0xffff, v1
	ds_bpermute_b32 v3, v3, v4
	s_waitcnt lgkmcnt(0)
	v_add_u16_e32 v1, v1, v3
.LBB288_368:
	s_or_b64 exec, exec, s[6:7]
.LBB288_369:
	v_cmp_eq_u32_e64 s[4:5], 0, v0
	s_and_saveexec_b64 s[6:7], s[4:5]
	s_cbranch_execnz .LBB288_372
	s_branch .LBB288_373
.LBB288_370:
                                        ; implicit-def: $vgpr1
                                        ; implicit-def: $sgpr2_sgpr3
.LBB288_371:
	s_and_saveexec_b64 s[6:7], s[4:5]
	s_cbranch_execz .LBB288_373
.LBB288_372:
	s_load_dwordx2 s[4:5], s[0:1], 0x18
	s_load_dword s6, s[0:1], 0x20
	s_lshl_b64 s[0:1], s[2:3], 1
	v_mov_b32_e32 v0, 0
	s_waitcnt lgkmcnt(0)
	s_add_u32 s0, s4, s0
	s_addc_u32 s1, s5, s1
	s_cmp_lg_u64 s[70:71], 0
	s_cselect_b64 vcc, -1, 0
	v_cndmask_b32_e32 v1, 0, v1, vcc
	v_add_u16_e32 v1, s6, v1
	global_store_short v0, v1, s[0:1]
.LBB288_373:
	s_endpgm
.LBB288_374:
                                        ; implicit-def: $vgpr1
	s_cbranch_execz .LBB288_369
; %bb.375:
	s_sub_i32 s8, s70, s4
	v_cmp_gt_u32_e32 vcc, s8, v0
                                        ; implicit-def: $vgpr1
	s_and_saveexec_b64 s[6:7], vcc
	s_cbranch_execz .LBB288_377
; %bb.376:
	s_lshl_b64 s[4:5], s[4:5], 1
	s_add_u32 s4, s68, s4
	s_addc_u32 s5, s69, s5
	v_lshlrev_b32_e32 v1, 1, v0
	global_load_ushort v1, v1, s[4:5]
.LBB288_377:
	s_or_b64 exec, exec, s[6:7]
	v_mbcnt_hi_u32_b32 v2, -1, v2
	v_and_b32_e32 v4, 63, v2
	v_cmp_ne_u32_e32 vcc, 63, v4
	s_waitcnt vmcnt(0)
	v_and_b32_e32 v5, 0xffff, v1
	s_min_u32 s8, s8, 0x80
	v_addc_co_u32_e32 v3, vcc, 0, v2, vcc
	v_lshlrev_b32_e32 v3, 2, v3
	ds_bpermute_b32 v3, v3, v5
	v_and_b32_e32 v6, 64, v0
	v_sub_u32_e64 v6, s8, v6 clamp
	v_add_u32_e32 v7, 1, v4
	v_cmp_gt_u32_e64 s[4:5], 62, v4
	s_waitcnt lgkmcnt(0)
	v_add_u16_e32 v3, v1, v3
	v_cmp_lt_u32_e32 vcc, v7, v6
	v_cndmask_b32_e64 v7, 0, 2, s[4:5]
	v_add_lshl_u32 v7, v7, v2, 2
	v_cndmask_b32_e32 v5, v5, v3, vcc
	ds_bpermute_b32 v7, v7, v5
	v_cndmask_b32_e32 v3, v1, v3, vcc
	v_add_u32_e32 v8, 2, v4
	v_cmp_gt_u32_e64 s[6:7], 60, v4
	v_cmp_lt_u32_e64 s[4:5], v8, v6
	s_waitcnt lgkmcnt(0)
	v_add_u16_e32 v7, v3, v7
	v_cndmask_b32_e64 v8, 0, 4, s[6:7]
	v_cndmask_b32_e64 v5, v5, v7, s[4:5]
	v_add_lshl_u32 v8, v8, v2, 2
	ds_bpermute_b32 v8, v8, v5
	v_cndmask_b32_e64 v3, v3, v7, s[4:5]
	v_add_u32_e32 v7, 4, v4
	v_cmp_gt_u32_e64 s[6:7], 56, v4
	v_cmp_lt_u32_e64 s[4:5], v7, v6
	s_waitcnt lgkmcnt(0)
	v_add_u16_e32 v8, v3, v8
	v_cndmask_b32_e64 v7, 0, 8, s[6:7]
	v_cndmask_b32_e64 v5, v5, v8, s[4:5]
	v_add_lshl_u32 v7, v7, v2, 2
	ds_bpermute_b32 v7, v7, v5
	v_cndmask_b32_e64 v3, v3, v8, s[4:5]
	;; [unrolled: 10-line block ×3, first 2 shown]
	v_add_u32_e32 v3, 16, v4
	v_cmp_lt_u32_e64 s[4:5], v3, v6
	v_lshlrev_b32_e32 v3, 2, v2
	s_waitcnt lgkmcnt(0)
	v_add_u16_e32 v8, v7, v8
	v_cndmask_b32_e64 v5, v5, v8, s[4:5]
	v_or_b32_e32 v9, 0x80, v3
	ds_bpermute_b32 v5, v9, v5
	v_add_u32_e32 v4, 32, v4
	v_cndmask_b32_e64 v7, v7, v8, s[4:5]
	v_cmp_lt_u32_e64 s[4:5], v4, v6
	s_waitcnt lgkmcnt(0)
	s_nop 0
	v_cndmask_b32_e64 v4, 0, v5, s[4:5]
	v_add_u16_e32 v4, v7, v4
	v_cndmask_b32_e32 v1, v1, v4, vcc
	v_cmp_eq_u32_e32 vcc, 0, v2
	s_and_saveexec_b64 s[4:5], vcc
; %bb.378:
	v_lshrrev_b32_e32 v4, 5, v0
	v_and_b32_e32 v4, 2, v4
	ds_write_b16 v4, v1 offset:28
; %bb.379:
	s_or_b64 exec, exec, s[4:5]
	v_cmp_gt_u32_e32 vcc, 2, v0
	s_waitcnt lgkmcnt(0)
	s_barrier
	s_and_saveexec_b64 s[4:5], vcc
	s_cbranch_execz .LBB288_381
; %bb.380:
	v_lshlrev_b32_e32 v1, 1, v2
	ds_read_u16 v1, v1 offset:28
	v_or_b32_e32 v3, 4, v3
	s_add_i32 s8, s8, 63
	v_and_b32_e32 v2, 1, v2
	s_lshr_b32 s6, s8, 6
	s_waitcnt lgkmcnt(0)
	v_and_b32_e32 v4, 0xffff, v1
	ds_bpermute_b32 v3, v3, v4
	v_add_u32_e32 v2, 1, v2
	v_cmp_gt_u32_e32 vcc, s6, v2
	s_waitcnt lgkmcnt(0)
	s_nop 0
	v_cndmask_b32_e32 v2, 0, v3, vcc
	v_add_u16_e32 v1, v2, v1
.LBB288_381:
	s_or_b64 exec, exec, s[4:5]
	v_cmp_eq_u32_e64 s[4:5], 0, v0
	s_and_saveexec_b64 s[6:7], s[4:5]
	s_cbranch_execnz .LBB288_372
	s_branch .LBB288_373
	.section	.rodata,"a",@progbits
	.p2align	6, 0x0
	.amdhsa_kernel _ZN7rocprim17ROCPRIM_400000_NS6detail17trampoline_kernelINS0_14default_configENS1_22reduce_config_selectorIsEEZNS1_11reduce_implILb1ES3_N6thrust23THRUST_200600_302600_NS6detail15normal_iteratorINS8_10device_ptrIsEEEEPssNS8_4plusIsEEEE10hipError_tPvRmT1_T2_T3_mT4_P12ihipStream_tbEUlT_E1_NS1_11comp_targetILNS1_3genE0ELNS1_11target_archE4294967295ELNS1_3gpuE0ELNS1_3repE0EEENS1_30default_config_static_selectorELNS0_4arch9wavefront6targetE1EEEvSK_
		.amdhsa_group_segment_fixed_size 32
		.amdhsa_private_segment_fixed_size 0
		.amdhsa_kernarg_size 40
		.amdhsa_user_sgpr_count 2
		.amdhsa_user_sgpr_dispatch_ptr 0
		.amdhsa_user_sgpr_queue_ptr 0
		.amdhsa_user_sgpr_kernarg_segment_ptr 1
		.amdhsa_user_sgpr_dispatch_id 0
		.amdhsa_user_sgpr_kernarg_preload_length 0
		.amdhsa_user_sgpr_kernarg_preload_offset 0
		.amdhsa_user_sgpr_private_segment_size 0
		.amdhsa_uses_dynamic_stack 0
		.amdhsa_enable_private_segment 0
		.amdhsa_system_sgpr_workgroup_id_x 1
		.amdhsa_system_sgpr_workgroup_id_y 0
		.amdhsa_system_sgpr_workgroup_id_z 0
		.amdhsa_system_sgpr_workgroup_info 0
		.amdhsa_system_vgpr_workitem_id 0
		.amdhsa_next_free_vgpr 67
		.amdhsa_next_free_sgpr 100
		.amdhsa_accum_offset 68
		.amdhsa_reserve_vcc 1
		.amdhsa_float_round_mode_32 0
		.amdhsa_float_round_mode_16_64 0
		.amdhsa_float_denorm_mode_32 3
		.amdhsa_float_denorm_mode_16_64 3
		.amdhsa_dx10_clamp 1
		.amdhsa_ieee_mode 1
		.amdhsa_fp16_overflow 0
		.amdhsa_tg_split 0
		.amdhsa_exception_fp_ieee_invalid_op 0
		.amdhsa_exception_fp_denorm_src 0
		.amdhsa_exception_fp_ieee_div_zero 0
		.amdhsa_exception_fp_ieee_overflow 0
		.amdhsa_exception_fp_ieee_underflow 0
		.amdhsa_exception_fp_ieee_inexact 0
		.amdhsa_exception_int_div_zero 0
	.end_amdhsa_kernel
	.section	.text._ZN7rocprim17ROCPRIM_400000_NS6detail17trampoline_kernelINS0_14default_configENS1_22reduce_config_selectorIsEEZNS1_11reduce_implILb1ES3_N6thrust23THRUST_200600_302600_NS6detail15normal_iteratorINS8_10device_ptrIsEEEEPssNS8_4plusIsEEEE10hipError_tPvRmT1_T2_T3_mT4_P12ihipStream_tbEUlT_E1_NS1_11comp_targetILNS1_3genE0ELNS1_11target_archE4294967295ELNS1_3gpuE0ELNS1_3repE0EEENS1_30default_config_static_selectorELNS0_4arch9wavefront6targetE1EEEvSK_,"axG",@progbits,_ZN7rocprim17ROCPRIM_400000_NS6detail17trampoline_kernelINS0_14default_configENS1_22reduce_config_selectorIsEEZNS1_11reduce_implILb1ES3_N6thrust23THRUST_200600_302600_NS6detail15normal_iteratorINS8_10device_ptrIsEEEEPssNS8_4plusIsEEEE10hipError_tPvRmT1_T2_T3_mT4_P12ihipStream_tbEUlT_E1_NS1_11comp_targetILNS1_3genE0ELNS1_11target_archE4294967295ELNS1_3gpuE0ELNS1_3repE0EEENS1_30default_config_static_selectorELNS0_4arch9wavefront6targetE1EEEvSK_,comdat
.Lfunc_end288:
	.size	_ZN7rocprim17ROCPRIM_400000_NS6detail17trampoline_kernelINS0_14default_configENS1_22reduce_config_selectorIsEEZNS1_11reduce_implILb1ES3_N6thrust23THRUST_200600_302600_NS6detail15normal_iteratorINS8_10device_ptrIsEEEEPssNS8_4plusIsEEEE10hipError_tPvRmT1_T2_T3_mT4_P12ihipStream_tbEUlT_E1_NS1_11comp_targetILNS1_3genE0ELNS1_11target_archE4294967295ELNS1_3gpuE0ELNS1_3repE0EEENS1_30default_config_static_selectorELNS0_4arch9wavefront6targetE1EEEvSK_, .Lfunc_end288-_ZN7rocprim17ROCPRIM_400000_NS6detail17trampoline_kernelINS0_14default_configENS1_22reduce_config_selectorIsEEZNS1_11reduce_implILb1ES3_N6thrust23THRUST_200600_302600_NS6detail15normal_iteratorINS8_10device_ptrIsEEEEPssNS8_4plusIsEEEE10hipError_tPvRmT1_T2_T3_mT4_P12ihipStream_tbEUlT_E1_NS1_11comp_targetILNS1_3genE0ELNS1_11target_archE4294967295ELNS1_3gpuE0ELNS1_3repE0EEENS1_30default_config_static_selectorELNS0_4arch9wavefront6targetE1EEEvSK_
                                        ; -- End function
	.set _ZN7rocprim17ROCPRIM_400000_NS6detail17trampoline_kernelINS0_14default_configENS1_22reduce_config_selectorIsEEZNS1_11reduce_implILb1ES3_N6thrust23THRUST_200600_302600_NS6detail15normal_iteratorINS8_10device_ptrIsEEEEPssNS8_4plusIsEEEE10hipError_tPvRmT1_T2_T3_mT4_P12ihipStream_tbEUlT_E1_NS1_11comp_targetILNS1_3genE0ELNS1_11target_archE4294967295ELNS1_3gpuE0ELNS1_3repE0EEENS1_30default_config_static_selectorELNS0_4arch9wavefront6targetE1EEEvSK_.num_vgpr, 67
	.set _ZN7rocprim17ROCPRIM_400000_NS6detail17trampoline_kernelINS0_14default_configENS1_22reduce_config_selectorIsEEZNS1_11reduce_implILb1ES3_N6thrust23THRUST_200600_302600_NS6detail15normal_iteratorINS8_10device_ptrIsEEEEPssNS8_4plusIsEEEE10hipError_tPvRmT1_T2_T3_mT4_P12ihipStream_tbEUlT_E1_NS1_11comp_targetILNS1_3genE0ELNS1_11target_archE4294967295ELNS1_3gpuE0ELNS1_3repE0EEENS1_30default_config_static_selectorELNS0_4arch9wavefront6targetE1EEEvSK_.num_agpr, 0
	.set _ZN7rocprim17ROCPRIM_400000_NS6detail17trampoline_kernelINS0_14default_configENS1_22reduce_config_selectorIsEEZNS1_11reduce_implILb1ES3_N6thrust23THRUST_200600_302600_NS6detail15normal_iteratorINS8_10device_ptrIsEEEEPssNS8_4plusIsEEEE10hipError_tPvRmT1_T2_T3_mT4_P12ihipStream_tbEUlT_E1_NS1_11comp_targetILNS1_3genE0ELNS1_11target_archE4294967295ELNS1_3gpuE0ELNS1_3repE0EEENS1_30default_config_static_selectorELNS0_4arch9wavefront6targetE1EEEvSK_.numbered_sgpr, 100
	.set _ZN7rocprim17ROCPRIM_400000_NS6detail17trampoline_kernelINS0_14default_configENS1_22reduce_config_selectorIsEEZNS1_11reduce_implILb1ES3_N6thrust23THRUST_200600_302600_NS6detail15normal_iteratorINS8_10device_ptrIsEEEEPssNS8_4plusIsEEEE10hipError_tPvRmT1_T2_T3_mT4_P12ihipStream_tbEUlT_E1_NS1_11comp_targetILNS1_3genE0ELNS1_11target_archE4294967295ELNS1_3gpuE0ELNS1_3repE0EEENS1_30default_config_static_selectorELNS0_4arch9wavefront6targetE1EEEvSK_.num_named_barrier, 0
	.set _ZN7rocprim17ROCPRIM_400000_NS6detail17trampoline_kernelINS0_14default_configENS1_22reduce_config_selectorIsEEZNS1_11reduce_implILb1ES3_N6thrust23THRUST_200600_302600_NS6detail15normal_iteratorINS8_10device_ptrIsEEEEPssNS8_4plusIsEEEE10hipError_tPvRmT1_T2_T3_mT4_P12ihipStream_tbEUlT_E1_NS1_11comp_targetILNS1_3genE0ELNS1_11target_archE4294967295ELNS1_3gpuE0ELNS1_3repE0EEENS1_30default_config_static_selectorELNS0_4arch9wavefront6targetE1EEEvSK_.private_seg_size, 0
	.set _ZN7rocprim17ROCPRIM_400000_NS6detail17trampoline_kernelINS0_14default_configENS1_22reduce_config_selectorIsEEZNS1_11reduce_implILb1ES3_N6thrust23THRUST_200600_302600_NS6detail15normal_iteratorINS8_10device_ptrIsEEEEPssNS8_4plusIsEEEE10hipError_tPvRmT1_T2_T3_mT4_P12ihipStream_tbEUlT_E1_NS1_11comp_targetILNS1_3genE0ELNS1_11target_archE4294967295ELNS1_3gpuE0ELNS1_3repE0EEENS1_30default_config_static_selectorELNS0_4arch9wavefront6targetE1EEEvSK_.uses_vcc, 1
	.set _ZN7rocprim17ROCPRIM_400000_NS6detail17trampoline_kernelINS0_14default_configENS1_22reduce_config_selectorIsEEZNS1_11reduce_implILb1ES3_N6thrust23THRUST_200600_302600_NS6detail15normal_iteratorINS8_10device_ptrIsEEEEPssNS8_4plusIsEEEE10hipError_tPvRmT1_T2_T3_mT4_P12ihipStream_tbEUlT_E1_NS1_11comp_targetILNS1_3genE0ELNS1_11target_archE4294967295ELNS1_3gpuE0ELNS1_3repE0EEENS1_30default_config_static_selectorELNS0_4arch9wavefront6targetE1EEEvSK_.uses_flat_scratch, 0
	.set _ZN7rocprim17ROCPRIM_400000_NS6detail17trampoline_kernelINS0_14default_configENS1_22reduce_config_selectorIsEEZNS1_11reduce_implILb1ES3_N6thrust23THRUST_200600_302600_NS6detail15normal_iteratorINS8_10device_ptrIsEEEEPssNS8_4plusIsEEEE10hipError_tPvRmT1_T2_T3_mT4_P12ihipStream_tbEUlT_E1_NS1_11comp_targetILNS1_3genE0ELNS1_11target_archE4294967295ELNS1_3gpuE0ELNS1_3repE0EEENS1_30default_config_static_selectorELNS0_4arch9wavefront6targetE1EEEvSK_.has_dyn_sized_stack, 0
	.set _ZN7rocprim17ROCPRIM_400000_NS6detail17trampoline_kernelINS0_14default_configENS1_22reduce_config_selectorIsEEZNS1_11reduce_implILb1ES3_N6thrust23THRUST_200600_302600_NS6detail15normal_iteratorINS8_10device_ptrIsEEEEPssNS8_4plusIsEEEE10hipError_tPvRmT1_T2_T3_mT4_P12ihipStream_tbEUlT_E1_NS1_11comp_targetILNS1_3genE0ELNS1_11target_archE4294967295ELNS1_3gpuE0ELNS1_3repE0EEENS1_30default_config_static_selectorELNS0_4arch9wavefront6targetE1EEEvSK_.has_recursion, 0
	.set _ZN7rocprim17ROCPRIM_400000_NS6detail17trampoline_kernelINS0_14default_configENS1_22reduce_config_selectorIsEEZNS1_11reduce_implILb1ES3_N6thrust23THRUST_200600_302600_NS6detail15normal_iteratorINS8_10device_ptrIsEEEEPssNS8_4plusIsEEEE10hipError_tPvRmT1_T2_T3_mT4_P12ihipStream_tbEUlT_E1_NS1_11comp_targetILNS1_3genE0ELNS1_11target_archE4294967295ELNS1_3gpuE0ELNS1_3repE0EEENS1_30default_config_static_selectorELNS0_4arch9wavefront6targetE1EEEvSK_.has_indirect_call, 0
	.section	.AMDGPU.csdata,"",@progbits
; Kernel info:
; codeLenInByte = 18848
; TotalNumSgprs: 106
; NumVgprs: 67
; NumAgprs: 0
; TotalNumVgprs: 67
; ScratchSize: 0
; MemoryBound: 0
; FloatMode: 240
; IeeeMode: 1
; LDSByteSize: 32 bytes/workgroup (compile time only)
; SGPRBlocks: 13
; VGPRBlocks: 8
; NumSGPRsForWavesPerEU: 106
; NumVGPRsForWavesPerEU: 67
; AccumOffset: 68
; Occupancy: 7
; WaveLimiterHint : 1
; COMPUTE_PGM_RSRC2:SCRATCH_EN: 0
; COMPUTE_PGM_RSRC2:USER_SGPR: 2
; COMPUTE_PGM_RSRC2:TRAP_HANDLER: 0
; COMPUTE_PGM_RSRC2:TGID_X_EN: 1
; COMPUTE_PGM_RSRC2:TGID_Y_EN: 0
; COMPUTE_PGM_RSRC2:TGID_Z_EN: 0
; COMPUTE_PGM_RSRC2:TIDIG_COMP_CNT: 0
; COMPUTE_PGM_RSRC3_GFX90A:ACCUM_OFFSET: 16
; COMPUTE_PGM_RSRC3_GFX90A:TG_SPLIT: 0
	.section	.text._ZN7rocprim17ROCPRIM_400000_NS6detail17trampoline_kernelINS0_14default_configENS1_22reduce_config_selectorIsEEZNS1_11reduce_implILb1ES3_N6thrust23THRUST_200600_302600_NS6detail15normal_iteratorINS8_10device_ptrIsEEEEPssNS8_4plusIsEEEE10hipError_tPvRmT1_T2_T3_mT4_P12ihipStream_tbEUlT_E1_NS1_11comp_targetILNS1_3genE5ELNS1_11target_archE942ELNS1_3gpuE9ELNS1_3repE0EEENS1_30default_config_static_selectorELNS0_4arch9wavefront6targetE1EEEvSK_,"axG",@progbits,_ZN7rocprim17ROCPRIM_400000_NS6detail17trampoline_kernelINS0_14default_configENS1_22reduce_config_selectorIsEEZNS1_11reduce_implILb1ES3_N6thrust23THRUST_200600_302600_NS6detail15normal_iteratorINS8_10device_ptrIsEEEEPssNS8_4plusIsEEEE10hipError_tPvRmT1_T2_T3_mT4_P12ihipStream_tbEUlT_E1_NS1_11comp_targetILNS1_3genE5ELNS1_11target_archE942ELNS1_3gpuE9ELNS1_3repE0EEENS1_30default_config_static_selectorELNS0_4arch9wavefront6targetE1EEEvSK_,comdat
	.protected	_ZN7rocprim17ROCPRIM_400000_NS6detail17trampoline_kernelINS0_14default_configENS1_22reduce_config_selectorIsEEZNS1_11reduce_implILb1ES3_N6thrust23THRUST_200600_302600_NS6detail15normal_iteratorINS8_10device_ptrIsEEEEPssNS8_4plusIsEEEE10hipError_tPvRmT1_T2_T3_mT4_P12ihipStream_tbEUlT_E1_NS1_11comp_targetILNS1_3genE5ELNS1_11target_archE942ELNS1_3gpuE9ELNS1_3repE0EEENS1_30default_config_static_selectorELNS0_4arch9wavefront6targetE1EEEvSK_ ; -- Begin function _ZN7rocprim17ROCPRIM_400000_NS6detail17trampoline_kernelINS0_14default_configENS1_22reduce_config_selectorIsEEZNS1_11reduce_implILb1ES3_N6thrust23THRUST_200600_302600_NS6detail15normal_iteratorINS8_10device_ptrIsEEEEPssNS8_4plusIsEEEE10hipError_tPvRmT1_T2_T3_mT4_P12ihipStream_tbEUlT_E1_NS1_11comp_targetILNS1_3genE5ELNS1_11target_archE942ELNS1_3gpuE9ELNS1_3repE0EEENS1_30default_config_static_selectorELNS0_4arch9wavefront6targetE1EEEvSK_
	.globl	_ZN7rocprim17ROCPRIM_400000_NS6detail17trampoline_kernelINS0_14default_configENS1_22reduce_config_selectorIsEEZNS1_11reduce_implILb1ES3_N6thrust23THRUST_200600_302600_NS6detail15normal_iteratorINS8_10device_ptrIsEEEEPssNS8_4plusIsEEEE10hipError_tPvRmT1_T2_T3_mT4_P12ihipStream_tbEUlT_E1_NS1_11comp_targetILNS1_3genE5ELNS1_11target_archE942ELNS1_3gpuE9ELNS1_3repE0EEENS1_30default_config_static_selectorELNS0_4arch9wavefront6targetE1EEEvSK_
	.p2align	8
	.type	_ZN7rocprim17ROCPRIM_400000_NS6detail17trampoline_kernelINS0_14default_configENS1_22reduce_config_selectorIsEEZNS1_11reduce_implILb1ES3_N6thrust23THRUST_200600_302600_NS6detail15normal_iteratorINS8_10device_ptrIsEEEEPssNS8_4plusIsEEEE10hipError_tPvRmT1_T2_T3_mT4_P12ihipStream_tbEUlT_E1_NS1_11comp_targetILNS1_3genE5ELNS1_11target_archE942ELNS1_3gpuE9ELNS1_3repE0EEENS1_30default_config_static_selectorELNS0_4arch9wavefront6targetE1EEEvSK_,@function
_ZN7rocprim17ROCPRIM_400000_NS6detail17trampoline_kernelINS0_14default_configENS1_22reduce_config_selectorIsEEZNS1_11reduce_implILb1ES3_N6thrust23THRUST_200600_302600_NS6detail15normal_iteratorINS8_10device_ptrIsEEEEPssNS8_4plusIsEEEE10hipError_tPvRmT1_T2_T3_mT4_P12ihipStream_tbEUlT_E1_NS1_11comp_targetILNS1_3genE5ELNS1_11target_archE942ELNS1_3gpuE9ELNS1_3repE0EEENS1_30default_config_static_selectorELNS0_4arch9wavefront6targetE1EEEvSK_: ; @_ZN7rocprim17ROCPRIM_400000_NS6detail17trampoline_kernelINS0_14default_configENS1_22reduce_config_selectorIsEEZNS1_11reduce_implILb1ES3_N6thrust23THRUST_200600_302600_NS6detail15normal_iteratorINS8_10device_ptrIsEEEEPssNS8_4plusIsEEEE10hipError_tPvRmT1_T2_T3_mT4_P12ihipStream_tbEUlT_E1_NS1_11comp_targetILNS1_3genE5ELNS1_11target_archE942ELNS1_3gpuE9ELNS1_3repE0EEENS1_30default_config_static_selectorELNS0_4arch9wavefront6targetE1EEEvSK_
; %bb.0:
	.section	.rodata,"a",@progbits
	.p2align	6, 0x0
	.amdhsa_kernel _ZN7rocprim17ROCPRIM_400000_NS6detail17trampoline_kernelINS0_14default_configENS1_22reduce_config_selectorIsEEZNS1_11reduce_implILb1ES3_N6thrust23THRUST_200600_302600_NS6detail15normal_iteratorINS8_10device_ptrIsEEEEPssNS8_4plusIsEEEE10hipError_tPvRmT1_T2_T3_mT4_P12ihipStream_tbEUlT_E1_NS1_11comp_targetILNS1_3genE5ELNS1_11target_archE942ELNS1_3gpuE9ELNS1_3repE0EEENS1_30default_config_static_selectorELNS0_4arch9wavefront6targetE1EEEvSK_
		.amdhsa_group_segment_fixed_size 0
		.amdhsa_private_segment_fixed_size 0
		.amdhsa_kernarg_size 40
		.amdhsa_user_sgpr_count 2
		.amdhsa_user_sgpr_dispatch_ptr 0
		.amdhsa_user_sgpr_queue_ptr 0
		.amdhsa_user_sgpr_kernarg_segment_ptr 1
		.amdhsa_user_sgpr_dispatch_id 0
		.amdhsa_user_sgpr_kernarg_preload_length 0
		.amdhsa_user_sgpr_kernarg_preload_offset 0
		.amdhsa_user_sgpr_private_segment_size 0
		.amdhsa_uses_dynamic_stack 0
		.amdhsa_enable_private_segment 0
		.amdhsa_system_sgpr_workgroup_id_x 1
		.amdhsa_system_sgpr_workgroup_id_y 0
		.amdhsa_system_sgpr_workgroup_id_z 0
		.amdhsa_system_sgpr_workgroup_info 0
		.amdhsa_system_vgpr_workitem_id 0
		.amdhsa_next_free_vgpr 1
		.amdhsa_next_free_sgpr 0
		.amdhsa_accum_offset 4
		.amdhsa_reserve_vcc 0
		.amdhsa_float_round_mode_32 0
		.amdhsa_float_round_mode_16_64 0
		.amdhsa_float_denorm_mode_32 3
		.amdhsa_float_denorm_mode_16_64 3
		.amdhsa_dx10_clamp 1
		.amdhsa_ieee_mode 1
		.amdhsa_fp16_overflow 0
		.amdhsa_tg_split 0
		.amdhsa_exception_fp_ieee_invalid_op 0
		.amdhsa_exception_fp_denorm_src 0
		.amdhsa_exception_fp_ieee_div_zero 0
		.amdhsa_exception_fp_ieee_overflow 0
		.amdhsa_exception_fp_ieee_underflow 0
		.amdhsa_exception_fp_ieee_inexact 0
		.amdhsa_exception_int_div_zero 0
	.end_amdhsa_kernel
	.section	.text._ZN7rocprim17ROCPRIM_400000_NS6detail17trampoline_kernelINS0_14default_configENS1_22reduce_config_selectorIsEEZNS1_11reduce_implILb1ES3_N6thrust23THRUST_200600_302600_NS6detail15normal_iteratorINS8_10device_ptrIsEEEEPssNS8_4plusIsEEEE10hipError_tPvRmT1_T2_T3_mT4_P12ihipStream_tbEUlT_E1_NS1_11comp_targetILNS1_3genE5ELNS1_11target_archE942ELNS1_3gpuE9ELNS1_3repE0EEENS1_30default_config_static_selectorELNS0_4arch9wavefront6targetE1EEEvSK_,"axG",@progbits,_ZN7rocprim17ROCPRIM_400000_NS6detail17trampoline_kernelINS0_14default_configENS1_22reduce_config_selectorIsEEZNS1_11reduce_implILb1ES3_N6thrust23THRUST_200600_302600_NS6detail15normal_iteratorINS8_10device_ptrIsEEEEPssNS8_4plusIsEEEE10hipError_tPvRmT1_T2_T3_mT4_P12ihipStream_tbEUlT_E1_NS1_11comp_targetILNS1_3genE5ELNS1_11target_archE942ELNS1_3gpuE9ELNS1_3repE0EEENS1_30default_config_static_selectorELNS0_4arch9wavefront6targetE1EEEvSK_,comdat
.Lfunc_end289:
	.size	_ZN7rocprim17ROCPRIM_400000_NS6detail17trampoline_kernelINS0_14default_configENS1_22reduce_config_selectorIsEEZNS1_11reduce_implILb1ES3_N6thrust23THRUST_200600_302600_NS6detail15normal_iteratorINS8_10device_ptrIsEEEEPssNS8_4plusIsEEEE10hipError_tPvRmT1_T2_T3_mT4_P12ihipStream_tbEUlT_E1_NS1_11comp_targetILNS1_3genE5ELNS1_11target_archE942ELNS1_3gpuE9ELNS1_3repE0EEENS1_30default_config_static_selectorELNS0_4arch9wavefront6targetE1EEEvSK_, .Lfunc_end289-_ZN7rocprim17ROCPRIM_400000_NS6detail17trampoline_kernelINS0_14default_configENS1_22reduce_config_selectorIsEEZNS1_11reduce_implILb1ES3_N6thrust23THRUST_200600_302600_NS6detail15normal_iteratorINS8_10device_ptrIsEEEEPssNS8_4plusIsEEEE10hipError_tPvRmT1_T2_T3_mT4_P12ihipStream_tbEUlT_E1_NS1_11comp_targetILNS1_3genE5ELNS1_11target_archE942ELNS1_3gpuE9ELNS1_3repE0EEENS1_30default_config_static_selectorELNS0_4arch9wavefront6targetE1EEEvSK_
                                        ; -- End function
	.set _ZN7rocprim17ROCPRIM_400000_NS6detail17trampoline_kernelINS0_14default_configENS1_22reduce_config_selectorIsEEZNS1_11reduce_implILb1ES3_N6thrust23THRUST_200600_302600_NS6detail15normal_iteratorINS8_10device_ptrIsEEEEPssNS8_4plusIsEEEE10hipError_tPvRmT1_T2_T3_mT4_P12ihipStream_tbEUlT_E1_NS1_11comp_targetILNS1_3genE5ELNS1_11target_archE942ELNS1_3gpuE9ELNS1_3repE0EEENS1_30default_config_static_selectorELNS0_4arch9wavefront6targetE1EEEvSK_.num_vgpr, 0
	.set _ZN7rocprim17ROCPRIM_400000_NS6detail17trampoline_kernelINS0_14default_configENS1_22reduce_config_selectorIsEEZNS1_11reduce_implILb1ES3_N6thrust23THRUST_200600_302600_NS6detail15normal_iteratorINS8_10device_ptrIsEEEEPssNS8_4plusIsEEEE10hipError_tPvRmT1_T2_T3_mT4_P12ihipStream_tbEUlT_E1_NS1_11comp_targetILNS1_3genE5ELNS1_11target_archE942ELNS1_3gpuE9ELNS1_3repE0EEENS1_30default_config_static_selectorELNS0_4arch9wavefront6targetE1EEEvSK_.num_agpr, 0
	.set _ZN7rocprim17ROCPRIM_400000_NS6detail17trampoline_kernelINS0_14default_configENS1_22reduce_config_selectorIsEEZNS1_11reduce_implILb1ES3_N6thrust23THRUST_200600_302600_NS6detail15normal_iteratorINS8_10device_ptrIsEEEEPssNS8_4plusIsEEEE10hipError_tPvRmT1_T2_T3_mT4_P12ihipStream_tbEUlT_E1_NS1_11comp_targetILNS1_3genE5ELNS1_11target_archE942ELNS1_3gpuE9ELNS1_3repE0EEENS1_30default_config_static_selectorELNS0_4arch9wavefront6targetE1EEEvSK_.numbered_sgpr, 0
	.set _ZN7rocprim17ROCPRIM_400000_NS6detail17trampoline_kernelINS0_14default_configENS1_22reduce_config_selectorIsEEZNS1_11reduce_implILb1ES3_N6thrust23THRUST_200600_302600_NS6detail15normal_iteratorINS8_10device_ptrIsEEEEPssNS8_4plusIsEEEE10hipError_tPvRmT1_T2_T3_mT4_P12ihipStream_tbEUlT_E1_NS1_11comp_targetILNS1_3genE5ELNS1_11target_archE942ELNS1_3gpuE9ELNS1_3repE0EEENS1_30default_config_static_selectorELNS0_4arch9wavefront6targetE1EEEvSK_.num_named_barrier, 0
	.set _ZN7rocprim17ROCPRIM_400000_NS6detail17trampoline_kernelINS0_14default_configENS1_22reduce_config_selectorIsEEZNS1_11reduce_implILb1ES3_N6thrust23THRUST_200600_302600_NS6detail15normal_iteratorINS8_10device_ptrIsEEEEPssNS8_4plusIsEEEE10hipError_tPvRmT1_T2_T3_mT4_P12ihipStream_tbEUlT_E1_NS1_11comp_targetILNS1_3genE5ELNS1_11target_archE942ELNS1_3gpuE9ELNS1_3repE0EEENS1_30default_config_static_selectorELNS0_4arch9wavefront6targetE1EEEvSK_.private_seg_size, 0
	.set _ZN7rocprim17ROCPRIM_400000_NS6detail17trampoline_kernelINS0_14default_configENS1_22reduce_config_selectorIsEEZNS1_11reduce_implILb1ES3_N6thrust23THRUST_200600_302600_NS6detail15normal_iteratorINS8_10device_ptrIsEEEEPssNS8_4plusIsEEEE10hipError_tPvRmT1_T2_T3_mT4_P12ihipStream_tbEUlT_E1_NS1_11comp_targetILNS1_3genE5ELNS1_11target_archE942ELNS1_3gpuE9ELNS1_3repE0EEENS1_30default_config_static_selectorELNS0_4arch9wavefront6targetE1EEEvSK_.uses_vcc, 0
	.set _ZN7rocprim17ROCPRIM_400000_NS6detail17trampoline_kernelINS0_14default_configENS1_22reduce_config_selectorIsEEZNS1_11reduce_implILb1ES3_N6thrust23THRUST_200600_302600_NS6detail15normal_iteratorINS8_10device_ptrIsEEEEPssNS8_4plusIsEEEE10hipError_tPvRmT1_T2_T3_mT4_P12ihipStream_tbEUlT_E1_NS1_11comp_targetILNS1_3genE5ELNS1_11target_archE942ELNS1_3gpuE9ELNS1_3repE0EEENS1_30default_config_static_selectorELNS0_4arch9wavefront6targetE1EEEvSK_.uses_flat_scratch, 0
	.set _ZN7rocprim17ROCPRIM_400000_NS6detail17trampoline_kernelINS0_14default_configENS1_22reduce_config_selectorIsEEZNS1_11reduce_implILb1ES3_N6thrust23THRUST_200600_302600_NS6detail15normal_iteratorINS8_10device_ptrIsEEEEPssNS8_4plusIsEEEE10hipError_tPvRmT1_T2_T3_mT4_P12ihipStream_tbEUlT_E1_NS1_11comp_targetILNS1_3genE5ELNS1_11target_archE942ELNS1_3gpuE9ELNS1_3repE0EEENS1_30default_config_static_selectorELNS0_4arch9wavefront6targetE1EEEvSK_.has_dyn_sized_stack, 0
	.set _ZN7rocprim17ROCPRIM_400000_NS6detail17trampoline_kernelINS0_14default_configENS1_22reduce_config_selectorIsEEZNS1_11reduce_implILb1ES3_N6thrust23THRUST_200600_302600_NS6detail15normal_iteratorINS8_10device_ptrIsEEEEPssNS8_4plusIsEEEE10hipError_tPvRmT1_T2_T3_mT4_P12ihipStream_tbEUlT_E1_NS1_11comp_targetILNS1_3genE5ELNS1_11target_archE942ELNS1_3gpuE9ELNS1_3repE0EEENS1_30default_config_static_selectorELNS0_4arch9wavefront6targetE1EEEvSK_.has_recursion, 0
	.set _ZN7rocprim17ROCPRIM_400000_NS6detail17trampoline_kernelINS0_14default_configENS1_22reduce_config_selectorIsEEZNS1_11reduce_implILb1ES3_N6thrust23THRUST_200600_302600_NS6detail15normal_iteratorINS8_10device_ptrIsEEEEPssNS8_4plusIsEEEE10hipError_tPvRmT1_T2_T3_mT4_P12ihipStream_tbEUlT_E1_NS1_11comp_targetILNS1_3genE5ELNS1_11target_archE942ELNS1_3gpuE9ELNS1_3repE0EEENS1_30default_config_static_selectorELNS0_4arch9wavefront6targetE1EEEvSK_.has_indirect_call, 0
	.section	.AMDGPU.csdata,"",@progbits
; Kernel info:
; codeLenInByte = 0
; TotalNumSgprs: 6
; NumVgprs: 0
; NumAgprs: 0
; TotalNumVgprs: 0
; ScratchSize: 0
; MemoryBound: 0
; FloatMode: 240
; IeeeMode: 1
; LDSByteSize: 0 bytes/workgroup (compile time only)
; SGPRBlocks: 0
; VGPRBlocks: 0
; NumSGPRsForWavesPerEU: 6
; NumVGPRsForWavesPerEU: 1
; AccumOffset: 4
; Occupancy: 8
; WaveLimiterHint : 0
; COMPUTE_PGM_RSRC2:SCRATCH_EN: 0
; COMPUTE_PGM_RSRC2:USER_SGPR: 2
; COMPUTE_PGM_RSRC2:TRAP_HANDLER: 0
; COMPUTE_PGM_RSRC2:TGID_X_EN: 1
; COMPUTE_PGM_RSRC2:TGID_Y_EN: 0
; COMPUTE_PGM_RSRC2:TGID_Z_EN: 0
; COMPUTE_PGM_RSRC2:TIDIG_COMP_CNT: 0
; COMPUTE_PGM_RSRC3_GFX90A:ACCUM_OFFSET: 0
; COMPUTE_PGM_RSRC3_GFX90A:TG_SPLIT: 0
	.section	.text._ZN7rocprim17ROCPRIM_400000_NS6detail17trampoline_kernelINS0_14default_configENS1_22reduce_config_selectorIsEEZNS1_11reduce_implILb1ES3_N6thrust23THRUST_200600_302600_NS6detail15normal_iteratorINS8_10device_ptrIsEEEEPssNS8_4plusIsEEEE10hipError_tPvRmT1_T2_T3_mT4_P12ihipStream_tbEUlT_E1_NS1_11comp_targetILNS1_3genE4ELNS1_11target_archE910ELNS1_3gpuE8ELNS1_3repE0EEENS1_30default_config_static_selectorELNS0_4arch9wavefront6targetE1EEEvSK_,"axG",@progbits,_ZN7rocprim17ROCPRIM_400000_NS6detail17trampoline_kernelINS0_14default_configENS1_22reduce_config_selectorIsEEZNS1_11reduce_implILb1ES3_N6thrust23THRUST_200600_302600_NS6detail15normal_iteratorINS8_10device_ptrIsEEEEPssNS8_4plusIsEEEE10hipError_tPvRmT1_T2_T3_mT4_P12ihipStream_tbEUlT_E1_NS1_11comp_targetILNS1_3genE4ELNS1_11target_archE910ELNS1_3gpuE8ELNS1_3repE0EEENS1_30default_config_static_selectorELNS0_4arch9wavefront6targetE1EEEvSK_,comdat
	.protected	_ZN7rocprim17ROCPRIM_400000_NS6detail17trampoline_kernelINS0_14default_configENS1_22reduce_config_selectorIsEEZNS1_11reduce_implILb1ES3_N6thrust23THRUST_200600_302600_NS6detail15normal_iteratorINS8_10device_ptrIsEEEEPssNS8_4plusIsEEEE10hipError_tPvRmT1_T2_T3_mT4_P12ihipStream_tbEUlT_E1_NS1_11comp_targetILNS1_3genE4ELNS1_11target_archE910ELNS1_3gpuE8ELNS1_3repE0EEENS1_30default_config_static_selectorELNS0_4arch9wavefront6targetE1EEEvSK_ ; -- Begin function _ZN7rocprim17ROCPRIM_400000_NS6detail17trampoline_kernelINS0_14default_configENS1_22reduce_config_selectorIsEEZNS1_11reduce_implILb1ES3_N6thrust23THRUST_200600_302600_NS6detail15normal_iteratorINS8_10device_ptrIsEEEEPssNS8_4plusIsEEEE10hipError_tPvRmT1_T2_T3_mT4_P12ihipStream_tbEUlT_E1_NS1_11comp_targetILNS1_3genE4ELNS1_11target_archE910ELNS1_3gpuE8ELNS1_3repE0EEENS1_30default_config_static_selectorELNS0_4arch9wavefront6targetE1EEEvSK_
	.globl	_ZN7rocprim17ROCPRIM_400000_NS6detail17trampoline_kernelINS0_14default_configENS1_22reduce_config_selectorIsEEZNS1_11reduce_implILb1ES3_N6thrust23THRUST_200600_302600_NS6detail15normal_iteratorINS8_10device_ptrIsEEEEPssNS8_4plusIsEEEE10hipError_tPvRmT1_T2_T3_mT4_P12ihipStream_tbEUlT_E1_NS1_11comp_targetILNS1_3genE4ELNS1_11target_archE910ELNS1_3gpuE8ELNS1_3repE0EEENS1_30default_config_static_selectorELNS0_4arch9wavefront6targetE1EEEvSK_
	.p2align	8
	.type	_ZN7rocprim17ROCPRIM_400000_NS6detail17trampoline_kernelINS0_14default_configENS1_22reduce_config_selectorIsEEZNS1_11reduce_implILb1ES3_N6thrust23THRUST_200600_302600_NS6detail15normal_iteratorINS8_10device_ptrIsEEEEPssNS8_4plusIsEEEE10hipError_tPvRmT1_T2_T3_mT4_P12ihipStream_tbEUlT_E1_NS1_11comp_targetILNS1_3genE4ELNS1_11target_archE910ELNS1_3gpuE8ELNS1_3repE0EEENS1_30default_config_static_selectorELNS0_4arch9wavefront6targetE1EEEvSK_,@function
_ZN7rocprim17ROCPRIM_400000_NS6detail17trampoline_kernelINS0_14default_configENS1_22reduce_config_selectorIsEEZNS1_11reduce_implILb1ES3_N6thrust23THRUST_200600_302600_NS6detail15normal_iteratorINS8_10device_ptrIsEEEEPssNS8_4plusIsEEEE10hipError_tPvRmT1_T2_T3_mT4_P12ihipStream_tbEUlT_E1_NS1_11comp_targetILNS1_3genE4ELNS1_11target_archE910ELNS1_3gpuE8ELNS1_3repE0EEENS1_30default_config_static_selectorELNS0_4arch9wavefront6targetE1EEEvSK_: ; @_ZN7rocprim17ROCPRIM_400000_NS6detail17trampoline_kernelINS0_14default_configENS1_22reduce_config_selectorIsEEZNS1_11reduce_implILb1ES3_N6thrust23THRUST_200600_302600_NS6detail15normal_iteratorINS8_10device_ptrIsEEEEPssNS8_4plusIsEEEE10hipError_tPvRmT1_T2_T3_mT4_P12ihipStream_tbEUlT_E1_NS1_11comp_targetILNS1_3genE4ELNS1_11target_archE910ELNS1_3gpuE8ELNS1_3repE0EEENS1_30default_config_static_selectorELNS0_4arch9wavefront6targetE1EEEvSK_
; %bb.0:
	.section	.rodata,"a",@progbits
	.p2align	6, 0x0
	.amdhsa_kernel _ZN7rocprim17ROCPRIM_400000_NS6detail17trampoline_kernelINS0_14default_configENS1_22reduce_config_selectorIsEEZNS1_11reduce_implILb1ES3_N6thrust23THRUST_200600_302600_NS6detail15normal_iteratorINS8_10device_ptrIsEEEEPssNS8_4plusIsEEEE10hipError_tPvRmT1_T2_T3_mT4_P12ihipStream_tbEUlT_E1_NS1_11comp_targetILNS1_3genE4ELNS1_11target_archE910ELNS1_3gpuE8ELNS1_3repE0EEENS1_30default_config_static_selectorELNS0_4arch9wavefront6targetE1EEEvSK_
		.amdhsa_group_segment_fixed_size 0
		.amdhsa_private_segment_fixed_size 0
		.amdhsa_kernarg_size 40
		.amdhsa_user_sgpr_count 2
		.amdhsa_user_sgpr_dispatch_ptr 0
		.amdhsa_user_sgpr_queue_ptr 0
		.amdhsa_user_sgpr_kernarg_segment_ptr 1
		.amdhsa_user_sgpr_dispatch_id 0
		.amdhsa_user_sgpr_kernarg_preload_length 0
		.amdhsa_user_sgpr_kernarg_preload_offset 0
		.amdhsa_user_sgpr_private_segment_size 0
		.amdhsa_uses_dynamic_stack 0
		.amdhsa_enable_private_segment 0
		.amdhsa_system_sgpr_workgroup_id_x 1
		.amdhsa_system_sgpr_workgroup_id_y 0
		.amdhsa_system_sgpr_workgroup_id_z 0
		.amdhsa_system_sgpr_workgroup_info 0
		.amdhsa_system_vgpr_workitem_id 0
		.amdhsa_next_free_vgpr 1
		.amdhsa_next_free_sgpr 0
		.amdhsa_accum_offset 4
		.amdhsa_reserve_vcc 0
		.amdhsa_float_round_mode_32 0
		.amdhsa_float_round_mode_16_64 0
		.amdhsa_float_denorm_mode_32 3
		.amdhsa_float_denorm_mode_16_64 3
		.amdhsa_dx10_clamp 1
		.amdhsa_ieee_mode 1
		.amdhsa_fp16_overflow 0
		.amdhsa_tg_split 0
		.amdhsa_exception_fp_ieee_invalid_op 0
		.amdhsa_exception_fp_denorm_src 0
		.amdhsa_exception_fp_ieee_div_zero 0
		.amdhsa_exception_fp_ieee_overflow 0
		.amdhsa_exception_fp_ieee_underflow 0
		.amdhsa_exception_fp_ieee_inexact 0
		.amdhsa_exception_int_div_zero 0
	.end_amdhsa_kernel
	.section	.text._ZN7rocprim17ROCPRIM_400000_NS6detail17trampoline_kernelINS0_14default_configENS1_22reduce_config_selectorIsEEZNS1_11reduce_implILb1ES3_N6thrust23THRUST_200600_302600_NS6detail15normal_iteratorINS8_10device_ptrIsEEEEPssNS8_4plusIsEEEE10hipError_tPvRmT1_T2_T3_mT4_P12ihipStream_tbEUlT_E1_NS1_11comp_targetILNS1_3genE4ELNS1_11target_archE910ELNS1_3gpuE8ELNS1_3repE0EEENS1_30default_config_static_selectorELNS0_4arch9wavefront6targetE1EEEvSK_,"axG",@progbits,_ZN7rocprim17ROCPRIM_400000_NS6detail17trampoline_kernelINS0_14default_configENS1_22reduce_config_selectorIsEEZNS1_11reduce_implILb1ES3_N6thrust23THRUST_200600_302600_NS6detail15normal_iteratorINS8_10device_ptrIsEEEEPssNS8_4plusIsEEEE10hipError_tPvRmT1_T2_T3_mT4_P12ihipStream_tbEUlT_E1_NS1_11comp_targetILNS1_3genE4ELNS1_11target_archE910ELNS1_3gpuE8ELNS1_3repE0EEENS1_30default_config_static_selectorELNS0_4arch9wavefront6targetE1EEEvSK_,comdat
.Lfunc_end290:
	.size	_ZN7rocprim17ROCPRIM_400000_NS6detail17trampoline_kernelINS0_14default_configENS1_22reduce_config_selectorIsEEZNS1_11reduce_implILb1ES3_N6thrust23THRUST_200600_302600_NS6detail15normal_iteratorINS8_10device_ptrIsEEEEPssNS8_4plusIsEEEE10hipError_tPvRmT1_T2_T3_mT4_P12ihipStream_tbEUlT_E1_NS1_11comp_targetILNS1_3genE4ELNS1_11target_archE910ELNS1_3gpuE8ELNS1_3repE0EEENS1_30default_config_static_selectorELNS0_4arch9wavefront6targetE1EEEvSK_, .Lfunc_end290-_ZN7rocprim17ROCPRIM_400000_NS6detail17trampoline_kernelINS0_14default_configENS1_22reduce_config_selectorIsEEZNS1_11reduce_implILb1ES3_N6thrust23THRUST_200600_302600_NS6detail15normal_iteratorINS8_10device_ptrIsEEEEPssNS8_4plusIsEEEE10hipError_tPvRmT1_T2_T3_mT4_P12ihipStream_tbEUlT_E1_NS1_11comp_targetILNS1_3genE4ELNS1_11target_archE910ELNS1_3gpuE8ELNS1_3repE0EEENS1_30default_config_static_selectorELNS0_4arch9wavefront6targetE1EEEvSK_
                                        ; -- End function
	.set _ZN7rocprim17ROCPRIM_400000_NS6detail17trampoline_kernelINS0_14default_configENS1_22reduce_config_selectorIsEEZNS1_11reduce_implILb1ES3_N6thrust23THRUST_200600_302600_NS6detail15normal_iteratorINS8_10device_ptrIsEEEEPssNS8_4plusIsEEEE10hipError_tPvRmT1_T2_T3_mT4_P12ihipStream_tbEUlT_E1_NS1_11comp_targetILNS1_3genE4ELNS1_11target_archE910ELNS1_3gpuE8ELNS1_3repE0EEENS1_30default_config_static_selectorELNS0_4arch9wavefront6targetE1EEEvSK_.num_vgpr, 0
	.set _ZN7rocprim17ROCPRIM_400000_NS6detail17trampoline_kernelINS0_14default_configENS1_22reduce_config_selectorIsEEZNS1_11reduce_implILb1ES3_N6thrust23THRUST_200600_302600_NS6detail15normal_iteratorINS8_10device_ptrIsEEEEPssNS8_4plusIsEEEE10hipError_tPvRmT1_T2_T3_mT4_P12ihipStream_tbEUlT_E1_NS1_11comp_targetILNS1_3genE4ELNS1_11target_archE910ELNS1_3gpuE8ELNS1_3repE0EEENS1_30default_config_static_selectorELNS0_4arch9wavefront6targetE1EEEvSK_.num_agpr, 0
	.set _ZN7rocprim17ROCPRIM_400000_NS6detail17trampoline_kernelINS0_14default_configENS1_22reduce_config_selectorIsEEZNS1_11reduce_implILb1ES3_N6thrust23THRUST_200600_302600_NS6detail15normal_iteratorINS8_10device_ptrIsEEEEPssNS8_4plusIsEEEE10hipError_tPvRmT1_T2_T3_mT4_P12ihipStream_tbEUlT_E1_NS1_11comp_targetILNS1_3genE4ELNS1_11target_archE910ELNS1_3gpuE8ELNS1_3repE0EEENS1_30default_config_static_selectorELNS0_4arch9wavefront6targetE1EEEvSK_.numbered_sgpr, 0
	.set _ZN7rocprim17ROCPRIM_400000_NS6detail17trampoline_kernelINS0_14default_configENS1_22reduce_config_selectorIsEEZNS1_11reduce_implILb1ES3_N6thrust23THRUST_200600_302600_NS6detail15normal_iteratorINS8_10device_ptrIsEEEEPssNS8_4plusIsEEEE10hipError_tPvRmT1_T2_T3_mT4_P12ihipStream_tbEUlT_E1_NS1_11comp_targetILNS1_3genE4ELNS1_11target_archE910ELNS1_3gpuE8ELNS1_3repE0EEENS1_30default_config_static_selectorELNS0_4arch9wavefront6targetE1EEEvSK_.num_named_barrier, 0
	.set _ZN7rocprim17ROCPRIM_400000_NS6detail17trampoline_kernelINS0_14default_configENS1_22reduce_config_selectorIsEEZNS1_11reduce_implILb1ES3_N6thrust23THRUST_200600_302600_NS6detail15normal_iteratorINS8_10device_ptrIsEEEEPssNS8_4plusIsEEEE10hipError_tPvRmT1_T2_T3_mT4_P12ihipStream_tbEUlT_E1_NS1_11comp_targetILNS1_3genE4ELNS1_11target_archE910ELNS1_3gpuE8ELNS1_3repE0EEENS1_30default_config_static_selectorELNS0_4arch9wavefront6targetE1EEEvSK_.private_seg_size, 0
	.set _ZN7rocprim17ROCPRIM_400000_NS6detail17trampoline_kernelINS0_14default_configENS1_22reduce_config_selectorIsEEZNS1_11reduce_implILb1ES3_N6thrust23THRUST_200600_302600_NS6detail15normal_iteratorINS8_10device_ptrIsEEEEPssNS8_4plusIsEEEE10hipError_tPvRmT1_T2_T3_mT4_P12ihipStream_tbEUlT_E1_NS1_11comp_targetILNS1_3genE4ELNS1_11target_archE910ELNS1_3gpuE8ELNS1_3repE0EEENS1_30default_config_static_selectorELNS0_4arch9wavefront6targetE1EEEvSK_.uses_vcc, 0
	.set _ZN7rocprim17ROCPRIM_400000_NS6detail17trampoline_kernelINS0_14default_configENS1_22reduce_config_selectorIsEEZNS1_11reduce_implILb1ES3_N6thrust23THRUST_200600_302600_NS6detail15normal_iteratorINS8_10device_ptrIsEEEEPssNS8_4plusIsEEEE10hipError_tPvRmT1_T2_T3_mT4_P12ihipStream_tbEUlT_E1_NS1_11comp_targetILNS1_3genE4ELNS1_11target_archE910ELNS1_3gpuE8ELNS1_3repE0EEENS1_30default_config_static_selectorELNS0_4arch9wavefront6targetE1EEEvSK_.uses_flat_scratch, 0
	.set _ZN7rocprim17ROCPRIM_400000_NS6detail17trampoline_kernelINS0_14default_configENS1_22reduce_config_selectorIsEEZNS1_11reduce_implILb1ES3_N6thrust23THRUST_200600_302600_NS6detail15normal_iteratorINS8_10device_ptrIsEEEEPssNS8_4plusIsEEEE10hipError_tPvRmT1_T2_T3_mT4_P12ihipStream_tbEUlT_E1_NS1_11comp_targetILNS1_3genE4ELNS1_11target_archE910ELNS1_3gpuE8ELNS1_3repE0EEENS1_30default_config_static_selectorELNS0_4arch9wavefront6targetE1EEEvSK_.has_dyn_sized_stack, 0
	.set _ZN7rocprim17ROCPRIM_400000_NS6detail17trampoline_kernelINS0_14default_configENS1_22reduce_config_selectorIsEEZNS1_11reduce_implILb1ES3_N6thrust23THRUST_200600_302600_NS6detail15normal_iteratorINS8_10device_ptrIsEEEEPssNS8_4plusIsEEEE10hipError_tPvRmT1_T2_T3_mT4_P12ihipStream_tbEUlT_E1_NS1_11comp_targetILNS1_3genE4ELNS1_11target_archE910ELNS1_3gpuE8ELNS1_3repE0EEENS1_30default_config_static_selectorELNS0_4arch9wavefront6targetE1EEEvSK_.has_recursion, 0
	.set _ZN7rocprim17ROCPRIM_400000_NS6detail17trampoline_kernelINS0_14default_configENS1_22reduce_config_selectorIsEEZNS1_11reduce_implILb1ES3_N6thrust23THRUST_200600_302600_NS6detail15normal_iteratorINS8_10device_ptrIsEEEEPssNS8_4plusIsEEEE10hipError_tPvRmT1_T2_T3_mT4_P12ihipStream_tbEUlT_E1_NS1_11comp_targetILNS1_3genE4ELNS1_11target_archE910ELNS1_3gpuE8ELNS1_3repE0EEENS1_30default_config_static_selectorELNS0_4arch9wavefront6targetE1EEEvSK_.has_indirect_call, 0
	.section	.AMDGPU.csdata,"",@progbits
; Kernel info:
; codeLenInByte = 0
; TotalNumSgprs: 6
; NumVgprs: 0
; NumAgprs: 0
; TotalNumVgprs: 0
; ScratchSize: 0
; MemoryBound: 0
; FloatMode: 240
; IeeeMode: 1
; LDSByteSize: 0 bytes/workgroup (compile time only)
; SGPRBlocks: 0
; VGPRBlocks: 0
; NumSGPRsForWavesPerEU: 6
; NumVGPRsForWavesPerEU: 1
; AccumOffset: 4
; Occupancy: 8
; WaveLimiterHint : 0
; COMPUTE_PGM_RSRC2:SCRATCH_EN: 0
; COMPUTE_PGM_RSRC2:USER_SGPR: 2
; COMPUTE_PGM_RSRC2:TRAP_HANDLER: 0
; COMPUTE_PGM_RSRC2:TGID_X_EN: 1
; COMPUTE_PGM_RSRC2:TGID_Y_EN: 0
; COMPUTE_PGM_RSRC2:TGID_Z_EN: 0
; COMPUTE_PGM_RSRC2:TIDIG_COMP_CNT: 0
; COMPUTE_PGM_RSRC3_GFX90A:ACCUM_OFFSET: 0
; COMPUTE_PGM_RSRC3_GFX90A:TG_SPLIT: 0
	.section	.text._ZN7rocprim17ROCPRIM_400000_NS6detail17trampoline_kernelINS0_14default_configENS1_22reduce_config_selectorIsEEZNS1_11reduce_implILb1ES3_N6thrust23THRUST_200600_302600_NS6detail15normal_iteratorINS8_10device_ptrIsEEEEPssNS8_4plusIsEEEE10hipError_tPvRmT1_T2_T3_mT4_P12ihipStream_tbEUlT_E1_NS1_11comp_targetILNS1_3genE3ELNS1_11target_archE908ELNS1_3gpuE7ELNS1_3repE0EEENS1_30default_config_static_selectorELNS0_4arch9wavefront6targetE1EEEvSK_,"axG",@progbits,_ZN7rocprim17ROCPRIM_400000_NS6detail17trampoline_kernelINS0_14default_configENS1_22reduce_config_selectorIsEEZNS1_11reduce_implILb1ES3_N6thrust23THRUST_200600_302600_NS6detail15normal_iteratorINS8_10device_ptrIsEEEEPssNS8_4plusIsEEEE10hipError_tPvRmT1_T2_T3_mT4_P12ihipStream_tbEUlT_E1_NS1_11comp_targetILNS1_3genE3ELNS1_11target_archE908ELNS1_3gpuE7ELNS1_3repE0EEENS1_30default_config_static_selectorELNS0_4arch9wavefront6targetE1EEEvSK_,comdat
	.protected	_ZN7rocprim17ROCPRIM_400000_NS6detail17trampoline_kernelINS0_14default_configENS1_22reduce_config_selectorIsEEZNS1_11reduce_implILb1ES3_N6thrust23THRUST_200600_302600_NS6detail15normal_iteratorINS8_10device_ptrIsEEEEPssNS8_4plusIsEEEE10hipError_tPvRmT1_T2_T3_mT4_P12ihipStream_tbEUlT_E1_NS1_11comp_targetILNS1_3genE3ELNS1_11target_archE908ELNS1_3gpuE7ELNS1_3repE0EEENS1_30default_config_static_selectorELNS0_4arch9wavefront6targetE1EEEvSK_ ; -- Begin function _ZN7rocprim17ROCPRIM_400000_NS6detail17trampoline_kernelINS0_14default_configENS1_22reduce_config_selectorIsEEZNS1_11reduce_implILb1ES3_N6thrust23THRUST_200600_302600_NS6detail15normal_iteratorINS8_10device_ptrIsEEEEPssNS8_4plusIsEEEE10hipError_tPvRmT1_T2_T3_mT4_P12ihipStream_tbEUlT_E1_NS1_11comp_targetILNS1_3genE3ELNS1_11target_archE908ELNS1_3gpuE7ELNS1_3repE0EEENS1_30default_config_static_selectorELNS0_4arch9wavefront6targetE1EEEvSK_
	.globl	_ZN7rocprim17ROCPRIM_400000_NS6detail17trampoline_kernelINS0_14default_configENS1_22reduce_config_selectorIsEEZNS1_11reduce_implILb1ES3_N6thrust23THRUST_200600_302600_NS6detail15normal_iteratorINS8_10device_ptrIsEEEEPssNS8_4plusIsEEEE10hipError_tPvRmT1_T2_T3_mT4_P12ihipStream_tbEUlT_E1_NS1_11comp_targetILNS1_3genE3ELNS1_11target_archE908ELNS1_3gpuE7ELNS1_3repE0EEENS1_30default_config_static_selectorELNS0_4arch9wavefront6targetE1EEEvSK_
	.p2align	8
	.type	_ZN7rocprim17ROCPRIM_400000_NS6detail17trampoline_kernelINS0_14default_configENS1_22reduce_config_selectorIsEEZNS1_11reduce_implILb1ES3_N6thrust23THRUST_200600_302600_NS6detail15normal_iteratorINS8_10device_ptrIsEEEEPssNS8_4plusIsEEEE10hipError_tPvRmT1_T2_T3_mT4_P12ihipStream_tbEUlT_E1_NS1_11comp_targetILNS1_3genE3ELNS1_11target_archE908ELNS1_3gpuE7ELNS1_3repE0EEENS1_30default_config_static_selectorELNS0_4arch9wavefront6targetE1EEEvSK_,@function
_ZN7rocprim17ROCPRIM_400000_NS6detail17trampoline_kernelINS0_14default_configENS1_22reduce_config_selectorIsEEZNS1_11reduce_implILb1ES3_N6thrust23THRUST_200600_302600_NS6detail15normal_iteratorINS8_10device_ptrIsEEEEPssNS8_4plusIsEEEE10hipError_tPvRmT1_T2_T3_mT4_P12ihipStream_tbEUlT_E1_NS1_11comp_targetILNS1_3genE3ELNS1_11target_archE908ELNS1_3gpuE7ELNS1_3repE0EEENS1_30default_config_static_selectorELNS0_4arch9wavefront6targetE1EEEvSK_: ; @_ZN7rocprim17ROCPRIM_400000_NS6detail17trampoline_kernelINS0_14default_configENS1_22reduce_config_selectorIsEEZNS1_11reduce_implILb1ES3_N6thrust23THRUST_200600_302600_NS6detail15normal_iteratorINS8_10device_ptrIsEEEEPssNS8_4plusIsEEEE10hipError_tPvRmT1_T2_T3_mT4_P12ihipStream_tbEUlT_E1_NS1_11comp_targetILNS1_3genE3ELNS1_11target_archE908ELNS1_3gpuE7ELNS1_3repE0EEENS1_30default_config_static_selectorELNS0_4arch9wavefront6targetE1EEEvSK_
; %bb.0:
	.section	.rodata,"a",@progbits
	.p2align	6, 0x0
	.amdhsa_kernel _ZN7rocprim17ROCPRIM_400000_NS6detail17trampoline_kernelINS0_14default_configENS1_22reduce_config_selectorIsEEZNS1_11reduce_implILb1ES3_N6thrust23THRUST_200600_302600_NS6detail15normal_iteratorINS8_10device_ptrIsEEEEPssNS8_4plusIsEEEE10hipError_tPvRmT1_T2_T3_mT4_P12ihipStream_tbEUlT_E1_NS1_11comp_targetILNS1_3genE3ELNS1_11target_archE908ELNS1_3gpuE7ELNS1_3repE0EEENS1_30default_config_static_selectorELNS0_4arch9wavefront6targetE1EEEvSK_
		.amdhsa_group_segment_fixed_size 0
		.amdhsa_private_segment_fixed_size 0
		.amdhsa_kernarg_size 40
		.amdhsa_user_sgpr_count 2
		.amdhsa_user_sgpr_dispatch_ptr 0
		.amdhsa_user_sgpr_queue_ptr 0
		.amdhsa_user_sgpr_kernarg_segment_ptr 1
		.amdhsa_user_sgpr_dispatch_id 0
		.amdhsa_user_sgpr_kernarg_preload_length 0
		.amdhsa_user_sgpr_kernarg_preload_offset 0
		.amdhsa_user_sgpr_private_segment_size 0
		.amdhsa_uses_dynamic_stack 0
		.amdhsa_enable_private_segment 0
		.amdhsa_system_sgpr_workgroup_id_x 1
		.amdhsa_system_sgpr_workgroup_id_y 0
		.amdhsa_system_sgpr_workgroup_id_z 0
		.amdhsa_system_sgpr_workgroup_info 0
		.amdhsa_system_vgpr_workitem_id 0
		.amdhsa_next_free_vgpr 1
		.amdhsa_next_free_sgpr 0
		.amdhsa_accum_offset 4
		.amdhsa_reserve_vcc 0
		.amdhsa_float_round_mode_32 0
		.amdhsa_float_round_mode_16_64 0
		.amdhsa_float_denorm_mode_32 3
		.amdhsa_float_denorm_mode_16_64 3
		.amdhsa_dx10_clamp 1
		.amdhsa_ieee_mode 1
		.amdhsa_fp16_overflow 0
		.amdhsa_tg_split 0
		.amdhsa_exception_fp_ieee_invalid_op 0
		.amdhsa_exception_fp_denorm_src 0
		.amdhsa_exception_fp_ieee_div_zero 0
		.amdhsa_exception_fp_ieee_overflow 0
		.amdhsa_exception_fp_ieee_underflow 0
		.amdhsa_exception_fp_ieee_inexact 0
		.amdhsa_exception_int_div_zero 0
	.end_amdhsa_kernel
	.section	.text._ZN7rocprim17ROCPRIM_400000_NS6detail17trampoline_kernelINS0_14default_configENS1_22reduce_config_selectorIsEEZNS1_11reduce_implILb1ES3_N6thrust23THRUST_200600_302600_NS6detail15normal_iteratorINS8_10device_ptrIsEEEEPssNS8_4plusIsEEEE10hipError_tPvRmT1_T2_T3_mT4_P12ihipStream_tbEUlT_E1_NS1_11comp_targetILNS1_3genE3ELNS1_11target_archE908ELNS1_3gpuE7ELNS1_3repE0EEENS1_30default_config_static_selectorELNS0_4arch9wavefront6targetE1EEEvSK_,"axG",@progbits,_ZN7rocprim17ROCPRIM_400000_NS6detail17trampoline_kernelINS0_14default_configENS1_22reduce_config_selectorIsEEZNS1_11reduce_implILb1ES3_N6thrust23THRUST_200600_302600_NS6detail15normal_iteratorINS8_10device_ptrIsEEEEPssNS8_4plusIsEEEE10hipError_tPvRmT1_T2_T3_mT4_P12ihipStream_tbEUlT_E1_NS1_11comp_targetILNS1_3genE3ELNS1_11target_archE908ELNS1_3gpuE7ELNS1_3repE0EEENS1_30default_config_static_selectorELNS0_4arch9wavefront6targetE1EEEvSK_,comdat
.Lfunc_end291:
	.size	_ZN7rocprim17ROCPRIM_400000_NS6detail17trampoline_kernelINS0_14default_configENS1_22reduce_config_selectorIsEEZNS1_11reduce_implILb1ES3_N6thrust23THRUST_200600_302600_NS6detail15normal_iteratorINS8_10device_ptrIsEEEEPssNS8_4plusIsEEEE10hipError_tPvRmT1_T2_T3_mT4_P12ihipStream_tbEUlT_E1_NS1_11comp_targetILNS1_3genE3ELNS1_11target_archE908ELNS1_3gpuE7ELNS1_3repE0EEENS1_30default_config_static_selectorELNS0_4arch9wavefront6targetE1EEEvSK_, .Lfunc_end291-_ZN7rocprim17ROCPRIM_400000_NS6detail17trampoline_kernelINS0_14default_configENS1_22reduce_config_selectorIsEEZNS1_11reduce_implILb1ES3_N6thrust23THRUST_200600_302600_NS6detail15normal_iteratorINS8_10device_ptrIsEEEEPssNS8_4plusIsEEEE10hipError_tPvRmT1_T2_T3_mT4_P12ihipStream_tbEUlT_E1_NS1_11comp_targetILNS1_3genE3ELNS1_11target_archE908ELNS1_3gpuE7ELNS1_3repE0EEENS1_30default_config_static_selectorELNS0_4arch9wavefront6targetE1EEEvSK_
                                        ; -- End function
	.set _ZN7rocprim17ROCPRIM_400000_NS6detail17trampoline_kernelINS0_14default_configENS1_22reduce_config_selectorIsEEZNS1_11reduce_implILb1ES3_N6thrust23THRUST_200600_302600_NS6detail15normal_iteratorINS8_10device_ptrIsEEEEPssNS8_4plusIsEEEE10hipError_tPvRmT1_T2_T3_mT4_P12ihipStream_tbEUlT_E1_NS1_11comp_targetILNS1_3genE3ELNS1_11target_archE908ELNS1_3gpuE7ELNS1_3repE0EEENS1_30default_config_static_selectorELNS0_4arch9wavefront6targetE1EEEvSK_.num_vgpr, 0
	.set _ZN7rocprim17ROCPRIM_400000_NS6detail17trampoline_kernelINS0_14default_configENS1_22reduce_config_selectorIsEEZNS1_11reduce_implILb1ES3_N6thrust23THRUST_200600_302600_NS6detail15normal_iteratorINS8_10device_ptrIsEEEEPssNS8_4plusIsEEEE10hipError_tPvRmT1_T2_T3_mT4_P12ihipStream_tbEUlT_E1_NS1_11comp_targetILNS1_3genE3ELNS1_11target_archE908ELNS1_3gpuE7ELNS1_3repE0EEENS1_30default_config_static_selectorELNS0_4arch9wavefront6targetE1EEEvSK_.num_agpr, 0
	.set _ZN7rocprim17ROCPRIM_400000_NS6detail17trampoline_kernelINS0_14default_configENS1_22reduce_config_selectorIsEEZNS1_11reduce_implILb1ES3_N6thrust23THRUST_200600_302600_NS6detail15normal_iteratorINS8_10device_ptrIsEEEEPssNS8_4plusIsEEEE10hipError_tPvRmT1_T2_T3_mT4_P12ihipStream_tbEUlT_E1_NS1_11comp_targetILNS1_3genE3ELNS1_11target_archE908ELNS1_3gpuE7ELNS1_3repE0EEENS1_30default_config_static_selectorELNS0_4arch9wavefront6targetE1EEEvSK_.numbered_sgpr, 0
	.set _ZN7rocprim17ROCPRIM_400000_NS6detail17trampoline_kernelINS0_14default_configENS1_22reduce_config_selectorIsEEZNS1_11reduce_implILb1ES3_N6thrust23THRUST_200600_302600_NS6detail15normal_iteratorINS8_10device_ptrIsEEEEPssNS8_4plusIsEEEE10hipError_tPvRmT1_T2_T3_mT4_P12ihipStream_tbEUlT_E1_NS1_11comp_targetILNS1_3genE3ELNS1_11target_archE908ELNS1_3gpuE7ELNS1_3repE0EEENS1_30default_config_static_selectorELNS0_4arch9wavefront6targetE1EEEvSK_.num_named_barrier, 0
	.set _ZN7rocprim17ROCPRIM_400000_NS6detail17trampoline_kernelINS0_14default_configENS1_22reduce_config_selectorIsEEZNS1_11reduce_implILb1ES3_N6thrust23THRUST_200600_302600_NS6detail15normal_iteratorINS8_10device_ptrIsEEEEPssNS8_4plusIsEEEE10hipError_tPvRmT1_T2_T3_mT4_P12ihipStream_tbEUlT_E1_NS1_11comp_targetILNS1_3genE3ELNS1_11target_archE908ELNS1_3gpuE7ELNS1_3repE0EEENS1_30default_config_static_selectorELNS0_4arch9wavefront6targetE1EEEvSK_.private_seg_size, 0
	.set _ZN7rocprim17ROCPRIM_400000_NS6detail17trampoline_kernelINS0_14default_configENS1_22reduce_config_selectorIsEEZNS1_11reduce_implILb1ES3_N6thrust23THRUST_200600_302600_NS6detail15normal_iteratorINS8_10device_ptrIsEEEEPssNS8_4plusIsEEEE10hipError_tPvRmT1_T2_T3_mT4_P12ihipStream_tbEUlT_E1_NS1_11comp_targetILNS1_3genE3ELNS1_11target_archE908ELNS1_3gpuE7ELNS1_3repE0EEENS1_30default_config_static_selectorELNS0_4arch9wavefront6targetE1EEEvSK_.uses_vcc, 0
	.set _ZN7rocprim17ROCPRIM_400000_NS6detail17trampoline_kernelINS0_14default_configENS1_22reduce_config_selectorIsEEZNS1_11reduce_implILb1ES3_N6thrust23THRUST_200600_302600_NS6detail15normal_iteratorINS8_10device_ptrIsEEEEPssNS8_4plusIsEEEE10hipError_tPvRmT1_T2_T3_mT4_P12ihipStream_tbEUlT_E1_NS1_11comp_targetILNS1_3genE3ELNS1_11target_archE908ELNS1_3gpuE7ELNS1_3repE0EEENS1_30default_config_static_selectorELNS0_4arch9wavefront6targetE1EEEvSK_.uses_flat_scratch, 0
	.set _ZN7rocprim17ROCPRIM_400000_NS6detail17trampoline_kernelINS0_14default_configENS1_22reduce_config_selectorIsEEZNS1_11reduce_implILb1ES3_N6thrust23THRUST_200600_302600_NS6detail15normal_iteratorINS8_10device_ptrIsEEEEPssNS8_4plusIsEEEE10hipError_tPvRmT1_T2_T3_mT4_P12ihipStream_tbEUlT_E1_NS1_11comp_targetILNS1_3genE3ELNS1_11target_archE908ELNS1_3gpuE7ELNS1_3repE0EEENS1_30default_config_static_selectorELNS0_4arch9wavefront6targetE1EEEvSK_.has_dyn_sized_stack, 0
	.set _ZN7rocprim17ROCPRIM_400000_NS6detail17trampoline_kernelINS0_14default_configENS1_22reduce_config_selectorIsEEZNS1_11reduce_implILb1ES3_N6thrust23THRUST_200600_302600_NS6detail15normal_iteratorINS8_10device_ptrIsEEEEPssNS8_4plusIsEEEE10hipError_tPvRmT1_T2_T3_mT4_P12ihipStream_tbEUlT_E1_NS1_11comp_targetILNS1_3genE3ELNS1_11target_archE908ELNS1_3gpuE7ELNS1_3repE0EEENS1_30default_config_static_selectorELNS0_4arch9wavefront6targetE1EEEvSK_.has_recursion, 0
	.set _ZN7rocprim17ROCPRIM_400000_NS6detail17trampoline_kernelINS0_14default_configENS1_22reduce_config_selectorIsEEZNS1_11reduce_implILb1ES3_N6thrust23THRUST_200600_302600_NS6detail15normal_iteratorINS8_10device_ptrIsEEEEPssNS8_4plusIsEEEE10hipError_tPvRmT1_T2_T3_mT4_P12ihipStream_tbEUlT_E1_NS1_11comp_targetILNS1_3genE3ELNS1_11target_archE908ELNS1_3gpuE7ELNS1_3repE0EEENS1_30default_config_static_selectorELNS0_4arch9wavefront6targetE1EEEvSK_.has_indirect_call, 0
	.section	.AMDGPU.csdata,"",@progbits
; Kernel info:
; codeLenInByte = 0
; TotalNumSgprs: 6
; NumVgprs: 0
; NumAgprs: 0
; TotalNumVgprs: 0
; ScratchSize: 0
; MemoryBound: 0
; FloatMode: 240
; IeeeMode: 1
; LDSByteSize: 0 bytes/workgroup (compile time only)
; SGPRBlocks: 0
; VGPRBlocks: 0
; NumSGPRsForWavesPerEU: 6
; NumVGPRsForWavesPerEU: 1
; AccumOffset: 4
; Occupancy: 8
; WaveLimiterHint : 0
; COMPUTE_PGM_RSRC2:SCRATCH_EN: 0
; COMPUTE_PGM_RSRC2:USER_SGPR: 2
; COMPUTE_PGM_RSRC2:TRAP_HANDLER: 0
; COMPUTE_PGM_RSRC2:TGID_X_EN: 1
; COMPUTE_PGM_RSRC2:TGID_Y_EN: 0
; COMPUTE_PGM_RSRC2:TGID_Z_EN: 0
; COMPUTE_PGM_RSRC2:TIDIG_COMP_CNT: 0
; COMPUTE_PGM_RSRC3_GFX90A:ACCUM_OFFSET: 0
; COMPUTE_PGM_RSRC3_GFX90A:TG_SPLIT: 0
	.section	.text._ZN7rocprim17ROCPRIM_400000_NS6detail17trampoline_kernelINS0_14default_configENS1_22reduce_config_selectorIsEEZNS1_11reduce_implILb1ES3_N6thrust23THRUST_200600_302600_NS6detail15normal_iteratorINS8_10device_ptrIsEEEEPssNS8_4plusIsEEEE10hipError_tPvRmT1_T2_T3_mT4_P12ihipStream_tbEUlT_E1_NS1_11comp_targetILNS1_3genE2ELNS1_11target_archE906ELNS1_3gpuE6ELNS1_3repE0EEENS1_30default_config_static_selectorELNS0_4arch9wavefront6targetE1EEEvSK_,"axG",@progbits,_ZN7rocprim17ROCPRIM_400000_NS6detail17trampoline_kernelINS0_14default_configENS1_22reduce_config_selectorIsEEZNS1_11reduce_implILb1ES3_N6thrust23THRUST_200600_302600_NS6detail15normal_iteratorINS8_10device_ptrIsEEEEPssNS8_4plusIsEEEE10hipError_tPvRmT1_T2_T3_mT4_P12ihipStream_tbEUlT_E1_NS1_11comp_targetILNS1_3genE2ELNS1_11target_archE906ELNS1_3gpuE6ELNS1_3repE0EEENS1_30default_config_static_selectorELNS0_4arch9wavefront6targetE1EEEvSK_,comdat
	.protected	_ZN7rocprim17ROCPRIM_400000_NS6detail17trampoline_kernelINS0_14default_configENS1_22reduce_config_selectorIsEEZNS1_11reduce_implILb1ES3_N6thrust23THRUST_200600_302600_NS6detail15normal_iteratorINS8_10device_ptrIsEEEEPssNS8_4plusIsEEEE10hipError_tPvRmT1_T2_T3_mT4_P12ihipStream_tbEUlT_E1_NS1_11comp_targetILNS1_3genE2ELNS1_11target_archE906ELNS1_3gpuE6ELNS1_3repE0EEENS1_30default_config_static_selectorELNS0_4arch9wavefront6targetE1EEEvSK_ ; -- Begin function _ZN7rocprim17ROCPRIM_400000_NS6detail17trampoline_kernelINS0_14default_configENS1_22reduce_config_selectorIsEEZNS1_11reduce_implILb1ES3_N6thrust23THRUST_200600_302600_NS6detail15normal_iteratorINS8_10device_ptrIsEEEEPssNS8_4plusIsEEEE10hipError_tPvRmT1_T2_T3_mT4_P12ihipStream_tbEUlT_E1_NS1_11comp_targetILNS1_3genE2ELNS1_11target_archE906ELNS1_3gpuE6ELNS1_3repE0EEENS1_30default_config_static_selectorELNS0_4arch9wavefront6targetE1EEEvSK_
	.globl	_ZN7rocprim17ROCPRIM_400000_NS6detail17trampoline_kernelINS0_14default_configENS1_22reduce_config_selectorIsEEZNS1_11reduce_implILb1ES3_N6thrust23THRUST_200600_302600_NS6detail15normal_iteratorINS8_10device_ptrIsEEEEPssNS8_4plusIsEEEE10hipError_tPvRmT1_T2_T3_mT4_P12ihipStream_tbEUlT_E1_NS1_11comp_targetILNS1_3genE2ELNS1_11target_archE906ELNS1_3gpuE6ELNS1_3repE0EEENS1_30default_config_static_selectorELNS0_4arch9wavefront6targetE1EEEvSK_
	.p2align	8
	.type	_ZN7rocprim17ROCPRIM_400000_NS6detail17trampoline_kernelINS0_14default_configENS1_22reduce_config_selectorIsEEZNS1_11reduce_implILb1ES3_N6thrust23THRUST_200600_302600_NS6detail15normal_iteratorINS8_10device_ptrIsEEEEPssNS8_4plusIsEEEE10hipError_tPvRmT1_T2_T3_mT4_P12ihipStream_tbEUlT_E1_NS1_11comp_targetILNS1_3genE2ELNS1_11target_archE906ELNS1_3gpuE6ELNS1_3repE0EEENS1_30default_config_static_selectorELNS0_4arch9wavefront6targetE1EEEvSK_,@function
_ZN7rocprim17ROCPRIM_400000_NS6detail17trampoline_kernelINS0_14default_configENS1_22reduce_config_selectorIsEEZNS1_11reduce_implILb1ES3_N6thrust23THRUST_200600_302600_NS6detail15normal_iteratorINS8_10device_ptrIsEEEEPssNS8_4plusIsEEEE10hipError_tPvRmT1_T2_T3_mT4_P12ihipStream_tbEUlT_E1_NS1_11comp_targetILNS1_3genE2ELNS1_11target_archE906ELNS1_3gpuE6ELNS1_3repE0EEENS1_30default_config_static_selectorELNS0_4arch9wavefront6targetE1EEEvSK_: ; @_ZN7rocprim17ROCPRIM_400000_NS6detail17trampoline_kernelINS0_14default_configENS1_22reduce_config_selectorIsEEZNS1_11reduce_implILb1ES3_N6thrust23THRUST_200600_302600_NS6detail15normal_iteratorINS8_10device_ptrIsEEEEPssNS8_4plusIsEEEE10hipError_tPvRmT1_T2_T3_mT4_P12ihipStream_tbEUlT_E1_NS1_11comp_targetILNS1_3genE2ELNS1_11target_archE906ELNS1_3gpuE6ELNS1_3repE0EEENS1_30default_config_static_selectorELNS0_4arch9wavefront6targetE1EEEvSK_
; %bb.0:
	.section	.rodata,"a",@progbits
	.p2align	6, 0x0
	.amdhsa_kernel _ZN7rocprim17ROCPRIM_400000_NS6detail17trampoline_kernelINS0_14default_configENS1_22reduce_config_selectorIsEEZNS1_11reduce_implILb1ES3_N6thrust23THRUST_200600_302600_NS6detail15normal_iteratorINS8_10device_ptrIsEEEEPssNS8_4plusIsEEEE10hipError_tPvRmT1_T2_T3_mT4_P12ihipStream_tbEUlT_E1_NS1_11comp_targetILNS1_3genE2ELNS1_11target_archE906ELNS1_3gpuE6ELNS1_3repE0EEENS1_30default_config_static_selectorELNS0_4arch9wavefront6targetE1EEEvSK_
		.amdhsa_group_segment_fixed_size 0
		.amdhsa_private_segment_fixed_size 0
		.amdhsa_kernarg_size 40
		.amdhsa_user_sgpr_count 2
		.amdhsa_user_sgpr_dispatch_ptr 0
		.amdhsa_user_sgpr_queue_ptr 0
		.amdhsa_user_sgpr_kernarg_segment_ptr 1
		.amdhsa_user_sgpr_dispatch_id 0
		.amdhsa_user_sgpr_kernarg_preload_length 0
		.amdhsa_user_sgpr_kernarg_preload_offset 0
		.amdhsa_user_sgpr_private_segment_size 0
		.amdhsa_uses_dynamic_stack 0
		.amdhsa_enable_private_segment 0
		.amdhsa_system_sgpr_workgroup_id_x 1
		.amdhsa_system_sgpr_workgroup_id_y 0
		.amdhsa_system_sgpr_workgroup_id_z 0
		.amdhsa_system_sgpr_workgroup_info 0
		.amdhsa_system_vgpr_workitem_id 0
		.amdhsa_next_free_vgpr 1
		.amdhsa_next_free_sgpr 0
		.amdhsa_accum_offset 4
		.amdhsa_reserve_vcc 0
		.amdhsa_float_round_mode_32 0
		.amdhsa_float_round_mode_16_64 0
		.amdhsa_float_denorm_mode_32 3
		.amdhsa_float_denorm_mode_16_64 3
		.amdhsa_dx10_clamp 1
		.amdhsa_ieee_mode 1
		.amdhsa_fp16_overflow 0
		.amdhsa_tg_split 0
		.amdhsa_exception_fp_ieee_invalid_op 0
		.amdhsa_exception_fp_denorm_src 0
		.amdhsa_exception_fp_ieee_div_zero 0
		.amdhsa_exception_fp_ieee_overflow 0
		.amdhsa_exception_fp_ieee_underflow 0
		.amdhsa_exception_fp_ieee_inexact 0
		.amdhsa_exception_int_div_zero 0
	.end_amdhsa_kernel
	.section	.text._ZN7rocprim17ROCPRIM_400000_NS6detail17trampoline_kernelINS0_14default_configENS1_22reduce_config_selectorIsEEZNS1_11reduce_implILb1ES3_N6thrust23THRUST_200600_302600_NS6detail15normal_iteratorINS8_10device_ptrIsEEEEPssNS8_4plusIsEEEE10hipError_tPvRmT1_T2_T3_mT4_P12ihipStream_tbEUlT_E1_NS1_11comp_targetILNS1_3genE2ELNS1_11target_archE906ELNS1_3gpuE6ELNS1_3repE0EEENS1_30default_config_static_selectorELNS0_4arch9wavefront6targetE1EEEvSK_,"axG",@progbits,_ZN7rocprim17ROCPRIM_400000_NS6detail17trampoline_kernelINS0_14default_configENS1_22reduce_config_selectorIsEEZNS1_11reduce_implILb1ES3_N6thrust23THRUST_200600_302600_NS6detail15normal_iteratorINS8_10device_ptrIsEEEEPssNS8_4plusIsEEEE10hipError_tPvRmT1_T2_T3_mT4_P12ihipStream_tbEUlT_E1_NS1_11comp_targetILNS1_3genE2ELNS1_11target_archE906ELNS1_3gpuE6ELNS1_3repE0EEENS1_30default_config_static_selectorELNS0_4arch9wavefront6targetE1EEEvSK_,comdat
.Lfunc_end292:
	.size	_ZN7rocprim17ROCPRIM_400000_NS6detail17trampoline_kernelINS0_14default_configENS1_22reduce_config_selectorIsEEZNS1_11reduce_implILb1ES3_N6thrust23THRUST_200600_302600_NS6detail15normal_iteratorINS8_10device_ptrIsEEEEPssNS8_4plusIsEEEE10hipError_tPvRmT1_T2_T3_mT4_P12ihipStream_tbEUlT_E1_NS1_11comp_targetILNS1_3genE2ELNS1_11target_archE906ELNS1_3gpuE6ELNS1_3repE0EEENS1_30default_config_static_selectorELNS0_4arch9wavefront6targetE1EEEvSK_, .Lfunc_end292-_ZN7rocprim17ROCPRIM_400000_NS6detail17trampoline_kernelINS0_14default_configENS1_22reduce_config_selectorIsEEZNS1_11reduce_implILb1ES3_N6thrust23THRUST_200600_302600_NS6detail15normal_iteratorINS8_10device_ptrIsEEEEPssNS8_4plusIsEEEE10hipError_tPvRmT1_T2_T3_mT4_P12ihipStream_tbEUlT_E1_NS1_11comp_targetILNS1_3genE2ELNS1_11target_archE906ELNS1_3gpuE6ELNS1_3repE0EEENS1_30default_config_static_selectorELNS0_4arch9wavefront6targetE1EEEvSK_
                                        ; -- End function
	.set _ZN7rocprim17ROCPRIM_400000_NS6detail17trampoline_kernelINS0_14default_configENS1_22reduce_config_selectorIsEEZNS1_11reduce_implILb1ES3_N6thrust23THRUST_200600_302600_NS6detail15normal_iteratorINS8_10device_ptrIsEEEEPssNS8_4plusIsEEEE10hipError_tPvRmT1_T2_T3_mT4_P12ihipStream_tbEUlT_E1_NS1_11comp_targetILNS1_3genE2ELNS1_11target_archE906ELNS1_3gpuE6ELNS1_3repE0EEENS1_30default_config_static_selectorELNS0_4arch9wavefront6targetE1EEEvSK_.num_vgpr, 0
	.set _ZN7rocprim17ROCPRIM_400000_NS6detail17trampoline_kernelINS0_14default_configENS1_22reduce_config_selectorIsEEZNS1_11reduce_implILb1ES3_N6thrust23THRUST_200600_302600_NS6detail15normal_iteratorINS8_10device_ptrIsEEEEPssNS8_4plusIsEEEE10hipError_tPvRmT1_T2_T3_mT4_P12ihipStream_tbEUlT_E1_NS1_11comp_targetILNS1_3genE2ELNS1_11target_archE906ELNS1_3gpuE6ELNS1_3repE0EEENS1_30default_config_static_selectorELNS0_4arch9wavefront6targetE1EEEvSK_.num_agpr, 0
	.set _ZN7rocprim17ROCPRIM_400000_NS6detail17trampoline_kernelINS0_14default_configENS1_22reduce_config_selectorIsEEZNS1_11reduce_implILb1ES3_N6thrust23THRUST_200600_302600_NS6detail15normal_iteratorINS8_10device_ptrIsEEEEPssNS8_4plusIsEEEE10hipError_tPvRmT1_T2_T3_mT4_P12ihipStream_tbEUlT_E1_NS1_11comp_targetILNS1_3genE2ELNS1_11target_archE906ELNS1_3gpuE6ELNS1_3repE0EEENS1_30default_config_static_selectorELNS0_4arch9wavefront6targetE1EEEvSK_.numbered_sgpr, 0
	.set _ZN7rocprim17ROCPRIM_400000_NS6detail17trampoline_kernelINS0_14default_configENS1_22reduce_config_selectorIsEEZNS1_11reduce_implILb1ES3_N6thrust23THRUST_200600_302600_NS6detail15normal_iteratorINS8_10device_ptrIsEEEEPssNS8_4plusIsEEEE10hipError_tPvRmT1_T2_T3_mT4_P12ihipStream_tbEUlT_E1_NS1_11comp_targetILNS1_3genE2ELNS1_11target_archE906ELNS1_3gpuE6ELNS1_3repE0EEENS1_30default_config_static_selectorELNS0_4arch9wavefront6targetE1EEEvSK_.num_named_barrier, 0
	.set _ZN7rocprim17ROCPRIM_400000_NS6detail17trampoline_kernelINS0_14default_configENS1_22reduce_config_selectorIsEEZNS1_11reduce_implILb1ES3_N6thrust23THRUST_200600_302600_NS6detail15normal_iteratorINS8_10device_ptrIsEEEEPssNS8_4plusIsEEEE10hipError_tPvRmT1_T2_T3_mT4_P12ihipStream_tbEUlT_E1_NS1_11comp_targetILNS1_3genE2ELNS1_11target_archE906ELNS1_3gpuE6ELNS1_3repE0EEENS1_30default_config_static_selectorELNS0_4arch9wavefront6targetE1EEEvSK_.private_seg_size, 0
	.set _ZN7rocprim17ROCPRIM_400000_NS6detail17trampoline_kernelINS0_14default_configENS1_22reduce_config_selectorIsEEZNS1_11reduce_implILb1ES3_N6thrust23THRUST_200600_302600_NS6detail15normal_iteratorINS8_10device_ptrIsEEEEPssNS8_4plusIsEEEE10hipError_tPvRmT1_T2_T3_mT4_P12ihipStream_tbEUlT_E1_NS1_11comp_targetILNS1_3genE2ELNS1_11target_archE906ELNS1_3gpuE6ELNS1_3repE0EEENS1_30default_config_static_selectorELNS0_4arch9wavefront6targetE1EEEvSK_.uses_vcc, 0
	.set _ZN7rocprim17ROCPRIM_400000_NS6detail17trampoline_kernelINS0_14default_configENS1_22reduce_config_selectorIsEEZNS1_11reduce_implILb1ES3_N6thrust23THRUST_200600_302600_NS6detail15normal_iteratorINS8_10device_ptrIsEEEEPssNS8_4plusIsEEEE10hipError_tPvRmT1_T2_T3_mT4_P12ihipStream_tbEUlT_E1_NS1_11comp_targetILNS1_3genE2ELNS1_11target_archE906ELNS1_3gpuE6ELNS1_3repE0EEENS1_30default_config_static_selectorELNS0_4arch9wavefront6targetE1EEEvSK_.uses_flat_scratch, 0
	.set _ZN7rocprim17ROCPRIM_400000_NS6detail17trampoline_kernelINS0_14default_configENS1_22reduce_config_selectorIsEEZNS1_11reduce_implILb1ES3_N6thrust23THRUST_200600_302600_NS6detail15normal_iteratorINS8_10device_ptrIsEEEEPssNS8_4plusIsEEEE10hipError_tPvRmT1_T2_T3_mT4_P12ihipStream_tbEUlT_E1_NS1_11comp_targetILNS1_3genE2ELNS1_11target_archE906ELNS1_3gpuE6ELNS1_3repE0EEENS1_30default_config_static_selectorELNS0_4arch9wavefront6targetE1EEEvSK_.has_dyn_sized_stack, 0
	.set _ZN7rocprim17ROCPRIM_400000_NS6detail17trampoline_kernelINS0_14default_configENS1_22reduce_config_selectorIsEEZNS1_11reduce_implILb1ES3_N6thrust23THRUST_200600_302600_NS6detail15normal_iteratorINS8_10device_ptrIsEEEEPssNS8_4plusIsEEEE10hipError_tPvRmT1_T2_T3_mT4_P12ihipStream_tbEUlT_E1_NS1_11comp_targetILNS1_3genE2ELNS1_11target_archE906ELNS1_3gpuE6ELNS1_3repE0EEENS1_30default_config_static_selectorELNS0_4arch9wavefront6targetE1EEEvSK_.has_recursion, 0
	.set _ZN7rocprim17ROCPRIM_400000_NS6detail17trampoline_kernelINS0_14default_configENS1_22reduce_config_selectorIsEEZNS1_11reduce_implILb1ES3_N6thrust23THRUST_200600_302600_NS6detail15normal_iteratorINS8_10device_ptrIsEEEEPssNS8_4plusIsEEEE10hipError_tPvRmT1_T2_T3_mT4_P12ihipStream_tbEUlT_E1_NS1_11comp_targetILNS1_3genE2ELNS1_11target_archE906ELNS1_3gpuE6ELNS1_3repE0EEENS1_30default_config_static_selectorELNS0_4arch9wavefront6targetE1EEEvSK_.has_indirect_call, 0
	.section	.AMDGPU.csdata,"",@progbits
; Kernel info:
; codeLenInByte = 0
; TotalNumSgprs: 6
; NumVgprs: 0
; NumAgprs: 0
; TotalNumVgprs: 0
; ScratchSize: 0
; MemoryBound: 0
; FloatMode: 240
; IeeeMode: 1
; LDSByteSize: 0 bytes/workgroup (compile time only)
; SGPRBlocks: 0
; VGPRBlocks: 0
; NumSGPRsForWavesPerEU: 6
; NumVGPRsForWavesPerEU: 1
; AccumOffset: 4
; Occupancy: 8
; WaveLimiterHint : 0
; COMPUTE_PGM_RSRC2:SCRATCH_EN: 0
; COMPUTE_PGM_RSRC2:USER_SGPR: 2
; COMPUTE_PGM_RSRC2:TRAP_HANDLER: 0
; COMPUTE_PGM_RSRC2:TGID_X_EN: 1
; COMPUTE_PGM_RSRC2:TGID_Y_EN: 0
; COMPUTE_PGM_RSRC2:TGID_Z_EN: 0
; COMPUTE_PGM_RSRC2:TIDIG_COMP_CNT: 0
; COMPUTE_PGM_RSRC3_GFX90A:ACCUM_OFFSET: 0
; COMPUTE_PGM_RSRC3_GFX90A:TG_SPLIT: 0
	.section	.text._ZN7rocprim17ROCPRIM_400000_NS6detail17trampoline_kernelINS0_14default_configENS1_22reduce_config_selectorIsEEZNS1_11reduce_implILb1ES3_N6thrust23THRUST_200600_302600_NS6detail15normal_iteratorINS8_10device_ptrIsEEEEPssNS8_4plusIsEEEE10hipError_tPvRmT1_T2_T3_mT4_P12ihipStream_tbEUlT_E1_NS1_11comp_targetILNS1_3genE10ELNS1_11target_archE1201ELNS1_3gpuE5ELNS1_3repE0EEENS1_30default_config_static_selectorELNS0_4arch9wavefront6targetE1EEEvSK_,"axG",@progbits,_ZN7rocprim17ROCPRIM_400000_NS6detail17trampoline_kernelINS0_14default_configENS1_22reduce_config_selectorIsEEZNS1_11reduce_implILb1ES3_N6thrust23THRUST_200600_302600_NS6detail15normal_iteratorINS8_10device_ptrIsEEEEPssNS8_4plusIsEEEE10hipError_tPvRmT1_T2_T3_mT4_P12ihipStream_tbEUlT_E1_NS1_11comp_targetILNS1_3genE10ELNS1_11target_archE1201ELNS1_3gpuE5ELNS1_3repE0EEENS1_30default_config_static_selectorELNS0_4arch9wavefront6targetE1EEEvSK_,comdat
	.protected	_ZN7rocprim17ROCPRIM_400000_NS6detail17trampoline_kernelINS0_14default_configENS1_22reduce_config_selectorIsEEZNS1_11reduce_implILb1ES3_N6thrust23THRUST_200600_302600_NS6detail15normal_iteratorINS8_10device_ptrIsEEEEPssNS8_4plusIsEEEE10hipError_tPvRmT1_T2_T3_mT4_P12ihipStream_tbEUlT_E1_NS1_11comp_targetILNS1_3genE10ELNS1_11target_archE1201ELNS1_3gpuE5ELNS1_3repE0EEENS1_30default_config_static_selectorELNS0_4arch9wavefront6targetE1EEEvSK_ ; -- Begin function _ZN7rocprim17ROCPRIM_400000_NS6detail17trampoline_kernelINS0_14default_configENS1_22reduce_config_selectorIsEEZNS1_11reduce_implILb1ES3_N6thrust23THRUST_200600_302600_NS6detail15normal_iteratorINS8_10device_ptrIsEEEEPssNS8_4plusIsEEEE10hipError_tPvRmT1_T2_T3_mT4_P12ihipStream_tbEUlT_E1_NS1_11comp_targetILNS1_3genE10ELNS1_11target_archE1201ELNS1_3gpuE5ELNS1_3repE0EEENS1_30default_config_static_selectorELNS0_4arch9wavefront6targetE1EEEvSK_
	.globl	_ZN7rocprim17ROCPRIM_400000_NS6detail17trampoline_kernelINS0_14default_configENS1_22reduce_config_selectorIsEEZNS1_11reduce_implILb1ES3_N6thrust23THRUST_200600_302600_NS6detail15normal_iteratorINS8_10device_ptrIsEEEEPssNS8_4plusIsEEEE10hipError_tPvRmT1_T2_T3_mT4_P12ihipStream_tbEUlT_E1_NS1_11comp_targetILNS1_3genE10ELNS1_11target_archE1201ELNS1_3gpuE5ELNS1_3repE0EEENS1_30default_config_static_selectorELNS0_4arch9wavefront6targetE1EEEvSK_
	.p2align	8
	.type	_ZN7rocprim17ROCPRIM_400000_NS6detail17trampoline_kernelINS0_14default_configENS1_22reduce_config_selectorIsEEZNS1_11reduce_implILb1ES3_N6thrust23THRUST_200600_302600_NS6detail15normal_iteratorINS8_10device_ptrIsEEEEPssNS8_4plusIsEEEE10hipError_tPvRmT1_T2_T3_mT4_P12ihipStream_tbEUlT_E1_NS1_11comp_targetILNS1_3genE10ELNS1_11target_archE1201ELNS1_3gpuE5ELNS1_3repE0EEENS1_30default_config_static_selectorELNS0_4arch9wavefront6targetE1EEEvSK_,@function
_ZN7rocprim17ROCPRIM_400000_NS6detail17trampoline_kernelINS0_14default_configENS1_22reduce_config_selectorIsEEZNS1_11reduce_implILb1ES3_N6thrust23THRUST_200600_302600_NS6detail15normal_iteratorINS8_10device_ptrIsEEEEPssNS8_4plusIsEEEE10hipError_tPvRmT1_T2_T3_mT4_P12ihipStream_tbEUlT_E1_NS1_11comp_targetILNS1_3genE10ELNS1_11target_archE1201ELNS1_3gpuE5ELNS1_3repE0EEENS1_30default_config_static_selectorELNS0_4arch9wavefront6targetE1EEEvSK_: ; @_ZN7rocprim17ROCPRIM_400000_NS6detail17trampoline_kernelINS0_14default_configENS1_22reduce_config_selectorIsEEZNS1_11reduce_implILb1ES3_N6thrust23THRUST_200600_302600_NS6detail15normal_iteratorINS8_10device_ptrIsEEEEPssNS8_4plusIsEEEE10hipError_tPvRmT1_T2_T3_mT4_P12ihipStream_tbEUlT_E1_NS1_11comp_targetILNS1_3genE10ELNS1_11target_archE1201ELNS1_3gpuE5ELNS1_3repE0EEENS1_30default_config_static_selectorELNS0_4arch9wavefront6targetE1EEEvSK_
; %bb.0:
	.section	.rodata,"a",@progbits
	.p2align	6, 0x0
	.amdhsa_kernel _ZN7rocprim17ROCPRIM_400000_NS6detail17trampoline_kernelINS0_14default_configENS1_22reduce_config_selectorIsEEZNS1_11reduce_implILb1ES3_N6thrust23THRUST_200600_302600_NS6detail15normal_iteratorINS8_10device_ptrIsEEEEPssNS8_4plusIsEEEE10hipError_tPvRmT1_T2_T3_mT4_P12ihipStream_tbEUlT_E1_NS1_11comp_targetILNS1_3genE10ELNS1_11target_archE1201ELNS1_3gpuE5ELNS1_3repE0EEENS1_30default_config_static_selectorELNS0_4arch9wavefront6targetE1EEEvSK_
		.amdhsa_group_segment_fixed_size 0
		.amdhsa_private_segment_fixed_size 0
		.amdhsa_kernarg_size 40
		.amdhsa_user_sgpr_count 2
		.amdhsa_user_sgpr_dispatch_ptr 0
		.amdhsa_user_sgpr_queue_ptr 0
		.amdhsa_user_sgpr_kernarg_segment_ptr 1
		.amdhsa_user_sgpr_dispatch_id 0
		.amdhsa_user_sgpr_kernarg_preload_length 0
		.amdhsa_user_sgpr_kernarg_preload_offset 0
		.amdhsa_user_sgpr_private_segment_size 0
		.amdhsa_uses_dynamic_stack 0
		.amdhsa_enable_private_segment 0
		.amdhsa_system_sgpr_workgroup_id_x 1
		.amdhsa_system_sgpr_workgroup_id_y 0
		.amdhsa_system_sgpr_workgroup_id_z 0
		.amdhsa_system_sgpr_workgroup_info 0
		.amdhsa_system_vgpr_workitem_id 0
		.amdhsa_next_free_vgpr 1
		.amdhsa_next_free_sgpr 0
		.amdhsa_accum_offset 4
		.amdhsa_reserve_vcc 0
		.amdhsa_float_round_mode_32 0
		.amdhsa_float_round_mode_16_64 0
		.amdhsa_float_denorm_mode_32 3
		.amdhsa_float_denorm_mode_16_64 3
		.amdhsa_dx10_clamp 1
		.amdhsa_ieee_mode 1
		.amdhsa_fp16_overflow 0
		.amdhsa_tg_split 0
		.amdhsa_exception_fp_ieee_invalid_op 0
		.amdhsa_exception_fp_denorm_src 0
		.amdhsa_exception_fp_ieee_div_zero 0
		.amdhsa_exception_fp_ieee_overflow 0
		.amdhsa_exception_fp_ieee_underflow 0
		.amdhsa_exception_fp_ieee_inexact 0
		.amdhsa_exception_int_div_zero 0
	.end_amdhsa_kernel
	.section	.text._ZN7rocprim17ROCPRIM_400000_NS6detail17trampoline_kernelINS0_14default_configENS1_22reduce_config_selectorIsEEZNS1_11reduce_implILb1ES3_N6thrust23THRUST_200600_302600_NS6detail15normal_iteratorINS8_10device_ptrIsEEEEPssNS8_4plusIsEEEE10hipError_tPvRmT1_T2_T3_mT4_P12ihipStream_tbEUlT_E1_NS1_11comp_targetILNS1_3genE10ELNS1_11target_archE1201ELNS1_3gpuE5ELNS1_3repE0EEENS1_30default_config_static_selectorELNS0_4arch9wavefront6targetE1EEEvSK_,"axG",@progbits,_ZN7rocprim17ROCPRIM_400000_NS6detail17trampoline_kernelINS0_14default_configENS1_22reduce_config_selectorIsEEZNS1_11reduce_implILb1ES3_N6thrust23THRUST_200600_302600_NS6detail15normal_iteratorINS8_10device_ptrIsEEEEPssNS8_4plusIsEEEE10hipError_tPvRmT1_T2_T3_mT4_P12ihipStream_tbEUlT_E1_NS1_11comp_targetILNS1_3genE10ELNS1_11target_archE1201ELNS1_3gpuE5ELNS1_3repE0EEENS1_30default_config_static_selectorELNS0_4arch9wavefront6targetE1EEEvSK_,comdat
.Lfunc_end293:
	.size	_ZN7rocprim17ROCPRIM_400000_NS6detail17trampoline_kernelINS0_14default_configENS1_22reduce_config_selectorIsEEZNS1_11reduce_implILb1ES3_N6thrust23THRUST_200600_302600_NS6detail15normal_iteratorINS8_10device_ptrIsEEEEPssNS8_4plusIsEEEE10hipError_tPvRmT1_T2_T3_mT4_P12ihipStream_tbEUlT_E1_NS1_11comp_targetILNS1_3genE10ELNS1_11target_archE1201ELNS1_3gpuE5ELNS1_3repE0EEENS1_30default_config_static_selectorELNS0_4arch9wavefront6targetE1EEEvSK_, .Lfunc_end293-_ZN7rocprim17ROCPRIM_400000_NS6detail17trampoline_kernelINS0_14default_configENS1_22reduce_config_selectorIsEEZNS1_11reduce_implILb1ES3_N6thrust23THRUST_200600_302600_NS6detail15normal_iteratorINS8_10device_ptrIsEEEEPssNS8_4plusIsEEEE10hipError_tPvRmT1_T2_T3_mT4_P12ihipStream_tbEUlT_E1_NS1_11comp_targetILNS1_3genE10ELNS1_11target_archE1201ELNS1_3gpuE5ELNS1_3repE0EEENS1_30default_config_static_selectorELNS0_4arch9wavefront6targetE1EEEvSK_
                                        ; -- End function
	.set _ZN7rocprim17ROCPRIM_400000_NS6detail17trampoline_kernelINS0_14default_configENS1_22reduce_config_selectorIsEEZNS1_11reduce_implILb1ES3_N6thrust23THRUST_200600_302600_NS6detail15normal_iteratorINS8_10device_ptrIsEEEEPssNS8_4plusIsEEEE10hipError_tPvRmT1_T2_T3_mT4_P12ihipStream_tbEUlT_E1_NS1_11comp_targetILNS1_3genE10ELNS1_11target_archE1201ELNS1_3gpuE5ELNS1_3repE0EEENS1_30default_config_static_selectorELNS0_4arch9wavefront6targetE1EEEvSK_.num_vgpr, 0
	.set _ZN7rocprim17ROCPRIM_400000_NS6detail17trampoline_kernelINS0_14default_configENS1_22reduce_config_selectorIsEEZNS1_11reduce_implILb1ES3_N6thrust23THRUST_200600_302600_NS6detail15normal_iteratorINS8_10device_ptrIsEEEEPssNS8_4plusIsEEEE10hipError_tPvRmT1_T2_T3_mT4_P12ihipStream_tbEUlT_E1_NS1_11comp_targetILNS1_3genE10ELNS1_11target_archE1201ELNS1_3gpuE5ELNS1_3repE0EEENS1_30default_config_static_selectorELNS0_4arch9wavefront6targetE1EEEvSK_.num_agpr, 0
	.set _ZN7rocprim17ROCPRIM_400000_NS6detail17trampoline_kernelINS0_14default_configENS1_22reduce_config_selectorIsEEZNS1_11reduce_implILb1ES3_N6thrust23THRUST_200600_302600_NS6detail15normal_iteratorINS8_10device_ptrIsEEEEPssNS8_4plusIsEEEE10hipError_tPvRmT1_T2_T3_mT4_P12ihipStream_tbEUlT_E1_NS1_11comp_targetILNS1_3genE10ELNS1_11target_archE1201ELNS1_3gpuE5ELNS1_3repE0EEENS1_30default_config_static_selectorELNS0_4arch9wavefront6targetE1EEEvSK_.numbered_sgpr, 0
	.set _ZN7rocprim17ROCPRIM_400000_NS6detail17trampoline_kernelINS0_14default_configENS1_22reduce_config_selectorIsEEZNS1_11reduce_implILb1ES3_N6thrust23THRUST_200600_302600_NS6detail15normal_iteratorINS8_10device_ptrIsEEEEPssNS8_4plusIsEEEE10hipError_tPvRmT1_T2_T3_mT4_P12ihipStream_tbEUlT_E1_NS1_11comp_targetILNS1_3genE10ELNS1_11target_archE1201ELNS1_3gpuE5ELNS1_3repE0EEENS1_30default_config_static_selectorELNS0_4arch9wavefront6targetE1EEEvSK_.num_named_barrier, 0
	.set _ZN7rocprim17ROCPRIM_400000_NS6detail17trampoline_kernelINS0_14default_configENS1_22reduce_config_selectorIsEEZNS1_11reduce_implILb1ES3_N6thrust23THRUST_200600_302600_NS6detail15normal_iteratorINS8_10device_ptrIsEEEEPssNS8_4plusIsEEEE10hipError_tPvRmT1_T2_T3_mT4_P12ihipStream_tbEUlT_E1_NS1_11comp_targetILNS1_3genE10ELNS1_11target_archE1201ELNS1_3gpuE5ELNS1_3repE0EEENS1_30default_config_static_selectorELNS0_4arch9wavefront6targetE1EEEvSK_.private_seg_size, 0
	.set _ZN7rocprim17ROCPRIM_400000_NS6detail17trampoline_kernelINS0_14default_configENS1_22reduce_config_selectorIsEEZNS1_11reduce_implILb1ES3_N6thrust23THRUST_200600_302600_NS6detail15normal_iteratorINS8_10device_ptrIsEEEEPssNS8_4plusIsEEEE10hipError_tPvRmT1_T2_T3_mT4_P12ihipStream_tbEUlT_E1_NS1_11comp_targetILNS1_3genE10ELNS1_11target_archE1201ELNS1_3gpuE5ELNS1_3repE0EEENS1_30default_config_static_selectorELNS0_4arch9wavefront6targetE1EEEvSK_.uses_vcc, 0
	.set _ZN7rocprim17ROCPRIM_400000_NS6detail17trampoline_kernelINS0_14default_configENS1_22reduce_config_selectorIsEEZNS1_11reduce_implILb1ES3_N6thrust23THRUST_200600_302600_NS6detail15normal_iteratorINS8_10device_ptrIsEEEEPssNS8_4plusIsEEEE10hipError_tPvRmT1_T2_T3_mT4_P12ihipStream_tbEUlT_E1_NS1_11comp_targetILNS1_3genE10ELNS1_11target_archE1201ELNS1_3gpuE5ELNS1_3repE0EEENS1_30default_config_static_selectorELNS0_4arch9wavefront6targetE1EEEvSK_.uses_flat_scratch, 0
	.set _ZN7rocprim17ROCPRIM_400000_NS6detail17trampoline_kernelINS0_14default_configENS1_22reduce_config_selectorIsEEZNS1_11reduce_implILb1ES3_N6thrust23THRUST_200600_302600_NS6detail15normal_iteratorINS8_10device_ptrIsEEEEPssNS8_4plusIsEEEE10hipError_tPvRmT1_T2_T3_mT4_P12ihipStream_tbEUlT_E1_NS1_11comp_targetILNS1_3genE10ELNS1_11target_archE1201ELNS1_3gpuE5ELNS1_3repE0EEENS1_30default_config_static_selectorELNS0_4arch9wavefront6targetE1EEEvSK_.has_dyn_sized_stack, 0
	.set _ZN7rocprim17ROCPRIM_400000_NS6detail17trampoline_kernelINS0_14default_configENS1_22reduce_config_selectorIsEEZNS1_11reduce_implILb1ES3_N6thrust23THRUST_200600_302600_NS6detail15normal_iteratorINS8_10device_ptrIsEEEEPssNS8_4plusIsEEEE10hipError_tPvRmT1_T2_T3_mT4_P12ihipStream_tbEUlT_E1_NS1_11comp_targetILNS1_3genE10ELNS1_11target_archE1201ELNS1_3gpuE5ELNS1_3repE0EEENS1_30default_config_static_selectorELNS0_4arch9wavefront6targetE1EEEvSK_.has_recursion, 0
	.set _ZN7rocprim17ROCPRIM_400000_NS6detail17trampoline_kernelINS0_14default_configENS1_22reduce_config_selectorIsEEZNS1_11reduce_implILb1ES3_N6thrust23THRUST_200600_302600_NS6detail15normal_iteratorINS8_10device_ptrIsEEEEPssNS8_4plusIsEEEE10hipError_tPvRmT1_T2_T3_mT4_P12ihipStream_tbEUlT_E1_NS1_11comp_targetILNS1_3genE10ELNS1_11target_archE1201ELNS1_3gpuE5ELNS1_3repE0EEENS1_30default_config_static_selectorELNS0_4arch9wavefront6targetE1EEEvSK_.has_indirect_call, 0
	.section	.AMDGPU.csdata,"",@progbits
; Kernel info:
; codeLenInByte = 0
; TotalNumSgprs: 6
; NumVgprs: 0
; NumAgprs: 0
; TotalNumVgprs: 0
; ScratchSize: 0
; MemoryBound: 0
; FloatMode: 240
; IeeeMode: 1
; LDSByteSize: 0 bytes/workgroup (compile time only)
; SGPRBlocks: 0
; VGPRBlocks: 0
; NumSGPRsForWavesPerEU: 6
; NumVGPRsForWavesPerEU: 1
; AccumOffset: 4
; Occupancy: 8
; WaveLimiterHint : 0
; COMPUTE_PGM_RSRC2:SCRATCH_EN: 0
; COMPUTE_PGM_RSRC2:USER_SGPR: 2
; COMPUTE_PGM_RSRC2:TRAP_HANDLER: 0
; COMPUTE_PGM_RSRC2:TGID_X_EN: 1
; COMPUTE_PGM_RSRC2:TGID_Y_EN: 0
; COMPUTE_PGM_RSRC2:TGID_Z_EN: 0
; COMPUTE_PGM_RSRC2:TIDIG_COMP_CNT: 0
; COMPUTE_PGM_RSRC3_GFX90A:ACCUM_OFFSET: 0
; COMPUTE_PGM_RSRC3_GFX90A:TG_SPLIT: 0
	.section	.text._ZN7rocprim17ROCPRIM_400000_NS6detail17trampoline_kernelINS0_14default_configENS1_22reduce_config_selectorIsEEZNS1_11reduce_implILb1ES3_N6thrust23THRUST_200600_302600_NS6detail15normal_iteratorINS8_10device_ptrIsEEEEPssNS8_4plusIsEEEE10hipError_tPvRmT1_T2_T3_mT4_P12ihipStream_tbEUlT_E1_NS1_11comp_targetILNS1_3genE10ELNS1_11target_archE1200ELNS1_3gpuE4ELNS1_3repE0EEENS1_30default_config_static_selectorELNS0_4arch9wavefront6targetE1EEEvSK_,"axG",@progbits,_ZN7rocprim17ROCPRIM_400000_NS6detail17trampoline_kernelINS0_14default_configENS1_22reduce_config_selectorIsEEZNS1_11reduce_implILb1ES3_N6thrust23THRUST_200600_302600_NS6detail15normal_iteratorINS8_10device_ptrIsEEEEPssNS8_4plusIsEEEE10hipError_tPvRmT1_T2_T3_mT4_P12ihipStream_tbEUlT_E1_NS1_11comp_targetILNS1_3genE10ELNS1_11target_archE1200ELNS1_3gpuE4ELNS1_3repE0EEENS1_30default_config_static_selectorELNS0_4arch9wavefront6targetE1EEEvSK_,comdat
	.protected	_ZN7rocprim17ROCPRIM_400000_NS6detail17trampoline_kernelINS0_14default_configENS1_22reduce_config_selectorIsEEZNS1_11reduce_implILb1ES3_N6thrust23THRUST_200600_302600_NS6detail15normal_iteratorINS8_10device_ptrIsEEEEPssNS8_4plusIsEEEE10hipError_tPvRmT1_T2_T3_mT4_P12ihipStream_tbEUlT_E1_NS1_11comp_targetILNS1_3genE10ELNS1_11target_archE1200ELNS1_3gpuE4ELNS1_3repE0EEENS1_30default_config_static_selectorELNS0_4arch9wavefront6targetE1EEEvSK_ ; -- Begin function _ZN7rocprim17ROCPRIM_400000_NS6detail17trampoline_kernelINS0_14default_configENS1_22reduce_config_selectorIsEEZNS1_11reduce_implILb1ES3_N6thrust23THRUST_200600_302600_NS6detail15normal_iteratorINS8_10device_ptrIsEEEEPssNS8_4plusIsEEEE10hipError_tPvRmT1_T2_T3_mT4_P12ihipStream_tbEUlT_E1_NS1_11comp_targetILNS1_3genE10ELNS1_11target_archE1200ELNS1_3gpuE4ELNS1_3repE0EEENS1_30default_config_static_selectorELNS0_4arch9wavefront6targetE1EEEvSK_
	.globl	_ZN7rocprim17ROCPRIM_400000_NS6detail17trampoline_kernelINS0_14default_configENS1_22reduce_config_selectorIsEEZNS1_11reduce_implILb1ES3_N6thrust23THRUST_200600_302600_NS6detail15normal_iteratorINS8_10device_ptrIsEEEEPssNS8_4plusIsEEEE10hipError_tPvRmT1_T2_T3_mT4_P12ihipStream_tbEUlT_E1_NS1_11comp_targetILNS1_3genE10ELNS1_11target_archE1200ELNS1_3gpuE4ELNS1_3repE0EEENS1_30default_config_static_selectorELNS0_4arch9wavefront6targetE1EEEvSK_
	.p2align	8
	.type	_ZN7rocprim17ROCPRIM_400000_NS6detail17trampoline_kernelINS0_14default_configENS1_22reduce_config_selectorIsEEZNS1_11reduce_implILb1ES3_N6thrust23THRUST_200600_302600_NS6detail15normal_iteratorINS8_10device_ptrIsEEEEPssNS8_4plusIsEEEE10hipError_tPvRmT1_T2_T3_mT4_P12ihipStream_tbEUlT_E1_NS1_11comp_targetILNS1_3genE10ELNS1_11target_archE1200ELNS1_3gpuE4ELNS1_3repE0EEENS1_30default_config_static_selectorELNS0_4arch9wavefront6targetE1EEEvSK_,@function
_ZN7rocprim17ROCPRIM_400000_NS6detail17trampoline_kernelINS0_14default_configENS1_22reduce_config_selectorIsEEZNS1_11reduce_implILb1ES3_N6thrust23THRUST_200600_302600_NS6detail15normal_iteratorINS8_10device_ptrIsEEEEPssNS8_4plusIsEEEE10hipError_tPvRmT1_T2_T3_mT4_P12ihipStream_tbEUlT_E1_NS1_11comp_targetILNS1_3genE10ELNS1_11target_archE1200ELNS1_3gpuE4ELNS1_3repE0EEENS1_30default_config_static_selectorELNS0_4arch9wavefront6targetE1EEEvSK_: ; @_ZN7rocprim17ROCPRIM_400000_NS6detail17trampoline_kernelINS0_14default_configENS1_22reduce_config_selectorIsEEZNS1_11reduce_implILb1ES3_N6thrust23THRUST_200600_302600_NS6detail15normal_iteratorINS8_10device_ptrIsEEEEPssNS8_4plusIsEEEE10hipError_tPvRmT1_T2_T3_mT4_P12ihipStream_tbEUlT_E1_NS1_11comp_targetILNS1_3genE10ELNS1_11target_archE1200ELNS1_3gpuE4ELNS1_3repE0EEENS1_30default_config_static_selectorELNS0_4arch9wavefront6targetE1EEEvSK_
; %bb.0:
	.section	.rodata,"a",@progbits
	.p2align	6, 0x0
	.amdhsa_kernel _ZN7rocprim17ROCPRIM_400000_NS6detail17trampoline_kernelINS0_14default_configENS1_22reduce_config_selectorIsEEZNS1_11reduce_implILb1ES3_N6thrust23THRUST_200600_302600_NS6detail15normal_iteratorINS8_10device_ptrIsEEEEPssNS8_4plusIsEEEE10hipError_tPvRmT1_T2_T3_mT4_P12ihipStream_tbEUlT_E1_NS1_11comp_targetILNS1_3genE10ELNS1_11target_archE1200ELNS1_3gpuE4ELNS1_3repE0EEENS1_30default_config_static_selectorELNS0_4arch9wavefront6targetE1EEEvSK_
		.amdhsa_group_segment_fixed_size 0
		.amdhsa_private_segment_fixed_size 0
		.amdhsa_kernarg_size 40
		.amdhsa_user_sgpr_count 2
		.amdhsa_user_sgpr_dispatch_ptr 0
		.amdhsa_user_sgpr_queue_ptr 0
		.amdhsa_user_sgpr_kernarg_segment_ptr 1
		.amdhsa_user_sgpr_dispatch_id 0
		.amdhsa_user_sgpr_kernarg_preload_length 0
		.amdhsa_user_sgpr_kernarg_preload_offset 0
		.amdhsa_user_sgpr_private_segment_size 0
		.amdhsa_uses_dynamic_stack 0
		.amdhsa_enable_private_segment 0
		.amdhsa_system_sgpr_workgroup_id_x 1
		.amdhsa_system_sgpr_workgroup_id_y 0
		.amdhsa_system_sgpr_workgroup_id_z 0
		.amdhsa_system_sgpr_workgroup_info 0
		.amdhsa_system_vgpr_workitem_id 0
		.amdhsa_next_free_vgpr 1
		.amdhsa_next_free_sgpr 0
		.amdhsa_accum_offset 4
		.amdhsa_reserve_vcc 0
		.amdhsa_float_round_mode_32 0
		.amdhsa_float_round_mode_16_64 0
		.amdhsa_float_denorm_mode_32 3
		.amdhsa_float_denorm_mode_16_64 3
		.amdhsa_dx10_clamp 1
		.amdhsa_ieee_mode 1
		.amdhsa_fp16_overflow 0
		.amdhsa_tg_split 0
		.amdhsa_exception_fp_ieee_invalid_op 0
		.amdhsa_exception_fp_denorm_src 0
		.amdhsa_exception_fp_ieee_div_zero 0
		.amdhsa_exception_fp_ieee_overflow 0
		.amdhsa_exception_fp_ieee_underflow 0
		.amdhsa_exception_fp_ieee_inexact 0
		.amdhsa_exception_int_div_zero 0
	.end_amdhsa_kernel
	.section	.text._ZN7rocprim17ROCPRIM_400000_NS6detail17trampoline_kernelINS0_14default_configENS1_22reduce_config_selectorIsEEZNS1_11reduce_implILb1ES3_N6thrust23THRUST_200600_302600_NS6detail15normal_iteratorINS8_10device_ptrIsEEEEPssNS8_4plusIsEEEE10hipError_tPvRmT1_T2_T3_mT4_P12ihipStream_tbEUlT_E1_NS1_11comp_targetILNS1_3genE10ELNS1_11target_archE1200ELNS1_3gpuE4ELNS1_3repE0EEENS1_30default_config_static_selectorELNS0_4arch9wavefront6targetE1EEEvSK_,"axG",@progbits,_ZN7rocprim17ROCPRIM_400000_NS6detail17trampoline_kernelINS0_14default_configENS1_22reduce_config_selectorIsEEZNS1_11reduce_implILb1ES3_N6thrust23THRUST_200600_302600_NS6detail15normal_iteratorINS8_10device_ptrIsEEEEPssNS8_4plusIsEEEE10hipError_tPvRmT1_T2_T3_mT4_P12ihipStream_tbEUlT_E1_NS1_11comp_targetILNS1_3genE10ELNS1_11target_archE1200ELNS1_3gpuE4ELNS1_3repE0EEENS1_30default_config_static_selectorELNS0_4arch9wavefront6targetE1EEEvSK_,comdat
.Lfunc_end294:
	.size	_ZN7rocprim17ROCPRIM_400000_NS6detail17trampoline_kernelINS0_14default_configENS1_22reduce_config_selectorIsEEZNS1_11reduce_implILb1ES3_N6thrust23THRUST_200600_302600_NS6detail15normal_iteratorINS8_10device_ptrIsEEEEPssNS8_4plusIsEEEE10hipError_tPvRmT1_T2_T3_mT4_P12ihipStream_tbEUlT_E1_NS1_11comp_targetILNS1_3genE10ELNS1_11target_archE1200ELNS1_3gpuE4ELNS1_3repE0EEENS1_30default_config_static_selectorELNS0_4arch9wavefront6targetE1EEEvSK_, .Lfunc_end294-_ZN7rocprim17ROCPRIM_400000_NS6detail17trampoline_kernelINS0_14default_configENS1_22reduce_config_selectorIsEEZNS1_11reduce_implILb1ES3_N6thrust23THRUST_200600_302600_NS6detail15normal_iteratorINS8_10device_ptrIsEEEEPssNS8_4plusIsEEEE10hipError_tPvRmT1_T2_T3_mT4_P12ihipStream_tbEUlT_E1_NS1_11comp_targetILNS1_3genE10ELNS1_11target_archE1200ELNS1_3gpuE4ELNS1_3repE0EEENS1_30default_config_static_selectorELNS0_4arch9wavefront6targetE1EEEvSK_
                                        ; -- End function
	.set _ZN7rocprim17ROCPRIM_400000_NS6detail17trampoline_kernelINS0_14default_configENS1_22reduce_config_selectorIsEEZNS1_11reduce_implILb1ES3_N6thrust23THRUST_200600_302600_NS6detail15normal_iteratorINS8_10device_ptrIsEEEEPssNS8_4plusIsEEEE10hipError_tPvRmT1_T2_T3_mT4_P12ihipStream_tbEUlT_E1_NS1_11comp_targetILNS1_3genE10ELNS1_11target_archE1200ELNS1_3gpuE4ELNS1_3repE0EEENS1_30default_config_static_selectorELNS0_4arch9wavefront6targetE1EEEvSK_.num_vgpr, 0
	.set _ZN7rocprim17ROCPRIM_400000_NS6detail17trampoline_kernelINS0_14default_configENS1_22reduce_config_selectorIsEEZNS1_11reduce_implILb1ES3_N6thrust23THRUST_200600_302600_NS6detail15normal_iteratorINS8_10device_ptrIsEEEEPssNS8_4plusIsEEEE10hipError_tPvRmT1_T2_T3_mT4_P12ihipStream_tbEUlT_E1_NS1_11comp_targetILNS1_3genE10ELNS1_11target_archE1200ELNS1_3gpuE4ELNS1_3repE0EEENS1_30default_config_static_selectorELNS0_4arch9wavefront6targetE1EEEvSK_.num_agpr, 0
	.set _ZN7rocprim17ROCPRIM_400000_NS6detail17trampoline_kernelINS0_14default_configENS1_22reduce_config_selectorIsEEZNS1_11reduce_implILb1ES3_N6thrust23THRUST_200600_302600_NS6detail15normal_iteratorINS8_10device_ptrIsEEEEPssNS8_4plusIsEEEE10hipError_tPvRmT1_T2_T3_mT4_P12ihipStream_tbEUlT_E1_NS1_11comp_targetILNS1_3genE10ELNS1_11target_archE1200ELNS1_3gpuE4ELNS1_3repE0EEENS1_30default_config_static_selectorELNS0_4arch9wavefront6targetE1EEEvSK_.numbered_sgpr, 0
	.set _ZN7rocprim17ROCPRIM_400000_NS6detail17trampoline_kernelINS0_14default_configENS1_22reduce_config_selectorIsEEZNS1_11reduce_implILb1ES3_N6thrust23THRUST_200600_302600_NS6detail15normal_iteratorINS8_10device_ptrIsEEEEPssNS8_4plusIsEEEE10hipError_tPvRmT1_T2_T3_mT4_P12ihipStream_tbEUlT_E1_NS1_11comp_targetILNS1_3genE10ELNS1_11target_archE1200ELNS1_3gpuE4ELNS1_3repE0EEENS1_30default_config_static_selectorELNS0_4arch9wavefront6targetE1EEEvSK_.num_named_barrier, 0
	.set _ZN7rocprim17ROCPRIM_400000_NS6detail17trampoline_kernelINS0_14default_configENS1_22reduce_config_selectorIsEEZNS1_11reduce_implILb1ES3_N6thrust23THRUST_200600_302600_NS6detail15normal_iteratorINS8_10device_ptrIsEEEEPssNS8_4plusIsEEEE10hipError_tPvRmT1_T2_T3_mT4_P12ihipStream_tbEUlT_E1_NS1_11comp_targetILNS1_3genE10ELNS1_11target_archE1200ELNS1_3gpuE4ELNS1_3repE0EEENS1_30default_config_static_selectorELNS0_4arch9wavefront6targetE1EEEvSK_.private_seg_size, 0
	.set _ZN7rocprim17ROCPRIM_400000_NS6detail17trampoline_kernelINS0_14default_configENS1_22reduce_config_selectorIsEEZNS1_11reduce_implILb1ES3_N6thrust23THRUST_200600_302600_NS6detail15normal_iteratorINS8_10device_ptrIsEEEEPssNS8_4plusIsEEEE10hipError_tPvRmT1_T2_T3_mT4_P12ihipStream_tbEUlT_E1_NS1_11comp_targetILNS1_3genE10ELNS1_11target_archE1200ELNS1_3gpuE4ELNS1_3repE0EEENS1_30default_config_static_selectorELNS0_4arch9wavefront6targetE1EEEvSK_.uses_vcc, 0
	.set _ZN7rocprim17ROCPRIM_400000_NS6detail17trampoline_kernelINS0_14default_configENS1_22reduce_config_selectorIsEEZNS1_11reduce_implILb1ES3_N6thrust23THRUST_200600_302600_NS6detail15normal_iteratorINS8_10device_ptrIsEEEEPssNS8_4plusIsEEEE10hipError_tPvRmT1_T2_T3_mT4_P12ihipStream_tbEUlT_E1_NS1_11comp_targetILNS1_3genE10ELNS1_11target_archE1200ELNS1_3gpuE4ELNS1_3repE0EEENS1_30default_config_static_selectorELNS0_4arch9wavefront6targetE1EEEvSK_.uses_flat_scratch, 0
	.set _ZN7rocprim17ROCPRIM_400000_NS6detail17trampoline_kernelINS0_14default_configENS1_22reduce_config_selectorIsEEZNS1_11reduce_implILb1ES3_N6thrust23THRUST_200600_302600_NS6detail15normal_iteratorINS8_10device_ptrIsEEEEPssNS8_4plusIsEEEE10hipError_tPvRmT1_T2_T3_mT4_P12ihipStream_tbEUlT_E1_NS1_11comp_targetILNS1_3genE10ELNS1_11target_archE1200ELNS1_3gpuE4ELNS1_3repE0EEENS1_30default_config_static_selectorELNS0_4arch9wavefront6targetE1EEEvSK_.has_dyn_sized_stack, 0
	.set _ZN7rocprim17ROCPRIM_400000_NS6detail17trampoline_kernelINS0_14default_configENS1_22reduce_config_selectorIsEEZNS1_11reduce_implILb1ES3_N6thrust23THRUST_200600_302600_NS6detail15normal_iteratorINS8_10device_ptrIsEEEEPssNS8_4plusIsEEEE10hipError_tPvRmT1_T2_T3_mT4_P12ihipStream_tbEUlT_E1_NS1_11comp_targetILNS1_3genE10ELNS1_11target_archE1200ELNS1_3gpuE4ELNS1_3repE0EEENS1_30default_config_static_selectorELNS0_4arch9wavefront6targetE1EEEvSK_.has_recursion, 0
	.set _ZN7rocprim17ROCPRIM_400000_NS6detail17trampoline_kernelINS0_14default_configENS1_22reduce_config_selectorIsEEZNS1_11reduce_implILb1ES3_N6thrust23THRUST_200600_302600_NS6detail15normal_iteratorINS8_10device_ptrIsEEEEPssNS8_4plusIsEEEE10hipError_tPvRmT1_T2_T3_mT4_P12ihipStream_tbEUlT_E1_NS1_11comp_targetILNS1_3genE10ELNS1_11target_archE1200ELNS1_3gpuE4ELNS1_3repE0EEENS1_30default_config_static_selectorELNS0_4arch9wavefront6targetE1EEEvSK_.has_indirect_call, 0
	.section	.AMDGPU.csdata,"",@progbits
; Kernel info:
; codeLenInByte = 0
; TotalNumSgprs: 6
; NumVgprs: 0
; NumAgprs: 0
; TotalNumVgprs: 0
; ScratchSize: 0
; MemoryBound: 0
; FloatMode: 240
; IeeeMode: 1
; LDSByteSize: 0 bytes/workgroup (compile time only)
; SGPRBlocks: 0
; VGPRBlocks: 0
; NumSGPRsForWavesPerEU: 6
; NumVGPRsForWavesPerEU: 1
; AccumOffset: 4
; Occupancy: 8
; WaveLimiterHint : 0
; COMPUTE_PGM_RSRC2:SCRATCH_EN: 0
; COMPUTE_PGM_RSRC2:USER_SGPR: 2
; COMPUTE_PGM_RSRC2:TRAP_HANDLER: 0
; COMPUTE_PGM_RSRC2:TGID_X_EN: 1
; COMPUTE_PGM_RSRC2:TGID_Y_EN: 0
; COMPUTE_PGM_RSRC2:TGID_Z_EN: 0
; COMPUTE_PGM_RSRC2:TIDIG_COMP_CNT: 0
; COMPUTE_PGM_RSRC3_GFX90A:ACCUM_OFFSET: 0
; COMPUTE_PGM_RSRC3_GFX90A:TG_SPLIT: 0
	.section	.text._ZN7rocprim17ROCPRIM_400000_NS6detail17trampoline_kernelINS0_14default_configENS1_22reduce_config_selectorIsEEZNS1_11reduce_implILb1ES3_N6thrust23THRUST_200600_302600_NS6detail15normal_iteratorINS8_10device_ptrIsEEEEPssNS8_4plusIsEEEE10hipError_tPvRmT1_T2_T3_mT4_P12ihipStream_tbEUlT_E1_NS1_11comp_targetILNS1_3genE9ELNS1_11target_archE1100ELNS1_3gpuE3ELNS1_3repE0EEENS1_30default_config_static_selectorELNS0_4arch9wavefront6targetE1EEEvSK_,"axG",@progbits,_ZN7rocprim17ROCPRIM_400000_NS6detail17trampoline_kernelINS0_14default_configENS1_22reduce_config_selectorIsEEZNS1_11reduce_implILb1ES3_N6thrust23THRUST_200600_302600_NS6detail15normal_iteratorINS8_10device_ptrIsEEEEPssNS8_4plusIsEEEE10hipError_tPvRmT1_T2_T3_mT4_P12ihipStream_tbEUlT_E1_NS1_11comp_targetILNS1_3genE9ELNS1_11target_archE1100ELNS1_3gpuE3ELNS1_3repE0EEENS1_30default_config_static_selectorELNS0_4arch9wavefront6targetE1EEEvSK_,comdat
	.protected	_ZN7rocprim17ROCPRIM_400000_NS6detail17trampoline_kernelINS0_14default_configENS1_22reduce_config_selectorIsEEZNS1_11reduce_implILb1ES3_N6thrust23THRUST_200600_302600_NS6detail15normal_iteratorINS8_10device_ptrIsEEEEPssNS8_4plusIsEEEE10hipError_tPvRmT1_T2_T3_mT4_P12ihipStream_tbEUlT_E1_NS1_11comp_targetILNS1_3genE9ELNS1_11target_archE1100ELNS1_3gpuE3ELNS1_3repE0EEENS1_30default_config_static_selectorELNS0_4arch9wavefront6targetE1EEEvSK_ ; -- Begin function _ZN7rocprim17ROCPRIM_400000_NS6detail17trampoline_kernelINS0_14default_configENS1_22reduce_config_selectorIsEEZNS1_11reduce_implILb1ES3_N6thrust23THRUST_200600_302600_NS6detail15normal_iteratorINS8_10device_ptrIsEEEEPssNS8_4plusIsEEEE10hipError_tPvRmT1_T2_T3_mT4_P12ihipStream_tbEUlT_E1_NS1_11comp_targetILNS1_3genE9ELNS1_11target_archE1100ELNS1_3gpuE3ELNS1_3repE0EEENS1_30default_config_static_selectorELNS0_4arch9wavefront6targetE1EEEvSK_
	.globl	_ZN7rocprim17ROCPRIM_400000_NS6detail17trampoline_kernelINS0_14default_configENS1_22reduce_config_selectorIsEEZNS1_11reduce_implILb1ES3_N6thrust23THRUST_200600_302600_NS6detail15normal_iteratorINS8_10device_ptrIsEEEEPssNS8_4plusIsEEEE10hipError_tPvRmT1_T2_T3_mT4_P12ihipStream_tbEUlT_E1_NS1_11comp_targetILNS1_3genE9ELNS1_11target_archE1100ELNS1_3gpuE3ELNS1_3repE0EEENS1_30default_config_static_selectorELNS0_4arch9wavefront6targetE1EEEvSK_
	.p2align	8
	.type	_ZN7rocprim17ROCPRIM_400000_NS6detail17trampoline_kernelINS0_14default_configENS1_22reduce_config_selectorIsEEZNS1_11reduce_implILb1ES3_N6thrust23THRUST_200600_302600_NS6detail15normal_iteratorINS8_10device_ptrIsEEEEPssNS8_4plusIsEEEE10hipError_tPvRmT1_T2_T3_mT4_P12ihipStream_tbEUlT_E1_NS1_11comp_targetILNS1_3genE9ELNS1_11target_archE1100ELNS1_3gpuE3ELNS1_3repE0EEENS1_30default_config_static_selectorELNS0_4arch9wavefront6targetE1EEEvSK_,@function
_ZN7rocprim17ROCPRIM_400000_NS6detail17trampoline_kernelINS0_14default_configENS1_22reduce_config_selectorIsEEZNS1_11reduce_implILb1ES3_N6thrust23THRUST_200600_302600_NS6detail15normal_iteratorINS8_10device_ptrIsEEEEPssNS8_4plusIsEEEE10hipError_tPvRmT1_T2_T3_mT4_P12ihipStream_tbEUlT_E1_NS1_11comp_targetILNS1_3genE9ELNS1_11target_archE1100ELNS1_3gpuE3ELNS1_3repE0EEENS1_30default_config_static_selectorELNS0_4arch9wavefront6targetE1EEEvSK_: ; @_ZN7rocprim17ROCPRIM_400000_NS6detail17trampoline_kernelINS0_14default_configENS1_22reduce_config_selectorIsEEZNS1_11reduce_implILb1ES3_N6thrust23THRUST_200600_302600_NS6detail15normal_iteratorINS8_10device_ptrIsEEEEPssNS8_4plusIsEEEE10hipError_tPvRmT1_T2_T3_mT4_P12ihipStream_tbEUlT_E1_NS1_11comp_targetILNS1_3genE9ELNS1_11target_archE1100ELNS1_3gpuE3ELNS1_3repE0EEENS1_30default_config_static_selectorELNS0_4arch9wavefront6targetE1EEEvSK_
; %bb.0:
	.section	.rodata,"a",@progbits
	.p2align	6, 0x0
	.amdhsa_kernel _ZN7rocprim17ROCPRIM_400000_NS6detail17trampoline_kernelINS0_14default_configENS1_22reduce_config_selectorIsEEZNS1_11reduce_implILb1ES3_N6thrust23THRUST_200600_302600_NS6detail15normal_iteratorINS8_10device_ptrIsEEEEPssNS8_4plusIsEEEE10hipError_tPvRmT1_T2_T3_mT4_P12ihipStream_tbEUlT_E1_NS1_11comp_targetILNS1_3genE9ELNS1_11target_archE1100ELNS1_3gpuE3ELNS1_3repE0EEENS1_30default_config_static_selectorELNS0_4arch9wavefront6targetE1EEEvSK_
		.amdhsa_group_segment_fixed_size 0
		.amdhsa_private_segment_fixed_size 0
		.amdhsa_kernarg_size 40
		.amdhsa_user_sgpr_count 2
		.amdhsa_user_sgpr_dispatch_ptr 0
		.amdhsa_user_sgpr_queue_ptr 0
		.amdhsa_user_sgpr_kernarg_segment_ptr 1
		.amdhsa_user_sgpr_dispatch_id 0
		.amdhsa_user_sgpr_kernarg_preload_length 0
		.amdhsa_user_sgpr_kernarg_preload_offset 0
		.amdhsa_user_sgpr_private_segment_size 0
		.amdhsa_uses_dynamic_stack 0
		.amdhsa_enable_private_segment 0
		.amdhsa_system_sgpr_workgroup_id_x 1
		.amdhsa_system_sgpr_workgroup_id_y 0
		.amdhsa_system_sgpr_workgroup_id_z 0
		.amdhsa_system_sgpr_workgroup_info 0
		.amdhsa_system_vgpr_workitem_id 0
		.amdhsa_next_free_vgpr 1
		.amdhsa_next_free_sgpr 0
		.amdhsa_accum_offset 4
		.amdhsa_reserve_vcc 0
		.amdhsa_float_round_mode_32 0
		.amdhsa_float_round_mode_16_64 0
		.amdhsa_float_denorm_mode_32 3
		.amdhsa_float_denorm_mode_16_64 3
		.amdhsa_dx10_clamp 1
		.amdhsa_ieee_mode 1
		.amdhsa_fp16_overflow 0
		.amdhsa_tg_split 0
		.amdhsa_exception_fp_ieee_invalid_op 0
		.amdhsa_exception_fp_denorm_src 0
		.amdhsa_exception_fp_ieee_div_zero 0
		.amdhsa_exception_fp_ieee_overflow 0
		.amdhsa_exception_fp_ieee_underflow 0
		.amdhsa_exception_fp_ieee_inexact 0
		.amdhsa_exception_int_div_zero 0
	.end_amdhsa_kernel
	.section	.text._ZN7rocprim17ROCPRIM_400000_NS6detail17trampoline_kernelINS0_14default_configENS1_22reduce_config_selectorIsEEZNS1_11reduce_implILb1ES3_N6thrust23THRUST_200600_302600_NS6detail15normal_iteratorINS8_10device_ptrIsEEEEPssNS8_4plusIsEEEE10hipError_tPvRmT1_T2_T3_mT4_P12ihipStream_tbEUlT_E1_NS1_11comp_targetILNS1_3genE9ELNS1_11target_archE1100ELNS1_3gpuE3ELNS1_3repE0EEENS1_30default_config_static_selectorELNS0_4arch9wavefront6targetE1EEEvSK_,"axG",@progbits,_ZN7rocprim17ROCPRIM_400000_NS6detail17trampoline_kernelINS0_14default_configENS1_22reduce_config_selectorIsEEZNS1_11reduce_implILb1ES3_N6thrust23THRUST_200600_302600_NS6detail15normal_iteratorINS8_10device_ptrIsEEEEPssNS8_4plusIsEEEE10hipError_tPvRmT1_T2_T3_mT4_P12ihipStream_tbEUlT_E1_NS1_11comp_targetILNS1_3genE9ELNS1_11target_archE1100ELNS1_3gpuE3ELNS1_3repE0EEENS1_30default_config_static_selectorELNS0_4arch9wavefront6targetE1EEEvSK_,comdat
.Lfunc_end295:
	.size	_ZN7rocprim17ROCPRIM_400000_NS6detail17trampoline_kernelINS0_14default_configENS1_22reduce_config_selectorIsEEZNS1_11reduce_implILb1ES3_N6thrust23THRUST_200600_302600_NS6detail15normal_iteratorINS8_10device_ptrIsEEEEPssNS8_4plusIsEEEE10hipError_tPvRmT1_T2_T3_mT4_P12ihipStream_tbEUlT_E1_NS1_11comp_targetILNS1_3genE9ELNS1_11target_archE1100ELNS1_3gpuE3ELNS1_3repE0EEENS1_30default_config_static_selectorELNS0_4arch9wavefront6targetE1EEEvSK_, .Lfunc_end295-_ZN7rocprim17ROCPRIM_400000_NS6detail17trampoline_kernelINS0_14default_configENS1_22reduce_config_selectorIsEEZNS1_11reduce_implILb1ES3_N6thrust23THRUST_200600_302600_NS6detail15normal_iteratorINS8_10device_ptrIsEEEEPssNS8_4plusIsEEEE10hipError_tPvRmT1_T2_T3_mT4_P12ihipStream_tbEUlT_E1_NS1_11comp_targetILNS1_3genE9ELNS1_11target_archE1100ELNS1_3gpuE3ELNS1_3repE0EEENS1_30default_config_static_selectorELNS0_4arch9wavefront6targetE1EEEvSK_
                                        ; -- End function
	.set _ZN7rocprim17ROCPRIM_400000_NS6detail17trampoline_kernelINS0_14default_configENS1_22reduce_config_selectorIsEEZNS1_11reduce_implILb1ES3_N6thrust23THRUST_200600_302600_NS6detail15normal_iteratorINS8_10device_ptrIsEEEEPssNS8_4plusIsEEEE10hipError_tPvRmT1_T2_T3_mT4_P12ihipStream_tbEUlT_E1_NS1_11comp_targetILNS1_3genE9ELNS1_11target_archE1100ELNS1_3gpuE3ELNS1_3repE0EEENS1_30default_config_static_selectorELNS0_4arch9wavefront6targetE1EEEvSK_.num_vgpr, 0
	.set _ZN7rocprim17ROCPRIM_400000_NS6detail17trampoline_kernelINS0_14default_configENS1_22reduce_config_selectorIsEEZNS1_11reduce_implILb1ES3_N6thrust23THRUST_200600_302600_NS6detail15normal_iteratorINS8_10device_ptrIsEEEEPssNS8_4plusIsEEEE10hipError_tPvRmT1_T2_T3_mT4_P12ihipStream_tbEUlT_E1_NS1_11comp_targetILNS1_3genE9ELNS1_11target_archE1100ELNS1_3gpuE3ELNS1_3repE0EEENS1_30default_config_static_selectorELNS0_4arch9wavefront6targetE1EEEvSK_.num_agpr, 0
	.set _ZN7rocprim17ROCPRIM_400000_NS6detail17trampoline_kernelINS0_14default_configENS1_22reduce_config_selectorIsEEZNS1_11reduce_implILb1ES3_N6thrust23THRUST_200600_302600_NS6detail15normal_iteratorINS8_10device_ptrIsEEEEPssNS8_4plusIsEEEE10hipError_tPvRmT1_T2_T3_mT4_P12ihipStream_tbEUlT_E1_NS1_11comp_targetILNS1_3genE9ELNS1_11target_archE1100ELNS1_3gpuE3ELNS1_3repE0EEENS1_30default_config_static_selectorELNS0_4arch9wavefront6targetE1EEEvSK_.numbered_sgpr, 0
	.set _ZN7rocprim17ROCPRIM_400000_NS6detail17trampoline_kernelINS0_14default_configENS1_22reduce_config_selectorIsEEZNS1_11reduce_implILb1ES3_N6thrust23THRUST_200600_302600_NS6detail15normal_iteratorINS8_10device_ptrIsEEEEPssNS8_4plusIsEEEE10hipError_tPvRmT1_T2_T3_mT4_P12ihipStream_tbEUlT_E1_NS1_11comp_targetILNS1_3genE9ELNS1_11target_archE1100ELNS1_3gpuE3ELNS1_3repE0EEENS1_30default_config_static_selectorELNS0_4arch9wavefront6targetE1EEEvSK_.num_named_barrier, 0
	.set _ZN7rocprim17ROCPRIM_400000_NS6detail17trampoline_kernelINS0_14default_configENS1_22reduce_config_selectorIsEEZNS1_11reduce_implILb1ES3_N6thrust23THRUST_200600_302600_NS6detail15normal_iteratorINS8_10device_ptrIsEEEEPssNS8_4plusIsEEEE10hipError_tPvRmT1_T2_T3_mT4_P12ihipStream_tbEUlT_E1_NS1_11comp_targetILNS1_3genE9ELNS1_11target_archE1100ELNS1_3gpuE3ELNS1_3repE0EEENS1_30default_config_static_selectorELNS0_4arch9wavefront6targetE1EEEvSK_.private_seg_size, 0
	.set _ZN7rocprim17ROCPRIM_400000_NS6detail17trampoline_kernelINS0_14default_configENS1_22reduce_config_selectorIsEEZNS1_11reduce_implILb1ES3_N6thrust23THRUST_200600_302600_NS6detail15normal_iteratorINS8_10device_ptrIsEEEEPssNS8_4plusIsEEEE10hipError_tPvRmT1_T2_T3_mT4_P12ihipStream_tbEUlT_E1_NS1_11comp_targetILNS1_3genE9ELNS1_11target_archE1100ELNS1_3gpuE3ELNS1_3repE0EEENS1_30default_config_static_selectorELNS0_4arch9wavefront6targetE1EEEvSK_.uses_vcc, 0
	.set _ZN7rocprim17ROCPRIM_400000_NS6detail17trampoline_kernelINS0_14default_configENS1_22reduce_config_selectorIsEEZNS1_11reduce_implILb1ES3_N6thrust23THRUST_200600_302600_NS6detail15normal_iteratorINS8_10device_ptrIsEEEEPssNS8_4plusIsEEEE10hipError_tPvRmT1_T2_T3_mT4_P12ihipStream_tbEUlT_E1_NS1_11comp_targetILNS1_3genE9ELNS1_11target_archE1100ELNS1_3gpuE3ELNS1_3repE0EEENS1_30default_config_static_selectorELNS0_4arch9wavefront6targetE1EEEvSK_.uses_flat_scratch, 0
	.set _ZN7rocprim17ROCPRIM_400000_NS6detail17trampoline_kernelINS0_14default_configENS1_22reduce_config_selectorIsEEZNS1_11reduce_implILb1ES3_N6thrust23THRUST_200600_302600_NS6detail15normal_iteratorINS8_10device_ptrIsEEEEPssNS8_4plusIsEEEE10hipError_tPvRmT1_T2_T3_mT4_P12ihipStream_tbEUlT_E1_NS1_11comp_targetILNS1_3genE9ELNS1_11target_archE1100ELNS1_3gpuE3ELNS1_3repE0EEENS1_30default_config_static_selectorELNS0_4arch9wavefront6targetE1EEEvSK_.has_dyn_sized_stack, 0
	.set _ZN7rocprim17ROCPRIM_400000_NS6detail17trampoline_kernelINS0_14default_configENS1_22reduce_config_selectorIsEEZNS1_11reduce_implILb1ES3_N6thrust23THRUST_200600_302600_NS6detail15normal_iteratorINS8_10device_ptrIsEEEEPssNS8_4plusIsEEEE10hipError_tPvRmT1_T2_T3_mT4_P12ihipStream_tbEUlT_E1_NS1_11comp_targetILNS1_3genE9ELNS1_11target_archE1100ELNS1_3gpuE3ELNS1_3repE0EEENS1_30default_config_static_selectorELNS0_4arch9wavefront6targetE1EEEvSK_.has_recursion, 0
	.set _ZN7rocprim17ROCPRIM_400000_NS6detail17trampoline_kernelINS0_14default_configENS1_22reduce_config_selectorIsEEZNS1_11reduce_implILb1ES3_N6thrust23THRUST_200600_302600_NS6detail15normal_iteratorINS8_10device_ptrIsEEEEPssNS8_4plusIsEEEE10hipError_tPvRmT1_T2_T3_mT4_P12ihipStream_tbEUlT_E1_NS1_11comp_targetILNS1_3genE9ELNS1_11target_archE1100ELNS1_3gpuE3ELNS1_3repE0EEENS1_30default_config_static_selectorELNS0_4arch9wavefront6targetE1EEEvSK_.has_indirect_call, 0
	.section	.AMDGPU.csdata,"",@progbits
; Kernel info:
; codeLenInByte = 0
; TotalNumSgprs: 6
; NumVgprs: 0
; NumAgprs: 0
; TotalNumVgprs: 0
; ScratchSize: 0
; MemoryBound: 0
; FloatMode: 240
; IeeeMode: 1
; LDSByteSize: 0 bytes/workgroup (compile time only)
; SGPRBlocks: 0
; VGPRBlocks: 0
; NumSGPRsForWavesPerEU: 6
; NumVGPRsForWavesPerEU: 1
; AccumOffset: 4
; Occupancy: 8
; WaveLimiterHint : 0
; COMPUTE_PGM_RSRC2:SCRATCH_EN: 0
; COMPUTE_PGM_RSRC2:USER_SGPR: 2
; COMPUTE_PGM_RSRC2:TRAP_HANDLER: 0
; COMPUTE_PGM_RSRC2:TGID_X_EN: 1
; COMPUTE_PGM_RSRC2:TGID_Y_EN: 0
; COMPUTE_PGM_RSRC2:TGID_Z_EN: 0
; COMPUTE_PGM_RSRC2:TIDIG_COMP_CNT: 0
; COMPUTE_PGM_RSRC3_GFX90A:ACCUM_OFFSET: 0
; COMPUTE_PGM_RSRC3_GFX90A:TG_SPLIT: 0
	.section	.text._ZN7rocprim17ROCPRIM_400000_NS6detail17trampoline_kernelINS0_14default_configENS1_22reduce_config_selectorIsEEZNS1_11reduce_implILb1ES3_N6thrust23THRUST_200600_302600_NS6detail15normal_iteratorINS8_10device_ptrIsEEEEPssNS8_4plusIsEEEE10hipError_tPvRmT1_T2_T3_mT4_P12ihipStream_tbEUlT_E1_NS1_11comp_targetILNS1_3genE8ELNS1_11target_archE1030ELNS1_3gpuE2ELNS1_3repE0EEENS1_30default_config_static_selectorELNS0_4arch9wavefront6targetE1EEEvSK_,"axG",@progbits,_ZN7rocprim17ROCPRIM_400000_NS6detail17trampoline_kernelINS0_14default_configENS1_22reduce_config_selectorIsEEZNS1_11reduce_implILb1ES3_N6thrust23THRUST_200600_302600_NS6detail15normal_iteratorINS8_10device_ptrIsEEEEPssNS8_4plusIsEEEE10hipError_tPvRmT1_T2_T3_mT4_P12ihipStream_tbEUlT_E1_NS1_11comp_targetILNS1_3genE8ELNS1_11target_archE1030ELNS1_3gpuE2ELNS1_3repE0EEENS1_30default_config_static_selectorELNS0_4arch9wavefront6targetE1EEEvSK_,comdat
	.protected	_ZN7rocprim17ROCPRIM_400000_NS6detail17trampoline_kernelINS0_14default_configENS1_22reduce_config_selectorIsEEZNS1_11reduce_implILb1ES3_N6thrust23THRUST_200600_302600_NS6detail15normal_iteratorINS8_10device_ptrIsEEEEPssNS8_4plusIsEEEE10hipError_tPvRmT1_T2_T3_mT4_P12ihipStream_tbEUlT_E1_NS1_11comp_targetILNS1_3genE8ELNS1_11target_archE1030ELNS1_3gpuE2ELNS1_3repE0EEENS1_30default_config_static_selectorELNS0_4arch9wavefront6targetE1EEEvSK_ ; -- Begin function _ZN7rocprim17ROCPRIM_400000_NS6detail17trampoline_kernelINS0_14default_configENS1_22reduce_config_selectorIsEEZNS1_11reduce_implILb1ES3_N6thrust23THRUST_200600_302600_NS6detail15normal_iteratorINS8_10device_ptrIsEEEEPssNS8_4plusIsEEEE10hipError_tPvRmT1_T2_T3_mT4_P12ihipStream_tbEUlT_E1_NS1_11comp_targetILNS1_3genE8ELNS1_11target_archE1030ELNS1_3gpuE2ELNS1_3repE0EEENS1_30default_config_static_selectorELNS0_4arch9wavefront6targetE1EEEvSK_
	.globl	_ZN7rocprim17ROCPRIM_400000_NS6detail17trampoline_kernelINS0_14default_configENS1_22reduce_config_selectorIsEEZNS1_11reduce_implILb1ES3_N6thrust23THRUST_200600_302600_NS6detail15normal_iteratorINS8_10device_ptrIsEEEEPssNS8_4plusIsEEEE10hipError_tPvRmT1_T2_T3_mT4_P12ihipStream_tbEUlT_E1_NS1_11comp_targetILNS1_3genE8ELNS1_11target_archE1030ELNS1_3gpuE2ELNS1_3repE0EEENS1_30default_config_static_selectorELNS0_4arch9wavefront6targetE1EEEvSK_
	.p2align	8
	.type	_ZN7rocprim17ROCPRIM_400000_NS6detail17trampoline_kernelINS0_14default_configENS1_22reduce_config_selectorIsEEZNS1_11reduce_implILb1ES3_N6thrust23THRUST_200600_302600_NS6detail15normal_iteratorINS8_10device_ptrIsEEEEPssNS8_4plusIsEEEE10hipError_tPvRmT1_T2_T3_mT4_P12ihipStream_tbEUlT_E1_NS1_11comp_targetILNS1_3genE8ELNS1_11target_archE1030ELNS1_3gpuE2ELNS1_3repE0EEENS1_30default_config_static_selectorELNS0_4arch9wavefront6targetE1EEEvSK_,@function
_ZN7rocprim17ROCPRIM_400000_NS6detail17trampoline_kernelINS0_14default_configENS1_22reduce_config_selectorIsEEZNS1_11reduce_implILb1ES3_N6thrust23THRUST_200600_302600_NS6detail15normal_iteratorINS8_10device_ptrIsEEEEPssNS8_4plusIsEEEE10hipError_tPvRmT1_T2_T3_mT4_P12ihipStream_tbEUlT_E1_NS1_11comp_targetILNS1_3genE8ELNS1_11target_archE1030ELNS1_3gpuE2ELNS1_3repE0EEENS1_30default_config_static_selectorELNS0_4arch9wavefront6targetE1EEEvSK_: ; @_ZN7rocprim17ROCPRIM_400000_NS6detail17trampoline_kernelINS0_14default_configENS1_22reduce_config_selectorIsEEZNS1_11reduce_implILb1ES3_N6thrust23THRUST_200600_302600_NS6detail15normal_iteratorINS8_10device_ptrIsEEEEPssNS8_4plusIsEEEE10hipError_tPvRmT1_T2_T3_mT4_P12ihipStream_tbEUlT_E1_NS1_11comp_targetILNS1_3genE8ELNS1_11target_archE1030ELNS1_3gpuE2ELNS1_3repE0EEENS1_30default_config_static_selectorELNS0_4arch9wavefront6targetE1EEEvSK_
; %bb.0:
	.section	.rodata,"a",@progbits
	.p2align	6, 0x0
	.amdhsa_kernel _ZN7rocprim17ROCPRIM_400000_NS6detail17trampoline_kernelINS0_14default_configENS1_22reduce_config_selectorIsEEZNS1_11reduce_implILb1ES3_N6thrust23THRUST_200600_302600_NS6detail15normal_iteratorINS8_10device_ptrIsEEEEPssNS8_4plusIsEEEE10hipError_tPvRmT1_T2_T3_mT4_P12ihipStream_tbEUlT_E1_NS1_11comp_targetILNS1_3genE8ELNS1_11target_archE1030ELNS1_3gpuE2ELNS1_3repE0EEENS1_30default_config_static_selectorELNS0_4arch9wavefront6targetE1EEEvSK_
		.amdhsa_group_segment_fixed_size 0
		.amdhsa_private_segment_fixed_size 0
		.amdhsa_kernarg_size 40
		.amdhsa_user_sgpr_count 2
		.amdhsa_user_sgpr_dispatch_ptr 0
		.amdhsa_user_sgpr_queue_ptr 0
		.amdhsa_user_sgpr_kernarg_segment_ptr 1
		.amdhsa_user_sgpr_dispatch_id 0
		.amdhsa_user_sgpr_kernarg_preload_length 0
		.amdhsa_user_sgpr_kernarg_preload_offset 0
		.amdhsa_user_sgpr_private_segment_size 0
		.amdhsa_uses_dynamic_stack 0
		.amdhsa_enable_private_segment 0
		.amdhsa_system_sgpr_workgroup_id_x 1
		.amdhsa_system_sgpr_workgroup_id_y 0
		.amdhsa_system_sgpr_workgroup_id_z 0
		.amdhsa_system_sgpr_workgroup_info 0
		.amdhsa_system_vgpr_workitem_id 0
		.amdhsa_next_free_vgpr 1
		.amdhsa_next_free_sgpr 0
		.amdhsa_accum_offset 4
		.amdhsa_reserve_vcc 0
		.amdhsa_float_round_mode_32 0
		.amdhsa_float_round_mode_16_64 0
		.amdhsa_float_denorm_mode_32 3
		.amdhsa_float_denorm_mode_16_64 3
		.amdhsa_dx10_clamp 1
		.amdhsa_ieee_mode 1
		.amdhsa_fp16_overflow 0
		.amdhsa_tg_split 0
		.amdhsa_exception_fp_ieee_invalid_op 0
		.amdhsa_exception_fp_denorm_src 0
		.amdhsa_exception_fp_ieee_div_zero 0
		.amdhsa_exception_fp_ieee_overflow 0
		.amdhsa_exception_fp_ieee_underflow 0
		.amdhsa_exception_fp_ieee_inexact 0
		.amdhsa_exception_int_div_zero 0
	.end_amdhsa_kernel
	.section	.text._ZN7rocprim17ROCPRIM_400000_NS6detail17trampoline_kernelINS0_14default_configENS1_22reduce_config_selectorIsEEZNS1_11reduce_implILb1ES3_N6thrust23THRUST_200600_302600_NS6detail15normal_iteratorINS8_10device_ptrIsEEEEPssNS8_4plusIsEEEE10hipError_tPvRmT1_T2_T3_mT4_P12ihipStream_tbEUlT_E1_NS1_11comp_targetILNS1_3genE8ELNS1_11target_archE1030ELNS1_3gpuE2ELNS1_3repE0EEENS1_30default_config_static_selectorELNS0_4arch9wavefront6targetE1EEEvSK_,"axG",@progbits,_ZN7rocprim17ROCPRIM_400000_NS6detail17trampoline_kernelINS0_14default_configENS1_22reduce_config_selectorIsEEZNS1_11reduce_implILb1ES3_N6thrust23THRUST_200600_302600_NS6detail15normal_iteratorINS8_10device_ptrIsEEEEPssNS8_4plusIsEEEE10hipError_tPvRmT1_T2_T3_mT4_P12ihipStream_tbEUlT_E1_NS1_11comp_targetILNS1_3genE8ELNS1_11target_archE1030ELNS1_3gpuE2ELNS1_3repE0EEENS1_30default_config_static_selectorELNS0_4arch9wavefront6targetE1EEEvSK_,comdat
.Lfunc_end296:
	.size	_ZN7rocprim17ROCPRIM_400000_NS6detail17trampoline_kernelINS0_14default_configENS1_22reduce_config_selectorIsEEZNS1_11reduce_implILb1ES3_N6thrust23THRUST_200600_302600_NS6detail15normal_iteratorINS8_10device_ptrIsEEEEPssNS8_4plusIsEEEE10hipError_tPvRmT1_T2_T3_mT4_P12ihipStream_tbEUlT_E1_NS1_11comp_targetILNS1_3genE8ELNS1_11target_archE1030ELNS1_3gpuE2ELNS1_3repE0EEENS1_30default_config_static_selectorELNS0_4arch9wavefront6targetE1EEEvSK_, .Lfunc_end296-_ZN7rocprim17ROCPRIM_400000_NS6detail17trampoline_kernelINS0_14default_configENS1_22reduce_config_selectorIsEEZNS1_11reduce_implILb1ES3_N6thrust23THRUST_200600_302600_NS6detail15normal_iteratorINS8_10device_ptrIsEEEEPssNS8_4plusIsEEEE10hipError_tPvRmT1_T2_T3_mT4_P12ihipStream_tbEUlT_E1_NS1_11comp_targetILNS1_3genE8ELNS1_11target_archE1030ELNS1_3gpuE2ELNS1_3repE0EEENS1_30default_config_static_selectorELNS0_4arch9wavefront6targetE1EEEvSK_
                                        ; -- End function
	.set _ZN7rocprim17ROCPRIM_400000_NS6detail17trampoline_kernelINS0_14default_configENS1_22reduce_config_selectorIsEEZNS1_11reduce_implILb1ES3_N6thrust23THRUST_200600_302600_NS6detail15normal_iteratorINS8_10device_ptrIsEEEEPssNS8_4plusIsEEEE10hipError_tPvRmT1_T2_T3_mT4_P12ihipStream_tbEUlT_E1_NS1_11comp_targetILNS1_3genE8ELNS1_11target_archE1030ELNS1_3gpuE2ELNS1_3repE0EEENS1_30default_config_static_selectorELNS0_4arch9wavefront6targetE1EEEvSK_.num_vgpr, 0
	.set _ZN7rocprim17ROCPRIM_400000_NS6detail17trampoline_kernelINS0_14default_configENS1_22reduce_config_selectorIsEEZNS1_11reduce_implILb1ES3_N6thrust23THRUST_200600_302600_NS6detail15normal_iteratorINS8_10device_ptrIsEEEEPssNS8_4plusIsEEEE10hipError_tPvRmT1_T2_T3_mT4_P12ihipStream_tbEUlT_E1_NS1_11comp_targetILNS1_3genE8ELNS1_11target_archE1030ELNS1_3gpuE2ELNS1_3repE0EEENS1_30default_config_static_selectorELNS0_4arch9wavefront6targetE1EEEvSK_.num_agpr, 0
	.set _ZN7rocprim17ROCPRIM_400000_NS6detail17trampoline_kernelINS0_14default_configENS1_22reduce_config_selectorIsEEZNS1_11reduce_implILb1ES3_N6thrust23THRUST_200600_302600_NS6detail15normal_iteratorINS8_10device_ptrIsEEEEPssNS8_4plusIsEEEE10hipError_tPvRmT1_T2_T3_mT4_P12ihipStream_tbEUlT_E1_NS1_11comp_targetILNS1_3genE8ELNS1_11target_archE1030ELNS1_3gpuE2ELNS1_3repE0EEENS1_30default_config_static_selectorELNS0_4arch9wavefront6targetE1EEEvSK_.numbered_sgpr, 0
	.set _ZN7rocprim17ROCPRIM_400000_NS6detail17trampoline_kernelINS0_14default_configENS1_22reduce_config_selectorIsEEZNS1_11reduce_implILb1ES3_N6thrust23THRUST_200600_302600_NS6detail15normal_iteratorINS8_10device_ptrIsEEEEPssNS8_4plusIsEEEE10hipError_tPvRmT1_T2_T3_mT4_P12ihipStream_tbEUlT_E1_NS1_11comp_targetILNS1_3genE8ELNS1_11target_archE1030ELNS1_3gpuE2ELNS1_3repE0EEENS1_30default_config_static_selectorELNS0_4arch9wavefront6targetE1EEEvSK_.num_named_barrier, 0
	.set _ZN7rocprim17ROCPRIM_400000_NS6detail17trampoline_kernelINS0_14default_configENS1_22reduce_config_selectorIsEEZNS1_11reduce_implILb1ES3_N6thrust23THRUST_200600_302600_NS6detail15normal_iteratorINS8_10device_ptrIsEEEEPssNS8_4plusIsEEEE10hipError_tPvRmT1_T2_T3_mT4_P12ihipStream_tbEUlT_E1_NS1_11comp_targetILNS1_3genE8ELNS1_11target_archE1030ELNS1_3gpuE2ELNS1_3repE0EEENS1_30default_config_static_selectorELNS0_4arch9wavefront6targetE1EEEvSK_.private_seg_size, 0
	.set _ZN7rocprim17ROCPRIM_400000_NS6detail17trampoline_kernelINS0_14default_configENS1_22reduce_config_selectorIsEEZNS1_11reduce_implILb1ES3_N6thrust23THRUST_200600_302600_NS6detail15normal_iteratorINS8_10device_ptrIsEEEEPssNS8_4plusIsEEEE10hipError_tPvRmT1_T2_T3_mT4_P12ihipStream_tbEUlT_E1_NS1_11comp_targetILNS1_3genE8ELNS1_11target_archE1030ELNS1_3gpuE2ELNS1_3repE0EEENS1_30default_config_static_selectorELNS0_4arch9wavefront6targetE1EEEvSK_.uses_vcc, 0
	.set _ZN7rocprim17ROCPRIM_400000_NS6detail17trampoline_kernelINS0_14default_configENS1_22reduce_config_selectorIsEEZNS1_11reduce_implILb1ES3_N6thrust23THRUST_200600_302600_NS6detail15normal_iteratorINS8_10device_ptrIsEEEEPssNS8_4plusIsEEEE10hipError_tPvRmT1_T2_T3_mT4_P12ihipStream_tbEUlT_E1_NS1_11comp_targetILNS1_3genE8ELNS1_11target_archE1030ELNS1_3gpuE2ELNS1_3repE0EEENS1_30default_config_static_selectorELNS0_4arch9wavefront6targetE1EEEvSK_.uses_flat_scratch, 0
	.set _ZN7rocprim17ROCPRIM_400000_NS6detail17trampoline_kernelINS0_14default_configENS1_22reduce_config_selectorIsEEZNS1_11reduce_implILb1ES3_N6thrust23THRUST_200600_302600_NS6detail15normal_iteratorINS8_10device_ptrIsEEEEPssNS8_4plusIsEEEE10hipError_tPvRmT1_T2_T3_mT4_P12ihipStream_tbEUlT_E1_NS1_11comp_targetILNS1_3genE8ELNS1_11target_archE1030ELNS1_3gpuE2ELNS1_3repE0EEENS1_30default_config_static_selectorELNS0_4arch9wavefront6targetE1EEEvSK_.has_dyn_sized_stack, 0
	.set _ZN7rocprim17ROCPRIM_400000_NS6detail17trampoline_kernelINS0_14default_configENS1_22reduce_config_selectorIsEEZNS1_11reduce_implILb1ES3_N6thrust23THRUST_200600_302600_NS6detail15normal_iteratorINS8_10device_ptrIsEEEEPssNS8_4plusIsEEEE10hipError_tPvRmT1_T2_T3_mT4_P12ihipStream_tbEUlT_E1_NS1_11comp_targetILNS1_3genE8ELNS1_11target_archE1030ELNS1_3gpuE2ELNS1_3repE0EEENS1_30default_config_static_selectorELNS0_4arch9wavefront6targetE1EEEvSK_.has_recursion, 0
	.set _ZN7rocprim17ROCPRIM_400000_NS6detail17trampoline_kernelINS0_14default_configENS1_22reduce_config_selectorIsEEZNS1_11reduce_implILb1ES3_N6thrust23THRUST_200600_302600_NS6detail15normal_iteratorINS8_10device_ptrIsEEEEPssNS8_4plusIsEEEE10hipError_tPvRmT1_T2_T3_mT4_P12ihipStream_tbEUlT_E1_NS1_11comp_targetILNS1_3genE8ELNS1_11target_archE1030ELNS1_3gpuE2ELNS1_3repE0EEENS1_30default_config_static_selectorELNS0_4arch9wavefront6targetE1EEEvSK_.has_indirect_call, 0
	.section	.AMDGPU.csdata,"",@progbits
; Kernel info:
; codeLenInByte = 0
; TotalNumSgprs: 6
; NumVgprs: 0
; NumAgprs: 0
; TotalNumVgprs: 0
; ScratchSize: 0
; MemoryBound: 0
; FloatMode: 240
; IeeeMode: 1
; LDSByteSize: 0 bytes/workgroup (compile time only)
; SGPRBlocks: 0
; VGPRBlocks: 0
; NumSGPRsForWavesPerEU: 6
; NumVGPRsForWavesPerEU: 1
; AccumOffset: 4
; Occupancy: 8
; WaveLimiterHint : 0
; COMPUTE_PGM_RSRC2:SCRATCH_EN: 0
; COMPUTE_PGM_RSRC2:USER_SGPR: 2
; COMPUTE_PGM_RSRC2:TRAP_HANDLER: 0
; COMPUTE_PGM_RSRC2:TGID_X_EN: 1
; COMPUTE_PGM_RSRC2:TGID_Y_EN: 0
; COMPUTE_PGM_RSRC2:TGID_Z_EN: 0
; COMPUTE_PGM_RSRC2:TIDIG_COMP_CNT: 0
; COMPUTE_PGM_RSRC3_GFX90A:ACCUM_OFFSET: 0
; COMPUTE_PGM_RSRC3_GFX90A:TG_SPLIT: 0
	.section	.text._ZN7rocprim17ROCPRIM_400000_NS6detail17trampoline_kernelINS0_14default_configENS1_22reduce_config_selectorIdEEZNS1_11reduce_implILb1ES3_N6thrust23THRUST_200600_302600_NS6detail15normal_iteratorINS8_10device_ptrIdEEEEPiiNS8_4plusIiEEEE10hipError_tPvRmT1_T2_T3_mT4_P12ihipStream_tbEUlT_E0_NS1_11comp_targetILNS1_3genE0ELNS1_11target_archE4294967295ELNS1_3gpuE0ELNS1_3repE0EEENS1_30default_config_static_selectorELNS0_4arch9wavefront6targetE1EEEvSK_,"axG",@progbits,_ZN7rocprim17ROCPRIM_400000_NS6detail17trampoline_kernelINS0_14default_configENS1_22reduce_config_selectorIdEEZNS1_11reduce_implILb1ES3_N6thrust23THRUST_200600_302600_NS6detail15normal_iteratorINS8_10device_ptrIdEEEEPiiNS8_4plusIiEEEE10hipError_tPvRmT1_T2_T3_mT4_P12ihipStream_tbEUlT_E0_NS1_11comp_targetILNS1_3genE0ELNS1_11target_archE4294967295ELNS1_3gpuE0ELNS1_3repE0EEENS1_30default_config_static_selectorELNS0_4arch9wavefront6targetE1EEEvSK_,comdat
	.protected	_ZN7rocprim17ROCPRIM_400000_NS6detail17trampoline_kernelINS0_14default_configENS1_22reduce_config_selectorIdEEZNS1_11reduce_implILb1ES3_N6thrust23THRUST_200600_302600_NS6detail15normal_iteratorINS8_10device_ptrIdEEEEPiiNS8_4plusIiEEEE10hipError_tPvRmT1_T2_T3_mT4_P12ihipStream_tbEUlT_E0_NS1_11comp_targetILNS1_3genE0ELNS1_11target_archE4294967295ELNS1_3gpuE0ELNS1_3repE0EEENS1_30default_config_static_selectorELNS0_4arch9wavefront6targetE1EEEvSK_ ; -- Begin function _ZN7rocprim17ROCPRIM_400000_NS6detail17trampoline_kernelINS0_14default_configENS1_22reduce_config_selectorIdEEZNS1_11reduce_implILb1ES3_N6thrust23THRUST_200600_302600_NS6detail15normal_iteratorINS8_10device_ptrIdEEEEPiiNS8_4plusIiEEEE10hipError_tPvRmT1_T2_T3_mT4_P12ihipStream_tbEUlT_E0_NS1_11comp_targetILNS1_3genE0ELNS1_11target_archE4294967295ELNS1_3gpuE0ELNS1_3repE0EEENS1_30default_config_static_selectorELNS0_4arch9wavefront6targetE1EEEvSK_
	.globl	_ZN7rocprim17ROCPRIM_400000_NS6detail17trampoline_kernelINS0_14default_configENS1_22reduce_config_selectorIdEEZNS1_11reduce_implILb1ES3_N6thrust23THRUST_200600_302600_NS6detail15normal_iteratorINS8_10device_ptrIdEEEEPiiNS8_4plusIiEEEE10hipError_tPvRmT1_T2_T3_mT4_P12ihipStream_tbEUlT_E0_NS1_11comp_targetILNS1_3genE0ELNS1_11target_archE4294967295ELNS1_3gpuE0ELNS1_3repE0EEENS1_30default_config_static_selectorELNS0_4arch9wavefront6targetE1EEEvSK_
	.p2align	8
	.type	_ZN7rocprim17ROCPRIM_400000_NS6detail17trampoline_kernelINS0_14default_configENS1_22reduce_config_selectorIdEEZNS1_11reduce_implILb1ES3_N6thrust23THRUST_200600_302600_NS6detail15normal_iteratorINS8_10device_ptrIdEEEEPiiNS8_4plusIiEEEE10hipError_tPvRmT1_T2_T3_mT4_P12ihipStream_tbEUlT_E0_NS1_11comp_targetILNS1_3genE0ELNS1_11target_archE4294967295ELNS1_3gpuE0ELNS1_3repE0EEENS1_30default_config_static_selectorELNS0_4arch9wavefront6targetE1EEEvSK_,@function
_ZN7rocprim17ROCPRIM_400000_NS6detail17trampoline_kernelINS0_14default_configENS1_22reduce_config_selectorIdEEZNS1_11reduce_implILb1ES3_N6thrust23THRUST_200600_302600_NS6detail15normal_iteratorINS8_10device_ptrIdEEEEPiiNS8_4plusIiEEEE10hipError_tPvRmT1_T2_T3_mT4_P12ihipStream_tbEUlT_E0_NS1_11comp_targetILNS1_3genE0ELNS1_11target_archE4294967295ELNS1_3gpuE0ELNS1_3repE0EEENS1_30default_config_static_selectorELNS0_4arch9wavefront6targetE1EEEvSK_: ; @_ZN7rocprim17ROCPRIM_400000_NS6detail17trampoline_kernelINS0_14default_configENS1_22reduce_config_selectorIdEEZNS1_11reduce_implILb1ES3_N6thrust23THRUST_200600_302600_NS6detail15normal_iteratorINS8_10device_ptrIdEEEEPiiNS8_4plusIiEEEE10hipError_tPvRmT1_T2_T3_mT4_P12ihipStream_tbEUlT_E0_NS1_11comp_targetILNS1_3genE0ELNS1_11target_archE4294967295ELNS1_3gpuE0ELNS1_3repE0EEENS1_30default_config_static_selectorELNS0_4arch9wavefront6targetE1EEEvSK_
; %bb.0:
	s_load_dwordx8 s[36:43], s[0:1], 0x0
	s_load_dwordx4 s[44:47], s[0:1], 0x20
	v_lshlrev_b32_e32 v20, 3, v0
	v_mbcnt_lo_u32_b32 v1, -1, 0
	s_waitcnt lgkmcnt(0)
	s_lshl_b64 s[4:5], s[38:39], 3
	s_add_u32 s10, s36, s4
	s_addc_u32 s11, s37, s5
	s_lshl_b32 s4, s2, 12
	s_mov_b32 s5, 0
	s_lshr_b64 s[6:7], s[40:41], 12
	s_lshl_b64 s[8:9], s[4:5], 3
	s_add_u32 s30, s10, s8
	s_mov_b32 s3, s5
	s_addc_u32 s31, s11, s9
	s_cmp_lg_u64 s[6:7], s[2:3]
	s_cbranch_scc0 .LBB297_6
; %bb.1:
	v_mov_b32_e32 v21, 0
	v_lshl_add_u64 v[2:3], s[30:31], 0, v[20:21]
	v_add_co_u32_e32 v4, vcc, 0x1000, v2
	s_nop 1
	v_addc_co_u32_e32 v5, vcc, 0, v3, vcc
	flat_load_dwordx2 v[6:7], v[2:3]
	flat_load_dwordx2 v[8:9], v[2:3] offset:2048
	flat_load_dwordx2 v[10:11], v[4:5]
	flat_load_dwordx2 v[12:13], v[4:5] offset:2048
	v_add_co_u32_e32 v4, vcc, 0x2000, v2
	s_nop 1
	v_addc_co_u32_e32 v5, vcc, 0, v3, vcc
	v_add_co_u32_e32 v14, vcc, 0x3000, v2
	s_nop 1
	v_addc_co_u32_e32 v15, vcc, 0, v3, vcc
	flat_load_dwordx2 v[16:17], v[4:5]
	flat_load_dwordx2 v[18:19], v[4:5] offset:2048
	flat_load_dwordx2 v[22:23], v[14:15]
	flat_load_dwordx2 v[24:25], v[14:15] offset:2048
	v_add_co_u32_e32 v4, vcc, 0x4000, v2
	s_nop 1
	v_addc_co_u32_e32 v5, vcc, 0, v3, vcc
	;; [unrolled: 10-line block ×3, first 2 shown]
	v_add_co_u32_e32 v2, vcc, 0x7000, v2
	flat_load_dwordx2 v[14:15], v[4:5]
	flat_load_dwordx2 v[34:35], v[4:5] offset:2048
	v_addc_co_u32_e32 v3, vcc, 0, v3, vcc
	flat_load_dwordx2 v[36:37], v[2:3]
	flat_load_dwordx2 v[38:39], v[2:3] offset:2048
	v_mbcnt_hi_u32_b32 v3, -1, v1
	v_lshlrev_b32_e32 v4, 2, v3
	v_cmp_eq_u32_e32 vcc, 0, v3
	s_waitcnt vmcnt(0) lgkmcnt(0)
	v_cvt_i32_f64_e32 v2, v[6:7]
	v_cvt_i32_f64_e32 v5, v[8:9]
	v_add_u32_e32 v2, v5, v2
	v_cvt_i32_f64_e32 v5, v[10:11]
	v_cvt_i32_f64_e32 v6, v[12:13]
	v_add3_u32 v2, v2, v5, v6
	v_cvt_i32_f64_e32 v7, v[16:17]
	v_cvt_i32_f64_e32 v8, v[18:19]
	;; [unrolled: 1-line block ×4, first 2 shown]
	v_add3_u32 v2, v2, v7, v8
	v_add3_u32 v2, v2, v5, v6
	v_cvt_i32_f64_e32 v7, v[26:27]
	v_cvt_i32_f64_e32 v8, v[28:29]
	;; [unrolled: 1-line block ×4, first 2 shown]
	v_add3_u32 v2, v2, v7, v8
	v_add3_u32 v2, v2, v5, v6
	v_cvt_i32_f64_e32 v7, v[14:15]
	v_cvt_i32_f64_e32 v8, v[34:35]
	v_add3_u32 v2, v2, v7, v8
	v_cvt_i32_f64_e32 v5, v[36:37]
	v_cvt_i32_f64_e32 v6, v[38:39]
	v_add3_u32 v2, v2, v5, v6
	v_or_b32_e32 v5, 0xfc, v4
	s_nop 0
	v_add_u32_dpp v2, v2, v2 quad_perm:[1,0,3,2] row_mask:0xf bank_mask:0xf bound_ctrl:1
	s_nop 1
	v_add_u32_dpp v2, v2, v2 quad_perm:[2,3,0,1] row_mask:0xf bank_mask:0xf bound_ctrl:1
	s_nop 1
	v_add_u32_dpp v2, v2, v2 row_ror:4 row_mask:0xf bank_mask:0xf bound_ctrl:1
	s_nop 1
	v_add_u32_dpp v2, v2, v2 row_ror:8 row_mask:0xf bank_mask:0xf bound_ctrl:1
	s_nop 1
	v_add_u32_dpp v2, v2, v2 row_bcast:15 row_mask:0xf bank_mask:0xf bound_ctrl:1
	s_nop 1
	v_add_u32_dpp v2, v2, v2 row_bcast:31 row_mask:0xf bank_mask:0xf bound_ctrl:1
	ds_bpermute_b32 v2, v5, v2
	s_and_saveexec_b64 s[6:7], vcc
	s_cbranch_execz .LBB297_3
; %bb.2:
	v_lshrrev_b32_e32 v5, 4, v0
	v_and_b32_e32 v5, 12, v5
	s_waitcnt lgkmcnt(0)
	ds_write_b32 v5, v2
.LBB297_3:
	s_or_b64 exec, exec, s[6:7]
	v_cmp_gt_u32_e32 vcc, 64, v0
	s_waitcnt lgkmcnt(0)
	s_barrier
	s_and_saveexec_b64 s[6:7], vcc
	s_cbranch_execz .LBB297_5
; %bb.4:
	v_and_b32_e32 v2, 3, v3
	v_lshlrev_b32_e32 v5, 2, v2
	ds_read_b32 v5, v5
	v_cmp_ne_u32_e32 vcc, 3, v2
	s_nop 1
	v_addc_co_u32_e32 v2, vcc, 0, v3, vcc
	v_lshlrev_b32_e32 v2, 2, v2
	s_waitcnt lgkmcnt(0)
	ds_bpermute_b32 v2, v2, v5
	v_or_b32_e32 v3, 8, v4
	s_waitcnt lgkmcnt(0)
	v_add_u32_e32 v2, v2, v5
	ds_bpermute_b32 v3, v3, v2
	s_waitcnt lgkmcnt(0)
	v_add_u32_e32 v2, v3, v2
.LBB297_5:
	s_or_b64 exec, exec, s[6:7]
	s_load_dword s33, s[0:1], 0x30
	s_branch .LBB297_44
.LBB297_6:
                                        ; implicit-def: $vgpr2
	s_load_dword s33, s[0:1], 0x30
	s_cbranch_execz .LBB297_44
; %bb.7:
	s_sub_i32 s36, s40, s4
	v_mov_b32_e32 v2, 0
	v_cmp_gt_u32_e32 vcc, s36, v0
	v_mov_b32_e32 v3, v2
	v_mov_b32_e32 v4, v2
	;; [unrolled: 1-line block ×15, first 2 shown]
	s_and_saveexec_b64 s[0:1], vcc
	s_cbranch_execz .LBB297_9
; %bb.8:
	v_mov_b32_e32 v21, v2
	v_lshl_add_u64 v[4:5], s[30:31], 0, v[20:21]
	flat_load_dwordx2 v[22:23], v[4:5]
	v_mov_b32_e32 v5, v2
	v_mov_b32_e32 v6, v2
	;; [unrolled: 1-line block ×15, first 2 shown]
	s_waitcnt vmcnt(0) lgkmcnt(0)
	v_cvt_i32_f64_e32 v4, v[22:23]
	v_mov_b64_e32 v[2:3], v[4:5]
	v_mov_b64_e32 v[4:5], v[6:7]
	;; [unrolled: 1-line block ×8, first 2 shown]
.LBB297_9:
	s_or_b64 exec, exec, s[0:1]
	v_or_b32_e32 v18, 0x100, v0
	v_cmp_gt_u32_e32 vcc, s36, v18
	s_and_saveexec_b64 s[0:1], vcc
	s_cbranch_execz .LBB297_11
; %bb.10:
	v_mov_b32_e32 v21, 0
	v_lshl_add_u64 v[18:19], s[30:31], 0, v[20:21]
	flat_load_dwordx2 v[18:19], v[18:19] offset:2048
	s_waitcnt vmcnt(0) lgkmcnt(0)
	v_cvt_i32_f64_e32 v3, v[18:19]
.LBB297_11:
	s_or_b64 exec, exec, s[0:1]
	v_or_b32_e32 v18, 0x200, v0
	v_cmp_gt_u32_e64 s[0:1], s36, v18
	s_and_saveexec_b64 s[4:5], s[0:1]
	s_cbranch_execz .LBB297_13
; %bb.12:
	v_lshlrev_b32_e32 v18, 3, v18
	v_mov_b32_e32 v19, 0
	v_lshl_add_u64 v[18:19], s[30:31], 0, v[18:19]
	flat_load_dwordx2 v[18:19], v[18:19]
	s_waitcnt vmcnt(0) lgkmcnt(0)
	v_cvt_i32_f64_e32 v4, v[18:19]
.LBB297_13:
	s_or_b64 exec, exec, s[4:5]
	v_or_b32_e32 v18, 0x300, v0
	v_cmp_gt_u32_e64 s[4:5], s36, v18
	s_and_saveexec_b64 s[6:7], s[4:5]
	s_cbranch_execz .LBB297_15
; %bb.14:
	v_lshlrev_b32_e32 v18, 3, v18
	v_mov_b32_e32 v19, 0
	v_lshl_add_u64 v[18:19], s[30:31], 0, v[18:19]
	flat_load_dwordx2 v[18:19], v[18:19]
	s_waitcnt vmcnt(0) lgkmcnt(0)
	v_cvt_i32_f64_e32 v5, v[18:19]
.LBB297_15:
	;; [unrolled: 13-line block ×14, first 2 shown]
	s_or_b64 exec, exec, s[34:35]
	v_cndmask_b32_e32 v3, 0, v3, vcc
	v_add_u32_e32 v2, v3, v2
	v_cndmask_b32_e64 v3, 0, v4, s[0:1]
	v_cndmask_b32_e64 v4, 0, v5, s[4:5]
	v_add3_u32 v2, v2, v3, v4
	v_cndmask_b32_e64 v3, 0, v6, s[6:7]
	v_cndmask_b32_e64 v4, 0, v7, s[8:9]
	v_add3_u32 v2, v2, v3, v4
	;; [unrolled: 3-line block ×6, first 2 shown]
	v_cndmask_b32_e64 v3, 0, v16, s[26:27]
	v_cndmask_b32_e64 v4, 0, v17, s[28:29]
	v_mbcnt_hi_u32_b32 v1, -1, v1
	v_add3_u32 v2, v2, v3, v4
	v_and_b32_e32 v4, 63, v1
	v_cmp_ne_u32_e32 vcc, 63, v4
	s_min_u32 s4, s36, 0x100
	v_and_b32_e32 v5, 0xc0, v0
	v_addc_co_u32_e32 v3, vcc, 0, v1, vcc
	v_lshlrev_b32_e32 v3, 2, v3
	ds_bpermute_b32 v3, v3, v2
	v_sub_u32_e64 v5, s4, v5 clamp
	v_add_u32_e32 v6, 1, v4
	v_cmp_lt_u32_e32 vcc, v6, v5
	v_add_u32_e32 v6, 2, v4
	s_waitcnt lgkmcnt(0)
	v_cndmask_b32_e32 v3, 0, v3, vcc
	v_cmp_gt_u32_e32 vcc, 62, v4
	v_add_u32_e32 v2, v2, v3
	s_nop 0
	v_cndmask_b32_e64 v3, 0, 2, vcc
	v_add_lshl_u32 v3, v3, v1, 2
	ds_bpermute_b32 v3, v3, v2
	v_cmp_lt_u32_e32 vcc, v6, v5
	v_add_u32_e32 v6, 4, v4
	s_waitcnt lgkmcnt(0)
	v_cndmask_b32_e32 v3, 0, v3, vcc
	v_cmp_gt_u32_e32 vcc, 60, v4
	v_add_u32_e32 v2, v2, v3
	s_nop 0
	v_cndmask_b32_e64 v3, 0, 4, vcc
	v_add_lshl_u32 v3, v3, v1, 2
	ds_bpermute_b32 v3, v3, v2
	;; [unrolled: 10-line block ×3, first 2 shown]
	v_cmp_lt_u32_e32 vcc, v6, v5
	v_add_u32_e32 v6, 16, v4
	s_waitcnt lgkmcnt(0)
	v_cndmask_b32_e32 v3, 0, v3, vcc
	v_cmp_gt_u32_e32 vcc, 48, v4
	v_add_u32_e32 v2, v2, v3
	v_add_u32_e32 v4, 32, v4
	v_cndmask_b32_e64 v3, 0, 16, vcc
	v_add_lshl_u32 v3, v3, v1, 2
	ds_bpermute_b32 v3, v3, v2
	v_cmp_lt_u32_e32 vcc, v6, v5
	s_waitcnt lgkmcnt(0)
	s_nop 0
	v_cndmask_b32_e32 v3, 0, v3, vcc
	v_add_u32_e32 v2, v2, v3
	v_lshlrev_b32_e32 v3, 2, v1
	v_or_b32_e32 v6, 0x80, v3
	ds_bpermute_b32 v6, v6, v2
	v_cmp_lt_u32_e32 vcc, v4, v5
	s_waitcnt lgkmcnt(0)
	s_nop 0
	v_cndmask_b32_e32 v4, 0, v6, vcc
	v_add_u32_e32 v2, v2, v4
	v_cmp_eq_u32_e32 vcc, 0, v1
	s_and_saveexec_b64 s[0:1], vcc
; %bb.40:
	v_lshrrev_b32_e32 v4, 4, v0
	v_and_b32_e32 v4, 12, v4
	ds_write_b32 v4, v2 offset:16
; %bb.41:
	s_or_b64 exec, exec, s[0:1]
	v_cmp_gt_u32_e32 vcc, 4, v0
	s_waitcnt lgkmcnt(0)
	s_barrier
	s_and_saveexec_b64 s[0:1], vcc
	s_cbranch_execz .LBB297_43
; %bb.42:
	ds_read_b32 v2, v3 offset:16
	v_and_b32_e32 v4, 3, v1
	v_cmp_ne_u32_e32 vcc, 3, v4
	s_add_i32 s4, s4, 63
	s_lshr_b32 s4, s4, 6
	v_addc_co_u32_e32 v1, vcc, 0, v1, vcc
	v_lshlrev_b32_e32 v1, 2, v1
	s_waitcnt lgkmcnt(0)
	ds_bpermute_b32 v1, v1, v2
	v_add_u32_e32 v5, 1, v4
	v_cmp_gt_u32_e32 vcc, s4, v5
	s_waitcnt lgkmcnt(0)
	s_nop 0
	v_cndmask_b32_e32 v1, 0, v1, vcc
	v_add_u32_e32 v1, v1, v2
	v_or_b32_e32 v2, 8, v3
	ds_bpermute_b32 v2, v2, v1
	v_add_u32_e32 v3, 2, v4
	v_cmp_gt_u32_e32 vcc, s4, v3
	s_waitcnt lgkmcnt(0)
	s_nop 0
	v_cndmask_b32_e32 v2, 0, v2, vcc
	v_add_u32_e32 v2, v1, v2
.LBB297_43:
	s_or_b64 exec, exec, s[0:1]
.LBB297_44:
	v_cmp_eq_u32_e32 vcc, 0, v0
	s_and_saveexec_b64 s[0:1], vcc
	s_cbranch_execnz .LBB297_46
; %bb.45:
	s_endpgm
.LBB297_46:
	s_mul_i32 s0, s46, s45
	s_mul_hi_u32 s1, s46, s44
	s_add_i32 s0, s1, s0
	s_mul_i32 s1, s47, s44
	s_add_i32 s1, s0, s1
	s_mul_i32 s0, s46, s44
	s_lshl_b64 s[0:1], s[0:1], 2
	s_add_u32 s4, s42, s0
	s_addc_u32 s5, s43, s1
	s_cmp_eq_u64 s[40:41], 0
	s_cselect_b64 vcc, -1, 0
	s_lshl_b64 s[0:1], s[2:3], 2
	s_waitcnt lgkmcnt(0)
	v_mov_b32_e32 v0, s33
	s_add_u32 s0, s4, s0
	v_cndmask_b32_e32 v0, v2, v0, vcc
	s_addc_u32 s1, s5, s1
	v_mov_b32_e32 v1, 0
	global_store_dword v1, v0, s[0:1]
	s_endpgm
	.section	.rodata,"a",@progbits
	.p2align	6, 0x0
	.amdhsa_kernel _ZN7rocprim17ROCPRIM_400000_NS6detail17trampoline_kernelINS0_14default_configENS1_22reduce_config_selectorIdEEZNS1_11reduce_implILb1ES3_N6thrust23THRUST_200600_302600_NS6detail15normal_iteratorINS8_10device_ptrIdEEEEPiiNS8_4plusIiEEEE10hipError_tPvRmT1_T2_T3_mT4_P12ihipStream_tbEUlT_E0_NS1_11comp_targetILNS1_3genE0ELNS1_11target_archE4294967295ELNS1_3gpuE0ELNS1_3repE0EEENS1_30default_config_static_selectorELNS0_4arch9wavefront6targetE1EEEvSK_
		.amdhsa_group_segment_fixed_size 32
		.amdhsa_private_segment_fixed_size 0
		.amdhsa_kernarg_size 56
		.amdhsa_user_sgpr_count 2
		.amdhsa_user_sgpr_dispatch_ptr 0
		.amdhsa_user_sgpr_queue_ptr 0
		.amdhsa_user_sgpr_kernarg_segment_ptr 1
		.amdhsa_user_sgpr_dispatch_id 0
		.amdhsa_user_sgpr_kernarg_preload_length 0
		.amdhsa_user_sgpr_kernarg_preload_offset 0
		.amdhsa_user_sgpr_private_segment_size 0
		.amdhsa_uses_dynamic_stack 0
		.amdhsa_enable_private_segment 0
		.amdhsa_system_sgpr_workgroup_id_x 1
		.amdhsa_system_sgpr_workgroup_id_y 0
		.amdhsa_system_sgpr_workgroup_id_z 0
		.amdhsa_system_sgpr_workgroup_info 0
		.amdhsa_system_vgpr_workitem_id 0
		.amdhsa_next_free_vgpr 40
		.amdhsa_next_free_sgpr 48
		.amdhsa_accum_offset 40
		.amdhsa_reserve_vcc 1
		.amdhsa_float_round_mode_32 0
		.amdhsa_float_round_mode_16_64 0
		.amdhsa_float_denorm_mode_32 3
		.amdhsa_float_denorm_mode_16_64 3
		.amdhsa_dx10_clamp 1
		.amdhsa_ieee_mode 1
		.amdhsa_fp16_overflow 0
		.amdhsa_tg_split 0
		.amdhsa_exception_fp_ieee_invalid_op 0
		.amdhsa_exception_fp_denorm_src 0
		.amdhsa_exception_fp_ieee_div_zero 0
		.amdhsa_exception_fp_ieee_overflow 0
		.amdhsa_exception_fp_ieee_underflow 0
		.amdhsa_exception_fp_ieee_inexact 0
		.amdhsa_exception_int_div_zero 0
	.end_amdhsa_kernel
	.section	.text._ZN7rocprim17ROCPRIM_400000_NS6detail17trampoline_kernelINS0_14default_configENS1_22reduce_config_selectorIdEEZNS1_11reduce_implILb1ES3_N6thrust23THRUST_200600_302600_NS6detail15normal_iteratorINS8_10device_ptrIdEEEEPiiNS8_4plusIiEEEE10hipError_tPvRmT1_T2_T3_mT4_P12ihipStream_tbEUlT_E0_NS1_11comp_targetILNS1_3genE0ELNS1_11target_archE4294967295ELNS1_3gpuE0ELNS1_3repE0EEENS1_30default_config_static_selectorELNS0_4arch9wavefront6targetE1EEEvSK_,"axG",@progbits,_ZN7rocprim17ROCPRIM_400000_NS6detail17trampoline_kernelINS0_14default_configENS1_22reduce_config_selectorIdEEZNS1_11reduce_implILb1ES3_N6thrust23THRUST_200600_302600_NS6detail15normal_iteratorINS8_10device_ptrIdEEEEPiiNS8_4plusIiEEEE10hipError_tPvRmT1_T2_T3_mT4_P12ihipStream_tbEUlT_E0_NS1_11comp_targetILNS1_3genE0ELNS1_11target_archE4294967295ELNS1_3gpuE0ELNS1_3repE0EEENS1_30default_config_static_selectorELNS0_4arch9wavefront6targetE1EEEvSK_,comdat
.Lfunc_end297:
	.size	_ZN7rocprim17ROCPRIM_400000_NS6detail17trampoline_kernelINS0_14default_configENS1_22reduce_config_selectorIdEEZNS1_11reduce_implILb1ES3_N6thrust23THRUST_200600_302600_NS6detail15normal_iteratorINS8_10device_ptrIdEEEEPiiNS8_4plusIiEEEE10hipError_tPvRmT1_T2_T3_mT4_P12ihipStream_tbEUlT_E0_NS1_11comp_targetILNS1_3genE0ELNS1_11target_archE4294967295ELNS1_3gpuE0ELNS1_3repE0EEENS1_30default_config_static_selectorELNS0_4arch9wavefront6targetE1EEEvSK_, .Lfunc_end297-_ZN7rocprim17ROCPRIM_400000_NS6detail17trampoline_kernelINS0_14default_configENS1_22reduce_config_selectorIdEEZNS1_11reduce_implILb1ES3_N6thrust23THRUST_200600_302600_NS6detail15normal_iteratorINS8_10device_ptrIdEEEEPiiNS8_4plusIiEEEE10hipError_tPvRmT1_T2_T3_mT4_P12ihipStream_tbEUlT_E0_NS1_11comp_targetILNS1_3genE0ELNS1_11target_archE4294967295ELNS1_3gpuE0ELNS1_3repE0EEENS1_30default_config_static_selectorELNS0_4arch9wavefront6targetE1EEEvSK_
                                        ; -- End function
	.set _ZN7rocprim17ROCPRIM_400000_NS6detail17trampoline_kernelINS0_14default_configENS1_22reduce_config_selectorIdEEZNS1_11reduce_implILb1ES3_N6thrust23THRUST_200600_302600_NS6detail15normal_iteratorINS8_10device_ptrIdEEEEPiiNS8_4plusIiEEEE10hipError_tPvRmT1_T2_T3_mT4_P12ihipStream_tbEUlT_E0_NS1_11comp_targetILNS1_3genE0ELNS1_11target_archE4294967295ELNS1_3gpuE0ELNS1_3repE0EEENS1_30default_config_static_selectorELNS0_4arch9wavefront6targetE1EEEvSK_.num_vgpr, 40
	.set _ZN7rocprim17ROCPRIM_400000_NS6detail17trampoline_kernelINS0_14default_configENS1_22reduce_config_selectorIdEEZNS1_11reduce_implILb1ES3_N6thrust23THRUST_200600_302600_NS6detail15normal_iteratorINS8_10device_ptrIdEEEEPiiNS8_4plusIiEEEE10hipError_tPvRmT1_T2_T3_mT4_P12ihipStream_tbEUlT_E0_NS1_11comp_targetILNS1_3genE0ELNS1_11target_archE4294967295ELNS1_3gpuE0ELNS1_3repE0EEENS1_30default_config_static_selectorELNS0_4arch9wavefront6targetE1EEEvSK_.num_agpr, 0
	.set _ZN7rocprim17ROCPRIM_400000_NS6detail17trampoline_kernelINS0_14default_configENS1_22reduce_config_selectorIdEEZNS1_11reduce_implILb1ES3_N6thrust23THRUST_200600_302600_NS6detail15normal_iteratorINS8_10device_ptrIdEEEEPiiNS8_4plusIiEEEE10hipError_tPvRmT1_T2_T3_mT4_P12ihipStream_tbEUlT_E0_NS1_11comp_targetILNS1_3genE0ELNS1_11target_archE4294967295ELNS1_3gpuE0ELNS1_3repE0EEENS1_30default_config_static_selectorELNS0_4arch9wavefront6targetE1EEEvSK_.numbered_sgpr, 48
	.set _ZN7rocprim17ROCPRIM_400000_NS6detail17trampoline_kernelINS0_14default_configENS1_22reduce_config_selectorIdEEZNS1_11reduce_implILb1ES3_N6thrust23THRUST_200600_302600_NS6detail15normal_iteratorINS8_10device_ptrIdEEEEPiiNS8_4plusIiEEEE10hipError_tPvRmT1_T2_T3_mT4_P12ihipStream_tbEUlT_E0_NS1_11comp_targetILNS1_3genE0ELNS1_11target_archE4294967295ELNS1_3gpuE0ELNS1_3repE0EEENS1_30default_config_static_selectorELNS0_4arch9wavefront6targetE1EEEvSK_.num_named_barrier, 0
	.set _ZN7rocprim17ROCPRIM_400000_NS6detail17trampoline_kernelINS0_14default_configENS1_22reduce_config_selectorIdEEZNS1_11reduce_implILb1ES3_N6thrust23THRUST_200600_302600_NS6detail15normal_iteratorINS8_10device_ptrIdEEEEPiiNS8_4plusIiEEEE10hipError_tPvRmT1_T2_T3_mT4_P12ihipStream_tbEUlT_E0_NS1_11comp_targetILNS1_3genE0ELNS1_11target_archE4294967295ELNS1_3gpuE0ELNS1_3repE0EEENS1_30default_config_static_selectorELNS0_4arch9wavefront6targetE1EEEvSK_.private_seg_size, 0
	.set _ZN7rocprim17ROCPRIM_400000_NS6detail17trampoline_kernelINS0_14default_configENS1_22reduce_config_selectorIdEEZNS1_11reduce_implILb1ES3_N6thrust23THRUST_200600_302600_NS6detail15normal_iteratorINS8_10device_ptrIdEEEEPiiNS8_4plusIiEEEE10hipError_tPvRmT1_T2_T3_mT4_P12ihipStream_tbEUlT_E0_NS1_11comp_targetILNS1_3genE0ELNS1_11target_archE4294967295ELNS1_3gpuE0ELNS1_3repE0EEENS1_30default_config_static_selectorELNS0_4arch9wavefront6targetE1EEEvSK_.uses_vcc, 1
	.set _ZN7rocprim17ROCPRIM_400000_NS6detail17trampoline_kernelINS0_14default_configENS1_22reduce_config_selectorIdEEZNS1_11reduce_implILb1ES3_N6thrust23THRUST_200600_302600_NS6detail15normal_iteratorINS8_10device_ptrIdEEEEPiiNS8_4plusIiEEEE10hipError_tPvRmT1_T2_T3_mT4_P12ihipStream_tbEUlT_E0_NS1_11comp_targetILNS1_3genE0ELNS1_11target_archE4294967295ELNS1_3gpuE0ELNS1_3repE0EEENS1_30default_config_static_selectorELNS0_4arch9wavefront6targetE1EEEvSK_.uses_flat_scratch, 0
	.set _ZN7rocprim17ROCPRIM_400000_NS6detail17trampoline_kernelINS0_14default_configENS1_22reduce_config_selectorIdEEZNS1_11reduce_implILb1ES3_N6thrust23THRUST_200600_302600_NS6detail15normal_iteratorINS8_10device_ptrIdEEEEPiiNS8_4plusIiEEEE10hipError_tPvRmT1_T2_T3_mT4_P12ihipStream_tbEUlT_E0_NS1_11comp_targetILNS1_3genE0ELNS1_11target_archE4294967295ELNS1_3gpuE0ELNS1_3repE0EEENS1_30default_config_static_selectorELNS0_4arch9wavefront6targetE1EEEvSK_.has_dyn_sized_stack, 0
	.set _ZN7rocprim17ROCPRIM_400000_NS6detail17trampoline_kernelINS0_14default_configENS1_22reduce_config_selectorIdEEZNS1_11reduce_implILb1ES3_N6thrust23THRUST_200600_302600_NS6detail15normal_iteratorINS8_10device_ptrIdEEEEPiiNS8_4plusIiEEEE10hipError_tPvRmT1_T2_T3_mT4_P12ihipStream_tbEUlT_E0_NS1_11comp_targetILNS1_3genE0ELNS1_11target_archE4294967295ELNS1_3gpuE0ELNS1_3repE0EEENS1_30default_config_static_selectorELNS0_4arch9wavefront6targetE1EEEvSK_.has_recursion, 0
	.set _ZN7rocprim17ROCPRIM_400000_NS6detail17trampoline_kernelINS0_14default_configENS1_22reduce_config_selectorIdEEZNS1_11reduce_implILb1ES3_N6thrust23THRUST_200600_302600_NS6detail15normal_iteratorINS8_10device_ptrIdEEEEPiiNS8_4plusIiEEEE10hipError_tPvRmT1_T2_T3_mT4_P12ihipStream_tbEUlT_E0_NS1_11comp_targetILNS1_3genE0ELNS1_11target_archE4294967295ELNS1_3gpuE0ELNS1_3repE0EEENS1_30default_config_static_selectorELNS0_4arch9wavefront6targetE1EEEvSK_.has_indirect_call, 0
	.section	.AMDGPU.csdata,"",@progbits
; Kernel info:
; codeLenInByte = 2568
; TotalNumSgprs: 54
; NumVgprs: 40
; NumAgprs: 0
; TotalNumVgprs: 40
; ScratchSize: 0
; MemoryBound: 0
; FloatMode: 240
; IeeeMode: 1
; LDSByteSize: 32 bytes/workgroup (compile time only)
; SGPRBlocks: 6
; VGPRBlocks: 4
; NumSGPRsForWavesPerEU: 54
; NumVGPRsForWavesPerEU: 40
; AccumOffset: 40
; Occupancy: 8
; WaveLimiterHint : 1
; COMPUTE_PGM_RSRC2:SCRATCH_EN: 0
; COMPUTE_PGM_RSRC2:USER_SGPR: 2
; COMPUTE_PGM_RSRC2:TRAP_HANDLER: 0
; COMPUTE_PGM_RSRC2:TGID_X_EN: 1
; COMPUTE_PGM_RSRC2:TGID_Y_EN: 0
; COMPUTE_PGM_RSRC2:TGID_Z_EN: 0
; COMPUTE_PGM_RSRC2:TIDIG_COMP_CNT: 0
; COMPUTE_PGM_RSRC3_GFX90A:ACCUM_OFFSET: 9
; COMPUTE_PGM_RSRC3_GFX90A:TG_SPLIT: 0
	.section	.text._ZN7rocprim17ROCPRIM_400000_NS6detail17trampoline_kernelINS0_14default_configENS1_22reduce_config_selectorIdEEZNS1_11reduce_implILb1ES3_N6thrust23THRUST_200600_302600_NS6detail15normal_iteratorINS8_10device_ptrIdEEEEPiiNS8_4plusIiEEEE10hipError_tPvRmT1_T2_T3_mT4_P12ihipStream_tbEUlT_E0_NS1_11comp_targetILNS1_3genE5ELNS1_11target_archE942ELNS1_3gpuE9ELNS1_3repE0EEENS1_30default_config_static_selectorELNS0_4arch9wavefront6targetE1EEEvSK_,"axG",@progbits,_ZN7rocprim17ROCPRIM_400000_NS6detail17trampoline_kernelINS0_14default_configENS1_22reduce_config_selectorIdEEZNS1_11reduce_implILb1ES3_N6thrust23THRUST_200600_302600_NS6detail15normal_iteratorINS8_10device_ptrIdEEEEPiiNS8_4plusIiEEEE10hipError_tPvRmT1_T2_T3_mT4_P12ihipStream_tbEUlT_E0_NS1_11comp_targetILNS1_3genE5ELNS1_11target_archE942ELNS1_3gpuE9ELNS1_3repE0EEENS1_30default_config_static_selectorELNS0_4arch9wavefront6targetE1EEEvSK_,comdat
	.protected	_ZN7rocprim17ROCPRIM_400000_NS6detail17trampoline_kernelINS0_14default_configENS1_22reduce_config_selectorIdEEZNS1_11reduce_implILb1ES3_N6thrust23THRUST_200600_302600_NS6detail15normal_iteratorINS8_10device_ptrIdEEEEPiiNS8_4plusIiEEEE10hipError_tPvRmT1_T2_T3_mT4_P12ihipStream_tbEUlT_E0_NS1_11comp_targetILNS1_3genE5ELNS1_11target_archE942ELNS1_3gpuE9ELNS1_3repE0EEENS1_30default_config_static_selectorELNS0_4arch9wavefront6targetE1EEEvSK_ ; -- Begin function _ZN7rocprim17ROCPRIM_400000_NS6detail17trampoline_kernelINS0_14default_configENS1_22reduce_config_selectorIdEEZNS1_11reduce_implILb1ES3_N6thrust23THRUST_200600_302600_NS6detail15normal_iteratorINS8_10device_ptrIdEEEEPiiNS8_4plusIiEEEE10hipError_tPvRmT1_T2_T3_mT4_P12ihipStream_tbEUlT_E0_NS1_11comp_targetILNS1_3genE5ELNS1_11target_archE942ELNS1_3gpuE9ELNS1_3repE0EEENS1_30default_config_static_selectorELNS0_4arch9wavefront6targetE1EEEvSK_
	.globl	_ZN7rocprim17ROCPRIM_400000_NS6detail17trampoline_kernelINS0_14default_configENS1_22reduce_config_selectorIdEEZNS1_11reduce_implILb1ES3_N6thrust23THRUST_200600_302600_NS6detail15normal_iteratorINS8_10device_ptrIdEEEEPiiNS8_4plusIiEEEE10hipError_tPvRmT1_T2_T3_mT4_P12ihipStream_tbEUlT_E0_NS1_11comp_targetILNS1_3genE5ELNS1_11target_archE942ELNS1_3gpuE9ELNS1_3repE0EEENS1_30default_config_static_selectorELNS0_4arch9wavefront6targetE1EEEvSK_
	.p2align	8
	.type	_ZN7rocprim17ROCPRIM_400000_NS6detail17trampoline_kernelINS0_14default_configENS1_22reduce_config_selectorIdEEZNS1_11reduce_implILb1ES3_N6thrust23THRUST_200600_302600_NS6detail15normal_iteratorINS8_10device_ptrIdEEEEPiiNS8_4plusIiEEEE10hipError_tPvRmT1_T2_T3_mT4_P12ihipStream_tbEUlT_E0_NS1_11comp_targetILNS1_3genE5ELNS1_11target_archE942ELNS1_3gpuE9ELNS1_3repE0EEENS1_30default_config_static_selectorELNS0_4arch9wavefront6targetE1EEEvSK_,@function
_ZN7rocprim17ROCPRIM_400000_NS6detail17trampoline_kernelINS0_14default_configENS1_22reduce_config_selectorIdEEZNS1_11reduce_implILb1ES3_N6thrust23THRUST_200600_302600_NS6detail15normal_iteratorINS8_10device_ptrIdEEEEPiiNS8_4plusIiEEEE10hipError_tPvRmT1_T2_T3_mT4_P12ihipStream_tbEUlT_E0_NS1_11comp_targetILNS1_3genE5ELNS1_11target_archE942ELNS1_3gpuE9ELNS1_3repE0EEENS1_30default_config_static_selectorELNS0_4arch9wavefront6targetE1EEEvSK_: ; @_ZN7rocprim17ROCPRIM_400000_NS6detail17trampoline_kernelINS0_14default_configENS1_22reduce_config_selectorIdEEZNS1_11reduce_implILb1ES3_N6thrust23THRUST_200600_302600_NS6detail15normal_iteratorINS8_10device_ptrIdEEEEPiiNS8_4plusIiEEEE10hipError_tPvRmT1_T2_T3_mT4_P12ihipStream_tbEUlT_E0_NS1_11comp_targetILNS1_3genE5ELNS1_11target_archE942ELNS1_3gpuE9ELNS1_3repE0EEENS1_30default_config_static_selectorELNS0_4arch9wavefront6targetE1EEEvSK_
; %bb.0:
	.section	.rodata,"a",@progbits
	.p2align	6, 0x0
	.amdhsa_kernel _ZN7rocprim17ROCPRIM_400000_NS6detail17trampoline_kernelINS0_14default_configENS1_22reduce_config_selectorIdEEZNS1_11reduce_implILb1ES3_N6thrust23THRUST_200600_302600_NS6detail15normal_iteratorINS8_10device_ptrIdEEEEPiiNS8_4plusIiEEEE10hipError_tPvRmT1_T2_T3_mT4_P12ihipStream_tbEUlT_E0_NS1_11comp_targetILNS1_3genE5ELNS1_11target_archE942ELNS1_3gpuE9ELNS1_3repE0EEENS1_30default_config_static_selectorELNS0_4arch9wavefront6targetE1EEEvSK_
		.amdhsa_group_segment_fixed_size 0
		.amdhsa_private_segment_fixed_size 0
		.amdhsa_kernarg_size 56
		.amdhsa_user_sgpr_count 2
		.amdhsa_user_sgpr_dispatch_ptr 0
		.amdhsa_user_sgpr_queue_ptr 0
		.amdhsa_user_sgpr_kernarg_segment_ptr 1
		.amdhsa_user_sgpr_dispatch_id 0
		.amdhsa_user_sgpr_kernarg_preload_length 0
		.amdhsa_user_sgpr_kernarg_preload_offset 0
		.amdhsa_user_sgpr_private_segment_size 0
		.amdhsa_uses_dynamic_stack 0
		.amdhsa_enable_private_segment 0
		.amdhsa_system_sgpr_workgroup_id_x 1
		.amdhsa_system_sgpr_workgroup_id_y 0
		.amdhsa_system_sgpr_workgroup_id_z 0
		.amdhsa_system_sgpr_workgroup_info 0
		.amdhsa_system_vgpr_workitem_id 0
		.amdhsa_next_free_vgpr 1
		.amdhsa_next_free_sgpr 0
		.amdhsa_accum_offset 4
		.amdhsa_reserve_vcc 0
		.amdhsa_float_round_mode_32 0
		.amdhsa_float_round_mode_16_64 0
		.amdhsa_float_denorm_mode_32 3
		.amdhsa_float_denorm_mode_16_64 3
		.amdhsa_dx10_clamp 1
		.amdhsa_ieee_mode 1
		.amdhsa_fp16_overflow 0
		.amdhsa_tg_split 0
		.amdhsa_exception_fp_ieee_invalid_op 0
		.amdhsa_exception_fp_denorm_src 0
		.amdhsa_exception_fp_ieee_div_zero 0
		.amdhsa_exception_fp_ieee_overflow 0
		.amdhsa_exception_fp_ieee_underflow 0
		.amdhsa_exception_fp_ieee_inexact 0
		.amdhsa_exception_int_div_zero 0
	.end_amdhsa_kernel
	.section	.text._ZN7rocprim17ROCPRIM_400000_NS6detail17trampoline_kernelINS0_14default_configENS1_22reduce_config_selectorIdEEZNS1_11reduce_implILb1ES3_N6thrust23THRUST_200600_302600_NS6detail15normal_iteratorINS8_10device_ptrIdEEEEPiiNS8_4plusIiEEEE10hipError_tPvRmT1_T2_T3_mT4_P12ihipStream_tbEUlT_E0_NS1_11comp_targetILNS1_3genE5ELNS1_11target_archE942ELNS1_3gpuE9ELNS1_3repE0EEENS1_30default_config_static_selectorELNS0_4arch9wavefront6targetE1EEEvSK_,"axG",@progbits,_ZN7rocprim17ROCPRIM_400000_NS6detail17trampoline_kernelINS0_14default_configENS1_22reduce_config_selectorIdEEZNS1_11reduce_implILb1ES3_N6thrust23THRUST_200600_302600_NS6detail15normal_iteratorINS8_10device_ptrIdEEEEPiiNS8_4plusIiEEEE10hipError_tPvRmT1_T2_T3_mT4_P12ihipStream_tbEUlT_E0_NS1_11comp_targetILNS1_3genE5ELNS1_11target_archE942ELNS1_3gpuE9ELNS1_3repE0EEENS1_30default_config_static_selectorELNS0_4arch9wavefront6targetE1EEEvSK_,comdat
.Lfunc_end298:
	.size	_ZN7rocprim17ROCPRIM_400000_NS6detail17trampoline_kernelINS0_14default_configENS1_22reduce_config_selectorIdEEZNS1_11reduce_implILb1ES3_N6thrust23THRUST_200600_302600_NS6detail15normal_iteratorINS8_10device_ptrIdEEEEPiiNS8_4plusIiEEEE10hipError_tPvRmT1_T2_T3_mT4_P12ihipStream_tbEUlT_E0_NS1_11comp_targetILNS1_3genE5ELNS1_11target_archE942ELNS1_3gpuE9ELNS1_3repE0EEENS1_30default_config_static_selectorELNS0_4arch9wavefront6targetE1EEEvSK_, .Lfunc_end298-_ZN7rocprim17ROCPRIM_400000_NS6detail17trampoline_kernelINS0_14default_configENS1_22reduce_config_selectorIdEEZNS1_11reduce_implILb1ES3_N6thrust23THRUST_200600_302600_NS6detail15normal_iteratorINS8_10device_ptrIdEEEEPiiNS8_4plusIiEEEE10hipError_tPvRmT1_T2_T3_mT4_P12ihipStream_tbEUlT_E0_NS1_11comp_targetILNS1_3genE5ELNS1_11target_archE942ELNS1_3gpuE9ELNS1_3repE0EEENS1_30default_config_static_selectorELNS0_4arch9wavefront6targetE1EEEvSK_
                                        ; -- End function
	.set _ZN7rocprim17ROCPRIM_400000_NS6detail17trampoline_kernelINS0_14default_configENS1_22reduce_config_selectorIdEEZNS1_11reduce_implILb1ES3_N6thrust23THRUST_200600_302600_NS6detail15normal_iteratorINS8_10device_ptrIdEEEEPiiNS8_4plusIiEEEE10hipError_tPvRmT1_T2_T3_mT4_P12ihipStream_tbEUlT_E0_NS1_11comp_targetILNS1_3genE5ELNS1_11target_archE942ELNS1_3gpuE9ELNS1_3repE0EEENS1_30default_config_static_selectorELNS0_4arch9wavefront6targetE1EEEvSK_.num_vgpr, 0
	.set _ZN7rocprim17ROCPRIM_400000_NS6detail17trampoline_kernelINS0_14default_configENS1_22reduce_config_selectorIdEEZNS1_11reduce_implILb1ES3_N6thrust23THRUST_200600_302600_NS6detail15normal_iteratorINS8_10device_ptrIdEEEEPiiNS8_4plusIiEEEE10hipError_tPvRmT1_T2_T3_mT4_P12ihipStream_tbEUlT_E0_NS1_11comp_targetILNS1_3genE5ELNS1_11target_archE942ELNS1_3gpuE9ELNS1_3repE0EEENS1_30default_config_static_selectorELNS0_4arch9wavefront6targetE1EEEvSK_.num_agpr, 0
	.set _ZN7rocprim17ROCPRIM_400000_NS6detail17trampoline_kernelINS0_14default_configENS1_22reduce_config_selectorIdEEZNS1_11reduce_implILb1ES3_N6thrust23THRUST_200600_302600_NS6detail15normal_iteratorINS8_10device_ptrIdEEEEPiiNS8_4plusIiEEEE10hipError_tPvRmT1_T2_T3_mT4_P12ihipStream_tbEUlT_E0_NS1_11comp_targetILNS1_3genE5ELNS1_11target_archE942ELNS1_3gpuE9ELNS1_3repE0EEENS1_30default_config_static_selectorELNS0_4arch9wavefront6targetE1EEEvSK_.numbered_sgpr, 0
	.set _ZN7rocprim17ROCPRIM_400000_NS6detail17trampoline_kernelINS0_14default_configENS1_22reduce_config_selectorIdEEZNS1_11reduce_implILb1ES3_N6thrust23THRUST_200600_302600_NS6detail15normal_iteratorINS8_10device_ptrIdEEEEPiiNS8_4plusIiEEEE10hipError_tPvRmT1_T2_T3_mT4_P12ihipStream_tbEUlT_E0_NS1_11comp_targetILNS1_3genE5ELNS1_11target_archE942ELNS1_3gpuE9ELNS1_3repE0EEENS1_30default_config_static_selectorELNS0_4arch9wavefront6targetE1EEEvSK_.num_named_barrier, 0
	.set _ZN7rocprim17ROCPRIM_400000_NS6detail17trampoline_kernelINS0_14default_configENS1_22reduce_config_selectorIdEEZNS1_11reduce_implILb1ES3_N6thrust23THRUST_200600_302600_NS6detail15normal_iteratorINS8_10device_ptrIdEEEEPiiNS8_4plusIiEEEE10hipError_tPvRmT1_T2_T3_mT4_P12ihipStream_tbEUlT_E0_NS1_11comp_targetILNS1_3genE5ELNS1_11target_archE942ELNS1_3gpuE9ELNS1_3repE0EEENS1_30default_config_static_selectorELNS0_4arch9wavefront6targetE1EEEvSK_.private_seg_size, 0
	.set _ZN7rocprim17ROCPRIM_400000_NS6detail17trampoline_kernelINS0_14default_configENS1_22reduce_config_selectorIdEEZNS1_11reduce_implILb1ES3_N6thrust23THRUST_200600_302600_NS6detail15normal_iteratorINS8_10device_ptrIdEEEEPiiNS8_4plusIiEEEE10hipError_tPvRmT1_T2_T3_mT4_P12ihipStream_tbEUlT_E0_NS1_11comp_targetILNS1_3genE5ELNS1_11target_archE942ELNS1_3gpuE9ELNS1_3repE0EEENS1_30default_config_static_selectorELNS0_4arch9wavefront6targetE1EEEvSK_.uses_vcc, 0
	.set _ZN7rocprim17ROCPRIM_400000_NS6detail17trampoline_kernelINS0_14default_configENS1_22reduce_config_selectorIdEEZNS1_11reduce_implILb1ES3_N6thrust23THRUST_200600_302600_NS6detail15normal_iteratorINS8_10device_ptrIdEEEEPiiNS8_4plusIiEEEE10hipError_tPvRmT1_T2_T3_mT4_P12ihipStream_tbEUlT_E0_NS1_11comp_targetILNS1_3genE5ELNS1_11target_archE942ELNS1_3gpuE9ELNS1_3repE0EEENS1_30default_config_static_selectorELNS0_4arch9wavefront6targetE1EEEvSK_.uses_flat_scratch, 0
	.set _ZN7rocprim17ROCPRIM_400000_NS6detail17trampoline_kernelINS0_14default_configENS1_22reduce_config_selectorIdEEZNS1_11reduce_implILb1ES3_N6thrust23THRUST_200600_302600_NS6detail15normal_iteratorINS8_10device_ptrIdEEEEPiiNS8_4plusIiEEEE10hipError_tPvRmT1_T2_T3_mT4_P12ihipStream_tbEUlT_E0_NS1_11comp_targetILNS1_3genE5ELNS1_11target_archE942ELNS1_3gpuE9ELNS1_3repE0EEENS1_30default_config_static_selectorELNS0_4arch9wavefront6targetE1EEEvSK_.has_dyn_sized_stack, 0
	.set _ZN7rocprim17ROCPRIM_400000_NS6detail17trampoline_kernelINS0_14default_configENS1_22reduce_config_selectorIdEEZNS1_11reduce_implILb1ES3_N6thrust23THRUST_200600_302600_NS6detail15normal_iteratorINS8_10device_ptrIdEEEEPiiNS8_4plusIiEEEE10hipError_tPvRmT1_T2_T3_mT4_P12ihipStream_tbEUlT_E0_NS1_11comp_targetILNS1_3genE5ELNS1_11target_archE942ELNS1_3gpuE9ELNS1_3repE0EEENS1_30default_config_static_selectorELNS0_4arch9wavefront6targetE1EEEvSK_.has_recursion, 0
	.set _ZN7rocprim17ROCPRIM_400000_NS6detail17trampoline_kernelINS0_14default_configENS1_22reduce_config_selectorIdEEZNS1_11reduce_implILb1ES3_N6thrust23THRUST_200600_302600_NS6detail15normal_iteratorINS8_10device_ptrIdEEEEPiiNS8_4plusIiEEEE10hipError_tPvRmT1_T2_T3_mT4_P12ihipStream_tbEUlT_E0_NS1_11comp_targetILNS1_3genE5ELNS1_11target_archE942ELNS1_3gpuE9ELNS1_3repE0EEENS1_30default_config_static_selectorELNS0_4arch9wavefront6targetE1EEEvSK_.has_indirect_call, 0
	.section	.AMDGPU.csdata,"",@progbits
; Kernel info:
; codeLenInByte = 0
; TotalNumSgprs: 6
; NumVgprs: 0
; NumAgprs: 0
; TotalNumVgprs: 0
; ScratchSize: 0
; MemoryBound: 0
; FloatMode: 240
; IeeeMode: 1
; LDSByteSize: 0 bytes/workgroup (compile time only)
; SGPRBlocks: 0
; VGPRBlocks: 0
; NumSGPRsForWavesPerEU: 6
; NumVGPRsForWavesPerEU: 1
; AccumOffset: 4
; Occupancy: 8
; WaveLimiterHint : 0
; COMPUTE_PGM_RSRC2:SCRATCH_EN: 0
; COMPUTE_PGM_RSRC2:USER_SGPR: 2
; COMPUTE_PGM_RSRC2:TRAP_HANDLER: 0
; COMPUTE_PGM_RSRC2:TGID_X_EN: 1
; COMPUTE_PGM_RSRC2:TGID_Y_EN: 0
; COMPUTE_PGM_RSRC2:TGID_Z_EN: 0
; COMPUTE_PGM_RSRC2:TIDIG_COMP_CNT: 0
; COMPUTE_PGM_RSRC3_GFX90A:ACCUM_OFFSET: 0
; COMPUTE_PGM_RSRC3_GFX90A:TG_SPLIT: 0
	.section	.text._ZN7rocprim17ROCPRIM_400000_NS6detail17trampoline_kernelINS0_14default_configENS1_22reduce_config_selectorIdEEZNS1_11reduce_implILb1ES3_N6thrust23THRUST_200600_302600_NS6detail15normal_iteratorINS8_10device_ptrIdEEEEPiiNS8_4plusIiEEEE10hipError_tPvRmT1_T2_T3_mT4_P12ihipStream_tbEUlT_E0_NS1_11comp_targetILNS1_3genE4ELNS1_11target_archE910ELNS1_3gpuE8ELNS1_3repE0EEENS1_30default_config_static_selectorELNS0_4arch9wavefront6targetE1EEEvSK_,"axG",@progbits,_ZN7rocprim17ROCPRIM_400000_NS6detail17trampoline_kernelINS0_14default_configENS1_22reduce_config_selectorIdEEZNS1_11reduce_implILb1ES3_N6thrust23THRUST_200600_302600_NS6detail15normal_iteratorINS8_10device_ptrIdEEEEPiiNS8_4plusIiEEEE10hipError_tPvRmT1_T2_T3_mT4_P12ihipStream_tbEUlT_E0_NS1_11comp_targetILNS1_3genE4ELNS1_11target_archE910ELNS1_3gpuE8ELNS1_3repE0EEENS1_30default_config_static_selectorELNS0_4arch9wavefront6targetE1EEEvSK_,comdat
	.protected	_ZN7rocprim17ROCPRIM_400000_NS6detail17trampoline_kernelINS0_14default_configENS1_22reduce_config_selectorIdEEZNS1_11reduce_implILb1ES3_N6thrust23THRUST_200600_302600_NS6detail15normal_iteratorINS8_10device_ptrIdEEEEPiiNS8_4plusIiEEEE10hipError_tPvRmT1_T2_T3_mT4_P12ihipStream_tbEUlT_E0_NS1_11comp_targetILNS1_3genE4ELNS1_11target_archE910ELNS1_3gpuE8ELNS1_3repE0EEENS1_30default_config_static_selectorELNS0_4arch9wavefront6targetE1EEEvSK_ ; -- Begin function _ZN7rocprim17ROCPRIM_400000_NS6detail17trampoline_kernelINS0_14default_configENS1_22reduce_config_selectorIdEEZNS1_11reduce_implILb1ES3_N6thrust23THRUST_200600_302600_NS6detail15normal_iteratorINS8_10device_ptrIdEEEEPiiNS8_4plusIiEEEE10hipError_tPvRmT1_T2_T3_mT4_P12ihipStream_tbEUlT_E0_NS1_11comp_targetILNS1_3genE4ELNS1_11target_archE910ELNS1_3gpuE8ELNS1_3repE0EEENS1_30default_config_static_selectorELNS0_4arch9wavefront6targetE1EEEvSK_
	.globl	_ZN7rocprim17ROCPRIM_400000_NS6detail17trampoline_kernelINS0_14default_configENS1_22reduce_config_selectorIdEEZNS1_11reduce_implILb1ES3_N6thrust23THRUST_200600_302600_NS6detail15normal_iteratorINS8_10device_ptrIdEEEEPiiNS8_4plusIiEEEE10hipError_tPvRmT1_T2_T3_mT4_P12ihipStream_tbEUlT_E0_NS1_11comp_targetILNS1_3genE4ELNS1_11target_archE910ELNS1_3gpuE8ELNS1_3repE0EEENS1_30default_config_static_selectorELNS0_4arch9wavefront6targetE1EEEvSK_
	.p2align	8
	.type	_ZN7rocprim17ROCPRIM_400000_NS6detail17trampoline_kernelINS0_14default_configENS1_22reduce_config_selectorIdEEZNS1_11reduce_implILb1ES3_N6thrust23THRUST_200600_302600_NS6detail15normal_iteratorINS8_10device_ptrIdEEEEPiiNS8_4plusIiEEEE10hipError_tPvRmT1_T2_T3_mT4_P12ihipStream_tbEUlT_E0_NS1_11comp_targetILNS1_3genE4ELNS1_11target_archE910ELNS1_3gpuE8ELNS1_3repE0EEENS1_30default_config_static_selectorELNS0_4arch9wavefront6targetE1EEEvSK_,@function
_ZN7rocprim17ROCPRIM_400000_NS6detail17trampoline_kernelINS0_14default_configENS1_22reduce_config_selectorIdEEZNS1_11reduce_implILb1ES3_N6thrust23THRUST_200600_302600_NS6detail15normal_iteratorINS8_10device_ptrIdEEEEPiiNS8_4plusIiEEEE10hipError_tPvRmT1_T2_T3_mT4_P12ihipStream_tbEUlT_E0_NS1_11comp_targetILNS1_3genE4ELNS1_11target_archE910ELNS1_3gpuE8ELNS1_3repE0EEENS1_30default_config_static_selectorELNS0_4arch9wavefront6targetE1EEEvSK_: ; @_ZN7rocprim17ROCPRIM_400000_NS6detail17trampoline_kernelINS0_14default_configENS1_22reduce_config_selectorIdEEZNS1_11reduce_implILb1ES3_N6thrust23THRUST_200600_302600_NS6detail15normal_iteratorINS8_10device_ptrIdEEEEPiiNS8_4plusIiEEEE10hipError_tPvRmT1_T2_T3_mT4_P12ihipStream_tbEUlT_E0_NS1_11comp_targetILNS1_3genE4ELNS1_11target_archE910ELNS1_3gpuE8ELNS1_3repE0EEENS1_30default_config_static_selectorELNS0_4arch9wavefront6targetE1EEEvSK_
; %bb.0:
	.section	.rodata,"a",@progbits
	.p2align	6, 0x0
	.amdhsa_kernel _ZN7rocprim17ROCPRIM_400000_NS6detail17trampoline_kernelINS0_14default_configENS1_22reduce_config_selectorIdEEZNS1_11reduce_implILb1ES3_N6thrust23THRUST_200600_302600_NS6detail15normal_iteratorINS8_10device_ptrIdEEEEPiiNS8_4plusIiEEEE10hipError_tPvRmT1_T2_T3_mT4_P12ihipStream_tbEUlT_E0_NS1_11comp_targetILNS1_3genE4ELNS1_11target_archE910ELNS1_3gpuE8ELNS1_3repE0EEENS1_30default_config_static_selectorELNS0_4arch9wavefront6targetE1EEEvSK_
		.amdhsa_group_segment_fixed_size 0
		.amdhsa_private_segment_fixed_size 0
		.amdhsa_kernarg_size 56
		.amdhsa_user_sgpr_count 2
		.amdhsa_user_sgpr_dispatch_ptr 0
		.amdhsa_user_sgpr_queue_ptr 0
		.amdhsa_user_sgpr_kernarg_segment_ptr 1
		.amdhsa_user_sgpr_dispatch_id 0
		.amdhsa_user_sgpr_kernarg_preload_length 0
		.amdhsa_user_sgpr_kernarg_preload_offset 0
		.amdhsa_user_sgpr_private_segment_size 0
		.amdhsa_uses_dynamic_stack 0
		.amdhsa_enable_private_segment 0
		.amdhsa_system_sgpr_workgroup_id_x 1
		.amdhsa_system_sgpr_workgroup_id_y 0
		.amdhsa_system_sgpr_workgroup_id_z 0
		.amdhsa_system_sgpr_workgroup_info 0
		.amdhsa_system_vgpr_workitem_id 0
		.amdhsa_next_free_vgpr 1
		.amdhsa_next_free_sgpr 0
		.amdhsa_accum_offset 4
		.amdhsa_reserve_vcc 0
		.amdhsa_float_round_mode_32 0
		.amdhsa_float_round_mode_16_64 0
		.amdhsa_float_denorm_mode_32 3
		.amdhsa_float_denorm_mode_16_64 3
		.amdhsa_dx10_clamp 1
		.amdhsa_ieee_mode 1
		.amdhsa_fp16_overflow 0
		.amdhsa_tg_split 0
		.amdhsa_exception_fp_ieee_invalid_op 0
		.amdhsa_exception_fp_denorm_src 0
		.amdhsa_exception_fp_ieee_div_zero 0
		.amdhsa_exception_fp_ieee_overflow 0
		.amdhsa_exception_fp_ieee_underflow 0
		.amdhsa_exception_fp_ieee_inexact 0
		.amdhsa_exception_int_div_zero 0
	.end_amdhsa_kernel
	.section	.text._ZN7rocprim17ROCPRIM_400000_NS6detail17trampoline_kernelINS0_14default_configENS1_22reduce_config_selectorIdEEZNS1_11reduce_implILb1ES3_N6thrust23THRUST_200600_302600_NS6detail15normal_iteratorINS8_10device_ptrIdEEEEPiiNS8_4plusIiEEEE10hipError_tPvRmT1_T2_T3_mT4_P12ihipStream_tbEUlT_E0_NS1_11comp_targetILNS1_3genE4ELNS1_11target_archE910ELNS1_3gpuE8ELNS1_3repE0EEENS1_30default_config_static_selectorELNS0_4arch9wavefront6targetE1EEEvSK_,"axG",@progbits,_ZN7rocprim17ROCPRIM_400000_NS6detail17trampoline_kernelINS0_14default_configENS1_22reduce_config_selectorIdEEZNS1_11reduce_implILb1ES3_N6thrust23THRUST_200600_302600_NS6detail15normal_iteratorINS8_10device_ptrIdEEEEPiiNS8_4plusIiEEEE10hipError_tPvRmT1_T2_T3_mT4_P12ihipStream_tbEUlT_E0_NS1_11comp_targetILNS1_3genE4ELNS1_11target_archE910ELNS1_3gpuE8ELNS1_3repE0EEENS1_30default_config_static_selectorELNS0_4arch9wavefront6targetE1EEEvSK_,comdat
.Lfunc_end299:
	.size	_ZN7rocprim17ROCPRIM_400000_NS6detail17trampoline_kernelINS0_14default_configENS1_22reduce_config_selectorIdEEZNS1_11reduce_implILb1ES3_N6thrust23THRUST_200600_302600_NS6detail15normal_iteratorINS8_10device_ptrIdEEEEPiiNS8_4plusIiEEEE10hipError_tPvRmT1_T2_T3_mT4_P12ihipStream_tbEUlT_E0_NS1_11comp_targetILNS1_3genE4ELNS1_11target_archE910ELNS1_3gpuE8ELNS1_3repE0EEENS1_30default_config_static_selectorELNS0_4arch9wavefront6targetE1EEEvSK_, .Lfunc_end299-_ZN7rocprim17ROCPRIM_400000_NS6detail17trampoline_kernelINS0_14default_configENS1_22reduce_config_selectorIdEEZNS1_11reduce_implILb1ES3_N6thrust23THRUST_200600_302600_NS6detail15normal_iteratorINS8_10device_ptrIdEEEEPiiNS8_4plusIiEEEE10hipError_tPvRmT1_T2_T3_mT4_P12ihipStream_tbEUlT_E0_NS1_11comp_targetILNS1_3genE4ELNS1_11target_archE910ELNS1_3gpuE8ELNS1_3repE0EEENS1_30default_config_static_selectorELNS0_4arch9wavefront6targetE1EEEvSK_
                                        ; -- End function
	.set _ZN7rocprim17ROCPRIM_400000_NS6detail17trampoline_kernelINS0_14default_configENS1_22reduce_config_selectorIdEEZNS1_11reduce_implILb1ES3_N6thrust23THRUST_200600_302600_NS6detail15normal_iteratorINS8_10device_ptrIdEEEEPiiNS8_4plusIiEEEE10hipError_tPvRmT1_T2_T3_mT4_P12ihipStream_tbEUlT_E0_NS1_11comp_targetILNS1_3genE4ELNS1_11target_archE910ELNS1_3gpuE8ELNS1_3repE0EEENS1_30default_config_static_selectorELNS0_4arch9wavefront6targetE1EEEvSK_.num_vgpr, 0
	.set _ZN7rocprim17ROCPRIM_400000_NS6detail17trampoline_kernelINS0_14default_configENS1_22reduce_config_selectorIdEEZNS1_11reduce_implILb1ES3_N6thrust23THRUST_200600_302600_NS6detail15normal_iteratorINS8_10device_ptrIdEEEEPiiNS8_4plusIiEEEE10hipError_tPvRmT1_T2_T3_mT4_P12ihipStream_tbEUlT_E0_NS1_11comp_targetILNS1_3genE4ELNS1_11target_archE910ELNS1_3gpuE8ELNS1_3repE0EEENS1_30default_config_static_selectorELNS0_4arch9wavefront6targetE1EEEvSK_.num_agpr, 0
	.set _ZN7rocprim17ROCPRIM_400000_NS6detail17trampoline_kernelINS0_14default_configENS1_22reduce_config_selectorIdEEZNS1_11reduce_implILb1ES3_N6thrust23THRUST_200600_302600_NS6detail15normal_iteratorINS8_10device_ptrIdEEEEPiiNS8_4plusIiEEEE10hipError_tPvRmT1_T2_T3_mT4_P12ihipStream_tbEUlT_E0_NS1_11comp_targetILNS1_3genE4ELNS1_11target_archE910ELNS1_3gpuE8ELNS1_3repE0EEENS1_30default_config_static_selectorELNS0_4arch9wavefront6targetE1EEEvSK_.numbered_sgpr, 0
	.set _ZN7rocprim17ROCPRIM_400000_NS6detail17trampoline_kernelINS0_14default_configENS1_22reduce_config_selectorIdEEZNS1_11reduce_implILb1ES3_N6thrust23THRUST_200600_302600_NS6detail15normal_iteratorINS8_10device_ptrIdEEEEPiiNS8_4plusIiEEEE10hipError_tPvRmT1_T2_T3_mT4_P12ihipStream_tbEUlT_E0_NS1_11comp_targetILNS1_3genE4ELNS1_11target_archE910ELNS1_3gpuE8ELNS1_3repE0EEENS1_30default_config_static_selectorELNS0_4arch9wavefront6targetE1EEEvSK_.num_named_barrier, 0
	.set _ZN7rocprim17ROCPRIM_400000_NS6detail17trampoline_kernelINS0_14default_configENS1_22reduce_config_selectorIdEEZNS1_11reduce_implILb1ES3_N6thrust23THRUST_200600_302600_NS6detail15normal_iteratorINS8_10device_ptrIdEEEEPiiNS8_4plusIiEEEE10hipError_tPvRmT1_T2_T3_mT4_P12ihipStream_tbEUlT_E0_NS1_11comp_targetILNS1_3genE4ELNS1_11target_archE910ELNS1_3gpuE8ELNS1_3repE0EEENS1_30default_config_static_selectorELNS0_4arch9wavefront6targetE1EEEvSK_.private_seg_size, 0
	.set _ZN7rocprim17ROCPRIM_400000_NS6detail17trampoline_kernelINS0_14default_configENS1_22reduce_config_selectorIdEEZNS1_11reduce_implILb1ES3_N6thrust23THRUST_200600_302600_NS6detail15normal_iteratorINS8_10device_ptrIdEEEEPiiNS8_4plusIiEEEE10hipError_tPvRmT1_T2_T3_mT4_P12ihipStream_tbEUlT_E0_NS1_11comp_targetILNS1_3genE4ELNS1_11target_archE910ELNS1_3gpuE8ELNS1_3repE0EEENS1_30default_config_static_selectorELNS0_4arch9wavefront6targetE1EEEvSK_.uses_vcc, 0
	.set _ZN7rocprim17ROCPRIM_400000_NS6detail17trampoline_kernelINS0_14default_configENS1_22reduce_config_selectorIdEEZNS1_11reduce_implILb1ES3_N6thrust23THRUST_200600_302600_NS6detail15normal_iteratorINS8_10device_ptrIdEEEEPiiNS8_4plusIiEEEE10hipError_tPvRmT1_T2_T3_mT4_P12ihipStream_tbEUlT_E0_NS1_11comp_targetILNS1_3genE4ELNS1_11target_archE910ELNS1_3gpuE8ELNS1_3repE0EEENS1_30default_config_static_selectorELNS0_4arch9wavefront6targetE1EEEvSK_.uses_flat_scratch, 0
	.set _ZN7rocprim17ROCPRIM_400000_NS6detail17trampoline_kernelINS0_14default_configENS1_22reduce_config_selectorIdEEZNS1_11reduce_implILb1ES3_N6thrust23THRUST_200600_302600_NS6detail15normal_iteratorINS8_10device_ptrIdEEEEPiiNS8_4plusIiEEEE10hipError_tPvRmT1_T2_T3_mT4_P12ihipStream_tbEUlT_E0_NS1_11comp_targetILNS1_3genE4ELNS1_11target_archE910ELNS1_3gpuE8ELNS1_3repE0EEENS1_30default_config_static_selectorELNS0_4arch9wavefront6targetE1EEEvSK_.has_dyn_sized_stack, 0
	.set _ZN7rocprim17ROCPRIM_400000_NS6detail17trampoline_kernelINS0_14default_configENS1_22reduce_config_selectorIdEEZNS1_11reduce_implILb1ES3_N6thrust23THRUST_200600_302600_NS6detail15normal_iteratorINS8_10device_ptrIdEEEEPiiNS8_4plusIiEEEE10hipError_tPvRmT1_T2_T3_mT4_P12ihipStream_tbEUlT_E0_NS1_11comp_targetILNS1_3genE4ELNS1_11target_archE910ELNS1_3gpuE8ELNS1_3repE0EEENS1_30default_config_static_selectorELNS0_4arch9wavefront6targetE1EEEvSK_.has_recursion, 0
	.set _ZN7rocprim17ROCPRIM_400000_NS6detail17trampoline_kernelINS0_14default_configENS1_22reduce_config_selectorIdEEZNS1_11reduce_implILb1ES3_N6thrust23THRUST_200600_302600_NS6detail15normal_iteratorINS8_10device_ptrIdEEEEPiiNS8_4plusIiEEEE10hipError_tPvRmT1_T2_T3_mT4_P12ihipStream_tbEUlT_E0_NS1_11comp_targetILNS1_3genE4ELNS1_11target_archE910ELNS1_3gpuE8ELNS1_3repE0EEENS1_30default_config_static_selectorELNS0_4arch9wavefront6targetE1EEEvSK_.has_indirect_call, 0
	.section	.AMDGPU.csdata,"",@progbits
; Kernel info:
; codeLenInByte = 0
; TotalNumSgprs: 6
; NumVgprs: 0
; NumAgprs: 0
; TotalNumVgprs: 0
; ScratchSize: 0
; MemoryBound: 0
; FloatMode: 240
; IeeeMode: 1
; LDSByteSize: 0 bytes/workgroup (compile time only)
; SGPRBlocks: 0
; VGPRBlocks: 0
; NumSGPRsForWavesPerEU: 6
; NumVGPRsForWavesPerEU: 1
; AccumOffset: 4
; Occupancy: 8
; WaveLimiterHint : 0
; COMPUTE_PGM_RSRC2:SCRATCH_EN: 0
; COMPUTE_PGM_RSRC2:USER_SGPR: 2
; COMPUTE_PGM_RSRC2:TRAP_HANDLER: 0
; COMPUTE_PGM_RSRC2:TGID_X_EN: 1
; COMPUTE_PGM_RSRC2:TGID_Y_EN: 0
; COMPUTE_PGM_RSRC2:TGID_Z_EN: 0
; COMPUTE_PGM_RSRC2:TIDIG_COMP_CNT: 0
; COMPUTE_PGM_RSRC3_GFX90A:ACCUM_OFFSET: 0
; COMPUTE_PGM_RSRC3_GFX90A:TG_SPLIT: 0
	.section	.text._ZN7rocprim17ROCPRIM_400000_NS6detail17trampoline_kernelINS0_14default_configENS1_22reduce_config_selectorIdEEZNS1_11reduce_implILb1ES3_N6thrust23THRUST_200600_302600_NS6detail15normal_iteratorINS8_10device_ptrIdEEEEPiiNS8_4plusIiEEEE10hipError_tPvRmT1_T2_T3_mT4_P12ihipStream_tbEUlT_E0_NS1_11comp_targetILNS1_3genE3ELNS1_11target_archE908ELNS1_3gpuE7ELNS1_3repE0EEENS1_30default_config_static_selectorELNS0_4arch9wavefront6targetE1EEEvSK_,"axG",@progbits,_ZN7rocprim17ROCPRIM_400000_NS6detail17trampoline_kernelINS0_14default_configENS1_22reduce_config_selectorIdEEZNS1_11reduce_implILb1ES3_N6thrust23THRUST_200600_302600_NS6detail15normal_iteratorINS8_10device_ptrIdEEEEPiiNS8_4plusIiEEEE10hipError_tPvRmT1_T2_T3_mT4_P12ihipStream_tbEUlT_E0_NS1_11comp_targetILNS1_3genE3ELNS1_11target_archE908ELNS1_3gpuE7ELNS1_3repE0EEENS1_30default_config_static_selectorELNS0_4arch9wavefront6targetE1EEEvSK_,comdat
	.protected	_ZN7rocprim17ROCPRIM_400000_NS6detail17trampoline_kernelINS0_14default_configENS1_22reduce_config_selectorIdEEZNS1_11reduce_implILb1ES3_N6thrust23THRUST_200600_302600_NS6detail15normal_iteratorINS8_10device_ptrIdEEEEPiiNS8_4plusIiEEEE10hipError_tPvRmT1_T2_T3_mT4_P12ihipStream_tbEUlT_E0_NS1_11comp_targetILNS1_3genE3ELNS1_11target_archE908ELNS1_3gpuE7ELNS1_3repE0EEENS1_30default_config_static_selectorELNS0_4arch9wavefront6targetE1EEEvSK_ ; -- Begin function _ZN7rocprim17ROCPRIM_400000_NS6detail17trampoline_kernelINS0_14default_configENS1_22reduce_config_selectorIdEEZNS1_11reduce_implILb1ES3_N6thrust23THRUST_200600_302600_NS6detail15normal_iteratorINS8_10device_ptrIdEEEEPiiNS8_4plusIiEEEE10hipError_tPvRmT1_T2_T3_mT4_P12ihipStream_tbEUlT_E0_NS1_11comp_targetILNS1_3genE3ELNS1_11target_archE908ELNS1_3gpuE7ELNS1_3repE0EEENS1_30default_config_static_selectorELNS0_4arch9wavefront6targetE1EEEvSK_
	.globl	_ZN7rocprim17ROCPRIM_400000_NS6detail17trampoline_kernelINS0_14default_configENS1_22reduce_config_selectorIdEEZNS1_11reduce_implILb1ES3_N6thrust23THRUST_200600_302600_NS6detail15normal_iteratorINS8_10device_ptrIdEEEEPiiNS8_4plusIiEEEE10hipError_tPvRmT1_T2_T3_mT4_P12ihipStream_tbEUlT_E0_NS1_11comp_targetILNS1_3genE3ELNS1_11target_archE908ELNS1_3gpuE7ELNS1_3repE0EEENS1_30default_config_static_selectorELNS0_4arch9wavefront6targetE1EEEvSK_
	.p2align	8
	.type	_ZN7rocprim17ROCPRIM_400000_NS6detail17trampoline_kernelINS0_14default_configENS1_22reduce_config_selectorIdEEZNS1_11reduce_implILb1ES3_N6thrust23THRUST_200600_302600_NS6detail15normal_iteratorINS8_10device_ptrIdEEEEPiiNS8_4plusIiEEEE10hipError_tPvRmT1_T2_T3_mT4_P12ihipStream_tbEUlT_E0_NS1_11comp_targetILNS1_3genE3ELNS1_11target_archE908ELNS1_3gpuE7ELNS1_3repE0EEENS1_30default_config_static_selectorELNS0_4arch9wavefront6targetE1EEEvSK_,@function
_ZN7rocprim17ROCPRIM_400000_NS6detail17trampoline_kernelINS0_14default_configENS1_22reduce_config_selectorIdEEZNS1_11reduce_implILb1ES3_N6thrust23THRUST_200600_302600_NS6detail15normal_iteratorINS8_10device_ptrIdEEEEPiiNS8_4plusIiEEEE10hipError_tPvRmT1_T2_T3_mT4_P12ihipStream_tbEUlT_E0_NS1_11comp_targetILNS1_3genE3ELNS1_11target_archE908ELNS1_3gpuE7ELNS1_3repE0EEENS1_30default_config_static_selectorELNS0_4arch9wavefront6targetE1EEEvSK_: ; @_ZN7rocprim17ROCPRIM_400000_NS6detail17trampoline_kernelINS0_14default_configENS1_22reduce_config_selectorIdEEZNS1_11reduce_implILb1ES3_N6thrust23THRUST_200600_302600_NS6detail15normal_iteratorINS8_10device_ptrIdEEEEPiiNS8_4plusIiEEEE10hipError_tPvRmT1_T2_T3_mT4_P12ihipStream_tbEUlT_E0_NS1_11comp_targetILNS1_3genE3ELNS1_11target_archE908ELNS1_3gpuE7ELNS1_3repE0EEENS1_30default_config_static_selectorELNS0_4arch9wavefront6targetE1EEEvSK_
; %bb.0:
	.section	.rodata,"a",@progbits
	.p2align	6, 0x0
	.amdhsa_kernel _ZN7rocprim17ROCPRIM_400000_NS6detail17trampoline_kernelINS0_14default_configENS1_22reduce_config_selectorIdEEZNS1_11reduce_implILb1ES3_N6thrust23THRUST_200600_302600_NS6detail15normal_iteratorINS8_10device_ptrIdEEEEPiiNS8_4plusIiEEEE10hipError_tPvRmT1_T2_T3_mT4_P12ihipStream_tbEUlT_E0_NS1_11comp_targetILNS1_3genE3ELNS1_11target_archE908ELNS1_3gpuE7ELNS1_3repE0EEENS1_30default_config_static_selectorELNS0_4arch9wavefront6targetE1EEEvSK_
		.amdhsa_group_segment_fixed_size 0
		.amdhsa_private_segment_fixed_size 0
		.amdhsa_kernarg_size 56
		.amdhsa_user_sgpr_count 2
		.amdhsa_user_sgpr_dispatch_ptr 0
		.amdhsa_user_sgpr_queue_ptr 0
		.amdhsa_user_sgpr_kernarg_segment_ptr 1
		.amdhsa_user_sgpr_dispatch_id 0
		.amdhsa_user_sgpr_kernarg_preload_length 0
		.amdhsa_user_sgpr_kernarg_preload_offset 0
		.amdhsa_user_sgpr_private_segment_size 0
		.amdhsa_uses_dynamic_stack 0
		.amdhsa_enable_private_segment 0
		.amdhsa_system_sgpr_workgroup_id_x 1
		.amdhsa_system_sgpr_workgroup_id_y 0
		.amdhsa_system_sgpr_workgroup_id_z 0
		.amdhsa_system_sgpr_workgroup_info 0
		.amdhsa_system_vgpr_workitem_id 0
		.amdhsa_next_free_vgpr 1
		.amdhsa_next_free_sgpr 0
		.amdhsa_accum_offset 4
		.amdhsa_reserve_vcc 0
		.amdhsa_float_round_mode_32 0
		.amdhsa_float_round_mode_16_64 0
		.amdhsa_float_denorm_mode_32 3
		.amdhsa_float_denorm_mode_16_64 3
		.amdhsa_dx10_clamp 1
		.amdhsa_ieee_mode 1
		.amdhsa_fp16_overflow 0
		.amdhsa_tg_split 0
		.amdhsa_exception_fp_ieee_invalid_op 0
		.amdhsa_exception_fp_denorm_src 0
		.amdhsa_exception_fp_ieee_div_zero 0
		.amdhsa_exception_fp_ieee_overflow 0
		.amdhsa_exception_fp_ieee_underflow 0
		.amdhsa_exception_fp_ieee_inexact 0
		.amdhsa_exception_int_div_zero 0
	.end_amdhsa_kernel
	.section	.text._ZN7rocprim17ROCPRIM_400000_NS6detail17trampoline_kernelINS0_14default_configENS1_22reduce_config_selectorIdEEZNS1_11reduce_implILb1ES3_N6thrust23THRUST_200600_302600_NS6detail15normal_iteratorINS8_10device_ptrIdEEEEPiiNS8_4plusIiEEEE10hipError_tPvRmT1_T2_T3_mT4_P12ihipStream_tbEUlT_E0_NS1_11comp_targetILNS1_3genE3ELNS1_11target_archE908ELNS1_3gpuE7ELNS1_3repE0EEENS1_30default_config_static_selectorELNS0_4arch9wavefront6targetE1EEEvSK_,"axG",@progbits,_ZN7rocprim17ROCPRIM_400000_NS6detail17trampoline_kernelINS0_14default_configENS1_22reduce_config_selectorIdEEZNS1_11reduce_implILb1ES3_N6thrust23THRUST_200600_302600_NS6detail15normal_iteratorINS8_10device_ptrIdEEEEPiiNS8_4plusIiEEEE10hipError_tPvRmT1_T2_T3_mT4_P12ihipStream_tbEUlT_E0_NS1_11comp_targetILNS1_3genE3ELNS1_11target_archE908ELNS1_3gpuE7ELNS1_3repE0EEENS1_30default_config_static_selectorELNS0_4arch9wavefront6targetE1EEEvSK_,comdat
.Lfunc_end300:
	.size	_ZN7rocprim17ROCPRIM_400000_NS6detail17trampoline_kernelINS0_14default_configENS1_22reduce_config_selectorIdEEZNS1_11reduce_implILb1ES3_N6thrust23THRUST_200600_302600_NS6detail15normal_iteratorINS8_10device_ptrIdEEEEPiiNS8_4plusIiEEEE10hipError_tPvRmT1_T2_T3_mT4_P12ihipStream_tbEUlT_E0_NS1_11comp_targetILNS1_3genE3ELNS1_11target_archE908ELNS1_3gpuE7ELNS1_3repE0EEENS1_30default_config_static_selectorELNS0_4arch9wavefront6targetE1EEEvSK_, .Lfunc_end300-_ZN7rocprim17ROCPRIM_400000_NS6detail17trampoline_kernelINS0_14default_configENS1_22reduce_config_selectorIdEEZNS1_11reduce_implILb1ES3_N6thrust23THRUST_200600_302600_NS6detail15normal_iteratorINS8_10device_ptrIdEEEEPiiNS8_4plusIiEEEE10hipError_tPvRmT1_T2_T3_mT4_P12ihipStream_tbEUlT_E0_NS1_11comp_targetILNS1_3genE3ELNS1_11target_archE908ELNS1_3gpuE7ELNS1_3repE0EEENS1_30default_config_static_selectorELNS0_4arch9wavefront6targetE1EEEvSK_
                                        ; -- End function
	.set _ZN7rocprim17ROCPRIM_400000_NS6detail17trampoline_kernelINS0_14default_configENS1_22reduce_config_selectorIdEEZNS1_11reduce_implILb1ES3_N6thrust23THRUST_200600_302600_NS6detail15normal_iteratorINS8_10device_ptrIdEEEEPiiNS8_4plusIiEEEE10hipError_tPvRmT1_T2_T3_mT4_P12ihipStream_tbEUlT_E0_NS1_11comp_targetILNS1_3genE3ELNS1_11target_archE908ELNS1_3gpuE7ELNS1_3repE0EEENS1_30default_config_static_selectorELNS0_4arch9wavefront6targetE1EEEvSK_.num_vgpr, 0
	.set _ZN7rocprim17ROCPRIM_400000_NS6detail17trampoline_kernelINS0_14default_configENS1_22reduce_config_selectorIdEEZNS1_11reduce_implILb1ES3_N6thrust23THRUST_200600_302600_NS6detail15normal_iteratorINS8_10device_ptrIdEEEEPiiNS8_4plusIiEEEE10hipError_tPvRmT1_T2_T3_mT4_P12ihipStream_tbEUlT_E0_NS1_11comp_targetILNS1_3genE3ELNS1_11target_archE908ELNS1_3gpuE7ELNS1_3repE0EEENS1_30default_config_static_selectorELNS0_4arch9wavefront6targetE1EEEvSK_.num_agpr, 0
	.set _ZN7rocprim17ROCPRIM_400000_NS6detail17trampoline_kernelINS0_14default_configENS1_22reduce_config_selectorIdEEZNS1_11reduce_implILb1ES3_N6thrust23THRUST_200600_302600_NS6detail15normal_iteratorINS8_10device_ptrIdEEEEPiiNS8_4plusIiEEEE10hipError_tPvRmT1_T2_T3_mT4_P12ihipStream_tbEUlT_E0_NS1_11comp_targetILNS1_3genE3ELNS1_11target_archE908ELNS1_3gpuE7ELNS1_3repE0EEENS1_30default_config_static_selectorELNS0_4arch9wavefront6targetE1EEEvSK_.numbered_sgpr, 0
	.set _ZN7rocprim17ROCPRIM_400000_NS6detail17trampoline_kernelINS0_14default_configENS1_22reduce_config_selectorIdEEZNS1_11reduce_implILb1ES3_N6thrust23THRUST_200600_302600_NS6detail15normal_iteratorINS8_10device_ptrIdEEEEPiiNS8_4plusIiEEEE10hipError_tPvRmT1_T2_T3_mT4_P12ihipStream_tbEUlT_E0_NS1_11comp_targetILNS1_3genE3ELNS1_11target_archE908ELNS1_3gpuE7ELNS1_3repE0EEENS1_30default_config_static_selectorELNS0_4arch9wavefront6targetE1EEEvSK_.num_named_barrier, 0
	.set _ZN7rocprim17ROCPRIM_400000_NS6detail17trampoline_kernelINS0_14default_configENS1_22reduce_config_selectorIdEEZNS1_11reduce_implILb1ES3_N6thrust23THRUST_200600_302600_NS6detail15normal_iteratorINS8_10device_ptrIdEEEEPiiNS8_4plusIiEEEE10hipError_tPvRmT1_T2_T3_mT4_P12ihipStream_tbEUlT_E0_NS1_11comp_targetILNS1_3genE3ELNS1_11target_archE908ELNS1_3gpuE7ELNS1_3repE0EEENS1_30default_config_static_selectorELNS0_4arch9wavefront6targetE1EEEvSK_.private_seg_size, 0
	.set _ZN7rocprim17ROCPRIM_400000_NS6detail17trampoline_kernelINS0_14default_configENS1_22reduce_config_selectorIdEEZNS1_11reduce_implILb1ES3_N6thrust23THRUST_200600_302600_NS6detail15normal_iteratorINS8_10device_ptrIdEEEEPiiNS8_4plusIiEEEE10hipError_tPvRmT1_T2_T3_mT4_P12ihipStream_tbEUlT_E0_NS1_11comp_targetILNS1_3genE3ELNS1_11target_archE908ELNS1_3gpuE7ELNS1_3repE0EEENS1_30default_config_static_selectorELNS0_4arch9wavefront6targetE1EEEvSK_.uses_vcc, 0
	.set _ZN7rocprim17ROCPRIM_400000_NS6detail17trampoline_kernelINS0_14default_configENS1_22reduce_config_selectorIdEEZNS1_11reduce_implILb1ES3_N6thrust23THRUST_200600_302600_NS6detail15normal_iteratorINS8_10device_ptrIdEEEEPiiNS8_4plusIiEEEE10hipError_tPvRmT1_T2_T3_mT4_P12ihipStream_tbEUlT_E0_NS1_11comp_targetILNS1_3genE3ELNS1_11target_archE908ELNS1_3gpuE7ELNS1_3repE0EEENS1_30default_config_static_selectorELNS0_4arch9wavefront6targetE1EEEvSK_.uses_flat_scratch, 0
	.set _ZN7rocprim17ROCPRIM_400000_NS6detail17trampoline_kernelINS0_14default_configENS1_22reduce_config_selectorIdEEZNS1_11reduce_implILb1ES3_N6thrust23THRUST_200600_302600_NS6detail15normal_iteratorINS8_10device_ptrIdEEEEPiiNS8_4plusIiEEEE10hipError_tPvRmT1_T2_T3_mT4_P12ihipStream_tbEUlT_E0_NS1_11comp_targetILNS1_3genE3ELNS1_11target_archE908ELNS1_3gpuE7ELNS1_3repE0EEENS1_30default_config_static_selectorELNS0_4arch9wavefront6targetE1EEEvSK_.has_dyn_sized_stack, 0
	.set _ZN7rocprim17ROCPRIM_400000_NS6detail17trampoline_kernelINS0_14default_configENS1_22reduce_config_selectorIdEEZNS1_11reduce_implILb1ES3_N6thrust23THRUST_200600_302600_NS6detail15normal_iteratorINS8_10device_ptrIdEEEEPiiNS8_4plusIiEEEE10hipError_tPvRmT1_T2_T3_mT4_P12ihipStream_tbEUlT_E0_NS1_11comp_targetILNS1_3genE3ELNS1_11target_archE908ELNS1_3gpuE7ELNS1_3repE0EEENS1_30default_config_static_selectorELNS0_4arch9wavefront6targetE1EEEvSK_.has_recursion, 0
	.set _ZN7rocprim17ROCPRIM_400000_NS6detail17trampoline_kernelINS0_14default_configENS1_22reduce_config_selectorIdEEZNS1_11reduce_implILb1ES3_N6thrust23THRUST_200600_302600_NS6detail15normal_iteratorINS8_10device_ptrIdEEEEPiiNS8_4plusIiEEEE10hipError_tPvRmT1_T2_T3_mT4_P12ihipStream_tbEUlT_E0_NS1_11comp_targetILNS1_3genE3ELNS1_11target_archE908ELNS1_3gpuE7ELNS1_3repE0EEENS1_30default_config_static_selectorELNS0_4arch9wavefront6targetE1EEEvSK_.has_indirect_call, 0
	.section	.AMDGPU.csdata,"",@progbits
; Kernel info:
; codeLenInByte = 0
; TotalNumSgprs: 6
; NumVgprs: 0
; NumAgprs: 0
; TotalNumVgprs: 0
; ScratchSize: 0
; MemoryBound: 0
; FloatMode: 240
; IeeeMode: 1
; LDSByteSize: 0 bytes/workgroup (compile time only)
; SGPRBlocks: 0
; VGPRBlocks: 0
; NumSGPRsForWavesPerEU: 6
; NumVGPRsForWavesPerEU: 1
; AccumOffset: 4
; Occupancy: 8
; WaveLimiterHint : 0
; COMPUTE_PGM_RSRC2:SCRATCH_EN: 0
; COMPUTE_PGM_RSRC2:USER_SGPR: 2
; COMPUTE_PGM_RSRC2:TRAP_HANDLER: 0
; COMPUTE_PGM_RSRC2:TGID_X_EN: 1
; COMPUTE_PGM_RSRC2:TGID_Y_EN: 0
; COMPUTE_PGM_RSRC2:TGID_Z_EN: 0
; COMPUTE_PGM_RSRC2:TIDIG_COMP_CNT: 0
; COMPUTE_PGM_RSRC3_GFX90A:ACCUM_OFFSET: 0
; COMPUTE_PGM_RSRC3_GFX90A:TG_SPLIT: 0
	.section	.text._ZN7rocprim17ROCPRIM_400000_NS6detail17trampoline_kernelINS0_14default_configENS1_22reduce_config_selectorIdEEZNS1_11reduce_implILb1ES3_N6thrust23THRUST_200600_302600_NS6detail15normal_iteratorINS8_10device_ptrIdEEEEPiiNS8_4plusIiEEEE10hipError_tPvRmT1_T2_T3_mT4_P12ihipStream_tbEUlT_E0_NS1_11comp_targetILNS1_3genE2ELNS1_11target_archE906ELNS1_3gpuE6ELNS1_3repE0EEENS1_30default_config_static_selectorELNS0_4arch9wavefront6targetE1EEEvSK_,"axG",@progbits,_ZN7rocprim17ROCPRIM_400000_NS6detail17trampoline_kernelINS0_14default_configENS1_22reduce_config_selectorIdEEZNS1_11reduce_implILb1ES3_N6thrust23THRUST_200600_302600_NS6detail15normal_iteratorINS8_10device_ptrIdEEEEPiiNS8_4plusIiEEEE10hipError_tPvRmT1_T2_T3_mT4_P12ihipStream_tbEUlT_E0_NS1_11comp_targetILNS1_3genE2ELNS1_11target_archE906ELNS1_3gpuE6ELNS1_3repE0EEENS1_30default_config_static_selectorELNS0_4arch9wavefront6targetE1EEEvSK_,comdat
	.protected	_ZN7rocprim17ROCPRIM_400000_NS6detail17trampoline_kernelINS0_14default_configENS1_22reduce_config_selectorIdEEZNS1_11reduce_implILb1ES3_N6thrust23THRUST_200600_302600_NS6detail15normal_iteratorINS8_10device_ptrIdEEEEPiiNS8_4plusIiEEEE10hipError_tPvRmT1_T2_T3_mT4_P12ihipStream_tbEUlT_E0_NS1_11comp_targetILNS1_3genE2ELNS1_11target_archE906ELNS1_3gpuE6ELNS1_3repE0EEENS1_30default_config_static_selectorELNS0_4arch9wavefront6targetE1EEEvSK_ ; -- Begin function _ZN7rocprim17ROCPRIM_400000_NS6detail17trampoline_kernelINS0_14default_configENS1_22reduce_config_selectorIdEEZNS1_11reduce_implILb1ES3_N6thrust23THRUST_200600_302600_NS6detail15normal_iteratorINS8_10device_ptrIdEEEEPiiNS8_4plusIiEEEE10hipError_tPvRmT1_T2_T3_mT4_P12ihipStream_tbEUlT_E0_NS1_11comp_targetILNS1_3genE2ELNS1_11target_archE906ELNS1_3gpuE6ELNS1_3repE0EEENS1_30default_config_static_selectorELNS0_4arch9wavefront6targetE1EEEvSK_
	.globl	_ZN7rocprim17ROCPRIM_400000_NS6detail17trampoline_kernelINS0_14default_configENS1_22reduce_config_selectorIdEEZNS1_11reduce_implILb1ES3_N6thrust23THRUST_200600_302600_NS6detail15normal_iteratorINS8_10device_ptrIdEEEEPiiNS8_4plusIiEEEE10hipError_tPvRmT1_T2_T3_mT4_P12ihipStream_tbEUlT_E0_NS1_11comp_targetILNS1_3genE2ELNS1_11target_archE906ELNS1_3gpuE6ELNS1_3repE0EEENS1_30default_config_static_selectorELNS0_4arch9wavefront6targetE1EEEvSK_
	.p2align	8
	.type	_ZN7rocprim17ROCPRIM_400000_NS6detail17trampoline_kernelINS0_14default_configENS1_22reduce_config_selectorIdEEZNS1_11reduce_implILb1ES3_N6thrust23THRUST_200600_302600_NS6detail15normal_iteratorINS8_10device_ptrIdEEEEPiiNS8_4plusIiEEEE10hipError_tPvRmT1_T2_T3_mT4_P12ihipStream_tbEUlT_E0_NS1_11comp_targetILNS1_3genE2ELNS1_11target_archE906ELNS1_3gpuE6ELNS1_3repE0EEENS1_30default_config_static_selectorELNS0_4arch9wavefront6targetE1EEEvSK_,@function
_ZN7rocprim17ROCPRIM_400000_NS6detail17trampoline_kernelINS0_14default_configENS1_22reduce_config_selectorIdEEZNS1_11reduce_implILb1ES3_N6thrust23THRUST_200600_302600_NS6detail15normal_iteratorINS8_10device_ptrIdEEEEPiiNS8_4plusIiEEEE10hipError_tPvRmT1_T2_T3_mT4_P12ihipStream_tbEUlT_E0_NS1_11comp_targetILNS1_3genE2ELNS1_11target_archE906ELNS1_3gpuE6ELNS1_3repE0EEENS1_30default_config_static_selectorELNS0_4arch9wavefront6targetE1EEEvSK_: ; @_ZN7rocprim17ROCPRIM_400000_NS6detail17trampoline_kernelINS0_14default_configENS1_22reduce_config_selectorIdEEZNS1_11reduce_implILb1ES3_N6thrust23THRUST_200600_302600_NS6detail15normal_iteratorINS8_10device_ptrIdEEEEPiiNS8_4plusIiEEEE10hipError_tPvRmT1_T2_T3_mT4_P12ihipStream_tbEUlT_E0_NS1_11comp_targetILNS1_3genE2ELNS1_11target_archE906ELNS1_3gpuE6ELNS1_3repE0EEENS1_30default_config_static_selectorELNS0_4arch9wavefront6targetE1EEEvSK_
; %bb.0:
	.section	.rodata,"a",@progbits
	.p2align	6, 0x0
	.amdhsa_kernel _ZN7rocprim17ROCPRIM_400000_NS6detail17trampoline_kernelINS0_14default_configENS1_22reduce_config_selectorIdEEZNS1_11reduce_implILb1ES3_N6thrust23THRUST_200600_302600_NS6detail15normal_iteratorINS8_10device_ptrIdEEEEPiiNS8_4plusIiEEEE10hipError_tPvRmT1_T2_T3_mT4_P12ihipStream_tbEUlT_E0_NS1_11comp_targetILNS1_3genE2ELNS1_11target_archE906ELNS1_3gpuE6ELNS1_3repE0EEENS1_30default_config_static_selectorELNS0_4arch9wavefront6targetE1EEEvSK_
		.amdhsa_group_segment_fixed_size 0
		.amdhsa_private_segment_fixed_size 0
		.amdhsa_kernarg_size 56
		.amdhsa_user_sgpr_count 2
		.amdhsa_user_sgpr_dispatch_ptr 0
		.amdhsa_user_sgpr_queue_ptr 0
		.amdhsa_user_sgpr_kernarg_segment_ptr 1
		.amdhsa_user_sgpr_dispatch_id 0
		.amdhsa_user_sgpr_kernarg_preload_length 0
		.amdhsa_user_sgpr_kernarg_preload_offset 0
		.amdhsa_user_sgpr_private_segment_size 0
		.amdhsa_uses_dynamic_stack 0
		.amdhsa_enable_private_segment 0
		.amdhsa_system_sgpr_workgroup_id_x 1
		.amdhsa_system_sgpr_workgroup_id_y 0
		.amdhsa_system_sgpr_workgroup_id_z 0
		.amdhsa_system_sgpr_workgroup_info 0
		.amdhsa_system_vgpr_workitem_id 0
		.amdhsa_next_free_vgpr 1
		.amdhsa_next_free_sgpr 0
		.amdhsa_accum_offset 4
		.amdhsa_reserve_vcc 0
		.amdhsa_float_round_mode_32 0
		.amdhsa_float_round_mode_16_64 0
		.amdhsa_float_denorm_mode_32 3
		.amdhsa_float_denorm_mode_16_64 3
		.amdhsa_dx10_clamp 1
		.amdhsa_ieee_mode 1
		.amdhsa_fp16_overflow 0
		.amdhsa_tg_split 0
		.amdhsa_exception_fp_ieee_invalid_op 0
		.amdhsa_exception_fp_denorm_src 0
		.amdhsa_exception_fp_ieee_div_zero 0
		.amdhsa_exception_fp_ieee_overflow 0
		.amdhsa_exception_fp_ieee_underflow 0
		.amdhsa_exception_fp_ieee_inexact 0
		.amdhsa_exception_int_div_zero 0
	.end_amdhsa_kernel
	.section	.text._ZN7rocprim17ROCPRIM_400000_NS6detail17trampoline_kernelINS0_14default_configENS1_22reduce_config_selectorIdEEZNS1_11reduce_implILb1ES3_N6thrust23THRUST_200600_302600_NS6detail15normal_iteratorINS8_10device_ptrIdEEEEPiiNS8_4plusIiEEEE10hipError_tPvRmT1_T2_T3_mT4_P12ihipStream_tbEUlT_E0_NS1_11comp_targetILNS1_3genE2ELNS1_11target_archE906ELNS1_3gpuE6ELNS1_3repE0EEENS1_30default_config_static_selectorELNS0_4arch9wavefront6targetE1EEEvSK_,"axG",@progbits,_ZN7rocprim17ROCPRIM_400000_NS6detail17trampoline_kernelINS0_14default_configENS1_22reduce_config_selectorIdEEZNS1_11reduce_implILb1ES3_N6thrust23THRUST_200600_302600_NS6detail15normal_iteratorINS8_10device_ptrIdEEEEPiiNS8_4plusIiEEEE10hipError_tPvRmT1_T2_T3_mT4_P12ihipStream_tbEUlT_E0_NS1_11comp_targetILNS1_3genE2ELNS1_11target_archE906ELNS1_3gpuE6ELNS1_3repE0EEENS1_30default_config_static_selectorELNS0_4arch9wavefront6targetE1EEEvSK_,comdat
.Lfunc_end301:
	.size	_ZN7rocprim17ROCPRIM_400000_NS6detail17trampoline_kernelINS0_14default_configENS1_22reduce_config_selectorIdEEZNS1_11reduce_implILb1ES3_N6thrust23THRUST_200600_302600_NS6detail15normal_iteratorINS8_10device_ptrIdEEEEPiiNS8_4plusIiEEEE10hipError_tPvRmT1_T2_T3_mT4_P12ihipStream_tbEUlT_E0_NS1_11comp_targetILNS1_3genE2ELNS1_11target_archE906ELNS1_3gpuE6ELNS1_3repE0EEENS1_30default_config_static_selectorELNS0_4arch9wavefront6targetE1EEEvSK_, .Lfunc_end301-_ZN7rocprim17ROCPRIM_400000_NS6detail17trampoline_kernelINS0_14default_configENS1_22reduce_config_selectorIdEEZNS1_11reduce_implILb1ES3_N6thrust23THRUST_200600_302600_NS6detail15normal_iteratorINS8_10device_ptrIdEEEEPiiNS8_4plusIiEEEE10hipError_tPvRmT1_T2_T3_mT4_P12ihipStream_tbEUlT_E0_NS1_11comp_targetILNS1_3genE2ELNS1_11target_archE906ELNS1_3gpuE6ELNS1_3repE0EEENS1_30default_config_static_selectorELNS0_4arch9wavefront6targetE1EEEvSK_
                                        ; -- End function
	.set _ZN7rocprim17ROCPRIM_400000_NS6detail17trampoline_kernelINS0_14default_configENS1_22reduce_config_selectorIdEEZNS1_11reduce_implILb1ES3_N6thrust23THRUST_200600_302600_NS6detail15normal_iteratorINS8_10device_ptrIdEEEEPiiNS8_4plusIiEEEE10hipError_tPvRmT1_T2_T3_mT4_P12ihipStream_tbEUlT_E0_NS1_11comp_targetILNS1_3genE2ELNS1_11target_archE906ELNS1_3gpuE6ELNS1_3repE0EEENS1_30default_config_static_selectorELNS0_4arch9wavefront6targetE1EEEvSK_.num_vgpr, 0
	.set _ZN7rocprim17ROCPRIM_400000_NS6detail17trampoline_kernelINS0_14default_configENS1_22reduce_config_selectorIdEEZNS1_11reduce_implILb1ES3_N6thrust23THRUST_200600_302600_NS6detail15normal_iteratorINS8_10device_ptrIdEEEEPiiNS8_4plusIiEEEE10hipError_tPvRmT1_T2_T3_mT4_P12ihipStream_tbEUlT_E0_NS1_11comp_targetILNS1_3genE2ELNS1_11target_archE906ELNS1_3gpuE6ELNS1_3repE0EEENS1_30default_config_static_selectorELNS0_4arch9wavefront6targetE1EEEvSK_.num_agpr, 0
	.set _ZN7rocprim17ROCPRIM_400000_NS6detail17trampoline_kernelINS0_14default_configENS1_22reduce_config_selectorIdEEZNS1_11reduce_implILb1ES3_N6thrust23THRUST_200600_302600_NS6detail15normal_iteratorINS8_10device_ptrIdEEEEPiiNS8_4plusIiEEEE10hipError_tPvRmT1_T2_T3_mT4_P12ihipStream_tbEUlT_E0_NS1_11comp_targetILNS1_3genE2ELNS1_11target_archE906ELNS1_3gpuE6ELNS1_3repE0EEENS1_30default_config_static_selectorELNS0_4arch9wavefront6targetE1EEEvSK_.numbered_sgpr, 0
	.set _ZN7rocprim17ROCPRIM_400000_NS6detail17trampoline_kernelINS0_14default_configENS1_22reduce_config_selectorIdEEZNS1_11reduce_implILb1ES3_N6thrust23THRUST_200600_302600_NS6detail15normal_iteratorINS8_10device_ptrIdEEEEPiiNS8_4plusIiEEEE10hipError_tPvRmT1_T2_T3_mT4_P12ihipStream_tbEUlT_E0_NS1_11comp_targetILNS1_3genE2ELNS1_11target_archE906ELNS1_3gpuE6ELNS1_3repE0EEENS1_30default_config_static_selectorELNS0_4arch9wavefront6targetE1EEEvSK_.num_named_barrier, 0
	.set _ZN7rocprim17ROCPRIM_400000_NS6detail17trampoline_kernelINS0_14default_configENS1_22reduce_config_selectorIdEEZNS1_11reduce_implILb1ES3_N6thrust23THRUST_200600_302600_NS6detail15normal_iteratorINS8_10device_ptrIdEEEEPiiNS8_4plusIiEEEE10hipError_tPvRmT1_T2_T3_mT4_P12ihipStream_tbEUlT_E0_NS1_11comp_targetILNS1_3genE2ELNS1_11target_archE906ELNS1_3gpuE6ELNS1_3repE0EEENS1_30default_config_static_selectorELNS0_4arch9wavefront6targetE1EEEvSK_.private_seg_size, 0
	.set _ZN7rocprim17ROCPRIM_400000_NS6detail17trampoline_kernelINS0_14default_configENS1_22reduce_config_selectorIdEEZNS1_11reduce_implILb1ES3_N6thrust23THRUST_200600_302600_NS6detail15normal_iteratorINS8_10device_ptrIdEEEEPiiNS8_4plusIiEEEE10hipError_tPvRmT1_T2_T3_mT4_P12ihipStream_tbEUlT_E0_NS1_11comp_targetILNS1_3genE2ELNS1_11target_archE906ELNS1_3gpuE6ELNS1_3repE0EEENS1_30default_config_static_selectorELNS0_4arch9wavefront6targetE1EEEvSK_.uses_vcc, 0
	.set _ZN7rocprim17ROCPRIM_400000_NS6detail17trampoline_kernelINS0_14default_configENS1_22reduce_config_selectorIdEEZNS1_11reduce_implILb1ES3_N6thrust23THRUST_200600_302600_NS6detail15normal_iteratorINS8_10device_ptrIdEEEEPiiNS8_4plusIiEEEE10hipError_tPvRmT1_T2_T3_mT4_P12ihipStream_tbEUlT_E0_NS1_11comp_targetILNS1_3genE2ELNS1_11target_archE906ELNS1_3gpuE6ELNS1_3repE0EEENS1_30default_config_static_selectorELNS0_4arch9wavefront6targetE1EEEvSK_.uses_flat_scratch, 0
	.set _ZN7rocprim17ROCPRIM_400000_NS6detail17trampoline_kernelINS0_14default_configENS1_22reduce_config_selectorIdEEZNS1_11reduce_implILb1ES3_N6thrust23THRUST_200600_302600_NS6detail15normal_iteratorINS8_10device_ptrIdEEEEPiiNS8_4plusIiEEEE10hipError_tPvRmT1_T2_T3_mT4_P12ihipStream_tbEUlT_E0_NS1_11comp_targetILNS1_3genE2ELNS1_11target_archE906ELNS1_3gpuE6ELNS1_3repE0EEENS1_30default_config_static_selectorELNS0_4arch9wavefront6targetE1EEEvSK_.has_dyn_sized_stack, 0
	.set _ZN7rocprim17ROCPRIM_400000_NS6detail17trampoline_kernelINS0_14default_configENS1_22reduce_config_selectorIdEEZNS1_11reduce_implILb1ES3_N6thrust23THRUST_200600_302600_NS6detail15normal_iteratorINS8_10device_ptrIdEEEEPiiNS8_4plusIiEEEE10hipError_tPvRmT1_T2_T3_mT4_P12ihipStream_tbEUlT_E0_NS1_11comp_targetILNS1_3genE2ELNS1_11target_archE906ELNS1_3gpuE6ELNS1_3repE0EEENS1_30default_config_static_selectorELNS0_4arch9wavefront6targetE1EEEvSK_.has_recursion, 0
	.set _ZN7rocprim17ROCPRIM_400000_NS6detail17trampoline_kernelINS0_14default_configENS1_22reduce_config_selectorIdEEZNS1_11reduce_implILb1ES3_N6thrust23THRUST_200600_302600_NS6detail15normal_iteratorINS8_10device_ptrIdEEEEPiiNS8_4plusIiEEEE10hipError_tPvRmT1_T2_T3_mT4_P12ihipStream_tbEUlT_E0_NS1_11comp_targetILNS1_3genE2ELNS1_11target_archE906ELNS1_3gpuE6ELNS1_3repE0EEENS1_30default_config_static_selectorELNS0_4arch9wavefront6targetE1EEEvSK_.has_indirect_call, 0
	.section	.AMDGPU.csdata,"",@progbits
; Kernel info:
; codeLenInByte = 0
; TotalNumSgprs: 6
; NumVgprs: 0
; NumAgprs: 0
; TotalNumVgprs: 0
; ScratchSize: 0
; MemoryBound: 0
; FloatMode: 240
; IeeeMode: 1
; LDSByteSize: 0 bytes/workgroup (compile time only)
; SGPRBlocks: 0
; VGPRBlocks: 0
; NumSGPRsForWavesPerEU: 6
; NumVGPRsForWavesPerEU: 1
; AccumOffset: 4
; Occupancy: 8
; WaveLimiterHint : 0
; COMPUTE_PGM_RSRC2:SCRATCH_EN: 0
; COMPUTE_PGM_RSRC2:USER_SGPR: 2
; COMPUTE_PGM_RSRC2:TRAP_HANDLER: 0
; COMPUTE_PGM_RSRC2:TGID_X_EN: 1
; COMPUTE_PGM_RSRC2:TGID_Y_EN: 0
; COMPUTE_PGM_RSRC2:TGID_Z_EN: 0
; COMPUTE_PGM_RSRC2:TIDIG_COMP_CNT: 0
; COMPUTE_PGM_RSRC3_GFX90A:ACCUM_OFFSET: 0
; COMPUTE_PGM_RSRC3_GFX90A:TG_SPLIT: 0
	.section	.text._ZN7rocprim17ROCPRIM_400000_NS6detail17trampoline_kernelINS0_14default_configENS1_22reduce_config_selectorIdEEZNS1_11reduce_implILb1ES3_N6thrust23THRUST_200600_302600_NS6detail15normal_iteratorINS8_10device_ptrIdEEEEPiiNS8_4plusIiEEEE10hipError_tPvRmT1_T2_T3_mT4_P12ihipStream_tbEUlT_E0_NS1_11comp_targetILNS1_3genE10ELNS1_11target_archE1201ELNS1_3gpuE5ELNS1_3repE0EEENS1_30default_config_static_selectorELNS0_4arch9wavefront6targetE1EEEvSK_,"axG",@progbits,_ZN7rocprim17ROCPRIM_400000_NS6detail17trampoline_kernelINS0_14default_configENS1_22reduce_config_selectorIdEEZNS1_11reduce_implILb1ES3_N6thrust23THRUST_200600_302600_NS6detail15normal_iteratorINS8_10device_ptrIdEEEEPiiNS8_4plusIiEEEE10hipError_tPvRmT1_T2_T3_mT4_P12ihipStream_tbEUlT_E0_NS1_11comp_targetILNS1_3genE10ELNS1_11target_archE1201ELNS1_3gpuE5ELNS1_3repE0EEENS1_30default_config_static_selectorELNS0_4arch9wavefront6targetE1EEEvSK_,comdat
	.protected	_ZN7rocprim17ROCPRIM_400000_NS6detail17trampoline_kernelINS0_14default_configENS1_22reduce_config_selectorIdEEZNS1_11reduce_implILb1ES3_N6thrust23THRUST_200600_302600_NS6detail15normal_iteratorINS8_10device_ptrIdEEEEPiiNS8_4plusIiEEEE10hipError_tPvRmT1_T2_T3_mT4_P12ihipStream_tbEUlT_E0_NS1_11comp_targetILNS1_3genE10ELNS1_11target_archE1201ELNS1_3gpuE5ELNS1_3repE0EEENS1_30default_config_static_selectorELNS0_4arch9wavefront6targetE1EEEvSK_ ; -- Begin function _ZN7rocprim17ROCPRIM_400000_NS6detail17trampoline_kernelINS0_14default_configENS1_22reduce_config_selectorIdEEZNS1_11reduce_implILb1ES3_N6thrust23THRUST_200600_302600_NS6detail15normal_iteratorINS8_10device_ptrIdEEEEPiiNS8_4plusIiEEEE10hipError_tPvRmT1_T2_T3_mT4_P12ihipStream_tbEUlT_E0_NS1_11comp_targetILNS1_3genE10ELNS1_11target_archE1201ELNS1_3gpuE5ELNS1_3repE0EEENS1_30default_config_static_selectorELNS0_4arch9wavefront6targetE1EEEvSK_
	.globl	_ZN7rocprim17ROCPRIM_400000_NS6detail17trampoline_kernelINS0_14default_configENS1_22reduce_config_selectorIdEEZNS1_11reduce_implILb1ES3_N6thrust23THRUST_200600_302600_NS6detail15normal_iteratorINS8_10device_ptrIdEEEEPiiNS8_4plusIiEEEE10hipError_tPvRmT1_T2_T3_mT4_P12ihipStream_tbEUlT_E0_NS1_11comp_targetILNS1_3genE10ELNS1_11target_archE1201ELNS1_3gpuE5ELNS1_3repE0EEENS1_30default_config_static_selectorELNS0_4arch9wavefront6targetE1EEEvSK_
	.p2align	8
	.type	_ZN7rocprim17ROCPRIM_400000_NS6detail17trampoline_kernelINS0_14default_configENS1_22reduce_config_selectorIdEEZNS1_11reduce_implILb1ES3_N6thrust23THRUST_200600_302600_NS6detail15normal_iteratorINS8_10device_ptrIdEEEEPiiNS8_4plusIiEEEE10hipError_tPvRmT1_T2_T3_mT4_P12ihipStream_tbEUlT_E0_NS1_11comp_targetILNS1_3genE10ELNS1_11target_archE1201ELNS1_3gpuE5ELNS1_3repE0EEENS1_30default_config_static_selectorELNS0_4arch9wavefront6targetE1EEEvSK_,@function
_ZN7rocprim17ROCPRIM_400000_NS6detail17trampoline_kernelINS0_14default_configENS1_22reduce_config_selectorIdEEZNS1_11reduce_implILb1ES3_N6thrust23THRUST_200600_302600_NS6detail15normal_iteratorINS8_10device_ptrIdEEEEPiiNS8_4plusIiEEEE10hipError_tPvRmT1_T2_T3_mT4_P12ihipStream_tbEUlT_E0_NS1_11comp_targetILNS1_3genE10ELNS1_11target_archE1201ELNS1_3gpuE5ELNS1_3repE0EEENS1_30default_config_static_selectorELNS0_4arch9wavefront6targetE1EEEvSK_: ; @_ZN7rocprim17ROCPRIM_400000_NS6detail17trampoline_kernelINS0_14default_configENS1_22reduce_config_selectorIdEEZNS1_11reduce_implILb1ES3_N6thrust23THRUST_200600_302600_NS6detail15normal_iteratorINS8_10device_ptrIdEEEEPiiNS8_4plusIiEEEE10hipError_tPvRmT1_T2_T3_mT4_P12ihipStream_tbEUlT_E0_NS1_11comp_targetILNS1_3genE10ELNS1_11target_archE1201ELNS1_3gpuE5ELNS1_3repE0EEENS1_30default_config_static_selectorELNS0_4arch9wavefront6targetE1EEEvSK_
; %bb.0:
	.section	.rodata,"a",@progbits
	.p2align	6, 0x0
	.amdhsa_kernel _ZN7rocprim17ROCPRIM_400000_NS6detail17trampoline_kernelINS0_14default_configENS1_22reduce_config_selectorIdEEZNS1_11reduce_implILb1ES3_N6thrust23THRUST_200600_302600_NS6detail15normal_iteratorINS8_10device_ptrIdEEEEPiiNS8_4plusIiEEEE10hipError_tPvRmT1_T2_T3_mT4_P12ihipStream_tbEUlT_E0_NS1_11comp_targetILNS1_3genE10ELNS1_11target_archE1201ELNS1_3gpuE5ELNS1_3repE0EEENS1_30default_config_static_selectorELNS0_4arch9wavefront6targetE1EEEvSK_
		.amdhsa_group_segment_fixed_size 0
		.amdhsa_private_segment_fixed_size 0
		.amdhsa_kernarg_size 56
		.amdhsa_user_sgpr_count 2
		.amdhsa_user_sgpr_dispatch_ptr 0
		.amdhsa_user_sgpr_queue_ptr 0
		.amdhsa_user_sgpr_kernarg_segment_ptr 1
		.amdhsa_user_sgpr_dispatch_id 0
		.amdhsa_user_sgpr_kernarg_preload_length 0
		.amdhsa_user_sgpr_kernarg_preload_offset 0
		.amdhsa_user_sgpr_private_segment_size 0
		.amdhsa_uses_dynamic_stack 0
		.amdhsa_enable_private_segment 0
		.amdhsa_system_sgpr_workgroup_id_x 1
		.amdhsa_system_sgpr_workgroup_id_y 0
		.amdhsa_system_sgpr_workgroup_id_z 0
		.amdhsa_system_sgpr_workgroup_info 0
		.amdhsa_system_vgpr_workitem_id 0
		.amdhsa_next_free_vgpr 1
		.amdhsa_next_free_sgpr 0
		.amdhsa_accum_offset 4
		.amdhsa_reserve_vcc 0
		.amdhsa_float_round_mode_32 0
		.amdhsa_float_round_mode_16_64 0
		.amdhsa_float_denorm_mode_32 3
		.amdhsa_float_denorm_mode_16_64 3
		.amdhsa_dx10_clamp 1
		.amdhsa_ieee_mode 1
		.amdhsa_fp16_overflow 0
		.amdhsa_tg_split 0
		.amdhsa_exception_fp_ieee_invalid_op 0
		.amdhsa_exception_fp_denorm_src 0
		.amdhsa_exception_fp_ieee_div_zero 0
		.amdhsa_exception_fp_ieee_overflow 0
		.amdhsa_exception_fp_ieee_underflow 0
		.amdhsa_exception_fp_ieee_inexact 0
		.amdhsa_exception_int_div_zero 0
	.end_amdhsa_kernel
	.section	.text._ZN7rocprim17ROCPRIM_400000_NS6detail17trampoline_kernelINS0_14default_configENS1_22reduce_config_selectorIdEEZNS1_11reduce_implILb1ES3_N6thrust23THRUST_200600_302600_NS6detail15normal_iteratorINS8_10device_ptrIdEEEEPiiNS8_4plusIiEEEE10hipError_tPvRmT1_T2_T3_mT4_P12ihipStream_tbEUlT_E0_NS1_11comp_targetILNS1_3genE10ELNS1_11target_archE1201ELNS1_3gpuE5ELNS1_3repE0EEENS1_30default_config_static_selectorELNS0_4arch9wavefront6targetE1EEEvSK_,"axG",@progbits,_ZN7rocprim17ROCPRIM_400000_NS6detail17trampoline_kernelINS0_14default_configENS1_22reduce_config_selectorIdEEZNS1_11reduce_implILb1ES3_N6thrust23THRUST_200600_302600_NS6detail15normal_iteratorINS8_10device_ptrIdEEEEPiiNS8_4plusIiEEEE10hipError_tPvRmT1_T2_T3_mT4_P12ihipStream_tbEUlT_E0_NS1_11comp_targetILNS1_3genE10ELNS1_11target_archE1201ELNS1_3gpuE5ELNS1_3repE0EEENS1_30default_config_static_selectorELNS0_4arch9wavefront6targetE1EEEvSK_,comdat
.Lfunc_end302:
	.size	_ZN7rocprim17ROCPRIM_400000_NS6detail17trampoline_kernelINS0_14default_configENS1_22reduce_config_selectorIdEEZNS1_11reduce_implILb1ES3_N6thrust23THRUST_200600_302600_NS6detail15normal_iteratorINS8_10device_ptrIdEEEEPiiNS8_4plusIiEEEE10hipError_tPvRmT1_T2_T3_mT4_P12ihipStream_tbEUlT_E0_NS1_11comp_targetILNS1_3genE10ELNS1_11target_archE1201ELNS1_3gpuE5ELNS1_3repE0EEENS1_30default_config_static_selectorELNS0_4arch9wavefront6targetE1EEEvSK_, .Lfunc_end302-_ZN7rocprim17ROCPRIM_400000_NS6detail17trampoline_kernelINS0_14default_configENS1_22reduce_config_selectorIdEEZNS1_11reduce_implILb1ES3_N6thrust23THRUST_200600_302600_NS6detail15normal_iteratorINS8_10device_ptrIdEEEEPiiNS8_4plusIiEEEE10hipError_tPvRmT1_T2_T3_mT4_P12ihipStream_tbEUlT_E0_NS1_11comp_targetILNS1_3genE10ELNS1_11target_archE1201ELNS1_3gpuE5ELNS1_3repE0EEENS1_30default_config_static_selectorELNS0_4arch9wavefront6targetE1EEEvSK_
                                        ; -- End function
	.set _ZN7rocprim17ROCPRIM_400000_NS6detail17trampoline_kernelINS0_14default_configENS1_22reduce_config_selectorIdEEZNS1_11reduce_implILb1ES3_N6thrust23THRUST_200600_302600_NS6detail15normal_iteratorINS8_10device_ptrIdEEEEPiiNS8_4plusIiEEEE10hipError_tPvRmT1_T2_T3_mT4_P12ihipStream_tbEUlT_E0_NS1_11comp_targetILNS1_3genE10ELNS1_11target_archE1201ELNS1_3gpuE5ELNS1_3repE0EEENS1_30default_config_static_selectorELNS0_4arch9wavefront6targetE1EEEvSK_.num_vgpr, 0
	.set _ZN7rocprim17ROCPRIM_400000_NS6detail17trampoline_kernelINS0_14default_configENS1_22reduce_config_selectorIdEEZNS1_11reduce_implILb1ES3_N6thrust23THRUST_200600_302600_NS6detail15normal_iteratorINS8_10device_ptrIdEEEEPiiNS8_4plusIiEEEE10hipError_tPvRmT1_T2_T3_mT4_P12ihipStream_tbEUlT_E0_NS1_11comp_targetILNS1_3genE10ELNS1_11target_archE1201ELNS1_3gpuE5ELNS1_3repE0EEENS1_30default_config_static_selectorELNS0_4arch9wavefront6targetE1EEEvSK_.num_agpr, 0
	.set _ZN7rocprim17ROCPRIM_400000_NS6detail17trampoline_kernelINS0_14default_configENS1_22reduce_config_selectorIdEEZNS1_11reduce_implILb1ES3_N6thrust23THRUST_200600_302600_NS6detail15normal_iteratorINS8_10device_ptrIdEEEEPiiNS8_4plusIiEEEE10hipError_tPvRmT1_T2_T3_mT4_P12ihipStream_tbEUlT_E0_NS1_11comp_targetILNS1_3genE10ELNS1_11target_archE1201ELNS1_3gpuE5ELNS1_3repE0EEENS1_30default_config_static_selectorELNS0_4arch9wavefront6targetE1EEEvSK_.numbered_sgpr, 0
	.set _ZN7rocprim17ROCPRIM_400000_NS6detail17trampoline_kernelINS0_14default_configENS1_22reduce_config_selectorIdEEZNS1_11reduce_implILb1ES3_N6thrust23THRUST_200600_302600_NS6detail15normal_iteratorINS8_10device_ptrIdEEEEPiiNS8_4plusIiEEEE10hipError_tPvRmT1_T2_T3_mT4_P12ihipStream_tbEUlT_E0_NS1_11comp_targetILNS1_3genE10ELNS1_11target_archE1201ELNS1_3gpuE5ELNS1_3repE0EEENS1_30default_config_static_selectorELNS0_4arch9wavefront6targetE1EEEvSK_.num_named_barrier, 0
	.set _ZN7rocprim17ROCPRIM_400000_NS6detail17trampoline_kernelINS0_14default_configENS1_22reduce_config_selectorIdEEZNS1_11reduce_implILb1ES3_N6thrust23THRUST_200600_302600_NS6detail15normal_iteratorINS8_10device_ptrIdEEEEPiiNS8_4plusIiEEEE10hipError_tPvRmT1_T2_T3_mT4_P12ihipStream_tbEUlT_E0_NS1_11comp_targetILNS1_3genE10ELNS1_11target_archE1201ELNS1_3gpuE5ELNS1_3repE0EEENS1_30default_config_static_selectorELNS0_4arch9wavefront6targetE1EEEvSK_.private_seg_size, 0
	.set _ZN7rocprim17ROCPRIM_400000_NS6detail17trampoline_kernelINS0_14default_configENS1_22reduce_config_selectorIdEEZNS1_11reduce_implILb1ES3_N6thrust23THRUST_200600_302600_NS6detail15normal_iteratorINS8_10device_ptrIdEEEEPiiNS8_4plusIiEEEE10hipError_tPvRmT1_T2_T3_mT4_P12ihipStream_tbEUlT_E0_NS1_11comp_targetILNS1_3genE10ELNS1_11target_archE1201ELNS1_3gpuE5ELNS1_3repE0EEENS1_30default_config_static_selectorELNS0_4arch9wavefront6targetE1EEEvSK_.uses_vcc, 0
	.set _ZN7rocprim17ROCPRIM_400000_NS6detail17trampoline_kernelINS0_14default_configENS1_22reduce_config_selectorIdEEZNS1_11reduce_implILb1ES3_N6thrust23THRUST_200600_302600_NS6detail15normal_iteratorINS8_10device_ptrIdEEEEPiiNS8_4plusIiEEEE10hipError_tPvRmT1_T2_T3_mT4_P12ihipStream_tbEUlT_E0_NS1_11comp_targetILNS1_3genE10ELNS1_11target_archE1201ELNS1_3gpuE5ELNS1_3repE0EEENS1_30default_config_static_selectorELNS0_4arch9wavefront6targetE1EEEvSK_.uses_flat_scratch, 0
	.set _ZN7rocprim17ROCPRIM_400000_NS6detail17trampoline_kernelINS0_14default_configENS1_22reduce_config_selectorIdEEZNS1_11reduce_implILb1ES3_N6thrust23THRUST_200600_302600_NS6detail15normal_iteratorINS8_10device_ptrIdEEEEPiiNS8_4plusIiEEEE10hipError_tPvRmT1_T2_T3_mT4_P12ihipStream_tbEUlT_E0_NS1_11comp_targetILNS1_3genE10ELNS1_11target_archE1201ELNS1_3gpuE5ELNS1_3repE0EEENS1_30default_config_static_selectorELNS0_4arch9wavefront6targetE1EEEvSK_.has_dyn_sized_stack, 0
	.set _ZN7rocprim17ROCPRIM_400000_NS6detail17trampoline_kernelINS0_14default_configENS1_22reduce_config_selectorIdEEZNS1_11reduce_implILb1ES3_N6thrust23THRUST_200600_302600_NS6detail15normal_iteratorINS8_10device_ptrIdEEEEPiiNS8_4plusIiEEEE10hipError_tPvRmT1_T2_T3_mT4_P12ihipStream_tbEUlT_E0_NS1_11comp_targetILNS1_3genE10ELNS1_11target_archE1201ELNS1_3gpuE5ELNS1_3repE0EEENS1_30default_config_static_selectorELNS0_4arch9wavefront6targetE1EEEvSK_.has_recursion, 0
	.set _ZN7rocprim17ROCPRIM_400000_NS6detail17trampoline_kernelINS0_14default_configENS1_22reduce_config_selectorIdEEZNS1_11reduce_implILb1ES3_N6thrust23THRUST_200600_302600_NS6detail15normal_iteratorINS8_10device_ptrIdEEEEPiiNS8_4plusIiEEEE10hipError_tPvRmT1_T2_T3_mT4_P12ihipStream_tbEUlT_E0_NS1_11comp_targetILNS1_3genE10ELNS1_11target_archE1201ELNS1_3gpuE5ELNS1_3repE0EEENS1_30default_config_static_selectorELNS0_4arch9wavefront6targetE1EEEvSK_.has_indirect_call, 0
	.section	.AMDGPU.csdata,"",@progbits
; Kernel info:
; codeLenInByte = 0
; TotalNumSgprs: 6
; NumVgprs: 0
; NumAgprs: 0
; TotalNumVgprs: 0
; ScratchSize: 0
; MemoryBound: 0
; FloatMode: 240
; IeeeMode: 1
; LDSByteSize: 0 bytes/workgroup (compile time only)
; SGPRBlocks: 0
; VGPRBlocks: 0
; NumSGPRsForWavesPerEU: 6
; NumVGPRsForWavesPerEU: 1
; AccumOffset: 4
; Occupancy: 8
; WaveLimiterHint : 0
; COMPUTE_PGM_RSRC2:SCRATCH_EN: 0
; COMPUTE_PGM_RSRC2:USER_SGPR: 2
; COMPUTE_PGM_RSRC2:TRAP_HANDLER: 0
; COMPUTE_PGM_RSRC2:TGID_X_EN: 1
; COMPUTE_PGM_RSRC2:TGID_Y_EN: 0
; COMPUTE_PGM_RSRC2:TGID_Z_EN: 0
; COMPUTE_PGM_RSRC2:TIDIG_COMP_CNT: 0
; COMPUTE_PGM_RSRC3_GFX90A:ACCUM_OFFSET: 0
; COMPUTE_PGM_RSRC3_GFX90A:TG_SPLIT: 0
	.section	.text._ZN7rocprim17ROCPRIM_400000_NS6detail17trampoline_kernelINS0_14default_configENS1_22reduce_config_selectorIdEEZNS1_11reduce_implILb1ES3_N6thrust23THRUST_200600_302600_NS6detail15normal_iteratorINS8_10device_ptrIdEEEEPiiNS8_4plusIiEEEE10hipError_tPvRmT1_T2_T3_mT4_P12ihipStream_tbEUlT_E0_NS1_11comp_targetILNS1_3genE10ELNS1_11target_archE1200ELNS1_3gpuE4ELNS1_3repE0EEENS1_30default_config_static_selectorELNS0_4arch9wavefront6targetE1EEEvSK_,"axG",@progbits,_ZN7rocprim17ROCPRIM_400000_NS6detail17trampoline_kernelINS0_14default_configENS1_22reduce_config_selectorIdEEZNS1_11reduce_implILb1ES3_N6thrust23THRUST_200600_302600_NS6detail15normal_iteratorINS8_10device_ptrIdEEEEPiiNS8_4plusIiEEEE10hipError_tPvRmT1_T2_T3_mT4_P12ihipStream_tbEUlT_E0_NS1_11comp_targetILNS1_3genE10ELNS1_11target_archE1200ELNS1_3gpuE4ELNS1_3repE0EEENS1_30default_config_static_selectorELNS0_4arch9wavefront6targetE1EEEvSK_,comdat
	.protected	_ZN7rocprim17ROCPRIM_400000_NS6detail17trampoline_kernelINS0_14default_configENS1_22reduce_config_selectorIdEEZNS1_11reduce_implILb1ES3_N6thrust23THRUST_200600_302600_NS6detail15normal_iteratorINS8_10device_ptrIdEEEEPiiNS8_4plusIiEEEE10hipError_tPvRmT1_T2_T3_mT4_P12ihipStream_tbEUlT_E0_NS1_11comp_targetILNS1_3genE10ELNS1_11target_archE1200ELNS1_3gpuE4ELNS1_3repE0EEENS1_30default_config_static_selectorELNS0_4arch9wavefront6targetE1EEEvSK_ ; -- Begin function _ZN7rocprim17ROCPRIM_400000_NS6detail17trampoline_kernelINS0_14default_configENS1_22reduce_config_selectorIdEEZNS1_11reduce_implILb1ES3_N6thrust23THRUST_200600_302600_NS6detail15normal_iteratorINS8_10device_ptrIdEEEEPiiNS8_4plusIiEEEE10hipError_tPvRmT1_T2_T3_mT4_P12ihipStream_tbEUlT_E0_NS1_11comp_targetILNS1_3genE10ELNS1_11target_archE1200ELNS1_3gpuE4ELNS1_3repE0EEENS1_30default_config_static_selectorELNS0_4arch9wavefront6targetE1EEEvSK_
	.globl	_ZN7rocprim17ROCPRIM_400000_NS6detail17trampoline_kernelINS0_14default_configENS1_22reduce_config_selectorIdEEZNS1_11reduce_implILb1ES3_N6thrust23THRUST_200600_302600_NS6detail15normal_iteratorINS8_10device_ptrIdEEEEPiiNS8_4plusIiEEEE10hipError_tPvRmT1_T2_T3_mT4_P12ihipStream_tbEUlT_E0_NS1_11comp_targetILNS1_3genE10ELNS1_11target_archE1200ELNS1_3gpuE4ELNS1_3repE0EEENS1_30default_config_static_selectorELNS0_4arch9wavefront6targetE1EEEvSK_
	.p2align	8
	.type	_ZN7rocprim17ROCPRIM_400000_NS6detail17trampoline_kernelINS0_14default_configENS1_22reduce_config_selectorIdEEZNS1_11reduce_implILb1ES3_N6thrust23THRUST_200600_302600_NS6detail15normal_iteratorINS8_10device_ptrIdEEEEPiiNS8_4plusIiEEEE10hipError_tPvRmT1_T2_T3_mT4_P12ihipStream_tbEUlT_E0_NS1_11comp_targetILNS1_3genE10ELNS1_11target_archE1200ELNS1_3gpuE4ELNS1_3repE0EEENS1_30default_config_static_selectorELNS0_4arch9wavefront6targetE1EEEvSK_,@function
_ZN7rocprim17ROCPRIM_400000_NS6detail17trampoline_kernelINS0_14default_configENS1_22reduce_config_selectorIdEEZNS1_11reduce_implILb1ES3_N6thrust23THRUST_200600_302600_NS6detail15normal_iteratorINS8_10device_ptrIdEEEEPiiNS8_4plusIiEEEE10hipError_tPvRmT1_T2_T3_mT4_P12ihipStream_tbEUlT_E0_NS1_11comp_targetILNS1_3genE10ELNS1_11target_archE1200ELNS1_3gpuE4ELNS1_3repE0EEENS1_30default_config_static_selectorELNS0_4arch9wavefront6targetE1EEEvSK_: ; @_ZN7rocprim17ROCPRIM_400000_NS6detail17trampoline_kernelINS0_14default_configENS1_22reduce_config_selectorIdEEZNS1_11reduce_implILb1ES3_N6thrust23THRUST_200600_302600_NS6detail15normal_iteratorINS8_10device_ptrIdEEEEPiiNS8_4plusIiEEEE10hipError_tPvRmT1_T2_T3_mT4_P12ihipStream_tbEUlT_E0_NS1_11comp_targetILNS1_3genE10ELNS1_11target_archE1200ELNS1_3gpuE4ELNS1_3repE0EEENS1_30default_config_static_selectorELNS0_4arch9wavefront6targetE1EEEvSK_
; %bb.0:
	.section	.rodata,"a",@progbits
	.p2align	6, 0x0
	.amdhsa_kernel _ZN7rocprim17ROCPRIM_400000_NS6detail17trampoline_kernelINS0_14default_configENS1_22reduce_config_selectorIdEEZNS1_11reduce_implILb1ES3_N6thrust23THRUST_200600_302600_NS6detail15normal_iteratorINS8_10device_ptrIdEEEEPiiNS8_4plusIiEEEE10hipError_tPvRmT1_T2_T3_mT4_P12ihipStream_tbEUlT_E0_NS1_11comp_targetILNS1_3genE10ELNS1_11target_archE1200ELNS1_3gpuE4ELNS1_3repE0EEENS1_30default_config_static_selectorELNS0_4arch9wavefront6targetE1EEEvSK_
		.amdhsa_group_segment_fixed_size 0
		.amdhsa_private_segment_fixed_size 0
		.amdhsa_kernarg_size 56
		.amdhsa_user_sgpr_count 2
		.amdhsa_user_sgpr_dispatch_ptr 0
		.amdhsa_user_sgpr_queue_ptr 0
		.amdhsa_user_sgpr_kernarg_segment_ptr 1
		.amdhsa_user_sgpr_dispatch_id 0
		.amdhsa_user_sgpr_kernarg_preload_length 0
		.amdhsa_user_sgpr_kernarg_preload_offset 0
		.amdhsa_user_sgpr_private_segment_size 0
		.amdhsa_uses_dynamic_stack 0
		.amdhsa_enable_private_segment 0
		.amdhsa_system_sgpr_workgroup_id_x 1
		.amdhsa_system_sgpr_workgroup_id_y 0
		.amdhsa_system_sgpr_workgroup_id_z 0
		.amdhsa_system_sgpr_workgroup_info 0
		.amdhsa_system_vgpr_workitem_id 0
		.amdhsa_next_free_vgpr 1
		.amdhsa_next_free_sgpr 0
		.amdhsa_accum_offset 4
		.amdhsa_reserve_vcc 0
		.amdhsa_float_round_mode_32 0
		.amdhsa_float_round_mode_16_64 0
		.amdhsa_float_denorm_mode_32 3
		.amdhsa_float_denorm_mode_16_64 3
		.amdhsa_dx10_clamp 1
		.amdhsa_ieee_mode 1
		.amdhsa_fp16_overflow 0
		.amdhsa_tg_split 0
		.amdhsa_exception_fp_ieee_invalid_op 0
		.amdhsa_exception_fp_denorm_src 0
		.amdhsa_exception_fp_ieee_div_zero 0
		.amdhsa_exception_fp_ieee_overflow 0
		.amdhsa_exception_fp_ieee_underflow 0
		.amdhsa_exception_fp_ieee_inexact 0
		.amdhsa_exception_int_div_zero 0
	.end_amdhsa_kernel
	.section	.text._ZN7rocprim17ROCPRIM_400000_NS6detail17trampoline_kernelINS0_14default_configENS1_22reduce_config_selectorIdEEZNS1_11reduce_implILb1ES3_N6thrust23THRUST_200600_302600_NS6detail15normal_iteratorINS8_10device_ptrIdEEEEPiiNS8_4plusIiEEEE10hipError_tPvRmT1_T2_T3_mT4_P12ihipStream_tbEUlT_E0_NS1_11comp_targetILNS1_3genE10ELNS1_11target_archE1200ELNS1_3gpuE4ELNS1_3repE0EEENS1_30default_config_static_selectorELNS0_4arch9wavefront6targetE1EEEvSK_,"axG",@progbits,_ZN7rocprim17ROCPRIM_400000_NS6detail17trampoline_kernelINS0_14default_configENS1_22reduce_config_selectorIdEEZNS1_11reduce_implILb1ES3_N6thrust23THRUST_200600_302600_NS6detail15normal_iteratorINS8_10device_ptrIdEEEEPiiNS8_4plusIiEEEE10hipError_tPvRmT1_T2_T3_mT4_P12ihipStream_tbEUlT_E0_NS1_11comp_targetILNS1_3genE10ELNS1_11target_archE1200ELNS1_3gpuE4ELNS1_3repE0EEENS1_30default_config_static_selectorELNS0_4arch9wavefront6targetE1EEEvSK_,comdat
.Lfunc_end303:
	.size	_ZN7rocprim17ROCPRIM_400000_NS6detail17trampoline_kernelINS0_14default_configENS1_22reduce_config_selectorIdEEZNS1_11reduce_implILb1ES3_N6thrust23THRUST_200600_302600_NS6detail15normal_iteratorINS8_10device_ptrIdEEEEPiiNS8_4plusIiEEEE10hipError_tPvRmT1_T2_T3_mT4_P12ihipStream_tbEUlT_E0_NS1_11comp_targetILNS1_3genE10ELNS1_11target_archE1200ELNS1_3gpuE4ELNS1_3repE0EEENS1_30default_config_static_selectorELNS0_4arch9wavefront6targetE1EEEvSK_, .Lfunc_end303-_ZN7rocprim17ROCPRIM_400000_NS6detail17trampoline_kernelINS0_14default_configENS1_22reduce_config_selectorIdEEZNS1_11reduce_implILb1ES3_N6thrust23THRUST_200600_302600_NS6detail15normal_iteratorINS8_10device_ptrIdEEEEPiiNS8_4plusIiEEEE10hipError_tPvRmT1_T2_T3_mT4_P12ihipStream_tbEUlT_E0_NS1_11comp_targetILNS1_3genE10ELNS1_11target_archE1200ELNS1_3gpuE4ELNS1_3repE0EEENS1_30default_config_static_selectorELNS0_4arch9wavefront6targetE1EEEvSK_
                                        ; -- End function
	.set _ZN7rocprim17ROCPRIM_400000_NS6detail17trampoline_kernelINS0_14default_configENS1_22reduce_config_selectorIdEEZNS1_11reduce_implILb1ES3_N6thrust23THRUST_200600_302600_NS6detail15normal_iteratorINS8_10device_ptrIdEEEEPiiNS8_4plusIiEEEE10hipError_tPvRmT1_T2_T3_mT4_P12ihipStream_tbEUlT_E0_NS1_11comp_targetILNS1_3genE10ELNS1_11target_archE1200ELNS1_3gpuE4ELNS1_3repE0EEENS1_30default_config_static_selectorELNS0_4arch9wavefront6targetE1EEEvSK_.num_vgpr, 0
	.set _ZN7rocprim17ROCPRIM_400000_NS6detail17trampoline_kernelINS0_14default_configENS1_22reduce_config_selectorIdEEZNS1_11reduce_implILb1ES3_N6thrust23THRUST_200600_302600_NS6detail15normal_iteratorINS8_10device_ptrIdEEEEPiiNS8_4plusIiEEEE10hipError_tPvRmT1_T2_T3_mT4_P12ihipStream_tbEUlT_E0_NS1_11comp_targetILNS1_3genE10ELNS1_11target_archE1200ELNS1_3gpuE4ELNS1_3repE0EEENS1_30default_config_static_selectorELNS0_4arch9wavefront6targetE1EEEvSK_.num_agpr, 0
	.set _ZN7rocprim17ROCPRIM_400000_NS6detail17trampoline_kernelINS0_14default_configENS1_22reduce_config_selectorIdEEZNS1_11reduce_implILb1ES3_N6thrust23THRUST_200600_302600_NS6detail15normal_iteratorINS8_10device_ptrIdEEEEPiiNS8_4plusIiEEEE10hipError_tPvRmT1_T2_T3_mT4_P12ihipStream_tbEUlT_E0_NS1_11comp_targetILNS1_3genE10ELNS1_11target_archE1200ELNS1_3gpuE4ELNS1_3repE0EEENS1_30default_config_static_selectorELNS0_4arch9wavefront6targetE1EEEvSK_.numbered_sgpr, 0
	.set _ZN7rocprim17ROCPRIM_400000_NS6detail17trampoline_kernelINS0_14default_configENS1_22reduce_config_selectorIdEEZNS1_11reduce_implILb1ES3_N6thrust23THRUST_200600_302600_NS6detail15normal_iteratorINS8_10device_ptrIdEEEEPiiNS8_4plusIiEEEE10hipError_tPvRmT1_T2_T3_mT4_P12ihipStream_tbEUlT_E0_NS1_11comp_targetILNS1_3genE10ELNS1_11target_archE1200ELNS1_3gpuE4ELNS1_3repE0EEENS1_30default_config_static_selectorELNS0_4arch9wavefront6targetE1EEEvSK_.num_named_barrier, 0
	.set _ZN7rocprim17ROCPRIM_400000_NS6detail17trampoline_kernelINS0_14default_configENS1_22reduce_config_selectorIdEEZNS1_11reduce_implILb1ES3_N6thrust23THRUST_200600_302600_NS6detail15normal_iteratorINS8_10device_ptrIdEEEEPiiNS8_4plusIiEEEE10hipError_tPvRmT1_T2_T3_mT4_P12ihipStream_tbEUlT_E0_NS1_11comp_targetILNS1_3genE10ELNS1_11target_archE1200ELNS1_3gpuE4ELNS1_3repE0EEENS1_30default_config_static_selectorELNS0_4arch9wavefront6targetE1EEEvSK_.private_seg_size, 0
	.set _ZN7rocprim17ROCPRIM_400000_NS6detail17trampoline_kernelINS0_14default_configENS1_22reduce_config_selectorIdEEZNS1_11reduce_implILb1ES3_N6thrust23THRUST_200600_302600_NS6detail15normal_iteratorINS8_10device_ptrIdEEEEPiiNS8_4plusIiEEEE10hipError_tPvRmT1_T2_T3_mT4_P12ihipStream_tbEUlT_E0_NS1_11comp_targetILNS1_3genE10ELNS1_11target_archE1200ELNS1_3gpuE4ELNS1_3repE0EEENS1_30default_config_static_selectorELNS0_4arch9wavefront6targetE1EEEvSK_.uses_vcc, 0
	.set _ZN7rocprim17ROCPRIM_400000_NS6detail17trampoline_kernelINS0_14default_configENS1_22reduce_config_selectorIdEEZNS1_11reduce_implILb1ES3_N6thrust23THRUST_200600_302600_NS6detail15normal_iteratorINS8_10device_ptrIdEEEEPiiNS8_4plusIiEEEE10hipError_tPvRmT1_T2_T3_mT4_P12ihipStream_tbEUlT_E0_NS1_11comp_targetILNS1_3genE10ELNS1_11target_archE1200ELNS1_3gpuE4ELNS1_3repE0EEENS1_30default_config_static_selectorELNS0_4arch9wavefront6targetE1EEEvSK_.uses_flat_scratch, 0
	.set _ZN7rocprim17ROCPRIM_400000_NS6detail17trampoline_kernelINS0_14default_configENS1_22reduce_config_selectorIdEEZNS1_11reduce_implILb1ES3_N6thrust23THRUST_200600_302600_NS6detail15normal_iteratorINS8_10device_ptrIdEEEEPiiNS8_4plusIiEEEE10hipError_tPvRmT1_T2_T3_mT4_P12ihipStream_tbEUlT_E0_NS1_11comp_targetILNS1_3genE10ELNS1_11target_archE1200ELNS1_3gpuE4ELNS1_3repE0EEENS1_30default_config_static_selectorELNS0_4arch9wavefront6targetE1EEEvSK_.has_dyn_sized_stack, 0
	.set _ZN7rocprim17ROCPRIM_400000_NS6detail17trampoline_kernelINS0_14default_configENS1_22reduce_config_selectorIdEEZNS1_11reduce_implILb1ES3_N6thrust23THRUST_200600_302600_NS6detail15normal_iteratorINS8_10device_ptrIdEEEEPiiNS8_4plusIiEEEE10hipError_tPvRmT1_T2_T3_mT4_P12ihipStream_tbEUlT_E0_NS1_11comp_targetILNS1_3genE10ELNS1_11target_archE1200ELNS1_3gpuE4ELNS1_3repE0EEENS1_30default_config_static_selectorELNS0_4arch9wavefront6targetE1EEEvSK_.has_recursion, 0
	.set _ZN7rocprim17ROCPRIM_400000_NS6detail17trampoline_kernelINS0_14default_configENS1_22reduce_config_selectorIdEEZNS1_11reduce_implILb1ES3_N6thrust23THRUST_200600_302600_NS6detail15normal_iteratorINS8_10device_ptrIdEEEEPiiNS8_4plusIiEEEE10hipError_tPvRmT1_T2_T3_mT4_P12ihipStream_tbEUlT_E0_NS1_11comp_targetILNS1_3genE10ELNS1_11target_archE1200ELNS1_3gpuE4ELNS1_3repE0EEENS1_30default_config_static_selectorELNS0_4arch9wavefront6targetE1EEEvSK_.has_indirect_call, 0
	.section	.AMDGPU.csdata,"",@progbits
; Kernel info:
; codeLenInByte = 0
; TotalNumSgprs: 6
; NumVgprs: 0
; NumAgprs: 0
; TotalNumVgprs: 0
; ScratchSize: 0
; MemoryBound: 0
; FloatMode: 240
; IeeeMode: 1
; LDSByteSize: 0 bytes/workgroup (compile time only)
; SGPRBlocks: 0
; VGPRBlocks: 0
; NumSGPRsForWavesPerEU: 6
; NumVGPRsForWavesPerEU: 1
; AccumOffset: 4
; Occupancy: 8
; WaveLimiterHint : 0
; COMPUTE_PGM_RSRC2:SCRATCH_EN: 0
; COMPUTE_PGM_RSRC2:USER_SGPR: 2
; COMPUTE_PGM_RSRC2:TRAP_HANDLER: 0
; COMPUTE_PGM_RSRC2:TGID_X_EN: 1
; COMPUTE_PGM_RSRC2:TGID_Y_EN: 0
; COMPUTE_PGM_RSRC2:TGID_Z_EN: 0
; COMPUTE_PGM_RSRC2:TIDIG_COMP_CNT: 0
; COMPUTE_PGM_RSRC3_GFX90A:ACCUM_OFFSET: 0
; COMPUTE_PGM_RSRC3_GFX90A:TG_SPLIT: 0
	.section	.text._ZN7rocprim17ROCPRIM_400000_NS6detail17trampoline_kernelINS0_14default_configENS1_22reduce_config_selectorIdEEZNS1_11reduce_implILb1ES3_N6thrust23THRUST_200600_302600_NS6detail15normal_iteratorINS8_10device_ptrIdEEEEPiiNS8_4plusIiEEEE10hipError_tPvRmT1_T2_T3_mT4_P12ihipStream_tbEUlT_E0_NS1_11comp_targetILNS1_3genE9ELNS1_11target_archE1100ELNS1_3gpuE3ELNS1_3repE0EEENS1_30default_config_static_selectorELNS0_4arch9wavefront6targetE1EEEvSK_,"axG",@progbits,_ZN7rocprim17ROCPRIM_400000_NS6detail17trampoline_kernelINS0_14default_configENS1_22reduce_config_selectorIdEEZNS1_11reduce_implILb1ES3_N6thrust23THRUST_200600_302600_NS6detail15normal_iteratorINS8_10device_ptrIdEEEEPiiNS8_4plusIiEEEE10hipError_tPvRmT1_T2_T3_mT4_P12ihipStream_tbEUlT_E0_NS1_11comp_targetILNS1_3genE9ELNS1_11target_archE1100ELNS1_3gpuE3ELNS1_3repE0EEENS1_30default_config_static_selectorELNS0_4arch9wavefront6targetE1EEEvSK_,comdat
	.protected	_ZN7rocprim17ROCPRIM_400000_NS6detail17trampoline_kernelINS0_14default_configENS1_22reduce_config_selectorIdEEZNS1_11reduce_implILb1ES3_N6thrust23THRUST_200600_302600_NS6detail15normal_iteratorINS8_10device_ptrIdEEEEPiiNS8_4plusIiEEEE10hipError_tPvRmT1_T2_T3_mT4_P12ihipStream_tbEUlT_E0_NS1_11comp_targetILNS1_3genE9ELNS1_11target_archE1100ELNS1_3gpuE3ELNS1_3repE0EEENS1_30default_config_static_selectorELNS0_4arch9wavefront6targetE1EEEvSK_ ; -- Begin function _ZN7rocprim17ROCPRIM_400000_NS6detail17trampoline_kernelINS0_14default_configENS1_22reduce_config_selectorIdEEZNS1_11reduce_implILb1ES3_N6thrust23THRUST_200600_302600_NS6detail15normal_iteratorINS8_10device_ptrIdEEEEPiiNS8_4plusIiEEEE10hipError_tPvRmT1_T2_T3_mT4_P12ihipStream_tbEUlT_E0_NS1_11comp_targetILNS1_3genE9ELNS1_11target_archE1100ELNS1_3gpuE3ELNS1_3repE0EEENS1_30default_config_static_selectorELNS0_4arch9wavefront6targetE1EEEvSK_
	.globl	_ZN7rocprim17ROCPRIM_400000_NS6detail17trampoline_kernelINS0_14default_configENS1_22reduce_config_selectorIdEEZNS1_11reduce_implILb1ES3_N6thrust23THRUST_200600_302600_NS6detail15normal_iteratorINS8_10device_ptrIdEEEEPiiNS8_4plusIiEEEE10hipError_tPvRmT1_T2_T3_mT4_P12ihipStream_tbEUlT_E0_NS1_11comp_targetILNS1_3genE9ELNS1_11target_archE1100ELNS1_3gpuE3ELNS1_3repE0EEENS1_30default_config_static_selectorELNS0_4arch9wavefront6targetE1EEEvSK_
	.p2align	8
	.type	_ZN7rocprim17ROCPRIM_400000_NS6detail17trampoline_kernelINS0_14default_configENS1_22reduce_config_selectorIdEEZNS1_11reduce_implILb1ES3_N6thrust23THRUST_200600_302600_NS6detail15normal_iteratorINS8_10device_ptrIdEEEEPiiNS8_4plusIiEEEE10hipError_tPvRmT1_T2_T3_mT4_P12ihipStream_tbEUlT_E0_NS1_11comp_targetILNS1_3genE9ELNS1_11target_archE1100ELNS1_3gpuE3ELNS1_3repE0EEENS1_30default_config_static_selectorELNS0_4arch9wavefront6targetE1EEEvSK_,@function
_ZN7rocprim17ROCPRIM_400000_NS6detail17trampoline_kernelINS0_14default_configENS1_22reduce_config_selectorIdEEZNS1_11reduce_implILb1ES3_N6thrust23THRUST_200600_302600_NS6detail15normal_iteratorINS8_10device_ptrIdEEEEPiiNS8_4plusIiEEEE10hipError_tPvRmT1_T2_T3_mT4_P12ihipStream_tbEUlT_E0_NS1_11comp_targetILNS1_3genE9ELNS1_11target_archE1100ELNS1_3gpuE3ELNS1_3repE0EEENS1_30default_config_static_selectorELNS0_4arch9wavefront6targetE1EEEvSK_: ; @_ZN7rocprim17ROCPRIM_400000_NS6detail17trampoline_kernelINS0_14default_configENS1_22reduce_config_selectorIdEEZNS1_11reduce_implILb1ES3_N6thrust23THRUST_200600_302600_NS6detail15normal_iteratorINS8_10device_ptrIdEEEEPiiNS8_4plusIiEEEE10hipError_tPvRmT1_T2_T3_mT4_P12ihipStream_tbEUlT_E0_NS1_11comp_targetILNS1_3genE9ELNS1_11target_archE1100ELNS1_3gpuE3ELNS1_3repE0EEENS1_30default_config_static_selectorELNS0_4arch9wavefront6targetE1EEEvSK_
; %bb.0:
	.section	.rodata,"a",@progbits
	.p2align	6, 0x0
	.amdhsa_kernel _ZN7rocprim17ROCPRIM_400000_NS6detail17trampoline_kernelINS0_14default_configENS1_22reduce_config_selectorIdEEZNS1_11reduce_implILb1ES3_N6thrust23THRUST_200600_302600_NS6detail15normal_iteratorINS8_10device_ptrIdEEEEPiiNS8_4plusIiEEEE10hipError_tPvRmT1_T2_T3_mT4_P12ihipStream_tbEUlT_E0_NS1_11comp_targetILNS1_3genE9ELNS1_11target_archE1100ELNS1_3gpuE3ELNS1_3repE0EEENS1_30default_config_static_selectorELNS0_4arch9wavefront6targetE1EEEvSK_
		.amdhsa_group_segment_fixed_size 0
		.amdhsa_private_segment_fixed_size 0
		.amdhsa_kernarg_size 56
		.amdhsa_user_sgpr_count 2
		.amdhsa_user_sgpr_dispatch_ptr 0
		.amdhsa_user_sgpr_queue_ptr 0
		.amdhsa_user_sgpr_kernarg_segment_ptr 1
		.amdhsa_user_sgpr_dispatch_id 0
		.amdhsa_user_sgpr_kernarg_preload_length 0
		.amdhsa_user_sgpr_kernarg_preload_offset 0
		.amdhsa_user_sgpr_private_segment_size 0
		.amdhsa_uses_dynamic_stack 0
		.amdhsa_enable_private_segment 0
		.amdhsa_system_sgpr_workgroup_id_x 1
		.amdhsa_system_sgpr_workgroup_id_y 0
		.amdhsa_system_sgpr_workgroup_id_z 0
		.amdhsa_system_sgpr_workgroup_info 0
		.amdhsa_system_vgpr_workitem_id 0
		.amdhsa_next_free_vgpr 1
		.amdhsa_next_free_sgpr 0
		.amdhsa_accum_offset 4
		.amdhsa_reserve_vcc 0
		.amdhsa_float_round_mode_32 0
		.amdhsa_float_round_mode_16_64 0
		.amdhsa_float_denorm_mode_32 3
		.amdhsa_float_denorm_mode_16_64 3
		.amdhsa_dx10_clamp 1
		.amdhsa_ieee_mode 1
		.amdhsa_fp16_overflow 0
		.amdhsa_tg_split 0
		.amdhsa_exception_fp_ieee_invalid_op 0
		.amdhsa_exception_fp_denorm_src 0
		.amdhsa_exception_fp_ieee_div_zero 0
		.amdhsa_exception_fp_ieee_overflow 0
		.amdhsa_exception_fp_ieee_underflow 0
		.amdhsa_exception_fp_ieee_inexact 0
		.amdhsa_exception_int_div_zero 0
	.end_amdhsa_kernel
	.section	.text._ZN7rocprim17ROCPRIM_400000_NS6detail17trampoline_kernelINS0_14default_configENS1_22reduce_config_selectorIdEEZNS1_11reduce_implILb1ES3_N6thrust23THRUST_200600_302600_NS6detail15normal_iteratorINS8_10device_ptrIdEEEEPiiNS8_4plusIiEEEE10hipError_tPvRmT1_T2_T3_mT4_P12ihipStream_tbEUlT_E0_NS1_11comp_targetILNS1_3genE9ELNS1_11target_archE1100ELNS1_3gpuE3ELNS1_3repE0EEENS1_30default_config_static_selectorELNS0_4arch9wavefront6targetE1EEEvSK_,"axG",@progbits,_ZN7rocprim17ROCPRIM_400000_NS6detail17trampoline_kernelINS0_14default_configENS1_22reduce_config_selectorIdEEZNS1_11reduce_implILb1ES3_N6thrust23THRUST_200600_302600_NS6detail15normal_iteratorINS8_10device_ptrIdEEEEPiiNS8_4plusIiEEEE10hipError_tPvRmT1_T2_T3_mT4_P12ihipStream_tbEUlT_E0_NS1_11comp_targetILNS1_3genE9ELNS1_11target_archE1100ELNS1_3gpuE3ELNS1_3repE0EEENS1_30default_config_static_selectorELNS0_4arch9wavefront6targetE1EEEvSK_,comdat
.Lfunc_end304:
	.size	_ZN7rocprim17ROCPRIM_400000_NS6detail17trampoline_kernelINS0_14default_configENS1_22reduce_config_selectorIdEEZNS1_11reduce_implILb1ES3_N6thrust23THRUST_200600_302600_NS6detail15normal_iteratorINS8_10device_ptrIdEEEEPiiNS8_4plusIiEEEE10hipError_tPvRmT1_T2_T3_mT4_P12ihipStream_tbEUlT_E0_NS1_11comp_targetILNS1_3genE9ELNS1_11target_archE1100ELNS1_3gpuE3ELNS1_3repE0EEENS1_30default_config_static_selectorELNS0_4arch9wavefront6targetE1EEEvSK_, .Lfunc_end304-_ZN7rocprim17ROCPRIM_400000_NS6detail17trampoline_kernelINS0_14default_configENS1_22reduce_config_selectorIdEEZNS1_11reduce_implILb1ES3_N6thrust23THRUST_200600_302600_NS6detail15normal_iteratorINS8_10device_ptrIdEEEEPiiNS8_4plusIiEEEE10hipError_tPvRmT1_T2_T3_mT4_P12ihipStream_tbEUlT_E0_NS1_11comp_targetILNS1_3genE9ELNS1_11target_archE1100ELNS1_3gpuE3ELNS1_3repE0EEENS1_30default_config_static_selectorELNS0_4arch9wavefront6targetE1EEEvSK_
                                        ; -- End function
	.set _ZN7rocprim17ROCPRIM_400000_NS6detail17trampoline_kernelINS0_14default_configENS1_22reduce_config_selectorIdEEZNS1_11reduce_implILb1ES3_N6thrust23THRUST_200600_302600_NS6detail15normal_iteratorINS8_10device_ptrIdEEEEPiiNS8_4plusIiEEEE10hipError_tPvRmT1_T2_T3_mT4_P12ihipStream_tbEUlT_E0_NS1_11comp_targetILNS1_3genE9ELNS1_11target_archE1100ELNS1_3gpuE3ELNS1_3repE0EEENS1_30default_config_static_selectorELNS0_4arch9wavefront6targetE1EEEvSK_.num_vgpr, 0
	.set _ZN7rocprim17ROCPRIM_400000_NS6detail17trampoline_kernelINS0_14default_configENS1_22reduce_config_selectorIdEEZNS1_11reduce_implILb1ES3_N6thrust23THRUST_200600_302600_NS6detail15normal_iteratorINS8_10device_ptrIdEEEEPiiNS8_4plusIiEEEE10hipError_tPvRmT1_T2_T3_mT4_P12ihipStream_tbEUlT_E0_NS1_11comp_targetILNS1_3genE9ELNS1_11target_archE1100ELNS1_3gpuE3ELNS1_3repE0EEENS1_30default_config_static_selectorELNS0_4arch9wavefront6targetE1EEEvSK_.num_agpr, 0
	.set _ZN7rocprim17ROCPRIM_400000_NS6detail17trampoline_kernelINS0_14default_configENS1_22reduce_config_selectorIdEEZNS1_11reduce_implILb1ES3_N6thrust23THRUST_200600_302600_NS6detail15normal_iteratorINS8_10device_ptrIdEEEEPiiNS8_4plusIiEEEE10hipError_tPvRmT1_T2_T3_mT4_P12ihipStream_tbEUlT_E0_NS1_11comp_targetILNS1_3genE9ELNS1_11target_archE1100ELNS1_3gpuE3ELNS1_3repE0EEENS1_30default_config_static_selectorELNS0_4arch9wavefront6targetE1EEEvSK_.numbered_sgpr, 0
	.set _ZN7rocprim17ROCPRIM_400000_NS6detail17trampoline_kernelINS0_14default_configENS1_22reduce_config_selectorIdEEZNS1_11reduce_implILb1ES3_N6thrust23THRUST_200600_302600_NS6detail15normal_iteratorINS8_10device_ptrIdEEEEPiiNS8_4plusIiEEEE10hipError_tPvRmT1_T2_T3_mT4_P12ihipStream_tbEUlT_E0_NS1_11comp_targetILNS1_3genE9ELNS1_11target_archE1100ELNS1_3gpuE3ELNS1_3repE0EEENS1_30default_config_static_selectorELNS0_4arch9wavefront6targetE1EEEvSK_.num_named_barrier, 0
	.set _ZN7rocprim17ROCPRIM_400000_NS6detail17trampoline_kernelINS0_14default_configENS1_22reduce_config_selectorIdEEZNS1_11reduce_implILb1ES3_N6thrust23THRUST_200600_302600_NS6detail15normal_iteratorINS8_10device_ptrIdEEEEPiiNS8_4plusIiEEEE10hipError_tPvRmT1_T2_T3_mT4_P12ihipStream_tbEUlT_E0_NS1_11comp_targetILNS1_3genE9ELNS1_11target_archE1100ELNS1_3gpuE3ELNS1_3repE0EEENS1_30default_config_static_selectorELNS0_4arch9wavefront6targetE1EEEvSK_.private_seg_size, 0
	.set _ZN7rocprim17ROCPRIM_400000_NS6detail17trampoline_kernelINS0_14default_configENS1_22reduce_config_selectorIdEEZNS1_11reduce_implILb1ES3_N6thrust23THRUST_200600_302600_NS6detail15normal_iteratorINS8_10device_ptrIdEEEEPiiNS8_4plusIiEEEE10hipError_tPvRmT1_T2_T3_mT4_P12ihipStream_tbEUlT_E0_NS1_11comp_targetILNS1_3genE9ELNS1_11target_archE1100ELNS1_3gpuE3ELNS1_3repE0EEENS1_30default_config_static_selectorELNS0_4arch9wavefront6targetE1EEEvSK_.uses_vcc, 0
	.set _ZN7rocprim17ROCPRIM_400000_NS6detail17trampoline_kernelINS0_14default_configENS1_22reduce_config_selectorIdEEZNS1_11reduce_implILb1ES3_N6thrust23THRUST_200600_302600_NS6detail15normal_iteratorINS8_10device_ptrIdEEEEPiiNS8_4plusIiEEEE10hipError_tPvRmT1_T2_T3_mT4_P12ihipStream_tbEUlT_E0_NS1_11comp_targetILNS1_3genE9ELNS1_11target_archE1100ELNS1_3gpuE3ELNS1_3repE0EEENS1_30default_config_static_selectorELNS0_4arch9wavefront6targetE1EEEvSK_.uses_flat_scratch, 0
	.set _ZN7rocprim17ROCPRIM_400000_NS6detail17trampoline_kernelINS0_14default_configENS1_22reduce_config_selectorIdEEZNS1_11reduce_implILb1ES3_N6thrust23THRUST_200600_302600_NS6detail15normal_iteratorINS8_10device_ptrIdEEEEPiiNS8_4plusIiEEEE10hipError_tPvRmT1_T2_T3_mT4_P12ihipStream_tbEUlT_E0_NS1_11comp_targetILNS1_3genE9ELNS1_11target_archE1100ELNS1_3gpuE3ELNS1_3repE0EEENS1_30default_config_static_selectorELNS0_4arch9wavefront6targetE1EEEvSK_.has_dyn_sized_stack, 0
	.set _ZN7rocprim17ROCPRIM_400000_NS6detail17trampoline_kernelINS0_14default_configENS1_22reduce_config_selectorIdEEZNS1_11reduce_implILb1ES3_N6thrust23THRUST_200600_302600_NS6detail15normal_iteratorINS8_10device_ptrIdEEEEPiiNS8_4plusIiEEEE10hipError_tPvRmT1_T2_T3_mT4_P12ihipStream_tbEUlT_E0_NS1_11comp_targetILNS1_3genE9ELNS1_11target_archE1100ELNS1_3gpuE3ELNS1_3repE0EEENS1_30default_config_static_selectorELNS0_4arch9wavefront6targetE1EEEvSK_.has_recursion, 0
	.set _ZN7rocprim17ROCPRIM_400000_NS6detail17trampoline_kernelINS0_14default_configENS1_22reduce_config_selectorIdEEZNS1_11reduce_implILb1ES3_N6thrust23THRUST_200600_302600_NS6detail15normal_iteratorINS8_10device_ptrIdEEEEPiiNS8_4plusIiEEEE10hipError_tPvRmT1_T2_T3_mT4_P12ihipStream_tbEUlT_E0_NS1_11comp_targetILNS1_3genE9ELNS1_11target_archE1100ELNS1_3gpuE3ELNS1_3repE0EEENS1_30default_config_static_selectorELNS0_4arch9wavefront6targetE1EEEvSK_.has_indirect_call, 0
	.section	.AMDGPU.csdata,"",@progbits
; Kernel info:
; codeLenInByte = 0
; TotalNumSgprs: 6
; NumVgprs: 0
; NumAgprs: 0
; TotalNumVgprs: 0
; ScratchSize: 0
; MemoryBound: 0
; FloatMode: 240
; IeeeMode: 1
; LDSByteSize: 0 bytes/workgroup (compile time only)
; SGPRBlocks: 0
; VGPRBlocks: 0
; NumSGPRsForWavesPerEU: 6
; NumVGPRsForWavesPerEU: 1
; AccumOffset: 4
; Occupancy: 8
; WaveLimiterHint : 0
; COMPUTE_PGM_RSRC2:SCRATCH_EN: 0
; COMPUTE_PGM_RSRC2:USER_SGPR: 2
; COMPUTE_PGM_RSRC2:TRAP_HANDLER: 0
; COMPUTE_PGM_RSRC2:TGID_X_EN: 1
; COMPUTE_PGM_RSRC2:TGID_Y_EN: 0
; COMPUTE_PGM_RSRC2:TGID_Z_EN: 0
; COMPUTE_PGM_RSRC2:TIDIG_COMP_CNT: 0
; COMPUTE_PGM_RSRC3_GFX90A:ACCUM_OFFSET: 0
; COMPUTE_PGM_RSRC3_GFX90A:TG_SPLIT: 0
	.section	.text._ZN7rocprim17ROCPRIM_400000_NS6detail17trampoline_kernelINS0_14default_configENS1_22reduce_config_selectorIdEEZNS1_11reduce_implILb1ES3_N6thrust23THRUST_200600_302600_NS6detail15normal_iteratorINS8_10device_ptrIdEEEEPiiNS8_4plusIiEEEE10hipError_tPvRmT1_T2_T3_mT4_P12ihipStream_tbEUlT_E0_NS1_11comp_targetILNS1_3genE8ELNS1_11target_archE1030ELNS1_3gpuE2ELNS1_3repE0EEENS1_30default_config_static_selectorELNS0_4arch9wavefront6targetE1EEEvSK_,"axG",@progbits,_ZN7rocprim17ROCPRIM_400000_NS6detail17trampoline_kernelINS0_14default_configENS1_22reduce_config_selectorIdEEZNS1_11reduce_implILb1ES3_N6thrust23THRUST_200600_302600_NS6detail15normal_iteratorINS8_10device_ptrIdEEEEPiiNS8_4plusIiEEEE10hipError_tPvRmT1_T2_T3_mT4_P12ihipStream_tbEUlT_E0_NS1_11comp_targetILNS1_3genE8ELNS1_11target_archE1030ELNS1_3gpuE2ELNS1_3repE0EEENS1_30default_config_static_selectorELNS0_4arch9wavefront6targetE1EEEvSK_,comdat
	.protected	_ZN7rocprim17ROCPRIM_400000_NS6detail17trampoline_kernelINS0_14default_configENS1_22reduce_config_selectorIdEEZNS1_11reduce_implILb1ES3_N6thrust23THRUST_200600_302600_NS6detail15normal_iteratorINS8_10device_ptrIdEEEEPiiNS8_4plusIiEEEE10hipError_tPvRmT1_T2_T3_mT4_P12ihipStream_tbEUlT_E0_NS1_11comp_targetILNS1_3genE8ELNS1_11target_archE1030ELNS1_3gpuE2ELNS1_3repE0EEENS1_30default_config_static_selectorELNS0_4arch9wavefront6targetE1EEEvSK_ ; -- Begin function _ZN7rocprim17ROCPRIM_400000_NS6detail17trampoline_kernelINS0_14default_configENS1_22reduce_config_selectorIdEEZNS1_11reduce_implILb1ES3_N6thrust23THRUST_200600_302600_NS6detail15normal_iteratorINS8_10device_ptrIdEEEEPiiNS8_4plusIiEEEE10hipError_tPvRmT1_T2_T3_mT4_P12ihipStream_tbEUlT_E0_NS1_11comp_targetILNS1_3genE8ELNS1_11target_archE1030ELNS1_3gpuE2ELNS1_3repE0EEENS1_30default_config_static_selectorELNS0_4arch9wavefront6targetE1EEEvSK_
	.globl	_ZN7rocprim17ROCPRIM_400000_NS6detail17trampoline_kernelINS0_14default_configENS1_22reduce_config_selectorIdEEZNS1_11reduce_implILb1ES3_N6thrust23THRUST_200600_302600_NS6detail15normal_iteratorINS8_10device_ptrIdEEEEPiiNS8_4plusIiEEEE10hipError_tPvRmT1_T2_T3_mT4_P12ihipStream_tbEUlT_E0_NS1_11comp_targetILNS1_3genE8ELNS1_11target_archE1030ELNS1_3gpuE2ELNS1_3repE0EEENS1_30default_config_static_selectorELNS0_4arch9wavefront6targetE1EEEvSK_
	.p2align	8
	.type	_ZN7rocprim17ROCPRIM_400000_NS6detail17trampoline_kernelINS0_14default_configENS1_22reduce_config_selectorIdEEZNS1_11reduce_implILb1ES3_N6thrust23THRUST_200600_302600_NS6detail15normal_iteratorINS8_10device_ptrIdEEEEPiiNS8_4plusIiEEEE10hipError_tPvRmT1_T2_T3_mT4_P12ihipStream_tbEUlT_E0_NS1_11comp_targetILNS1_3genE8ELNS1_11target_archE1030ELNS1_3gpuE2ELNS1_3repE0EEENS1_30default_config_static_selectorELNS0_4arch9wavefront6targetE1EEEvSK_,@function
_ZN7rocprim17ROCPRIM_400000_NS6detail17trampoline_kernelINS0_14default_configENS1_22reduce_config_selectorIdEEZNS1_11reduce_implILb1ES3_N6thrust23THRUST_200600_302600_NS6detail15normal_iteratorINS8_10device_ptrIdEEEEPiiNS8_4plusIiEEEE10hipError_tPvRmT1_T2_T3_mT4_P12ihipStream_tbEUlT_E0_NS1_11comp_targetILNS1_3genE8ELNS1_11target_archE1030ELNS1_3gpuE2ELNS1_3repE0EEENS1_30default_config_static_selectorELNS0_4arch9wavefront6targetE1EEEvSK_: ; @_ZN7rocprim17ROCPRIM_400000_NS6detail17trampoline_kernelINS0_14default_configENS1_22reduce_config_selectorIdEEZNS1_11reduce_implILb1ES3_N6thrust23THRUST_200600_302600_NS6detail15normal_iteratorINS8_10device_ptrIdEEEEPiiNS8_4plusIiEEEE10hipError_tPvRmT1_T2_T3_mT4_P12ihipStream_tbEUlT_E0_NS1_11comp_targetILNS1_3genE8ELNS1_11target_archE1030ELNS1_3gpuE2ELNS1_3repE0EEENS1_30default_config_static_selectorELNS0_4arch9wavefront6targetE1EEEvSK_
; %bb.0:
	.section	.rodata,"a",@progbits
	.p2align	6, 0x0
	.amdhsa_kernel _ZN7rocprim17ROCPRIM_400000_NS6detail17trampoline_kernelINS0_14default_configENS1_22reduce_config_selectorIdEEZNS1_11reduce_implILb1ES3_N6thrust23THRUST_200600_302600_NS6detail15normal_iteratorINS8_10device_ptrIdEEEEPiiNS8_4plusIiEEEE10hipError_tPvRmT1_T2_T3_mT4_P12ihipStream_tbEUlT_E0_NS1_11comp_targetILNS1_3genE8ELNS1_11target_archE1030ELNS1_3gpuE2ELNS1_3repE0EEENS1_30default_config_static_selectorELNS0_4arch9wavefront6targetE1EEEvSK_
		.amdhsa_group_segment_fixed_size 0
		.amdhsa_private_segment_fixed_size 0
		.amdhsa_kernarg_size 56
		.amdhsa_user_sgpr_count 2
		.amdhsa_user_sgpr_dispatch_ptr 0
		.amdhsa_user_sgpr_queue_ptr 0
		.amdhsa_user_sgpr_kernarg_segment_ptr 1
		.amdhsa_user_sgpr_dispatch_id 0
		.amdhsa_user_sgpr_kernarg_preload_length 0
		.amdhsa_user_sgpr_kernarg_preload_offset 0
		.amdhsa_user_sgpr_private_segment_size 0
		.amdhsa_uses_dynamic_stack 0
		.amdhsa_enable_private_segment 0
		.amdhsa_system_sgpr_workgroup_id_x 1
		.amdhsa_system_sgpr_workgroup_id_y 0
		.amdhsa_system_sgpr_workgroup_id_z 0
		.amdhsa_system_sgpr_workgroup_info 0
		.amdhsa_system_vgpr_workitem_id 0
		.amdhsa_next_free_vgpr 1
		.amdhsa_next_free_sgpr 0
		.amdhsa_accum_offset 4
		.amdhsa_reserve_vcc 0
		.amdhsa_float_round_mode_32 0
		.amdhsa_float_round_mode_16_64 0
		.amdhsa_float_denorm_mode_32 3
		.amdhsa_float_denorm_mode_16_64 3
		.amdhsa_dx10_clamp 1
		.amdhsa_ieee_mode 1
		.amdhsa_fp16_overflow 0
		.amdhsa_tg_split 0
		.amdhsa_exception_fp_ieee_invalid_op 0
		.amdhsa_exception_fp_denorm_src 0
		.amdhsa_exception_fp_ieee_div_zero 0
		.amdhsa_exception_fp_ieee_overflow 0
		.amdhsa_exception_fp_ieee_underflow 0
		.amdhsa_exception_fp_ieee_inexact 0
		.amdhsa_exception_int_div_zero 0
	.end_amdhsa_kernel
	.section	.text._ZN7rocprim17ROCPRIM_400000_NS6detail17trampoline_kernelINS0_14default_configENS1_22reduce_config_selectorIdEEZNS1_11reduce_implILb1ES3_N6thrust23THRUST_200600_302600_NS6detail15normal_iteratorINS8_10device_ptrIdEEEEPiiNS8_4plusIiEEEE10hipError_tPvRmT1_T2_T3_mT4_P12ihipStream_tbEUlT_E0_NS1_11comp_targetILNS1_3genE8ELNS1_11target_archE1030ELNS1_3gpuE2ELNS1_3repE0EEENS1_30default_config_static_selectorELNS0_4arch9wavefront6targetE1EEEvSK_,"axG",@progbits,_ZN7rocprim17ROCPRIM_400000_NS6detail17trampoline_kernelINS0_14default_configENS1_22reduce_config_selectorIdEEZNS1_11reduce_implILb1ES3_N6thrust23THRUST_200600_302600_NS6detail15normal_iteratorINS8_10device_ptrIdEEEEPiiNS8_4plusIiEEEE10hipError_tPvRmT1_T2_T3_mT4_P12ihipStream_tbEUlT_E0_NS1_11comp_targetILNS1_3genE8ELNS1_11target_archE1030ELNS1_3gpuE2ELNS1_3repE0EEENS1_30default_config_static_selectorELNS0_4arch9wavefront6targetE1EEEvSK_,comdat
.Lfunc_end305:
	.size	_ZN7rocprim17ROCPRIM_400000_NS6detail17trampoline_kernelINS0_14default_configENS1_22reduce_config_selectorIdEEZNS1_11reduce_implILb1ES3_N6thrust23THRUST_200600_302600_NS6detail15normal_iteratorINS8_10device_ptrIdEEEEPiiNS8_4plusIiEEEE10hipError_tPvRmT1_T2_T3_mT4_P12ihipStream_tbEUlT_E0_NS1_11comp_targetILNS1_3genE8ELNS1_11target_archE1030ELNS1_3gpuE2ELNS1_3repE0EEENS1_30default_config_static_selectorELNS0_4arch9wavefront6targetE1EEEvSK_, .Lfunc_end305-_ZN7rocprim17ROCPRIM_400000_NS6detail17trampoline_kernelINS0_14default_configENS1_22reduce_config_selectorIdEEZNS1_11reduce_implILb1ES3_N6thrust23THRUST_200600_302600_NS6detail15normal_iteratorINS8_10device_ptrIdEEEEPiiNS8_4plusIiEEEE10hipError_tPvRmT1_T2_T3_mT4_P12ihipStream_tbEUlT_E0_NS1_11comp_targetILNS1_3genE8ELNS1_11target_archE1030ELNS1_3gpuE2ELNS1_3repE0EEENS1_30default_config_static_selectorELNS0_4arch9wavefront6targetE1EEEvSK_
                                        ; -- End function
	.set _ZN7rocprim17ROCPRIM_400000_NS6detail17trampoline_kernelINS0_14default_configENS1_22reduce_config_selectorIdEEZNS1_11reduce_implILb1ES3_N6thrust23THRUST_200600_302600_NS6detail15normal_iteratorINS8_10device_ptrIdEEEEPiiNS8_4plusIiEEEE10hipError_tPvRmT1_T2_T3_mT4_P12ihipStream_tbEUlT_E0_NS1_11comp_targetILNS1_3genE8ELNS1_11target_archE1030ELNS1_3gpuE2ELNS1_3repE0EEENS1_30default_config_static_selectorELNS0_4arch9wavefront6targetE1EEEvSK_.num_vgpr, 0
	.set _ZN7rocprim17ROCPRIM_400000_NS6detail17trampoline_kernelINS0_14default_configENS1_22reduce_config_selectorIdEEZNS1_11reduce_implILb1ES3_N6thrust23THRUST_200600_302600_NS6detail15normal_iteratorINS8_10device_ptrIdEEEEPiiNS8_4plusIiEEEE10hipError_tPvRmT1_T2_T3_mT4_P12ihipStream_tbEUlT_E0_NS1_11comp_targetILNS1_3genE8ELNS1_11target_archE1030ELNS1_3gpuE2ELNS1_3repE0EEENS1_30default_config_static_selectorELNS0_4arch9wavefront6targetE1EEEvSK_.num_agpr, 0
	.set _ZN7rocprim17ROCPRIM_400000_NS6detail17trampoline_kernelINS0_14default_configENS1_22reduce_config_selectorIdEEZNS1_11reduce_implILb1ES3_N6thrust23THRUST_200600_302600_NS6detail15normal_iteratorINS8_10device_ptrIdEEEEPiiNS8_4plusIiEEEE10hipError_tPvRmT1_T2_T3_mT4_P12ihipStream_tbEUlT_E0_NS1_11comp_targetILNS1_3genE8ELNS1_11target_archE1030ELNS1_3gpuE2ELNS1_3repE0EEENS1_30default_config_static_selectorELNS0_4arch9wavefront6targetE1EEEvSK_.numbered_sgpr, 0
	.set _ZN7rocprim17ROCPRIM_400000_NS6detail17trampoline_kernelINS0_14default_configENS1_22reduce_config_selectorIdEEZNS1_11reduce_implILb1ES3_N6thrust23THRUST_200600_302600_NS6detail15normal_iteratorINS8_10device_ptrIdEEEEPiiNS8_4plusIiEEEE10hipError_tPvRmT1_T2_T3_mT4_P12ihipStream_tbEUlT_E0_NS1_11comp_targetILNS1_3genE8ELNS1_11target_archE1030ELNS1_3gpuE2ELNS1_3repE0EEENS1_30default_config_static_selectorELNS0_4arch9wavefront6targetE1EEEvSK_.num_named_barrier, 0
	.set _ZN7rocprim17ROCPRIM_400000_NS6detail17trampoline_kernelINS0_14default_configENS1_22reduce_config_selectorIdEEZNS1_11reduce_implILb1ES3_N6thrust23THRUST_200600_302600_NS6detail15normal_iteratorINS8_10device_ptrIdEEEEPiiNS8_4plusIiEEEE10hipError_tPvRmT1_T2_T3_mT4_P12ihipStream_tbEUlT_E0_NS1_11comp_targetILNS1_3genE8ELNS1_11target_archE1030ELNS1_3gpuE2ELNS1_3repE0EEENS1_30default_config_static_selectorELNS0_4arch9wavefront6targetE1EEEvSK_.private_seg_size, 0
	.set _ZN7rocprim17ROCPRIM_400000_NS6detail17trampoline_kernelINS0_14default_configENS1_22reduce_config_selectorIdEEZNS1_11reduce_implILb1ES3_N6thrust23THRUST_200600_302600_NS6detail15normal_iteratorINS8_10device_ptrIdEEEEPiiNS8_4plusIiEEEE10hipError_tPvRmT1_T2_T3_mT4_P12ihipStream_tbEUlT_E0_NS1_11comp_targetILNS1_3genE8ELNS1_11target_archE1030ELNS1_3gpuE2ELNS1_3repE0EEENS1_30default_config_static_selectorELNS0_4arch9wavefront6targetE1EEEvSK_.uses_vcc, 0
	.set _ZN7rocprim17ROCPRIM_400000_NS6detail17trampoline_kernelINS0_14default_configENS1_22reduce_config_selectorIdEEZNS1_11reduce_implILb1ES3_N6thrust23THRUST_200600_302600_NS6detail15normal_iteratorINS8_10device_ptrIdEEEEPiiNS8_4plusIiEEEE10hipError_tPvRmT1_T2_T3_mT4_P12ihipStream_tbEUlT_E0_NS1_11comp_targetILNS1_3genE8ELNS1_11target_archE1030ELNS1_3gpuE2ELNS1_3repE0EEENS1_30default_config_static_selectorELNS0_4arch9wavefront6targetE1EEEvSK_.uses_flat_scratch, 0
	.set _ZN7rocprim17ROCPRIM_400000_NS6detail17trampoline_kernelINS0_14default_configENS1_22reduce_config_selectorIdEEZNS1_11reduce_implILb1ES3_N6thrust23THRUST_200600_302600_NS6detail15normal_iteratorINS8_10device_ptrIdEEEEPiiNS8_4plusIiEEEE10hipError_tPvRmT1_T2_T3_mT4_P12ihipStream_tbEUlT_E0_NS1_11comp_targetILNS1_3genE8ELNS1_11target_archE1030ELNS1_3gpuE2ELNS1_3repE0EEENS1_30default_config_static_selectorELNS0_4arch9wavefront6targetE1EEEvSK_.has_dyn_sized_stack, 0
	.set _ZN7rocprim17ROCPRIM_400000_NS6detail17trampoline_kernelINS0_14default_configENS1_22reduce_config_selectorIdEEZNS1_11reduce_implILb1ES3_N6thrust23THRUST_200600_302600_NS6detail15normal_iteratorINS8_10device_ptrIdEEEEPiiNS8_4plusIiEEEE10hipError_tPvRmT1_T2_T3_mT4_P12ihipStream_tbEUlT_E0_NS1_11comp_targetILNS1_3genE8ELNS1_11target_archE1030ELNS1_3gpuE2ELNS1_3repE0EEENS1_30default_config_static_selectorELNS0_4arch9wavefront6targetE1EEEvSK_.has_recursion, 0
	.set _ZN7rocprim17ROCPRIM_400000_NS6detail17trampoline_kernelINS0_14default_configENS1_22reduce_config_selectorIdEEZNS1_11reduce_implILb1ES3_N6thrust23THRUST_200600_302600_NS6detail15normal_iteratorINS8_10device_ptrIdEEEEPiiNS8_4plusIiEEEE10hipError_tPvRmT1_T2_T3_mT4_P12ihipStream_tbEUlT_E0_NS1_11comp_targetILNS1_3genE8ELNS1_11target_archE1030ELNS1_3gpuE2ELNS1_3repE0EEENS1_30default_config_static_selectorELNS0_4arch9wavefront6targetE1EEEvSK_.has_indirect_call, 0
	.section	.AMDGPU.csdata,"",@progbits
; Kernel info:
; codeLenInByte = 0
; TotalNumSgprs: 6
; NumVgprs: 0
; NumAgprs: 0
; TotalNumVgprs: 0
; ScratchSize: 0
; MemoryBound: 0
; FloatMode: 240
; IeeeMode: 1
; LDSByteSize: 0 bytes/workgroup (compile time only)
; SGPRBlocks: 0
; VGPRBlocks: 0
; NumSGPRsForWavesPerEU: 6
; NumVGPRsForWavesPerEU: 1
; AccumOffset: 4
; Occupancy: 8
; WaveLimiterHint : 0
; COMPUTE_PGM_RSRC2:SCRATCH_EN: 0
; COMPUTE_PGM_RSRC2:USER_SGPR: 2
; COMPUTE_PGM_RSRC2:TRAP_HANDLER: 0
; COMPUTE_PGM_RSRC2:TGID_X_EN: 1
; COMPUTE_PGM_RSRC2:TGID_Y_EN: 0
; COMPUTE_PGM_RSRC2:TGID_Z_EN: 0
; COMPUTE_PGM_RSRC2:TIDIG_COMP_CNT: 0
; COMPUTE_PGM_RSRC3_GFX90A:ACCUM_OFFSET: 0
; COMPUTE_PGM_RSRC3_GFX90A:TG_SPLIT: 0
	.section	.text._ZN7rocprim17ROCPRIM_400000_NS6detail17trampoline_kernelINS0_14default_configENS1_22reduce_config_selectorIdEEZNS1_11reduce_implILb1ES3_N6thrust23THRUST_200600_302600_NS6detail15normal_iteratorINS8_10device_ptrIdEEEEPiiNS8_4plusIiEEEE10hipError_tPvRmT1_T2_T3_mT4_P12ihipStream_tbEUlT_E1_NS1_11comp_targetILNS1_3genE0ELNS1_11target_archE4294967295ELNS1_3gpuE0ELNS1_3repE0EEENS1_30default_config_static_selectorELNS0_4arch9wavefront6targetE1EEEvSK_,"axG",@progbits,_ZN7rocprim17ROCPRIM_400000_NS6detail17trampoline_kernelINS0_14default_configENS1_22reduce_config_selectorIdEEZNS1_11reduce_implILb1ES3_N6thrust23THRUST_200600_302600_NS6detail15normal_iteratorINS8_10device_ptrIdEEEEPiiNS8_4plusIiEEEE10hipError_tPvRmT1_T2_T3_mT4_P12ihipStream_tbEUlT_E1_NS1_11comp_targetILNS1_3genE0ELNS1_11target_archE4294967295ELNS1_3gpuE0ELNS1_3repE0EEENS1_30default_config_static_selectorELNS0_4arch9wavefront6targetE1EEEvSK_,comdat
	.protected	_ZN7rocprim17ROCPRIM_400000_NS6detail17trampoline_kernelINS0_14default_configENS1_22reduce_config_selectorIdEEZNS1_11reduce_implILb1ES3_N6thrust23THRUST_200600_302600_NS6detail15normal_iteratorINS8_10device_ptrIdEEEEPiiNS8_4plusIiEEEE10hipError_tPvRmT1_T2_T3_mT4_P12ihipStream_tbEUlT_E1_NS1_11comp_targetILNS1_3genE0ELNS1_11target_archE4294967295ELNS1_3gpuE0ELNS1_3repE0EEENS1_30default_config_static_selectorELNS0_4arch9wavefront6targetE1EEEvSK_ ; -- Begin function _ZN7rocprim17ROCPRIM_400000_NS6detail17trampoline_kernelINS0_14default_configENS1_22reduce_config_selectorIdEEZNS1_11reduce_implILb1ES3_N6thrust23THRUST_200600_302600_NS6detail15normal_iteratorINS8_10device_ptrIdEEEEPiiNS8_4plusIiEEEE10hipError_tPvRmT1_T2_T3_mT4_P12ihipStream_tbEUlT_E1_NS1_11comp_targetILNS1_3genE0ELNS1_11target_archE4294967295ELNS1_3gpuE0ELNS1_3repE0EEENS1_30default_config_static_selectorELNS0_4arch9wavefront6targetE1EEEvSK_
	.globl	_ZN7rocprim17ROCPRIM_400000_NS6detail17trampoline_kernelINS0_14default_configENS1_22reduce_config_selectorIdEEZNS1_11reduce_implILb1ES3_N6thrust23THRUST_200600_302600_NS6detail15normal_iteratorINS8_10device_ptrIdEEEEPiiNS8_4plusIiEEEE10hipError_tPvRmT1_T2_T3_mT4_P12ihipStream_tbEUlT_E1_NS1_11comp_targetILNS1_3genE0ELNS1_11target_archE4294967295ELNS1_3gpuE0ELNS1_3repE0EEENS1_30default_config_static_selectorELNS0_4arch9wavefront6targetE1EEEvSK_
	.p2align	8
	.type	_ZN7rocprim17ROCPRIM_400000_NS6detail17trampoline_kernelINS0_14default_configENS1_22reduce_config_selectorIdEEZNS1_11reduce_implILb1ES3_N6thrust23THRUST_200600_302600_NS6detail15normal_iteratorINS8_10device_ptrIdEEEEPiiNS8_4plusIiEEEE10hipError_tPvRmT1_T2_T3_mT4_P12ihipStream_tbEUlT_E1_NS1_11comp_targetILNS1_3genE0ELNS1_11target_archE4294967295ELNS1_3gpuE0ELNS1_3repE0EEENS1_30default_config_static_selectorELNS0_4arch9wavefront6targetE1EEEvSK_,@function
_ZN7rocprim17ROCPRIM_400000_NS6detail17trampoline_kernelINS0_14default_configENS1_22reduce_config_selectorIdEEZNS1_11reduce_implILb1ES3_N6thrust23THRUST_200600_302600_NS6detail15normal_iteratorINS8_10device_ptrIdEEEEPiiNS8_4plusIiEEEE10hipError_tPvRmT1_T2_T3_mT4_P12ihipStream_tbEUlT_E1_NS1_11comp_targetILNS1_3genE0ELNS1_11target_archE4294967295ELNS1_3gpuE0ELNS1_3repE0EEENS1_30default_config_static_selectorELNS0_4arch9wavefront6targetE1EEEvSK_: ; @_ZN7rocprim17ROCPRIM_400000_NS6detail17trampoline_kernelINS0_14default_configENS1_22reduce_config_selectorIdEEZNS1_11reduce_implILb1ES3_N6thrust23THRUST_200600_302600_NS6detail15normal_iteratorINS8_10device_ptrIdEEEEPiiNS8_4plusIiEEEE10hipError_tPvRmT1_T2_T3_mT4_P12ihipStream_tbEUlT_E1_NS1_11comp_targetILNS1_3genE0ELNS1_11target_archE4294967295ELNS1_3gpuE0ELNS1_3repE0EEENS1_30default_config_static_selectorELNS0_4arch9wavefront6targetE1EEEvSK_
; %bb.0:
	s_load_dword s33, s[0:1], 0x4
	s_load_dwordx4 s[36:39], s[0:1], 0x8
	s_waitcnt lgkmcnt(0)
	s_cmp_lt_i32 s33, 4
	s_cbranch_scc1 .LBB306_11
; %bb.1:
	s_cmp_gt_i32 s33, 7
	s_cbranch_scc0 .LBB306_12
; %bb.2:
	s_cmp_gt_i32 s33, 15
	s_cbranch_scc0 .LBB306_13
; %bb.3:
	s_cmp_eq_u32 s33, 16
	s_mov_b64 s[34:35], 0
	s_cbranch_scc0 .LBB306_14
; %bb.4:
	s_mov_b32 s3, 0
	s_lshl_b32 s4, s2, 12
	s_mov_b32 s5, s3
	s_lshr_b64 s[6:7], s[38:39], 12
	s_lshl_b64 s[8:9], s[4:5], 3
	s_add_u32 s40, s36, s8
	s_addc_u32 s41, s37, s9
	s_cmp_lg_u64 s[6:7], s[2:3]
	s_cbranch_scc0 .LBB306_23
; %bb.5:
	v_lshlrev_b32_e32 v2, 3, v0
	v_mov_b32_e32 v3, 0
	v_lshl_add_u64 v[4:5], s[40:41], 0, v[2:3]
	global_load_dwordx2 v[6:7], v2, s[40:41]
	global_load_dwordx2 v[8:9], v2, s[40:41] offset:2048
	v_add_co_u32_e32 v2, vcc, 0x1000, v4
	v_mbcnt_lo_u32_b32 v1, -1, 0
	s_nop 0
	v_addc_co_u32_e32 v3, vcc, 0, v5, vcc
	v_add_co_u32_e32 v10, vcc, 0x2000, v4
	s_nop 1
	v_addc_co_u32_e32 v11, vcc, 0, v5, vcc
	global_load_dwordx2 v[12:13], v[2:3], off
	global_load_dwordx2 v[14:15], v[2:3], off offset:2048
	global_load_dwordx2 v[16:17], v[10:11], off
	global_load_dwordx2 v[18:19], v[10:11], off offset:2048
	v_add_co_u32_e32 v2, vcc, 0x3000, v4
	s_nop 1
	v_addc_co_u32_e32 v3, vcc, 0, v5, vcc
	v_add_co_u32_e32 v10, vcc, 0x4000, v4
	s_nop 1
	v_addc_co_u32_e32 v11, vcc, 0, v5, vcc
	global_load_dwordx2 v[20:21], v[2:3], off
	global_load_dwordx2 v[22:23], v[2:3], off offset:2048
	global_load_dwordx2 v[24:25], v[10:11], off
	global_load_dwordx2 v[26:27], v[10:11], off offset:2048
	v_add_co_u32_e32 v2, vcc, 0x5000, v4
	;; [unrolled: 10-line block ×3, first 2 shown]
	s_nop 1
	v_addc_co_u32_e32 v3, vcc, 0, v5, vcc
	global_load_dwordx2 v[4:5], v[2:3], off
	global_load_dwordx2 v[10:11], v[2:3], off offset:2048
	v_mbcnt_hi_u32_b32 v2, -1, v1
	v_lshlrev_b32_e32 v3, 2, v2
	v_cmp_eq_u32_e32 vcc, 0, v2
	s_waitcnt vmcnt(15)
	v_cvt_i32_f64_e32 v1, v[6:7]
	s_waitcnt vmcnt(14)
	v_cvt_i32_f64_e32 v6, v[8:9]
	v_add_u32_e32 v1, v6, v1
	s_waitcnt vmcnt(13)
	v_cvt_i32_f64_e32 v6, v[12:13]
	s_waitcnt vmcnt(12)
	v_cvt_i32_f64_e32 v7, v[14:15]
	s_waitcnt vmcnt(11)
	v_cvt_i32_f64_e32 v8, v[16:17]
	s_waitcnt vmcnt(10)
	v_cvt_i32_f64_e32 v9, v[18:19]
	v_add3_u32 v1, v1, v6, v7
	v_add3_u32 v1, v1, v8, v9
	s_waitcnt vmcnt(9)
	v_cvt_i32_f64_e32 v6, v[20:21]
	s_waitcnt vmcnt(8)
	v_cvt_i32_f64_e32 v7, v[22:23]
	s_waitcnt vmcnt(7)
	v_cvt_i32_f64_e32 v8, v[24:25]
	s_waitcnt vmcnt(6)
	v_cvt_i32_f64_e32 v9, v[26:27]
	v_add3_u32 v1, v1, v6, v7
	v_add3_u32 v1, v1, v8, v9
	;; [unrolled: 10-line block ×3, first 2 shown]
	s_waitcnt vmcnt(1)
	v_cvt_i32_f64_e32 v4, v[4:5]
	s_waitcnt vmcnt(0)
	v_cvt_i32_f64_e32 v5, v[10:11]
	v_add3_u32 v1, v1, v4, v5
	v_or_b32_e32 v4, 0xfc, v3
	s_nop 0
	v_add_u32_dpp v1, v1, v1 quad_perm:[1,0,3,2] row_mask:0xf bank_mask:0xf bound_ctrl:1
	s_nop 1
	v_add_u32_dpp v1, v1, v1 quad_perm:[2,3,0,1] row_mask:0xf bank_mask:0xf bound_ctrl:1
	s_nop 1
	v_add_u32_dpp v1, v1, v1 row_ror:4 row_mask:0xf bank_mask:0xf bound_ctrl:1
	s_nop 1
	v_add_u32_dpp v1, v1, v1 row_ror:8 row_mask:0xf bank_mask:0xf bound_ctrl:1
	s_nop 1
	v_add_u32_dpp v1, v1, v1 row_bcast:15 row_mask:0xf bank_mask:0xf bound_ctrl:1
	s_nop 1
	v_add_u32_dpp v1, v1, v1 row_bcast:31 row_mask:0xf bank_mask:0xf bound_ctrl:1
	ds_bpermute_b32 v1, v4, v1
	s_and_saveexec_b64 s[6:7], vcc
	s_cbranch_execz .LBB306_7
; %bb.6:
	v_lshrrev_b32_e32 v4, 4, v0
	v_and_b32_e32 v4, 12, v4
	s_waitcnt lgkmcnt(0)
	ds_write_b32 v4, v1
.LBB306_7:
	s_or_b64 exec, exec, s[6:7]
	v_cmp_gt_u32_e32 vcc, 64, v0
	s_waitcnt lgkmcnt(0)
	s_barrier
	s_and_saveexec_b64 s[6:7], vcc
	s_cbranch_execz .LBB306_9
; %bb.8:
	v_and_b32_e32 v1, 3, v2
	v_lshlrev_b32_e32 v4, 2, v1
	ds_read_b32 v4, v4
	v_cmp_ne_u32_e32 vcc, 3, v1
	s_nop 1
	v_addc_co_u32_e32 v1, vcc, 0, v2, vcc
	v_lshlrev_b32_e32 v1, 2, v1
	s_waitcnt lgkmcnt(0)
	ds_bpermute_b32 v1, v1, v4
	v_or_b32_e32 v2, 8, v3
	s_waitcnt lgkmcnt(0)
	v_add_u32_e32 v1, v1, v4
	ds_bpermute_b32 v2, v2, v1
	s_waitcnt lgkmcnt(0)
	v_add_u32_e32 v1, v2, v1
.LBB306_9:
	s_or_b64 exec, exec, s[6:7]
.LBB306_10:
	v_cmp_eq_u32_e64 s[4:5], 0, v0
	s_and_b64 vcc, exec, s[34:35]
	s_cbranch_vccnz .LBB306_15
	s_branch .LBB306_61
.LBB306_11:
	s_mov_b64 s[4:5], 0
                                        ; implicit-def: $vgpr1
	s_cbranch_execnz .LBB306_110
	s_branch .LBB306_140
.LBB306_12:
	s_mov_b64 s[4:5], 0
                                        ; implicit-def: $vgpr1
	s_cbranch_execnz .LBB306_86
	s_branch .LBB306_94
.LBB306_13:
	s_mov_b64 s[34:35], -1
.LBB306_14:
	s_mov_b64 s[4:5], 0
                                        ; implicit-def: $vgpr1
	s_and_b64 vcc, exec, s[34:35]
	s_cbranch_vccz .LBB306_61
.LBB306_15:
	s_cmp_eq_u32 s33, 8
	s_cbranch_scc0 .LBB306_22
; %bb.16:
	s_mov_b32 s3, 0
	s_lshl_b32 s4, s2, 11
	s_mov_b32 s5, s3
	s_lshr_b64 s[6:7], s[38:39], 11
	s_lshl_b64 s[8:9], s[4:5], 3
	s_add_u32 s16, s36, s8
	s_addc_u32 s17, s37, s9
	s_cmp_lg_u64 s[6:7], s[2:3]
	s_cbranch_scc0 .LBB306_62
; %bb.17:
	v_lshlrev_b32_e32 v2, 3, v0
	v_mov_b32_e32 v3, 0
	v_lshl_add_u64 v[4:5], s[16:17], 0, v[2:3]
	global_load_dwordx2 v[6:7], v2, s[16:17]
	global_load_dwordx2 v[8:9], v2, s[16:17] offset:2048
	v_add_co_u32_e32 v2, vcc, 0x1000, v4
	v_mbcnt_lo_u32_b32 v1, -1, 0
	s_nop 0
	v_addc_co_u32_e32 v3, vcc, 0, v5, vcc
	v_add_co_u32_e32 v10, vcc, 0x2000, v4
	s_nop 1
	v_addc_co_u32_e32 v11, vcc, 0, v5, vcc
	global_load_dwordx2 v[12:13], v[2:3], off
	global_load_dwordx2 v[14:15], v[2:3], off offset:2048
	global_load_dwordx2 v[16:17], v[10:11], off
	global_load_dwordx2 v[18:19], v[10:11], off offset:2048
	v_add_co_u32_e32 v2, vcc, 0x3000, v4
	s_nop 1
	v_addc_co_u32_e32 v3, vcc, 0, v5, vcc
	global_load_dwordx2 v[4:5], v[2:3], off
	global_load_dwordx2 v[10:11], v[2:3], off offset:2048
	v_mbcnt_hi_u32_b32 v2, -1, v1
	v_lshlrev_b32_e32 v3, 2, v2
	v_cmp_eq_u32_e32 vcc, 0, v2
	s_waitcnt vmcnt(7)
	v_cvt_i32_f64_e32 v1, v[6:7]
	s_waitcnt vmcnt(6)
	v_cvt_i32_f64_e32 v6, v[8:9]
	v_add_u32_e32 v1, v6, v1
	s_waitcnt vmcnt(5)
	v_cvt_i32_f64_e32 v6, v[12:13]
	s_waitcnt vmcnt(4)
	v_cvt_i32_f64_e32 v7, v[14:15]
	;; [unrolled: 2-line block ×4, first 2 shown]
	v_add3_u32 v1, v1, v6, v7
	v_add3_u32 v1, v1, v8, v9
	s_waitcnt vmcnt(1)
	v_cvt_i32_f64_e32 v4, v[4:5]
	s_waitcnt vmcnt(0)
	v_cvt_i32_f64_e32 v5, v[10:11]
	v_add3_u32 v1, v1, v4, v5
	v_or_b32_e32 v4, 0xfc, v3
	s_nop 0
	v_add_u32_dpp v1, v1, v1 quad_perm:[1,0,3,2] row_mask:0xf bank_mask:0xf bound_ctrl:1
	s_nop 1
	v_add_u32_dpp v1, v1, v1 quad_perm:[2,3,0,1] row_mask:0xf bank_mask:0xf bound_ctrl:1
	s_nop 1
	v_add_u32_dpp v1, v1, v1 row_ror:4 row_mask:0xf bank_mask:0xf bound_ctrl:1
	s_nop 1
	v_add_u32_dpp v1, v1, v1 row_ror:8 row_mask:0xf bank_mask:0xf bound_ctrl:1
	s_nop 1
	v_add_u32_dpp v1, v1, v1 row_bcast:15 row_mask:0xf bank_mask:0xf bound_ctrl:1
	s_nop 1
	v_add_u32_dpp v1, v1, v1 row_bcast:31 row_mask:0xf bank_mask:0xf bound_ctrl:1
	ds_bpermute_b32 v1, v4, v1
	s_and_saveexec_b64 s[6:7], vcc
	s_cbranch_execz .LBB306_19
; %bb.18:
	v_lshrrev_b32_e32 v4, 4, v0
	v_and_b32_e32 v4, 12, v4
	s_waitcnt lgkmcnt(0)
	ds_write_b32 v4, v1 offset:64
.LBB306_19:
	s_or_b64 exec, exec, s[6:7]
	v_cmp_gt_u32_e32 vcc, 64, v0
	s_waitcnt lgkmcnt(0)
	s_barrier
	s_and_saveexec_b64 s[6:7], vcc
	s_cbranch_execz .LBB306_21
; %bb.20:
	v_and_b32_e32 v1, 3, v2
	v_lshlrev_b32_e32 v4, 2, v1
	ds_read_b32 v4, v4 offset:64
	v_cmp_ne_u32_e32 vcc, 3, v1
	s_nop 1
	v_addc_co_u32_e32 v1, vcc, 0, v2, vcc
	v_lshlrev_b32_e32 v1, 2, v1
	s_waitcnt lgkmcnt(0)
	ds_bpermute_b32 v1, v1, v4
	v_or_b32_e32 v2, 8, v3
	s_waitcnt lgkmcnt(0)
	v_add_u32_e32 v1, v1, v4
	ds_bpermute_b32 v2, v2, v1
	s_waitcnt lgkmcnt(0)
	v_add_u32_e32 v1, v2, v1
.LBB306_21:
	s_or_b64 exec, exec, s[6:7]
	s_mov_b64 s[6:7], 0
	s_branch .LBB306_63
.LBB306_22:
                                        ; implicit-def: $vgpr1
	s_branch .LBB306_94
.LBB306_23:
                                        ; implicit-def: $vgpr1
	s_cbranch_execz .LBB306_10
; %bb.24:
	s_sub_i32 s44, s38, s4
	v_mov_b32_e32 v2, 0
	v_cmp_gt_u32_e32 vcc, s44, v0
	v_mov_b32_e32 v3, v2
	v_mov_b32_e32 v4, v2
	;; [unrolled: 1-line block ×15, first 2 shown]
	s_and_saveexec_b64 s[4:5], vcc
	s_cbranch_execz .LBB306_26
; %bb.25:
	v_lshlrev_b32_e32 v1, 3, v0
	global_load_dwordx2 v[20:21], v1, s[40:41]
	v_mov_b32_e32 v5, v2
	v_mov_b32_e32 v6, v2
	;; [unrolled: 1-line block ×15, first 2 shown]
	s_waitcnt vmcnt(0)
	v_cvt_i32_f64_e32 v4, v[20:21]
	v_mov_b64_e32 v[2:3], v[4:5]
	v_mov_b64_e32 v[4:5], v[6:7]
	;; [unrolled: 1-line block ×8, first 2 shown]
.LBB306_26:
	s_or_b64 exec, exec, s[4:5]
	v_or_b32_e32 v1, 0x100, v0
	v_cmp_gt_u32_e32 vcc, s44, v1
	s_and_saveexec_b64 s[4:5], vcc
	s_cbranch_execz .LBB306_28
; %bb.27:
	v_lshlrev_b32_e32 v1, 3, v0
	global_load_dwordx2 v[18:19], v1, s[40:41] offset:2048
	s_waitcnt vmcnt(0)
	v_cvt_i32_f64_e32 v3, v[18:19]
.LBB306_28:
	s_or_b64 exec, exec, s[4:5]
	v_or_b32_e32 v1, 0x200, v0
	v_cmp_gt_u32_e64 s[4:5], s44, v1
	s_and_saveexec_b64 s[6:7], s[4:5]
	s_cbranch_execz .LBB306_30
; %bb.29:
	v_lshlrev_b32_e32 v1, 3, v1
	global_load_dwordx2 v[18:19], v1, s[40:41]
	s_waitcnt vmcnt(0)
	v_cvt_i32_f64_e32 v4, v[18:19]
.LBB306_30:
	s_or_b64 exec, exec, s[6:7]
	v_or_b32_e32 v1, 0x300, v0
	v_cmp_gt_u32_e64 s[6:7], s44, v1
	s_and_saveexec_b64 s[8:9], s[6:7]
	s_cbranch_execz .LBB306_32
; %bb.31:
	v_lshlrev_b32_e32 v1, 3, v1
	global_load_dwordx2 v[18:19], v1, s[40:41]
	s_waitcnt vmcnt(0)
	v_cvt_i32_f64_e32 v5, v[18:19]
.LBB306_32:
	;; [unrolled: 11-line block ×14, first 2 shown]
	s_or_b64 exec, exec, s[42:43]
	v_cndmask_b32_e32 v1, 0, v3, vcc
	v_add_u32_e32 v1, v1, v2
	v_cndmask_b32_e64 v2, 0, v4, s[4:5]
	v_cndmask_b32_e64 v3, 0, v5, s[6:7]
	v_add3_u32 v1, v1, v2, v3
	v_cndmask_b32_e64 v2, 0, v6, s[8:9]
	v_cndmask_b32_e64 v3, 0, v7, s[10:11]
	v_add3_u32 v1, v1, v2, v3
	;; [unrolled: 3-line block ×7, first 2 shown]
	v_mbcnt_lo_u32_b32 v2, -1, 0
	v_mbcnt_hi_u32_b32 v2, -1, v2
	v_and_b32_e32 v4, 63, v2
	v_cmp_ne_u32_e32 vcc, 63, v4
	s_min_u32 s6, s44, 0x100
	v_and_b32_e32 v5, 0xc0, v0
	v_addc_co_u32_e32 v3, vcc, 0, v2, vcc
	v_lshlrev_b32_e32 v3, 2, v3
	ds_bpermute_b32 v3, v3, v1
	v_sub_u32_e64 v5, s6, v5 clamp
	v_add_u32_e32 v6, 1, v4
	v_cmp_lt_u32_e32 vcc, v6, v5
	v_add_u32_e32 v6, 2, v4
	s_waitcnt lgkmcnt(0)
	v_cndmask_b32_e32 v3, 0, v3, vcc
	v_cmp_gt_u32_e32 vcc, 62, v4
	v_add_u32_e32 v1, v1, v3
	s_nop 0
	v_cndmask_b32_e64 v3, 0, 2, vcc
	v_add_lshl_u32 v3, v3, v2, 2
	ds_bpermute_b32 v3, v3, v1
	v_cmp_lt_u32_e32 vcc, v6, v5
	v_add_u32_e32 v6, 4, v4
	s_waitcnt lgkmcnt(0)
	v_cndmask_b32_e32 v3, 0, v3, vcc
	v_cmp_gt_u32_e32 vcc, 60, v4
	v_add_u32_e32 v1, v1, v3
	s_nop 0
	v_cndmask_b32_e64 v3, 0, 4, vcc
	v_add_lshl_u32 v3, v3, v2, 2
	ds_bpermute_b32 v3, v3, v1
	;; [unrolled: 10-line block ×3, first 2 shown]
	v_cmp_lt_u32_e32 vcc, v6, v5
	v_add_u32_e32 v6, 16, v4
	s_waitcnt lgkmcnt(0)
	v_cndmask_b32_e32 v3, 0, v3, vcc
	v_cmp_gt_u32_e32 vcc, 48, v4
	v_add_u32_e32 v1, v1, v3
	v_add_u32_e32 v4, 32, v4
	v_cndmask_b32_e64 v3, 0, 16, vcc
	v_add_lshl_u32 v3, v3, v2, 2
	ds_bpermute_b32 v3, v3, v1
	v_cmp_lt_u32_e32 vcc, v6, v5
	s_waitcnt lgkmcnt(0)
	s_nop 0
	v_cndmask_b32_e32 v3, 0, v3, vcc
	v_add_u32_e32 v1, v1, v3
	v_lshlrev_b32_e32 v3, 2, v2
	v_or_b32_e32 v6, 0x80, v3
	ds_bpermute_b32 v6, v6, v1
	v_cmp_lt_u32_e32 vcc, v4, v5
	s_waitcnt lgkmcnt(0)
	s_nop 0
	v_cndmask_b32_e32 v4, 0, v6, vcc
	v_add_u32_e32 v1, v1, v4
	v_cmp_eq_u32_e32 vcc, 0, v2
	s_and_saveexec_b64 s[4:5], vcc
; %bb.57:
	v_lshrrev_b32_e32 v4, 4, v0
	v_and_b32_e32 v4, 12, v4
	ds_write_b32 v4, v1 offset:80
; %bb.58:
	s_or_b64 exec, exec, s[4:5]
	v_cmp_gt_u32_e32 vcc, 4, v0
	s_waitcnt lgkmcnt(0)
	s_barrier
	s_and_saveexec_b64 s[4:5], vcc
	s_cbranch_execz .LBB306_60
; %bb.59:
	ds_read_b32 v1, v3 offset:80
	v_and_b32_e32 v4, 3, v2
	v_cmp_ne_u32_e32 vcc, 3, v4
	s_add_i32 s6, s6, 63
	s_lshr_b32 s6, s6, 6
	v_addc_co_u32_e32 v2, vcc, 0, v2, vcc
	v_lshlrev_b32_e32 v2, 2, v2
	s_waitcnt lgkmcnt(0)
	ds_bpermute_b32 v2, v2, v1
	v_add_u32_e32 v5, 1, v4
	v_cmp_gt_u32_e32 vcc, s6, v5
	s_waitcnt lgkmcnt(0)
	s_nop 0
	v_cndmask_b32_e32 v2, 0, v2, vcc
	v_add_u32_e32 v1, v2, v1
	v_or_b32_e32 v2, 8, v3
	ds_bpermute_b32 v2, v2, v1
	v_add_u32_e32 v3, 2, v4
	v_cmp_gt_u32_e32 vcc, s6, v3
	s_waitcnt lgkmcnt(0)
	s_nop 0
	v_cndmask_b32_e32 v2, 0, v2, vcc
	v_add_u32_e32 v1, v1, v2
.LBB306_60:
	s_or_b64 exec, exec, s[4:5]
	v_cmp_eq_u32_e64 s[4:5], 0, v0
	s_and_b64 vcc, exec, s[34:35]
	s_cbranch_vccnz .LBB306_15
.LBB306_61:
	s_branch .LBB306_94
.LBB306_62:
	s_mov_b64 s[6:7], -1
                                        ; implicit-def: $vgpr1
.LBB306_63:
	s_and_b64 vcc, exec, s[6:7]
	s_cbranch_vccz .LBB306_85
; %bb.64:
	s_sub_i32 s20, s38, s4
	v_mov_b32_e32 v2, 0
	v_cmp_gt_u32_e32 vcc, s20, v0
	v_mov_b32_e32 v3, v2
	v_mov_b32_e32 v4, v2
	;; [unrolled: 1-line block ×7, first 2 shown]
	s_and_saveexec_b64 s[4:5], vcc
	s_cbranch_execz .LBB306_66
; %bb.65:
	v_lshlrev_b32_e32 v1, 3, v0
	global_load_dwordx2 v[12:13], v1, s[16:17]
	v_mov_b32_e32 v5, v2
	v_mov_b32_e32 v6, v2
	;; [unrolled: 1-line block ×7, first 2 shown]
	s_waitcnt vmcnt(0)
	v_cvt_i32_f64_e32 v4, v[12:13]
	v_mov_b64_e32 v[2:3], v[4:5]
	v_mov_b64_e32 v[4:5], v[6:7]
	;; [unrolled: 1-line block ×4, first 2 shown]
.LBB306_66:
	s_or_b64 exec, exec, s[4:5]
	v_or_b32_e32 v1, 0x100, v0
	v_cmp_gt_u32_e32 vcc, s20, v1
	s_and_saveexec_b64 s[4:5], vcc
	s_cbranch_execz .LBB306_68
; %bb.67:
	v_lshlrev_b32_e32 v1, 3, v0
	global_load_dwordx2 v[10:11], v1, s[16:17] offset:2048
	s_waitcnt vmcnt(0)
	v_cvt_i32_f64_e32 v3, v[10:11]
.LBB306_68:
	s_or_b64 exec, exec, s[4:5]
	v_or_b32_e32 v1, 0x200, v0
	v_cmp_gt_u32_e64 s[4:5], s20, v1
	s_and_saveexec_b64 s[6:7], s[4:5]
	s_cbranch_execz .LBB306_70
; %bb.69:
	v_lshlrev_b32_e32 v1, 3, v1
	global_load_dwordx2 v[10:11], v1, s[16:17]
	s_waitcnt vmcnt(0)
	v_cvt_i32_f64_e32 v4, v[10:11]
.LBB306_70:
	s_or_b64 exec, exec, s[6:7]
	v_or_b32_e32 v1, 0x300, v0
	v_cmp_gt_u32_e64 s[6:7], s20, v1
	s_and_saveexec_b64 s[8:9], s[6:7]
	s_cbranch_execz .LBB306_72
; %bb.71:
	v_lshlrev_b32_e32 v1, 3, v1
	global_load_dwordx2 v[10:11], v1, s[16:17]
	s_waitcnt vmcnt(0)
	v_cvt_i32_f64_e32 v5, v[10:11]
.LBB306_72:
	;; [unrolled: 11-line block ×6, first 2 shown]
	s_or_b64 exec, exec, s[18:19]
	v_cndmask_b32_e32 v1, 0, v3, vcc
	v_add_u32_e32 v1, v1, v2
	v_cndmask_b32_e64 v2, 0, v4, s[4:5]
	v_cndmask_b32_e64 v3, 0, v5, s[6:7]
	v_add3_u32 v1, v1, v2, v3
	v_cndmask_b32_e64 v2, 0, v6, s[8:9]
	v_cndmask_b32_e64 v3, 0, v7, s[10:11]
	v_add3_u32 v1, v1, v2, v3
	;; [unrolled: 3-line block ×3, first 2 shown]
	v_mbcnt_lo_u32_b32 v2, -1, 0
	v_mbcnt_hi_u32_b32 v2, -1, v2
	v_and_b32_e32 v4, 63, v2
	v_cmp_ne_u32_e32 vcc, 63, v4
	s_min_u32 s6, s20, 0x100
	v_and_b32_e32 v5, 0xc0, v0
	v_addc_co_u32_e32 v3, vcc, 0, v2, vcc
	v_lshlrev_b32_e32 v3, 2, v3
	ds_bpermute_b32 v3, v3, v1
	v_sub_u32_e64 v5, s6, v5 clamp
	v_add_u32_e32 v6, 1, v4
	v_cmp_lt_u32_e32 vcc, v6, v5
	v_add_u32_e32 v6, 2, v4
	s_waitcnt lgkmcnt(0)
	v_cndmask_b32_e32 v3, 0, v3, vcc
	v_cmp_gt_u32_e32 vcc, 62, v4
	v_add_u32_e32 v1, v1, v3
	s_nop 0
	v_cndmask_b32_e64 v3, 0, 2, vcc
	v_add_lshl_u32 v3, v3, v2, 2
	ds_bpermute_b32 v3, v3, v1
	v_cmp_lt_u32_e32 vcc, v6, v5
	v_add_u32_e32 v6, 4, v4
	s_waitcnt lgkmcnt(0)
	v_cndmask_b32_e32 v3, 0, v3, vcc
	v_cmp_gt_u32_e32 vcc, 60, v4
	v_add_u32_e32 v1, v1, v3
	s_nop 0
	v_cndmask_b32_e64 v3, 0, 4, vcc
	v_add_lshl_u32 v3, v3, v2, 2
	ds_bpermute_b32 v3, v3, v1
	;; [unrolled: 10-line block ×3, first 2 shown]
	v_cmp_lt_u32_e32 vcc, v6, v5
	v_add_u32_e32 v6, 16, v4
	s_waitcnt lgkmcnt(0)
	v_cndmask_b32_e32 v3, 0, v3, vcc
	v_cmp_gt_u32_e32 vcc, 48, v4
	v_add_u32_e32 v1, v1, v3
	v_add_u32_e32 v4, 32, v4
	v_cndmask_b32_e64 v3, 0, 16, vcc
	v_add_lshl_u32 v3, v3, v2, 2
	ds_bpermute_b32 v3, v3, v1
	v_cmp_lt_u32_e32 vcc, v6, v5
	s_waitcnt lgkmcnt(0)
	s_nop 0
	v_cndmask_b32_e32 v3, 0, v3, vcc
	v_add_u32_e32 v1, v1, v3
	v_lshlrev_b32_e32 v3, 2, v2
	v_or_b32_e32 v6, 0x80, v3
	ds_bpermute_b32 v6, v6, v1
	v_cmp_lt_u32_e32 vcc, v4, v5
	s_waitcnt lgkmcnt(0)
	s_nop 0
	v_cndmask_b32_e32 v4, 0, v6, vcc
	v_add_u32_e32 v1, v1, v4
	v_cmp_eq_u32_e32 vcc, 0, v2
	s_and_saveexec_b64 s[4:5], vcc
; %bb.81:
	v_lshrrev_b32_e32 v4, 4, v0
	v_and_b32_e32 v4, 12, v4
	ds_write_b32 v4, v1 offset:80
; %bb.82:
	s_or_b64 exec, exec, s[4:5]
	v_cmp_gt_u32_e32 vcc, 4, v0
	s_waitcnt lgkmcnt(0)
	s_barrier
	s_and_saveexec_b64 s[4:5], vcc
	s_cbranch_execz .LBB306_84
; %bb.83:
	ds_read_b32 v1, v3 offset:80
	v_and_b32_e32 v4, 3, v2
	v_cmp_ne_u32_e32 vcc, 3, v4
	s_add_i32 s6, s6, 63
	s_lshr_b32 s6, s6, 6
	v_addc_co_u32_e32 v2, vcc, 0, v2, vcc
	v_lshlrev_b32_e32 v2, 2, v2
	s_waitcnt lgkmcnt(0)
	ds_bpermute_b32 v2, v2, v1
	v_add_u32_e32 v5, 1, v4
	v_cmp_gt_u32_e32 vcc, s6, v5
	s_waitcnt lgkmcnt(0)
	s_nop 0
	v_cndmask_b32_e32 v2, 0, v2, vcc
	v_add_u32_e32 v1, v2, v1
	v_or_b32_e32 v2, 8, v3
	ds_bpermute_b32 v2, v2, v1
	v_add_u32_e32 v3, 2, v4
	v_cmp_gt_u32_e32 vcc, s6, v3
	s_waitcnt lgkmcnt(0)
	s_nop 0
	v_cndmask_b32_e32 v2, 0, v2, vcc
	v_add_u32_e32 v1, v1, v2
.LBB306_84:
	s_or_b64 exec, exec, s[4:5]
.LBB306_85:
	v_cmp_eq_u32_e64 s[4:5], 0, v0
	s_branch .LBB306_94
.LBB306_86:
	s_cmp_eq_u32 s33, 4
	s_cbranch_scc0 .LBB306_93
; %bb.87:
	s_mov_b32 s3, 0
	s_lshl_b32 s4, s2, 10
	s_mov_b32 s5, s3
	s_lshr_b64 s[6:7], s[38:39], 10
	s_lshl_b64 s[8:9], s[4:5], 3
	s_add_u32 s8, s36, s8
	s_addc_u32 s9, s37, s9
	s_cmp_lg_u64 s[6:7], s[2:3]
	s_cbranch_scc0 .LBB306_95
; %bb.88:
	v_lshlrev_b32_e32 v2, 3, v0
	v_mov_b32_e32 v3, 0
	v_lshl_add_u64 v[4:5], s[8:9], 0, v[2:3]
	global_load_dwordx2 v[6:7], v2, s[8:9]
	global_load_dwordx2 v[8:9], v2, s[8:9] offset:2048
	v_add_co_u32_e32 v2, vcc, 0x1000, v4
	v_mbcnt_lo_u32_b32 v1, -1, 0
	s_nop 0
	v_addc_co_u32_e32 v3, vcc, 0, v5, vcc
	global_load_dwordx2 v[4:5], v[2:3], off
	global_load_dwordx2 v[10:11], v[2:3], off offset:2048
	v_mbcnt_hi_u32_b32 v2, -1, v1
	v_lshlrev_b32_e32 v3, 2, v2
	v_cmp_eq_u32_e32 vcc, 0, v2
	s_waitcnt vmcnt(3)
	v_cvt_i32_f64_e32 v1, v[6:7]
	s_waitcnt vmcnt(2)
	v_cvt_i32_f64_e32 v6, v[8:9]
	v_add_u32_e32 v1, v6, v1
	s_waitcnt vmcnt(1)
	v_cvt_i32_f64_e32 v4, v[4:5]
	s_waitcnt vmcnt(0)
	v_cvt_i32_f64_e32 v5, v[10:11]
	v_add3_u32 v1, v1, v4, v5
	v_or_b32_e32 v4, 0xfc, v3
	s_nop 0
	v_add_u32_dpp v1, v1, v1 quad_perm:[1,0,3,2] row_mask:0xf bank_mask:0xf bound_ctrl:1
	s_nop 1
	v_add_u32_dpp v1, v1, v1 quad_perm:[2,3,0,1] row_mask:0xf bank_mask:0xf bound_ctrl:1
	s_nop 1
	v_add_u32_dpp v1, v1, v1 row_ror:4 row_mask:0xf bank_mask:0xf bound_ctrl:1
	s_nop 1
	v_add_u32_dpp v1, v1, v1 row_ror:8 row_mask:0xf bank_mask:0xf bound_ctrl:1
	s_nop 1
	v_add_u32_dpp v1, v1, v1 row_bcast:15 row_mask:0xf bank_mask:0xf bound_ctrl:1
	s_nop 1
	v_add_u32_dpp v1, v1, v1 row_bcast:31 row_mask:0xf bank_mask:0xf bound_ctrl:1
	ds_bpermute_b32 v1, v4, v1
	s_and_saveexec_b64 s[6:7], vcc
	s_cbranch_execz .LBB306_90
; %bb.89:
	v_lshrrev_b32_e32 v4, 4, v0
	v_and_b32_e32 v4, 12, v4
	s_waitcnt lgkmcnt(0)
	ds_write_b32 v4, v1 offset:48
.LBB306_90:
	s_or_b64 exec, exec, s[6:7]
	v_cmp_gt_u32_e32 vcc, 64, v0
	s_waitcnt lgkmcnt(0)
	s_barrier
	s_and_saveexec_b64 s[6:7], vcc
	s_cbranch_execz .LBB306_92
; %bb.91:
	v_and_b32_e32 v1, 3, v2
	v_lshlrev_b32_e32 v4, 2, v1
	ds_read_b32 v4, v4 offset:48
	v_cmp_ne_u32_e32 vcc, 3, v1
	s_nop 1
	v_addc_co_u32_e32 v1, vcc, 0, v2, vcc
	v_lshlrev_b32_e32 v1, 2, v1
	s_waitcnt lgkmcnt(0)
	ds_bpermute_b32 v1, v1, v4
	v_or_b32_e32 v2, 8, v3
	s_waitcnt lgkmcnt(0)
	v_add_u32_e32 v1, v1, v4
	ds_bpermute_b32 v2, v2, v1
	s_waitcnt lgkmcnt(0)
	v_add_u32_e32 v1, v2, v1
.LBB306_92:
	s_or_b64 exec, exec, s[6:7]
	s_branch .LBB306_109
.LBB306_93:
                                        ; implicit-def: $vgpr1
.LBB306_94:
	s_branch .LBB306_140
.LBB306_95:
                                        ; implicit-def: $vgpr1
	s_cbranch_execz .LBB306_109
; %bb.96:
	s_sub_i32 s12, s38, s4
	v_mov_b32_e32 v2, 0
	v_cmp_gt_u32_e32 vcc, s12, v0
	v_mov_b32_e32 v3, v2
	v_mov_b32_e32 v4, v2
	;; [unrolled: 1-line block ×3, first 2 shown]
	s_and_saveexec_b64 s[4:5], vcc
	s_cbranch_execz .LBB306_98
; %bb.97:
	v_lshlrev_b32_e32 v1, 3, v0
	global_load_dwordx2 v[8:9], v1, s[8:9]
	v_mov_b32_e32 v5, v2
	v_mov_b32_e32 v6, v2
	;; [unrolled: 1-line block ×3, first 2 shown]
	s_waitcnt vmcnt(0)
	v_cvt_i32_f64_e32 v4, v[8:9]
	v_mov_b64_e32 v[2:3], v[4:5]
	v_mov_b64_e32 v[4:5], v[6:7]
.LBB306_98:
	s_or_b64 exec, exec, s[4:5]
	v_or_b32_e32 v1, 0x100, v0
	v_cmp_gt_u32_e32 vcc, s12, v1
	s_and_saveexec_b64 s[4:5], vcc
	s_cbranch_execz .LBB306_100
; %bb.99:
	v_lshlrev_b32_e32 v1, 3, v0
	global_load_dwordx2 v[6:7], v1, s[8:9] offset:2048
	s_waitcnt vmcnt(0)
	v_cvt_i32_f64_e32 v3, v[6:7]
.LBB306_100:
	s_or_b64 exec, exec, s[4:5]
	v_or_b32_e32 v1, 0x200, v0
	v_cmp_gt_u32_e64 s[4:5], s12, v1
	s_and_saveexec_b64 s[6:7], s[4:5]
	s_cbranch_execz .LBB306_102
; %bb.101:
	v_lshlrev_b32_e32 v1, 3, v1
	global_load_dwordx2 v[6:7], v1, s[8:9]
	s_waitcnt vmcnt(0)
	v_cvt_i32_f64_e32 v4, v[6:7]
.LBB306_102:
	s_or_b64 exec, exec, s[6:7]
	v_or_b32_e32 v1, 0x300, v0
	v_cmp_gt_u32_e64 s[6:7], s12, v1
	s_and_saveexec_b64 s[10:11], s[6:7]
	s_cbranch_execz .LBB306_104
; %bb.103:
	v_lshlrev_b32_e32 v1, 3, v1
	global_load_dwordx2 v[6:7], v1, s[8:9]
	s_waitcnt vmcnt(0)
	v_cvt_i32_f64_e32 v5, v[6:7]
.LBB306_104:
	s_or_b64 exec, exec, s[10:11]
	v_cndmask_b32_e32 v1, 0, v3, vcc
	v_add_u32_e32 v1, v1, v2
	v_cndmask_b32_e64 v2, 0, v4, s[4:5]
	v_cndmask_b32_e64 v3, 0, v5, s[6:7]
	v_add3_u32 v1, v1, v2, v3
	v_mbcnt_lo_u32_b32 v2, -1, 0
	v_mbcnt_hi_u32_b32 v2, -1, v2
	v_and_b32_e32 v4, 63, v2
	v_cmp_ne_u32_e32 vcc, 63, v4
	s_min_u32 s6, s12, 0x100
	v_and_b32_e32 v5, 0xc0, v0
	v_addc_co_u32_e32 v3, vcc, 0, v2, vcc
	v_lshlrev_b32_e32 v3, 2, v3
	ds_bpermute_b32 v3, v3, v1
	v_sub_u32_e64 v5, s6, v5 clamp
	v_add_u32_e32 v6, 1, v4
	v_cmp_lt_u32_e32 vcc, v6, v5
	v_add_u32_e32 v6, 2, v4
	s_waitcnt lgkmcnt(0)
	v_cndmask_b32_e32 v3, 0, v3, vcc
	v_cmp_gt_u32_e32 vcc, 62, v4
	v_add_u32_e32 v1, v3, v1
	s_nop 0
	v_cndmask_b32_e64 v3, 0, 2, vcc
	v_add_lshl_u32 v3, v3, v2, 2
	ds_bpermute_b32 v3, v3, v1
	v_cmp_lt_u32_e32 vcc, v6, v5
	v_add_u32_e32 v6, 4, v4
	s_waitcnt lgkmcnt(0)
	v_cndmask_b32_e32 v3, 0, v3, vcc
	v_cmp_gt_u32_e32 vcc, 60, v4
	v_add_u32_e32 v1, v1, v3
	s_nop 0
	v_cndmask_b32_e64 v3, 0, 4, vcc
	v_add_lshl_u32 v3, v3, v2, 2
	ds_bpermute_b32 v3, v3, v1
	;; [unrolled: 10-line block ×3, first 2 shown]
	v_cmp_lt_u32_e32 vcc, v6, v5
	v_add_u32_e32 v6, 16, v4
	s_waitcnt lgkmcnt(0)
	v_cndmask_b32_e32 v3, 0, v3, vcc
	v_cmp_gt_u32_e32 vcc, 48, v4
	v_add_u32_e32 v1, v1, v3
	v_add_u32_e32 v4, 32, v4
	v_cndmask_b32_e64 v3, 0, 16, vcc
	v_add_lshl_u32 v3, v3, v2, 2
	ds_bpermute_b32 v3, v3, v1
	v_cmp_lt_u32_e32 vcc, v6, v5
	s_waitcnt lgkmcnt(0)
	s_nop 0
	v_cndmask_b32_e32 v3, 0, v3, vcc
	v_add_u32_e32 v1, v1, v3
	v_lshlrev_b32_e32 v3, 2, v2
	v_or_b32_e32 v6, 0x80, v3
	ds_bpermute_b32 v6, v6, v1
	v_cmp_lt_u32_e32 vcc, v4, v5
	s_waitcnt lgkmcnt(0)
	s_nop 0
	v_cndmask_b32_e32 v4, 0, v6, vcc
	v_add_u32_e32 v1, v1, v4
	v_cmp_eq_u32_e32 vcc, 0, v2
	s_and_saveexec_b64 s[4:5], vcc
; %bb.105:
	v_lshrrev_b32_e32 v4, 4, v0
	v_and_b32_e32 v4, 12, v4
	ds_write_b32 v4, v1 offset:80
; %bb.106:
	s_or_b64 exec, exec, s[4:5]
	v_cmp_gt_u32_e32 vcc, 4, v0
	s_waitcnt lgkmcnt(0)
	s_barrier
	s_and_saveexec_b64 s[4:5], vcc
	s_cbranch_execz .LBB306_108
; %bb.107:
	ds_read_b32 v1, v3 offset:80
	v_and_b32_e32 v4, 3, v2
	v_cmp_ne_u32_e32 vcc, 3, v4
	s_add_i32 s6, s6, 63
	s_lshr_b32 s6, s6, 6
	v_addc_co_u32_e32 v2, vcc, 0, v2, vcc
	v_lshlrev_b32_e32 v2, 2, v2
	s_waitcnt lgkmcnt(0)
	ds_bpermute_b32 v2, v2, v1
	v_add_u32_e32 v5, 1, v4
	v_cmp_gt_u32_e32 vcc, s6, v5
	s_waitcnt lgkmcnt(0)
	s_nop 0
	v_cndmask_b32_e32 v2, 0, v2, vcc
	v_add_u32_e32 v1, v2, v1
	v_or_b32_e32 v2, 8, v3
	ds_bpermute_b32 v2, v2, v1
	v_add_u32_e32 v3, 2, v4
	v_cmp_gt_u32_e32 vcc, s6, v3
	s_waitcnt lgkmcnt(0)
	s_nop 0
	v_cndmask_b32_e32 v2, 0, v2, vcc
	v_add_u32_e32 v1, v1, v2
.LBB306_108:
	s_or_b64 exec, exec, s[4:5]
.LBB306_109:
	v_cmp_eq_u32_e64 s[4:5], 0, v0
	s_branch .LBB306_140
.LBB306_110:
	s_cmp_gt_i32 s33, 1
	s_cbranch_scc0 .LBB306_118
; %bb.111:
	s_cmp_eq_u32 s33, 2
	s_cbranch_scc0 .LBB306_119
; %bb.112:
	s_mov_b32 s3, 0
	s_lshl_b32 s6, s2, 9
	s_mov_b32 s7, s3
	s_lshr_b64 s[8:9], s[38:39], 9
	s_lshl_b64 s[4:5], s[6:7], 3
	s_add_u32 s4, s36, s4
	s_addc_u32 s5, s37, s5
	s_cmp_lg_u64 s[8:9], s[2:3]
	s_cbranch_scc0 .LBB306_120
; %bb.113:
	v_lshlrev_b32_e32 v1, 3, v0
	global_load_dwordx2 v[4:5], v1, s[4:5]
	global_load_dwordx2 v[6:7], v1, s[4:5] offset:2048
	v_mbcnt_lo_u32_b32 v1, -1, 0
	v_mbcnt_hi_u32_b32 v2, -1, v1
	v_lshlrev_b32_e32 v3, 2, v2
	v_cmp_eq_u32_e32 vcc, 0, v2
	s_waitcnt vmcnt(1)
	v_cvt_i32_f64_e32 v1, v[4:5]
	s_waitcnt vmcnt(0)
	v_cvt_i32_f64_e32 v4, v[6:7]
	v_add_u32_e32 v1, v4, v1
	v_or_b32_e32 v4, 0xfc, v3
	s_nop 0
	v_add_u32_dpp v1, v1, v1 quad_perm:[1,0,3,2] row_mask:0xf bank_mask:0xf bound_ctrl:1
	s_nop 1
	v_add_u32_dpp v1, v1, v1 quad_perm:[2,3,0,1] row_mask:0xf bank_mask:0xf bound_ctrl:1
	s_nop 1
	v_add_u32_dpp v1, v1, v1 row_ror:4 row_mask:0xf bank_mask:0xf bound_ctrl:1
	s_nop 1
	v_add_u32_dpp v1, v1, v1 row_ror:8 row_mask:0xf bank_mask:0xf bound_ctrl:1
	s_nop 1
	v_add_u32_dpp v1, v1, v1 row_bcast:15 row_mask:0xf bank_mask:0xf bound_ctrl:1
	s_nop 1
	v_add_u32_dpp v1, v1, v1 row_bcast:31 row_mask:0xf bank_mask:0xf bound_ctrl:1
	ds_bpermute_b32 v1, v4, v1
	s_and_saveexec_b64 s[8:9], vcc
	s_cbranch_execz .LBB306_115
; %bb.114:
	v_lshrrev_b32_e32 v4, 4, v0
	v_and_b32_e32 v4, 12, v4
	s_waitcnt lgkmcnt(0)
	ds_write_b32 v4, v1 offset:32
.LBB306_115:
	s_or_b64 exec, exec, s[8:9]
	v_cmp_gt_u32_e32 vcc, 64, v0
	s_waitcnt lgkmcnt(0)
	s_barrier
	s_and_saveexec_b64 s[8:9], vcc
	s_cbranch_execz .LBB306_117
; %bb.116:
	v_and_b32_e32 v1, 3, v2
	v_lshlrev_b32_e32 v4, 2, v1
	ds_read_b32 v4, v4 offset:32
	v_cmp_ne_u32_e32 vcc, 3, v1
	s_nop 1
	v_addc_co_u32_e32 v1, vcc, 0, v2, vcc
	v_lshlrev_b32_e32 v1, 2, v1
	s_waitcnt lgkmcnt(0)
	ds_bpermute_b32 v1, v1, v4
	v_or_b32_e32 v2, 8, v3
	s_waitcnt lgkmcnt(0)
	v_add_u32_e32 v1, v1, v4
	ds_bpermute_b32 v2, v2, v1
	s_waitcnt lgkmcnt(0)
	v_add_u32_e32 v1, v2, v1
.LBB306_117:
	s_or_b64 exec, exec, s[8:9]
	s_branch .LBB306_130
.LBB306_118:
                                        ; implicit-def: $vgpr1
	s_cbranch_execnz .LBB306_131
	s_branch .LBB306_140
.LBB306_119:
                                        ; implicit-def: $vgpr1
	s_branch .LBB306_140
.LBB306_120:
                                        ; implicit-def: $vgpr1
	s_cbranch_execz .LBB306_130
; %bb.121:
	s_sub_i32 s8, s38, s6
	v_mov_b32_e32 v2, 0
	v_cmp_gt_u32_e32 vcc, s8, v0
	v_mov_b32_e32 v3, v2
	s_and_saveexec_b64 s[6:7], vcc
	s_cbranch_execz .LBB306_123
; %bb.122:
	v_lshlrev_b32_e32 v1, 3, v0
	global_load_dwordx2 v[4:5], v1, s[4:5]
	s_waitcnt vmcnt(0)
	v_cvt_i32_f64_e32 v4, v[4:5]
	v_mov_b32_e32 v5, v2
	v_mov_b64_e32 v[2:3], v[4:5]
.LBB306_123:
	s_or_b64 exec, exec, s[6:7]
	v_or_b32_e32 v1, 0x100, v0
	v_cmp_gt_u32_e32 vcc, s8, v1
	s_and_saveexec_b64 s[6:7], vcc
	s_cbranch_execz .LBB306_125
; %bb.124:
	v_lshlrev_b32_e32 v1, 3, v0
	global_load_dwordx2 v[4:5], v1, s[4:5] offset:2048
	s_waitcnt vmcnt(0)
	v_cvt_i32_f64_e32 v3, v[4:5]
.LBB306_125:
	s_or_b64 exec, exec, s[6:7]
	v_cndmask_b32_e32 v1, 0, v3, vcc
	v_add_u32_e32 v1, v1, v2
	v_mbcnt_lo_u32_b32 v2, -1, 0
	v_mbcnt_hi_u32_b32 v2, -1, v2
	v_and_b32_e32 v4, 63, v2
	v_cmp_ne_u32_e32 vcc, 63, v4
	s_min_u32 s6, s8, 0x100
	v_and_b32_e32 v5, 0xc0, v0
	v_addc_co_u32_e32 v3, vcc, 0, v2, vcc
	v_lshlrev_b32_e32 v3, 2, v3
	ds_bpermute_b32 v3, v3, v1
	v_sub_u32_e64 v5, s6, v5 clamp
	v_add_u32_e32 v6, 1, v4
	v_cmp_lt_u32_e32 vcc, v6, v5
	v_add_u32_e32 v6, 2, v4
	s_waitcnt lgkmcnt(0)
	v_cndmask_b32_e32 v3, 0, v3, vcc
	v_cmp_gt_u32_e32 vcc, 62, v4
	v_add_u32_e32 v1, v3, v1
	s_nop 0
	v_cndmask_b32_e64 v3, 0, 2, vcc
	v_add_lshl_u32 v3, v3, v2, 2
	ds_bpermute_b32 v3, v3, v1
	v_cmp_lt_u32_e32 vcc, v6, v5
	v_add_u32_e32 v6, 4, v4
	s_waitcnt lgkmcnt(0)
	v_cndmask_b32_e32 v3, 0, v3, vcc
	v_cmp_gt_u32_e32 vcc, 60, v4
	v_add_u32_e32 v1, v1, v3
	s_nop 0
	v_cndmask_b32_e64 v3, 0, 4, vcc
	v_add_lshl_u32 v3, v3, v2, 2
	ds_bpermute_b32 v3, v3, v1
	;; [unrolled: 10-line block ×3, first 2 shown]
	v_cmp_lt_u32_e32 vcc, v6, v5
	v_add_u32_e32 v6, 16, v4
	s_waitcnt lgkmcnt(0)
	v_cndmask_b32_e32 v3, 0, v3, vcc
	v_cmp_gt_u32_e32 vcc, 48, v4
	v_add_u32_e32 v1, v1, v3
	v_add_u32_e32 v4, 32, v4
	v_cndmask_b32_e64 v3, 0, 16, vcc
	v_add_lshl_u32 v3, v3, v2, 2
	ds_bpermute_b32 v3, v3, v1
	v_cmp_lt_u32_e32 vcc, v6, v5
	s_waitcnt lgkmcnt(0)
	s_nop 0
	v_cndmask_b32_e32 v3, 0, v3, vcc
	v_add_u32_e32 v1, v1, v3
	v_lshlrev_b32_e32 v3, 2, v2
	v_or_b32_e32 v6, 0x80, v3
	ds_bpermute_b32 v6, v6, v1
	v_cmp_lt_u32_e32 vcc, v4, v5
	s_waitcnt lgkmcnt(0)
	s_nop 0
	v_cndmask_b32_e32 v4, 0, v6, vcc
	v_add_u32_e32 v1, v1, v4
	v_cmp_eq_u32_e32 vcc, 0, v2
	s_and_saveexec_b64 s[4:5], vcc
; %bb.126:
	v_lshrrev_b32_e32 v4, 4, v0
	v_and_b32_e32 v4, 12, v4
	ds_write_b32 v4, v1 offset:80
; %bb.127:
	s_or_b64 exec, exec, s[4:5]
	v_cmp_gt_u32_e32 vcc, 4, v0
	s_waitcnt lgkmcnt(0)
	s_barrier
	s_and_saveexec_b64 s[4:5], vcc
	s_cbranch_execz .LBB306_129
; %bb.128:
	ds_read_b32 v1, v3 offset:80
	v_and_b32_e32 v4, 3, v2
	v_cmp_ne_u32_e32 vcc, 3, v4
	s_add_i32 s6, s6, 63
	s_lshr_b32 s6, s6, 6
	v_addc_co_u32_e32 v2, vcc, 0, v2, vcc
	v_lshlrev_b32_e32 v2, 2, v2
	s_waitcnt lgkmcnt(0)
	ds_bpermute_b32 v2, v2, v1
	v_add_u32_e32 v5, 1, v4
	v_cmp_gt_u32_e32 vcc, s6, v5
	s_waitcnt lgkmcnt(0)
	s_nop 0
	v_cndmask_b32_e32 v2, 0, v2, vcc
	v_add_u32_e32 v1, v2, v1
	v_or_b32_e32 v2, 8, v3
	ds_bpermute_b32 v2, v2, v1
	v_add_u32_e32 v3, 2, v4
	v_cmp_gt_u32_e32 vcc, s6, v3
	s_waitcnt lgkmcnt(0)
	s_nop 0
	v_cndmask_b32_e32 v2, 0, v2, vcc
	v_add_u32_e32 v1, v1, v2
.LBB306_129:
	s_or_b64 exec, exec, s[4:5]
.LBB306_130:
	v_cmp_eq_u32_e64 s[4:5], 0, v0
	s_branch .LBB306_140
.LBB306_131:
	s_cmp_eq_u32 s33, 1
	s_cbranch_scc0 .LBB306_139
; %bb.132:
	s_mov_b32 s5, 0
	s_lshl_b32 s4, s2, 8
	s_mov_b32 s3, s5
	s_lshr_b64 s[6:7], s[38:39], 8
	s_cmp_lg_u64 s[6:7], s[2:3]
	v_mbcnt_lo_u32_b32 v2, -1, 0
	s_cbranch_scc0 .LBB306_143
; %bb.133:
	s_lshl_b64 s[6:7], s[4:5], 3
	s_add_u32 s6, s36, s6
	s_addc_u32 s7, s37, s7
	v_lshlrev_b32_e32 v1, 3, v0
	global_load_dwordx2 v[6:7], v1, s[6:7]
	v_mbcnt_hi_u32_b32 v3, -1, v2
	v_lshlrev_b32_e32 v4, 2, v3
	v_or_b32_e32 v5, 0xfc, v4
	v_cmp_eq_u32_e32 vcc, 0, v3
	s_waitcnt vmcnt(0)
	v_cvt_i32_f64_e32 v1, v[6:7]
	s_nop 1
	v_add_u32_dpp v1, v1, v1 quad_perm:[1,0,3,2] row_mask:0xf bank_mask:0xf bound_ctrl:1
	s_nop 1
	v_add_u32_dpp v1, v1, v1 quad_perm:[2,3,0,1] row_mask:0xf bank_mask:0xf bound_ctrl:1
	s_nop 1
	v_add_u32_dpp v1, v1, v1 row_ror:4 row_mask:0xf bank_mask:0xf bound_ctrl:1
	s_nop 1
	v_add_u32_dpp v1, v1, v1 row_ror:8 row_mask:0xf bank_mask:0xf bound_ctrl:1
	s_nop 1
	v_add_u32_dpp v1, v1, v1 row_bcast:15 row_mask:0xf bank_mask:0xf bound_ctrl:1
	s_nop 1
	v_add_u32_dpp v1, v1, v1 row_bcast:31 row_mask:0xf bank_mask:0xf bound_ctrl:1
	ds_bpermute_b32 v1, v5, v1
	s_and_saveexec_b64 s[6:7], vcc
	s_cbranch_execz .LBB306_135
; %bb.134:
	v_lshrrev_b32_e32 v5, 4, v0
	v_and_b32_e32 v5, 12, v5
	s_waitcnt lgkmcnt(0)
	ds_write_b32 v5, v1 offset:16
.LBB306_135:
	s_or_b64 exec, exec, s[6:7]
	v_cmp_gt_u32_e32 vcc, 64, v0
	s_waitcnt lgkmcnt(0)
	s_barrier
	s_and_saveexec_b64 s[6:7], vcc
	s_cbranch_execz .LBB306_137
; %bb.136:
	v_and_b32_e32 v1, 3, v3
	v_lshlrev_b32_e32 v5, 2, v1
	ds_read_b32 v5, v5 offset:16
	v_cmp_ne_u32_e32 vcc, 3, v1
	s_nop 1
	v_addc_co_u32_e32 v1, vcc, 0, v3, vcc
	v_lshlrev_b32_e32 v1, 2, v1
	s_waitcnt lgkmcnt(0)
	ds_bpermute_b32 v1, v1, v5
	v_or_b32_e32 v3, 8, v4
	s_waitcnt lgkmcnt(0)
	v_add_u32_e32 v1, v1, v5
	ds_bpermute_b32 v3, v3, v1
	s_waitcnt lgkmcnt(0)
	v_add_u32_e32 v1, v3, v1
.LBB306_137:
	s_or_b64 exec, exec, s[6:7]
.LBB306_138:
	v_cmp_eq_u32_e64 s[4:5], 0, v0
	s_and_saveexec_b64 s[6:7], s[4:5]
	s_cbranch_execnz .LBB306_141
	s_branch .LBB306_142
.LBB306_139:
                                        ; implicit-def: $vgpr1
                                        ; implicit-def: $sgpr2_sgpr3
.LBB306_140:
	s_and_saveexec_b64 s[6:7], s[4:5]
	s_cbranch_execz .LBB306_142
.LBB306_141:
	s_load_dwordx2 s[4:5], s[0:1], 0x18
	s_load_dword s6, s[0:1], 0x20
	s_lshl_b64 s[0:1], s[2:3], 2
	v_mov_b32_e32 v0, 0
	s_waitcnt lgkmcnt(0)
	s_add_u32 s0, s4, s0
	s_addc_u32 s1, s5, s1
	s_cmp_lg_u64 s[38:39], 0
	s_cselect_b64 vcc, -1, 0
	v_cndmask_b32_e32 v1, 0, v1, vcc
	v_add_u32_e32 v1, s6, v1
	global_store_dword v0, v1, s[0:1]
.LBB306_142:
	s_endpgm
.LBB306_143:
                                        ; implicit-def: $vgpr1
	s_cbranch_execz .LBB306_138
; %bb.144:
	s_sub_i32 s8, s38, s4
	v_cmp_gt_u32_e32 vcc, s8, v0
                                        ; implicit-def: $vgpr1
	s_and_saveexec_b64 s[6:7], vcc
	s_cbranch_execz .LBB306_146
; %bb.145:
	s_lshl_b64 s[4:5], s[4:5], 3
	s_add_u32 s4, s36, s4
	s_addc_u32 s5, s37, s5
	v_lshlrev_b32_e32 v1, 3, v0
	global_load_dwordx2 v[4:5], v1, s[4:5]
	s_waitcnt vmcnt(0)
	v_cvt_i32_f64_e32 v1, v[4:5]
.LBB306_146:
	s_or_b64 exec, exec, s[6:7]
	v_mbcnt_hi_u32_b32 v2, -1, v2
	v_and_b32_e32 v4, 63, v2
	v_cmp_ne_u32_e32 vcc, 63, v4
	s_min_u32 s6, s8, 0x100
	v_and_b32_e32 v5, 0xc0, v0
	v_addc_co_u32_e32 v3, vcc, 0, v2, vcc
	v_lshlrev_b32_e32 v3, 2, v3
	ds_bpermute_b32 v3, v3, v1
	v_sub_u32_e64 v5, s6, v5 clamp
	v_add_u32_e32 v6, 1, v4
	v_cmp_lt_u32_e32 vcc, v6, v5
	v_add_u32_e32 v6, 2, v4
	s_waitcnt lgkmcnt(0)
	v_cndmask_b32_e32 v3, 0, v3, vcc
	v_cmp_gt_u32_e32 vcc, 62, v4
	v_add_u32_e32 v1, v3, v1
	s_nop 0
	v_cndmask_b32_e64 v3, 0, 2, vcc
	v_add_lshl_u32 v3, v3, v2, 2
	ds_bpermute_b32 v3, v3, v1
	v_cmp_lt_u32_e32 vcc, v6, v5
	v_add_u32_e32 v6, 4, v4
	s_waitcnt lgkmcnt(0)
	v_cndmask_b32_e32 v3, 0, v3, vcc
	v_cmp_gt_u32_e32 vcc, 60, v4
	v_add_u32_e32 v1, v1, v3
	s_nop 0
	v_cndmask_b32_e64 v3, 0, 4, vcc
	v_add_lshl_u32 v3, v3, v2, 2
	ds_bpermute_b32 v3, v3, v1
	;; [unrolled: 10-line block ×3, first 2 shown]
	v_cmp_lt_u32_e32 vcc, v6, v5
	v_add_u32_e32 v6, 16, v4
	s_waitcnt lgkmcnt(0)
	v_cndmask_b32_e32 v3, 0, v3, vcc
	v_cmp_gt_u32_e32 vcc, 48, v4
	v_add_u32_e32 v1, v1, v3
	v_add_u32_e32 v4, 32, v4
	v_cndmask_b32_e64 v3, 0, 16, vcc
	v_add_lshl_u32 v3, v3, v2, 2
	ds_bpermute_b32 v3, v3, v1
	v_cmp_lt_u32_e32 vcc, v6, v5
	s_waitcnt lgkmcnt(0)
	s_nop 0
	v_cndmask_b32_e32 v3, 0, v3, vcc
	v_add_u32_e32 v1, v1, v3
	v_lshlrev_b32_e32 v3, 2, v2
	v_or_b32_e32 v6, 0x80, v3
	ds_bpermute_b32 v6, v6, v1
	v_cmp_lt_u32_e32 vcc, v4, v5
	s_waitcnt lgkmcnt(0)
	s_nop 0
	v_cndmask_b32_e32 v4, 0, v6, vcc
	v_add_u32_e32 v1, v1, v4
	v_cmp_eq_u32_e32 vcc, 0, v2
	s_and_saveexec_b64 s[4:5], vcc
; %bb.147:
	v_lshrrev_b32_e32 v4, 4, v0
	v_and_b32_e32 v4, 12, v4
	ds_write_b32 v4, v1 offset:80
; %bb.148:
	s_or_b64 exec, exec, s[4:5]
	v_cmp_gt_u32_e32 vcc, 4, v0
	s_waitcnt lgkmcnt(0)
	s_barrier
	s_and_saveexec_b64 s[4:5], vcc
	s_cbranch_execz .LBB306_150
; %bb.149:
	ds_read_b32 v1, v3 offset:80
	v_and_b32_e32 v4, 3, v2
	v_cmp_ne_u32_e32 vcc, 3, v4
	s_add_i32 s6, s6, 63
	s_lshr_b32 s6, s6, 6
	v_addc_co_u32_e32 v2, vcc, 0, v2, vcc
	v_lshlrev_b32_e32 v2, 2, v2
	s_waitcnt lgkmcnt(0)
	ds_bpermute_b32 v2, v2, v1
	v_add_u32_e32 v5, 1, v4
	v_cmp_gt_u32_e32 vcc, s6, v5
	s_waitcnt lgkmcnt(0)
	s_nop 0
	v_cndmask_b32_e32 v2, 0, v2, vcc
	v_add_u32_e32 v1, v2, v1
	v_or_b32_e32 v2, 8, v3
	ds_bpermute_b32 v2, v2, v1
	v_add_u32_e32 v3, 2, v4
	v_cmp_gt_u32_e32 vcc, s6, v3
	s_waitcnt lgkmcnt(0)
	s_nop 0
	v_cndmask_b32_e32 v2, 0, v2, vcc
	v_add_u32_e32 v1, v1, v2
.LBB306_150:
	s_or_b64 exec, exec, s[4:5]
	v_cmp_eq_u32_e64 s[4:5], 0, v0
	s_and_saveexec_b64 s[6:7], s[4:5]
	s_cbranch_execnz .LBB306_141
	s_branch .LBB306_142
	.section	.rodata,"a",@progbits
	.p2align	6, 0x0
	.amdhsa_kernel _ZN7rocprim17ROCPRIM_400000_NS6detail17trampoline_kernelINS0_14default_configENS1_22reduce_config_selectorIdEEZNS1_11reduce_implILb1ES3_N6thrust23THRUST_200600_302600_NS6detail15normal_iteratorINS8_10device_ptrIdEEEEPiiNS8_4plusIiEEEE10hipError_tPvRmT1_T2_T3_mT4_P12ihipStream_tbEUlT_E1_NS1_11comp_targetILNS1_3genE0ELNS1_11target_archE4294967295ELNS1_3gpuE0ELNS1_3repE0EEENS1_30default_config_static_selectorELNS0_4arch9wavefront6targetE1EEEvSK_
		.amdhsa_group_segment_fixed_size 96
		.amdhsa_private_segment_fixed_size 0
		.amdhsa_kernarg_size 40
		.amdhsa_user_sgpr_count 2
		.amdhsa_user_sgpr_dispatch_ptr 0
		.amdhsa_user_sgpr_queue_ptr 0
		.amdhsa_user_sgpr_kernarg_segment_ptr 1
		.amdhsa_user_sgpr_dispatch_id 0
		.amdhsa_user_sgpr_kernarg_preload_length 0
		.amdhsa_user_sgpr_kernarg_preload_offset 0
		.amdhsa_user_sgpr_private_segment_size 0
		.amdhsa_uses_dynamic_stack 0
		.amdhsa_enable_private_segment 0
		.amdhsa_system_sgpr_workgroup_id_x 1
		.amdhsa_system_sgpr_workgroup_id_y 0
		.amdhsa_system_sgpr_workgroup_id_z 0
		.amdhsa_system_sgpr_workgroup_info 0
		.amdhsa_system_vgpr_workitem_id 0
		.amdhsa_next_free_vgpr 36
		.amdhsa_next_free_sgpr 45
		.amdhsa_accum_offset 36
		.amdhsa_reserve_vcc 1
		.amdhsa_float_round_mode_32 0
		.amdhsa_float_round_mode_16_64 0
		.amdhsa_float_denorm_mode_32 3
		.amdhsa_float_denorm_mode_16_64 3
		.amdhsa_dx10_clamp 1
		.amdhsa_ieee_mode 1
		.amdhsa_fp16_overflow 0
		.amdhsa_tg_split 0
		.amdhsa_exception_fp_ieee_invalid_op 0
		.amdhsa_exception_fp_denorm_src 0
		.amdhsa_exception_fp_ieee_div_zero 0
		.amdhsa_exception_fp_ieee_overflow 0
		.amdhsa_exception_fp_ieee_underflow 0
		.amdhsa_exception_fp_ieee_inexact 0
		.amdhsa_exception_int_div_zero 0
	.end_amdhsa_kernel
	.section	.text._ZN7rocprim17ROCPRIM_400000_NS6detail17trampoline_kernelINS0_14default_configENS1_22reduce_config_selectorIdEEZNS1_11reduce_implILb1ES3_N6thrust23THRUST_200600_302600_NS6detail15normal_iteratorINS8_10device_ptrIdEEEEPiiNS8_4plusIiEEEE10hipError_tPvRmT1_T2_T3_mT4_P12ihipStream_tbEUlT_E1_NS1_11comp_targetILNS1_3genE0ELNS1_11target_archE4294967295ELNS1_3gpuE0ELNS1_3repE0EEENS1_30default_config_static_selectorELNS0_4arch9wavefront6targetE1EEEvSK_,"axG",@progbits,_ZN7rocprim17ROCPRIM_400000_NS6detail17trampoline_kernelINS0_14default_configENS1_22reduce_config_selectorIdEEZNS1_11reduce_implILb1ES3_N6thrust23THRUST_200600_302600_NS6detail15normal_iteratorINS8_10device_ptrIdEEEEPiiNS8_4plusIiEEEE10hipError_tPvRmT1_T2_T3_mT4_P12ihipStream_tbEUlT_E1_NS1_11comp_targetILNS1_3genE0ELNS1_11target_archE4294967295ELNS1_3gpuE0ELNS1_3repE0EEENS1_30default_config_static_selectorELNS0_4arch9wavefront6targetE1EEEvSK_,comdat
.Lfunc_end306:
	.size	_ZN7rocprim17ROCPRIM_400000_NS6detail17trampoline_kernelINS0_14default_configENS1_22reduce_config_selectorIdEEZNS1_11reduce_implILb1ES3_N6thrust23THRUST_200600_302600_NS6detail15normal_iteratorINS8_10device_ptrIdEEEEPiiNS8_4plusIiEEEE10hipError_tPvRmT1_T2_T3_mT4_P12ihipStream_tbEUlT_E1_NS1_11comp_targetILNS1_3genE0ELNS1_11target_archE4294967295ELNS1_3gpuE0ELNS1_3repE0EEENS1_30default_config_static_selectorELNS0_4arch9wavefront6targetE1EEEvSK_, .Lfunc_end306-_ZN7rocprim17ROCPRIM_400000_NS6detail17trampoline_kernelINS0_14default_configENS1_22reduce_config_selectorIdEEZNS1_11reduce_implILb1ES3_N6thrust23THRUST_200600_302600_NS6detail15normal_iteratorINS8_10device_ptrIdEEEEPiiNS8_4plusIiEEEE10hipError_tPvRmT1_T2_T3_mT4_P12ihipStream_tbEUlT_E1_NS1_11comp_targetILNS1_3genE0ELNS1_11target_archE4294967295ELNS1_3gpuE0ELNS1_3repE0EEENS1_30default_config_static_selectorELNS0_4arch9wavefront6targetE1EEEvSK_
                                        ; -- End function
	.set _ZN7rocprim17ROCPRIM_400000_NS6detail17trampoline_kernelINS0_14default_configENS1_22reduce_config_selectorIdEEZNS1_11reduce_implILb1ES3_N6thrust23THRUST_200600_302600_NS6detail15normal_iteratorINS8_10device_ptrIdEEEEPiiNS8_4plusIiEEEE10hipError_tPvRmT1_T2_T3_mT4_P12ihipStream_tbEUlT_E1_NS1_11comp_targetILNS1_3genE0ELNS1_11target_archE4294967295ELNS1_3gpuE0ELNS1_3repE0EEENS1_30default_config_static_selectorELNS0_4arch9wavefront6targetE1EEEvSK_.num_vgpr, 36
	.set _ZN7rocprim17ROCPRIM_400000_NS6detail17trampoline_kernelINS0_14default_configENS1_22reduce_config_selectorIdEEZNS1_11reduce_implILb1ES3_N6thrust23THRUST_200600_302600_NS6detail15normal_iteratorINS8_10device_ptrIdEEEEPiiNS8_4plusIiEEEE10hipError_tPvRmT1_T2_T3_mT4_P12ihipStream_tbEUlT_E1_NS1_11comp_targetILNS1_3genE0ELNS1_11target_archE4294967295ELNS1_3gpuE0ELNS1_3repE0EEENS1_30default_config_static_selectorELNS0_4arch9wavefront6targetE1EEEvSK_.num_agpr, 0
	.set _ZN7rocprim17ROCPRIM_400000_NS6detail17trampoline_kernelINS0_14default_configENS1_22reduce_config_selectorIdEEZNS1_11reduce_implILb1ES3_N6thrust23THRUST_200600_302600_NS6detail15normal_iteratorINS8_10device_ptrIdEEEEPiiNS8_4plusIiEEEE10hipError_tPvRmT1_T2_T3_mT4_P12ihipStream_tbEUlT_E1_NS1_11comp_targetILNS1_3genE0ELNS1_11target_archE4294967295ELNS1_3gpuE0ELNS1_3repE0EEENS1_30default_config_static_selectorELNS0_4arch9wavefront6targetE1EEEvSK_.numbered_sgpr, 45
	.set _ZN7rocprim17ROCPRIM_400000_NS6detail17trampoline_kernelINS0_14default_configENS1_22reduce_config_selectorIdEEZNS1_11reduce_implILb1ES3_N6thrust23THRUST_200600_302600_NS6detail15normal_iteratorINS8_10device_ptrIdEEEEPiiNS8_4plusIiEEEE10hipError_tPvRmT1_T2_T3_mT4_P12ihipStream_tbEUlT_E1_NS1_11comp_targetILNS1_3genE0ELNS1_11target_archE4294967295ELNS1_3gpuE0ELNS1_3repE0EEENS1_30default_config_static_selectorELNS0_4arch9wavefront6targetE1EEEvSK_.num_named_barrier, 0
	.set _ZN7rocprim17ROCPRIM_400000_NS6detail17trampoline_kernelINS0_14default_configENS1_22reduce_config_selectorIdEEZNS1_11reduce_implILb1ES3_N6thrust23THRUST_200600_302600_NS6detail15normal_iteratorINS8_10device_ptrIdEEEEPiiNS8_4plusIiEEEE10hipError_tPvRmT1_T2_T3_mT4_P12ihipStream_tbEUlT_E1_NS1_11comp_targetILNS1_3genE0ELNS1_11target_archE4294967295ELNS1_3gpuE0ELNS1_3repE0EEENS1_30default_config_static_selectorELNS0_4arch9wavefront6targetE1EEEvSK_.private_seg_size, 0
	.set _ZN7rocprim17ROCPRIM_400000_NS6detail17trampoline_kernelINS0_14default_configENS1_22reduce_config_selectorIdEEZNS1_11reduce_implILb1ES3_N6thrust23THRUST_200600_302600_NS6detail15normal_iteratorINS8_10device_ptrIdEEEEPiiNS8_4plusIiEEEE10hipError_tPvRmT1_T2_T3_mT4_P12ihipStream_tbEUlT_E1_NS1_11comp_targetILNS1_3genE0ELNS1_11target_archE4294967295ELNS1_3gpuE0ELNS1_3repE0EEENS1_30default_config_static_selectorELNS0_4arch9wavefront6targetE1EEEvSK_.uses_vcc, 1
	.set _ZN7rocprim17ROCPRIM_400000_NS6detail17trampoline_kernelINS0_14default_configENS1_22reduce_config_selectorIdEEZNS1_11reduce_implILb1ES3_N6thrust23THRUST_200600_302600_NS6detail15normal_iteratorINS8_10device_ptrIdEEEEPiiNS8_4plusIiEEEE10hipError_tPvRmT1_T2_T3_mT4_P12ihipStream_tbEUlT_E1_NS1_11comp_targetILNS1_3genE0ELNS1_11target_archE4294967295ELNS1_3gpuE0ELNS1_3repE0EEENS1_30default_config_static_selectorELNS0_4arch9wavefront6targetE1EEEvSK_.uses_flat_scratch, 0
	.set _ZN7rocprim17ROCPRIM_400000_NS6detail17trampoline_kernelINS0_14default_configENS1_22reduce_config_selectorIdEEZNS1_11reduce_implILb1ES3_N6thrust23THRUST_200600_302600_NS6detail15normal_iteratorINS8_10device_ptrIdEEEEPiiNS8_4plusIiEEEE10hipError_tPvRmT1_T2_T3_mT4_P12ihipStream_tbEUlT_E1_NS1_11comp_targetILNS1_3genE0ELNS1_11target_archE4294967295ELNS1_3gpuE0ELNS1_3repE0EEENS1_30default_config_static_selectorELNS0_4arch9wavefront6targetE1EEEvSK_.has_dyn_sized_stack, 0
	.set _ZN7rocprim17ROCPRIM_400000_NS6detail17trampoline_kernelINS0_14default_configENS1_22reduce_config_selectorIdEEZNS1_11reduce_implILb1ES3_N6thrust23THRUST_200600_302600_NS6detail15normal_iteratorINS8_10device_ptrIdEEEEPiiNS8_4plusIiEEEE10hipError_tPvRmT1_T2_T3_mT4_P12ihipStream_tbEUlT_E1_NS1_11comp_targetILNS1_3genE0ELNS1_11target_archE4294967295ELNS1_3gpuE0ELNS1_3repE0EEENS1_30default_config_static_selectorELNS0_4arch9wavefront6targetE1EEEvSK_.has_recursion, 0
	.set _ZN7rocprim17ROCPRIM_400000_NS6detail17trampoline_kernelINS0_14default_configENS1_22reduce_config_selectorIdEEZNS1_11reduce_implILb1ES3_N6thrust23THRUST_200600_302600_NS6detail15normal_iteratorINS8_10device_ptrIdEEEEPiiNS8_4plusIiEEEE10hipError_tPvRmT1_T2_T3_mT4_P12ihipStream_tbEUlT_E1_NS1_11comp_targetILNS1_3genE0ELNS1_11target_archE4294967295ELNS1_3gpuE0ELNS1_3repE0EEENS1_30default_config_static_selectorELNS0_4arch9wavefront6targetE1EEEvSK_.has_indirect_call, 0
	.section	.AMDGPU.csdata,"",@progbits
; Kernel info:
; codeLenInByte = 7076
; TotalNumSgprs: 51
; NumVgprs: 36
; NumAgprs: 0
; TotalNumVgprs: 36
; ScratchSize: 0
; MemoryBound: 0
; FloatMode: 240
; IeeeMode: 1
; LDSByteSize: 96 bytes/workgroup (compile time only)
; SGPRBlocks: 6
; VGPRBlocks: 4
; NumSGPRsForWavesPerEU: 51
; NumVGPRsForWavesPerEU: 36
; AccumOffset: 36
; Occupancy: 8
; WaveLimiterHint : 1
; COMPUTE_PGM_RSRC2:SCRATCH_EN: 0
; COMPUTE_PGM_RSRC2:USER_SGPR: 2
; COMPUTE_PGM_RSRC2:TRAP_HANDLER: 0
; COMPUTE_PGM_RSRC2:TGID_X_EN: 1
; COMPUTE_PGM_RSRC2:TGID_Y_EN: 0
; COMPUTE_PGM_RSRC2:TGID_Z_EN: 0
; COMPUTE_PGM_RSRC2:TIDIG_COMP_CNT: 0
; COMPUTE_PGM_RSRC3_GFX90A:ACCUM_OFFSET: 8
; COMPUTE_PGM_RSRC3_GFX90A:TG_SPLIT: 0
	.section	.text._ZN7rocprim17ROCPRIM_400000_NS6detail17trampoline_kernelINS0_14default_configENS1_22reduce_config_selectorIdEEZNS1_11reduce_implILb1ES3_N6thrust23THRUST_200600_302600_NS6detail15normal_iteratorINS8_10device_ptrIdEEEEPiiNS8_4plusIiEEEE10hipError_tPvRmT1_T2_T3_mT4_P12ihipStream_tbEUlT_E1_NS1_11comp_targetILNS1_3genE5ELNS1_11target_archE942ELNS1_3gpuE9ELNS1_3repE0EEENS1_30default_config_static_selectorELNS0_4arch9wavefront6targetE1EEEvSK_,"axG",@progbits,_ZN7rocprim17ROCPRIM_400000_NS6detail17trampoline_kernelINS0_14default_configENS1_22reduce_config_selectorIdEEZNS1_11reduce_implILb1ES3_N6thrust23THRUST_200600_302600_NS6detail15normal_iteratorINS8_10device_ptrIdEEEEPiiNS8_4plusIiEEEE10hipError_tPvRmT1_T2_T3_mT4_P12ihipStream_tbEUlT_E1_NS1_11comp_targetILNS1_3genE5ELNS1_11target_archE942ELNS1_3gpuE9ELNS1_3repE0EEENS1_30default_config_static_selectorELNS0_4arch9wavefront6targetE1EEEvSK_,comdat
	.protected	_ZN7rocprim17ROCPRIM_400000_NS6detail17trampoline_kernelINS0_14default_configENS1_22reduce_config_selectorIdEEZNS1_11reduce_implILb1ES3_N6thrust23THRUST_200600_302600_NS6detail15normal_iteratorINS8_10device_ptrIdEEEEPiiNS8_4plusIiEEEE10hipError_tPvRmT1_T2_T3_mT4_P12ihipStream_tbEUlT_E1_NS1_11comp_targetILNS1_3genE5ELNS1_11target_archE942ELNS1_3gpuE9ELNS1_3repE0EEENS1_30default_config_static_selectorELNS0_4arch9wavefront6targetE1EEEvSK_ ; -- Begin function _ZN7rocprim17ROCPRIM_400000_NS6detail17trampoline_kernelINS0_14default_configENS1_22reduce_config_selectorIdEEZNS1_11reduce_implILb1ES3_N6thrust23THRUST_200600_302600_NS6detail15normal_iteratorINS8_10device_ptrIdEEEEPiiNS8_4plusIiEEEE10hipError_tPvRmT1_T2_T3_mT4_P12ihipStream_tbEUlT_E1_NS1_11comp_targetILNS1_3genE5ELNS1_11target_archE942ELNS1_3gpuE9ELNS1_3repE0EEENS1_30default_config_static_selectorELNS0_4arch9wavefront6targetE1EEEvSK_
	.globl	_ZN7rocprim17ROCPRIM_400000_NS6detail17trampoline_kernelINS0_14default_configENS1_22reduce_config_selectorIdEEZNS1_11reduce_implILb1ES3_N6thrust23THRUST_200600_302600_NS6detail15normal_iteratorINS8_10device_ptrIdEEEEPiiNS8_4plusIiEEEE10hipError_tPvRmT1_T2_T3_mT4_P12ihipStream_tbEUlT_E1_NS1_11comp_targetILNS1_3genE5ELNS1_11target_archE942ELNS1_3gpuE9ELNS1_3repE0EEENS1_30default_config_static_selectorELNS0_4arch9wavefront6targetE1EEEvSK_
	.p2align	8
	.type	_ZN7rocprim17ROCPRIM_400000_NS6detail17trampoline_kernelINS0_14default_configENS1_22reduce_config_selectorIdEEZNS1_11reduce_implILb1ES3_N6thrust23THRUST_200600_302600_NS6detail15normal_iteratorINS8_10device_ptrIdEEEEPiiNS8_4plusIiEEEE10hipError_tPvRmT1_T2_T3_mT4_P12ihipStream_tbEUlT_E1_NS1_11comp_targetILNS1_3genE5ELNS1_11target_archE942ELNS1_3gpuE9ELNS1_3repE0EEENS1_30default_config_static_selectorELNS0_4arch9wavefront6targetE1EEEvSK_,@function
_ZN7rocprim17ROCPRIM_400000_NS6detail17trampoline_kernelINS0_14default_configENS1_22reduce_config_selectorIdEEZNS1_11reduce_implILb1ES3_N6thrust23THRUST_200600_302600_NS6detail15normal_iteratorINS8_10device_ptrIdEEEEPiiNS8_4plusIiEEEE10hipError_tPvRmT1_T2_T3_mT4_P12ihipStream_tbEUlT_E1_NS1_11comp_targetILNS1_3genE5ELNS1_11target_archE942ELNS1_3gpuE9ELNS1_3repE0EEENS1_30default_config_static_selectorELNS0_4arch9wavefront6targetE1EEEvSK_: ; @_ZN7rocprim17ROCPRIM_400000_NS6detail17trampoline_kernelINS0_14default_configENS1_22reduce_config_selectorIdEEZNS1_11reduce_implILb1ES3_N6thrust23THRUST_200600_302600_NS6detail15normal_iteratorINS8_10device_ptrIdEEEEPiiNS8_4plusIiEEEE10hipError_tPvRmT1_T2_T3_mT4_P12ihipStream_tbEUlT_E1_NS1_11comp_targetILNS1_3genE5ELNS1_11target_archE942ELNS1_3gpuE9ELNS1_3repE0EEENS1_30default_config_static_selectorELNS0_4arch9wavefront6targetE1EEEvSK_
; %bb.0:
	.section	.rodata,"a",@progbits
	.p2align	6, 0x0
	.amdhsa_kernel _ZN7rocprim17ROCPRIM_400000_NS6detail17trampoline_kernelINS0_14default_configENS1_22reduce_config_selectorIdEEZNS1_11reduce_implILb1ES3_N6thrust23THRUST_200600_302600_NS6detail15normal_iteratorINS8_10device_ptrIdEEEEPiiNS8_4plusIiEEEE10hipError_tPvRmT1_T2_T3_mT4_P12ihipStream_tbEUlT_E1_NS1_11comp_targetILNS1_3genE5ELNS1_11target_archE942ELNS1_3gpuE9ELNS1_3repE0EEENS1_30default_config_static_selectorELNS0_4arch9wavefront6targetE1EEEvSK_
		.amdhsa_group_segment_fixed_size 0
		.amdhsa_private_segment_fixed_size 0
		.amdhsa_kernarg_size 40
		.amdhsa_user_sgpr_count 2
		.amdhsa_user_sgpr_dispatch_ptr 0
		.amdhsa_user_sgpr_queue_ptr 0
		.amdhsa_user_sgpr_kernarg_segment_ptr 1
		.amdhsa_user_sgpr_dispatch_id 0
		.amdhsa_user_sgpr_kernarg_preload_length 0
		.amdhsa_user_sgpr_kernarg_preload_offset 0
		.amdhsa_user_sgpr_private_segment_size 0
		.amdhsa_uses_dynamic_stack 0
		.amdhsa_enable_private_segment 0
		.amdhsa_system_sgpr_workgroup_id_x 1
		.amdhsa_system_sgpr_workgroup_id_y 0
		.amdhsa_system_sgpr_workgroup_id_z 0
		.amdhsa_system_sgpr_workgroup_info 0
		.amdhsa_system_vgpr_workitem_id 0
		.amdhsa_next_free_vgpr 1
		.amdhsa_next_free_sgpr 0
		.amdhsa_accum_offset 4
		.amdhsa_reserve_vcc 0
		.amdhsa_float_round_mode_32 0
		.amdhsa_float_round_mode_16_64 0
		.amdhsa_float_denorm_mode_32 3
		.amdhsa_float_denorm_mode_16_64 3
		.amdhsa_dx10_clamp 1
		.amdhsa_ieee_mode 1
		.amdhsa_fp16_overflow 0
		.amdhsa_tg_split 0
		.amdhsa_exception_fp_ieee_invalid_op 0
		.amdhsa_exception_fp_denorm_src 0
		.amdhsa_exception_fp_ieee_div_zero 0
		.amdhsa_exception_fp_ieee_overflow 0
		.amdhsa_exception_fp_ieee_underflow 0
		.amdhsa_exception_fp_ieee_inexact 0
		.amdhsa_exception_int_div_zero 0
	.end_amdhsa_kernel
	.section	.text._ZN7rocprim17ROCPRIM_400000_NS6detail17trampoline_kernelINS0_14default_configENS1_22reduce_config_selectorIdEEZNS1_11reduce_implILb1ES3_N6thrust23THRUST_200600_302600_NS6detail15normal_iteratorINS8_10device_ptrIdEEEEPiiNS8_4plusIiEEEE10hipError_tPvRmT1_T2_T3_mT4_P12ihipStream_tbEUlT_E1_NS1_11comp_targetILNS1_3genE5ELNS1_11target_archE942ELNS1_3gpuE9ELNS1_3repE0EEENS1_30default_config_static_selectorELNS0_4arch9wavefront6targetE1EEEvSK_,"axG",@progbits,_ZN7rocprim17ROCPRIM_400000_NS6detail17trampoline_kernelINS0_14default_configENS1_22reduce_config_selectorIdEEZNS1_11reduce_implILb1ES3_N6thrust23THRUST_200600_302600_NS6detail15normal_iteratorINS8_10device_ptrIdEEEEPiiNS8_4plusIiEEEE10hipError_tPvRmT1_T2_T3_mT4_P12ihipStream_tbEUlT_E1_NS1_11comp_targetILNS1_3genE5ELNS1_11target_archE942ELNS1_3gpuE9ELNS1_3repE0EEENS1_30default_config_static_selectorELNS0_4arch9wavefront6targetE1EEEvSK_,comdat
.Lfunc_end307:
	.size	_ZN7rocprim17ROCPRIM_400000_NS6detail17trampoline_kernelINS0_14default_configENS1_22reduce_config_selectorIdEEZNS1_11reduce_implILb1ES3_N6thrust23THRUST_200600_302600_NS6detail15normal_iteratorINS8_10device_ptrIdEEEEPiiNS8_4plusIiEEEE10hipError_tPvRmT1_T2_T3_mT4_P12ihipStream_tbEUlT_E1_NS1_11comp_targetILNS1_3genE5ELNS1_11target_archE942ELNS1_3gpuE9ELNS1_3repE0EEENS1_30default_config_static_selectorELNS0_4arch9wavefront6targetE1EEEvSK_, .Lfunc_end307-_ZN7rocprim17ROCPRIM_400000_NS6detail17trampoline_kernelINS0_14default_configENS1_22reduce_config_selectorIdEEZNS1_11reduce_implILb1ES3_N6thrust23THRUST_200600_302600_NS6detail15normal_iteratorINS8_10device_ptrIdEEEEPiiNS8_4plusIiEEEE10hipError_tPvRmT1_T2_T3_mT4_P12ihipStream_tbEUlT_E1_NS1_11comp_targetILNS1_3genE5ELNS1_11target_archE942ELNS1_3gpuE9ELNS1_3repE0EEENS1_30default_config_static_selectorELNS0_4arch9wavefront6targetE1EEEvSK_
                                        ; -- End function
	.set _ZN7rocprim17ROCPRIM_400000_NS6detail17trampoline_kernelINS0_14default_configENS1_22reduce_config_selectorIdEEZNS1_11reduce_implILb1ES3_N6thrust23THRUST_200600_302600_NS6detail15normal_iteratorINS8_10device_ptrIdEEEEPiiNS8_4plusIiEEEE10hipError_tPvRmT1_T2_T3_mT4_P12ihipStream_tbEUlT_E1_NS1_11comp_targetILNS1_3genE5ELNS1_11target_archE942ELNS1_3gpuE9ELNS1_3repE0EEENS1_30default_config_static_selectorELNS0_4arch9wavefront6targetE1EEEvSK_.num_vgpr, 0
	.set _ZN7rocprim17ROCPRIM_400000_NS6detail17trampoline_kernelINS0_14default_configENS1_22reduce_config_selectorIdEEZNS1_11reduce_implILb1ES3_N6thrust23THRUST_200600_302600_NS6detail15normal_iteratorINS8_10device_ptrIdEEEEPiiNS8_4plusIiEEEE10hipError_tPvRmT1_T2_T3_mT4_P12ihipStream_tbEUlT_E1_NS1_11comp_targetILNS1_3genE5ELNS1_11target_archE942ELNS1_3gpuE9ELNS1_3repE0EEENS1_30default_config_static_selectorELNS0_4arch9wavefront6targetE1EEEvSK_.num_agpr, 0
	.set _ZN7rocprim17ROCPRIM_400000_NS6detail17trampoline_kernelINS0_14default_configENS1_22reduce_config_selectorIdEEZNS1_11reduce_implILb1ES3_N6thrust23THRUST_200600_302600_NS6detail15normal_iteratorINS8_10device_ptrIdEEEEPiiNS8_4plusIiEEEE10hipError_tPvRmT1_T2_T3_mT4_P12ihipStream_tbEUlT_E1_NS1_11comp_targetILNS1_3genE5ELNS1_11target_archE942ELNS1_3gpuE9ELNS1_3repE0EEENS1_30default_config_static_selectorELNS0_4arch9wavefront6targetE1EEEvSK_.numbered_sgpr, 0
	.set _ZN7rocprim17ROCPRIM_400000_NS6detail17trampoline_kernelINS0_14default_configENS1_22reduce_config_selectorIdEEZNS1_11reduce_implILb1ES3_N6thrust23THRUST_200600_302600_NS6detail15normal_iteratorINS8_10device_ptrIdEEEEPiiNS8_4plusIiEEEE10hipError_tPvRmT1_T2_T3_mT4_P12ihipStream_tbEUlT_E1_NS1_11comp_targetILNS1_3genE5ELNS1_11target_archE942ELNS1_3gpuE9ELNS1_3repE0EEENS1_30default_config_static_selectorELNS0_4arch9wavefront6targetE1EEEvSK_.num_named_barrier, 0
	.set _ZN7rocprim17ROCPRIM_400000_NS6detail17trampoline_kernelINS0_14default_configENS1_22reduce_config_selectorIdEEZNS1_11reduce_implILb1ES3_N6thrust23THRUST_200600_302600_NS6detail15normal_iteratorINS8_10device_ptrIdEEEEPiiNS8_4plusIiEEEE10hipError_tPvRmT1_T2_T3_mT4_P12ihipStream_tbEUlT_E1_NS1_11comp_targetILNS1_3genE5ELNS1_11target_archE942ELNS1_3gpuE9ELNS1_3repE0EEENS1_30default_config_static_selectorELNS0_4arch9wavefront6targetE1EEEvSK_.private_seg_size, 0
	.set _ZN7rocprim17ROCPRIM_400000_NS6detail17trampoline_kernelINS0_14default_configENS1_22reduce_config_selectorIdEEZNS1_11reduce_implILb1ES3_N6thrust23THRUST_200600_302600_NS6detail15normal_iteratorINS8_10device_ptrIdEEEEPiiNS8_4plusIiEEEE10hipError_tPvRmT1_T2_T3_mT4_P12ihipStream_tbEUlT_E1_NS1_11comp_targetILNS1_3genE5ELNS1_11target_archE942ELNS1_3gpuE9ELNS1_3repE0EEENS1_30default_config_static_selectorELNS0_4arch9wavefront6targetE1EEEvSK_.uses_vcc, 0
	.set _ZN7rocprim17ROCPRIM_400000_NS6detail17trampoline_kernelINS0_14default_configENS1_22reduce_config_selectorIdEEZNS1_11reduce_implILb1ES3_N6thrust23THRUST_200600_302600_NS6detail15normal_iteratorINS8_10device_ptrIdEEEEPiiNS8_4plusIiEEEE10hipError_tPvRmT1_T2_T3_mT4_P12ihipStream_tbEUlT_E1_NS1_11comp_targetILNS1_3genE5ELNS1_11target_archE942ELNS1_3gpuE9ELNS1_3repE0EEENS1_30default_config_static_selectorELNS0_4arch9wavefront6targetE1EEEvSK_.uses_flat_scratch, 0
	.set _ZN7rocprim17ROCPRIM_400000_NS6detail17trampoline_kernelINS0_14default_configENS1_22reduce_config_selectorIdEEZNS1_11reduce_implILb1ES3_N6thrust23THRUST_200600_302600_NS6detail15normal_iteratorINS8_10device_ptrIdEEEEPiiNS8_4plusIiEEEE10hipError_tPvRmT1_T2_T3_mT4_P12ihipStream_tbEUlT_E1_NS1_11comp_targetILNS1_3genE5ELNS1_11target_archE942ELNS1_3gpuE9ELNS1_3repE0EEENS1_30default_config_static_selectorELNS0_4arch9wavefront6targetE1EEEvSK_.has_dyn_sized_stack, 0
	.set _ZN7rocprim17ROCPRIM_400000_NS6detail17trampoline_kernelINS0_14default_configENS1_22reduce_config_selectorIdEEZNS1_11reduce_implILb1ES3_N6thrust23THRUST_200600_302600_NS6detail15normal_iteratorINS8_10device_ptrIdEEEEPiiNS8_4plusIiEEEE10hipError_tPvRmT1_T2_T3_mT4_P12ihipStream_tbEUlT_E1_NS1_11comp_targetILNS1_3genE5ELNS1_11target_archE942ELNS1_3gpuE9ELNS1_3repE0EEENS1_30default_config_static_selectorELNS0_4arch9wavefront6targetE1EEEvSK_.has_recursion, 0
	.set _ZN7rocprim17ROCPRIM_400000_NS6detail17trampoline_kernelINS0_14default_configENS1_22reduce_config_selectorIdEEZNS1_11reduce_implILb1ES3_N6thrust23THRUST_200600_302600_NS6detail15normal_iteratorINS8_10device_ptrIdEEEEPiiNS8_4plusIiEEEE10hipError_tPvRmT1_T2_T3_mT4_P12ihipStream_tbEUlT_E1_NS1_11comp_targetILNS1_3genE5ELNS1_11target_archE942ELNS1_3gpuE9ELNS1_3repE0EEENS1_30default_config_static_selectorELNS0_4arch9wavefront6targetE1EEEvSK_.has_indirect_call, 0
	.section	.AMDGPU.csdata,"",@progbits
; Kernel info:
; codeLenInByte = 0
; TotalNumSgprs: 6
; NumVgprs: 0
; NumAgprs: 0
; TotalNumVgprs: 0
; ScratchSize: 0
; MemoryBound: 0
; FloatMode: 240
; IeeeMode: 1
; LDSByteSize: 0 bytes/workgroup (compile time only)
; SGPRBlocks: 0
; VGPRBlocks: 0
; NumSGPRsForWavesPerEU: 6
; NumVGPRsForWavesPerEU: 1
; AccumOffset: 4
; Occupancy: 8
; WaveLimiterHint : 0
; COMPUTE_PGM_RSRC2:SCRATCH_EN: 0
; COMPUTE_PGM_RSRC2:USER_SGPR: 2
; COMPUTE_PGM_RSRC2:TRAP_HANDLER: 0
; COMPUTE_PGM_RSRC2:TGID_X_EN: 1
; COMPUTE_PGM_RSRC2:TGID_Y_EN: 0
; COMPUTE_PGM_RSRC2:TGID_Z_EN: 0
; COMPUTE_PGM_RSRC2:TIDIG_COMP_CNT: 0
; COMPUTE_PGM_RSRC3_GFX90A:ACCUM_OFFSET: 0
; COMPUTE_PGM_RSRC3_GFX90A:TG_SPLIT: 0
	.section	.text._ZN7rocprim17ROCPRIM_400000_NS6detail17trampoline_kernelINS0_14default_configENS1_22reduce_config_selectorIdEEZNS1_11reduce_implILb1ES3_N6thrust23THRUST_200600_302600_NS6detail15normal_iteratorINS8_10device_ptrIdEEEEPiiNS8_4plusIiEEEE10hipError_tPvRmT1_T2_T3_mT4_P12ihipStream_tbEUlT_E1_NS1_11comp_targetILNS1_3genE4ELNS1_11target_archE910ELNS1_3gpuE8ELNS1_3repE0EEENS1_30default_config_static_selectorELNS0_4arch9wavefront6targetE1EEEvSK_,"axG",@progbits,_ZN7rocprim17ROCPRIM_400000_NS6detail17trampoline_kernelINS0_14default_configENS1_22reduce_config_selectorIdEEZNS1_11reduce_implILb1ES3_N6thrust23THRUST_200600_302600_NS6detail15normal_iteratorINS8_10device_ptrIdEEEEPiiNS8_4plusIiEEEE10hipError_tPvRmT1_T2_T3_mT4_P12ihipStream_tbEUlT_E1_NS1_11comp_targetILNS1_3genE4ELNS1_11target_archE910ELNS1_3gpuE8ELNS1_3repE0EEENS1_30default_config_static_selectorELNS0_4arch9wavefront6targetE1EEEvSK_,comdat
	.protected	_ZN7rocprim17ROCPRIM_400000_NS6detail17trampoline_kernelINS0_14default_configENS1_22reduce_config_selectorIdEEZNS1_11reduce_implILb1ES3_N6thrust23THRUST_200600_302600_NS6detail15normal_iteratorINS8_10device_ptrIdEEEEPiiNS8_4plusIiEEEE10hipError_tPvRmT1_T2_T3_mT4_P12ihipStream_tbEUlT_E1_NS1_11comp_targetILNS1_3genE4ELNS1_11target_archE910ELNS1_3gpuE8ELNS1_3repE0EEENS1_30default_config_static_selectorELNS0_4arch9wavefront6targetE1EEEvSK_ ; -- Begin function _ZN7rocprim17ROCPRIM_400000_NS6detail17trampoline_kernelINS0_14default_configENS1_22reduce_config_selectorIdEEZNS1_11reduce_implILb1ES3_N6thrust23THRUST_200600_302600_NS6detail15normal_iteratorINS8_10device_ptrIdEEEEPiiNS8_4plusIiEEEE10hipError_tPvRmT1_T2_T3_mT4_P12ihipStream_tbEUlT_E1_NS1_11comp_targetILNS1_3genE4ELNS1_11target_archE910ELNS1_3gpuE8ELNS1_3repE0EEENS1_30default_config_static_selectorELNS0_4arch9wavefront6targetE1EEEvSK_
	.globl	_ZN7rocprim17ROCPRIM_400000_NS6detail17trampoline_kernelINS0_14default_configENS1_22reduce_config_selectorIdEEZNS1_11reduce_implILb1ES3_N6thrust23THRUST_200600_302600_NS6detail15normal_iteratorINS8_10device_ptrIdEEEEPiiNS8_4plusIiEEEE10hipError_tPvRmT1_T2_T3_mT4_P12ihipStream_tbEUlT_E1_NS1_11comp_targetILNS1_3genE4ELNS1_11target_archE910ELNS1_3gpuE8ELNS1_3repE0EEENS1_30default_config_static_selectorELNS0_4arch9wavefront6targetE1EEEvSK_
	.p2align	8
	.type	_ZN7rocprim17ROCPRIM_400000_NS6detail17trampoline_kernelINS0_14default_configENS1_22reduce_config_selectorIdEEZNS1_11reduce_implILb1ES3_N6thrust23THRUST_200600_302600_NS6detail15normal_iteratorINS8_10device_ptrIdEEEEPiiNS8_4plusIiEEEE10hipError_tPvRmT1_T2_T3_mT4_P12ihipStream_tbEUlT_E1_NS1_11comp_targetILNS1_3genE4ELNS1_11target_archE910ELNS1_3gpuE8ELNS1_3repE0EEENS1_30default_config_static_selectorELNS0_4arch9wavefront6targetE1EEEvSK_,@function
_ZN7rocprim17ROCPRIM_400000_NS6detail17trampoline_kernelINS0_14default_configENS1_22reduce_config_selectorIdEEZNS1_11reduce_implILb1ES3_N6thrust23THRUST_200600_302600_NS6detail15normal_iteratorINS8_10device_ptrIdEEEEPiiNS8_4plusIiEEEE10hipError_tPvRmT1_T2_T3_mT4_P12ihipStream_tbEUlT_E1_NS1_11comp_targetILNS1_3genE4ELNS1_11target_archE910ELNS1_3gpuE8ELNS1_3repE0EEENS1_30default_config_static_selectorELNS0_4arch9wavefront6targetE1EEEvSK_: ; @_ZN7rocprim17ROCPRIM_400000_NS6detail17trampoline_kernelINS0_14default_configENS1_22reduce_config_selectorIdEEZNS1_11reduce_implILb1ES3_N6thrust23THRUST_200600_302600_NS6detail15normal_iteratorINS8_10device_ptrIdEEEEPiiNS8_4plusIiEEEE10hipError_tPvRmT1_T2_T3_mT4_P12ihipStream_tbEUlT_E1_NS1_11comp_targetILNS1_3genE4ELNS1_11target_archE910ELNS1_3gpuE8ELNS1_3repE0EEENS1_30default_config_static_selectorELNS0_4arch9wavefront6targetE1EEEvSK_
; %bb.0:
	.section	.rodata,"a",@progbits
	.p2align	6, 0x0
	.amdhsa_kernel _ZN7rocprim17ROCPRIM_400000_NS6detail17trampoline_kernelINS0_14default_configENS1_22reduce_config_selectorIdEEZNS1_11reduce_implILb1ES3_N6thrust23THRUST_200600_302600_NS6detail15normal_iteratorINS8_10device_ptrIdEEEEPiiNS8_4plusIiEEEE10hipError_tPvRmT1_T2_T3_mT4_P12ihipStream_tbEUlT_E1_NS1_11comp_targetILNS1_3genE4ELNS1_11target_archE910ELNS1_3gpuE8ELNS1_3repE0EEENS1_30default_config_static_selectorELNS0_4arch9wavefront6targetE1EEEvSK_
		.amdhsa_group_segment_fixed_size 0
		.amdhsa_private_segment_fixed_size 0
		.amdhsa_kernarg_size 40
		.amdhsa_user_sgpr_count 2
		.amdhsa_user_sgpr_dispatch_ptr 0
		.amdhsa_user_sgpr_queue_ptr 0
		.amdhsa_user_sgpr_kernarg_segment_ptr 1
		.amdhsa_user_sgpr_dispatch_id 0
		.amdhsa_user_sgpr_kernarg_preload_length 0
		.amdhsa_user_sgpr_kernarg_preload_offset 0
		.amdhsa_user_sgpr_private_segment_size 0
		.amdhsa_uses_dynamic_stack 0
		.amdhsa_enable_private_segment 0
		.amdhsa_system_sgpr_workgroup_id_x 1
		.amdhsa_system_sgpr_workgroup_id_y 0
		.amdhsa_system_sgpr_workgroup_id_z 0
		.amdhsa_system_sgpr_workgroup_info 0
		.amdhsa_system_vgpr_workitem_id 0
		.amdhsa_next_free_vgpr 1
		.amdhsa_next_free_sgpr 0
		.amdhsa_accum_offset 4
		.amdhsa_reserve_vcc 0
		.amdhsa_float_round_mode_32 0
		.amdhsa_float_round_mode_16_64 0
		.amdhsa_float_denorm_mode_32 3
		.amdhsa_float_denorm_mode_16_64 3
		.amdhsa_dx10_clamp 1
		.amdhsa_ieee_mode 1
		.amdhsa_fp16_overflow 0
		.amdhsa_tg_split 0
		.amdhsa_exception_fp_ieee_invalid_op 0
		.amdhsa_exception_fp_denorm_src 0
		.amdhsa_exception_fp_ieee_div_zero 0
		.amdhsa_exception_fp_ieee_overflow 0
		.amdhsa_exception_fp_ieee_underflow 0
		.amdhsa_exception_fp_ieee_inexact 0
		.amdhsa_exception_int_div_zero 0
	.end_amdhsa_kernel
	.section	.text._ZN7rocprim17ROCPRIM_400000_NS6detail17trampoline_kernelINS0_14default_configENS1_22reduce_config_selectorIdEEZNS1_11reduce_implILb1ES3_N6thrust23THRUST_200600_302600_NS6detail15normal_iteratorINS8_10device_ptrIdEEEEPiiNS8_4plusIiEEEE10hipError_tPvRmT1_T2_T3_mT4_P12ihipStream_tbEUlT_E1_NS1_11comp_targetILNS1_3genE4ELNS1_11target_archE910ELNS1_3gpuE8ELNS1_3repE0EEENS1_30default_config_static_selectorELNS0_4arch9wavefront6targetE1EEEvSK_,"axG",@progbits,_ZN7rocprim17ROCPRIM_400000_NS6detail17trampoline_kernelINS0_14default_configENS1_22reduce_config_selectorIdEEZNS1_11reduce_implILb1ES3_N6thrust23THRUST_200600_302600_NS6detail15normal_iteratorINS8_10device_ptrIdEEEEPiiNS8_4plusIiEEEE10hipError_tPvRmT1_T2_T3_mT4_P12ihipStream_tbEUlT_E1_NS1_11comp_targetILNS1_3genE4ELNS1_11target_archE910ELNS1_3gpuE8ELNS1_3repE0EEENS1_30default_config_static_selectorELNS0_4arch9wavefront6targetE1EEEvSK_,comdat
.Lfunc_end308:
	.size	_ZN7rocprim17ROCPRIM_400000_NS6detail17trampoline_kernelINS0_14default_configENS1_22reduce_config_selectorIdEEZNS1_11reduce_implILb1ES3_N6thrust23THRUST_200600_302600_NS6detail15normal_iteratorINS8_10device_ptrIdEEEEPiiNS8_4plusIiEEEE10hipError_tPvRmT1_T2_T3_mT4_P12ihipStream_tbEUlT_E1_NS1_11comp_targetILNS1_3genE4ELNS1_11target_archE910ELNS1_3gpuE8ELNS1_3repE0EEENS1_30default_config_static_selectorELNS0_4arch9wavefront6targetE1EEEvSK_, .Lfunc_end308-_ZN7rocprim17ROCPRIM_400000_NS6detail17trampoline_kernelINS0_14default_configENS1_22reduce_config_selectorIdEEZNS1_11reduce_implILb1ES3_N6thrust23THRUST_200600_302600_NS6detail15normal_iteratorINS8_10device_ptrIdEEEEPiiNS8_4plusIiEEEE10hipError_tPvRmT1_T2_T3_mT4_P12ihipStream_tbEUlT_E1_NS1_11comp_targetILNS1_3genE4ELNS1_11target_archE910ELNS1_3gpuE8ELNS1_3repE0EEENS1_30default_config_static_selectorELNS0_4arch9wavefront6targetE1EEEvSK_
                                        ; -- End function
	.set _ZN7rocprim17ROCPRIM_400000_NS6detail17trampoline_kernelINS0_14default_configENS1_22reduce_config_selectorIdEEZNS1_11reduce_implILb1ES3_N6thrust23THRUST_200600_302600_NS6detail15normal_iteratorINS8_10device_ptrIdEEEEPiiNS8_4plusIiEEEE10hipError_tPvRmT1_T2_T3_mT4_P12ihipStream_tbEUlT_E1_NS1_11comp_targetILNS1_3genE4ELNS1_11target_archE910ELNS1_3gpuE8ELNS1_3repE0EEENS1_30default_config_static_selectorELNS0_4arch9wavefront6targetE1EEEvSK_.num_vgpr, 0
	.set _ZN7rocprim17ROCPRIM_400000_NS6detail17trampoline_kernelINS0_14default_configENS1_22reduce_config_selectorIdEEZNS1_11reduce_implILb1ES3_N6thrust23THRUST_200600_302600_NS6detail15normal_iteratorINS8_10device_ptrIdEEEEPiiNS8_4plusIiEEEE10hipError_tPvRmT1_T2_T3_mT4_P12ihipStream_tbEUlT_E1_NS1_11comp_targetILNS1_3genE4ELNS1_11target_archE910ELNS1_3gpuE8ELNS1_3repE0EEENS1_30default_config_static_selectorELNS0_4arch9wavefront6targetE1EEEvSK_.num_agpr, 0
	.set _ZN7rocprim17ROCPRIM_400000_NS6detail17trampoline_kernelINS0_14default_configENS1_22reduce_config_selectorIdEEZNS1_11reduce_implILb1ES3_N6thrust23THRUST_200600_302600_NS6detail15normal_iteratorINS8_10device_ptrIdEEEEPiiNS8_4plusIiEEEE10hipError_tPvRmT1_T2_T3_mT4_P12ihipStream_tbEUlT_E1_NS1_11comp_targetILNS1_3genE4ELNS1_11target_archE910ELNS1_3gpuE8ELNS1_3repE0EEENS1_30default_config_static_selectorELNS0_4arch9wavefront6targetE1EEEvSK_.numbered_sgpr, 0
	.set _ZN7rocprim17ROCPRIM_400000_NS6detail17trampoline_kernelINS0_14default_configENS1_22reduce_config_selectorIdEEZNS1_11reduce_implILb1ES3_N6thrust23THRUST_200600_302600_NS6detail15normal_iteratorINS8_10device_ptrIdEEEEPiiNS8_4plusIiEEEE10hipError_tPvRmT1_T2_T3_mT4_P12ihipStream_tbEUlT_E1_NS1_11comp_targetILNS1_3genE4ELNS1_11target_archE910ELNS1_3gpuE8ELNS1_3repE0EEENS1_30default_config_static_selectorELNS0_4arch9wavefront6targetE1EEEvSK_.num_named_barrier, 0
	.set _ZN7rocprim17ROCPRIM_400000_NS6detail17trampoline_kernelINS0_14default_configENS1_22reduce_config_selectorIdEEZNS1_11reduce_implILb1ES3_N6thrust23THRUST_200600_302600_NS6detail15normal_iteratorINS8_10device_ptrIdEEEEPiiNS8_4plusIiEEEE10hipError_tPvRmT1_T2_T3_mT4_P12ihipStream_tbEUlT_E1_NS1_11comp_targetILNS1_3genE4ELNS1_11target_archE910ELNS1_3gpuE8ELNS1_3repE0EEENS1_30default_config_static_selectorELNS0_4arch9wavefront6targetE1EEEvSK_.private_seg_size, 0
	.set _ZN7rocprim17ROCPRIM_400000_NS6detail17trampoline_kernelINS0_14default_configENS1_22reduce_config_selectorIdEEZNS1_11reduce_implILb1ES3_N6thrust23THRUST_200600_302600_NS6detail15normal_iteratorINS8_10device_ptrIdEEEEPiiNS8_4plusIiEEEE10hipError_tPvRmT1_T2_T3_mT4_P12ihipStream_tbEUlT_E1_NS1_11comp_targetILNS1_3genE4ELNS1_11target_archE910ELNS1_3gpuE8ELNS1_3repE0EEENS1_30default_config_static_selectorELNS0_4arch9wavefront6targetE1EEEvSK_.uses_vcc, 0
	.set _ZN7rocprim17ROCPRIM_400000_NS6detail17trampoline_kernelINS0_14default_configENS1_22reduce_config_selectorIdEEZNS1_11reduce_implILb1ES3_N6thrust23THRUST_200600_302600_NS6detail15normal_iteratorINS8_10device_ptrIdEEEEPiiNS8_4plusIiEEEE10hipError_tPvRmT1_T2_T3_mT4_P12ihipStream_tbEUlT_E1_NS1_11comp_targetILNS1_3genE4ELNS1_11target_archE910ELNS1_3gpuE8ELNS1_3repE0EEENS1_30default_config_static_selectorELNS0_4arch9wavefront6targetE1EEEvSK_.uses_flat_scratch, 0
	.set _ZN7rocprim17ROCPRIM_400000_NS6detail17trampoline_kernelINS0_14default_configENS1_22reduce_config_selectorIdEEZNS1_11reduce_implILb1ES3_N6thrust23THRUST_200600_302600_NS6detail15normal_iteratorINS8_10device_ptrIdEEEEPiiNS8_4plusIiEEEE10hipError_tPvRmT1_T2_T3_mT4_P12ihipStream_tbEUlT_E1_NS1_11comp_targetILNS1_3genE4ELNS1_11target_archE910ELNS1_3gpuE8ELNS1_3repE0EEENS1_30default_config_static_selectorELNS0_4arch9wavefront6targetE1EEEvSK_.has_dyn_sized_stack, 0
	.set _ZN7rocprim17ROCPRIM_400000_NS6detail17trampoline_kernelINS0_14default_configENS1_22reduce_config_selectorIdEEZNS1_11reduce_implILb1ES3_N6thrust23THRUST_200600_302600_NS6detail15normal_iteratorINS8_10device_ptrIdEEEEPiiNS8_4plusIiEEEE10hipError_tPvRmT1_T2_T3_mT4_P12ihipStream_tbEUlT_E1_NS1_11comp_targetILNS1_3genE4ELNS1_11target_archE910ELNS1_3gpuE8ELNS1_3repE0EEENS1_30default_config_static_selectorELNS0_4arch9wavefront6targetE1EEEvSK_.has_recursion, 0
	.set _ZN7rocprim17ROCPRIM_400000_NS6detail17trampoline_kernelINS0_14default_configENS1_22reduce_config_selectorIdEEZNS1_11reduce_implILb1ES3_N6thrust23THRUST_200600_302600_NS6detail15normal_iteratorINS8_10device_ptrIdEEEEPiiNS8_4plusIiEEEE10hipError_tPvRmT1_T2_T3_mT4_P12ihipStream_tbEUlT_E1_NS1_11comp_targetILNS1_3genE4ELNS1_11target_archE910ELNS1_3gpuE8ELNS1_3repE0EEENS1_30default_config_static_selectorELNS0_4arch9wavefront6targetE1EEEvSK_.has_indirect_call, 0
	.section	.AMDGPU.csdata,"",@progbits
; Kernel info:
; codeLenInByte = 0
; TotalNumSgprs: 6
; NumVgprs: 0
; NumAgprs: 0
; TotalNumVgprs: 0
; ScratchSize: 0
; MemoryBound: 0
; FloatMode: 240
; IeeeMode: 1
; LDSByteSize: 0 bytes/workgroup (compile time only)
; SGPRBlocks: 0
; VGPRBlocks: 0
; NumSGPRsForWavesPerEU: 6
; NumVGPRsForWavesPerEU: 1
; AccumOffset: 4
; Occupancy: 8
; WaveLimiterHint : 0
; COMPUTE_PGM_RSRC2:SCRATCH_EN: 0
; COMPUTE_PGM_RSRC2:USER_SGPR: 2
; COMPUTE_PGM_RSRC2:TRAP_HANDLER: 0
; COMPUTE_PGM_RSRC2:TGID_X_EN: 1
; COMPUTE_PGM_RSRC2:TGID_Y_EN: 0
; COMPUTE_PGM_RSRC2:TGID_Z_EN: 0
; COMPUTE_PGM_RSRC2:TIDIG_COMP_CNT: 0
; COMPUTE_PGM_RSRC3_GFX90A:ACCUM_OFFSET: 0
; COMPUTE_PGM_RSRC3_GFX90A:TG_SPLIT: 0
	.section	.text._ZN7rocprim17ROCPRIM_400000_NS6detail17trampoline_kernelINS0_14default_configENS1_22reduce_config_selectorIdEEZNS1_11reduce_implILb1ES3_N6thrust23THRUST_200600_302600_NS6detail15normal_iteratorINS8_10device_ptrIdEEEEPiiNS8_4plusIiEEEE10hipError_tPvRmT1_T2_T3_mT4_P12ihipStream_tbEUlT_E1_NS1_11comp_targetILNS1_3genE3ELNS1_11target_archE908ELNS1_3gpuE7ELNS1_3repE0EEENS1_30default_config_static_selectorELNS0_4arch9wavefront6targetE1EEEvSK_,"axG",@progbits,_ZN7rocprim17ROCPRIM_400000_NS6detail17trampoline_kernelINS0_14default_configENS1_22reduce_config_selectorIdEEZNS1_11reduce_implILb1ES3_N6thrust23THRUST_200600_302600_NS6detail15normal_iteratorINS8_10device_ptrIdEEEEPiiNS8_4plusIiEEEE10hipError_tPvRmT1_T2_T3_mT4_P12ihipStream_tbEUlT_E1_NS1_11comp_targetILNS1_3genE3ELNS1_11target_archE908ELNS1_3gpuE7ELNS1_3repE0EEENS1_30default_config_static_selectorELNS0_4arch9wavefront6targetE1EEEvSK_,comdat
	.protected	_ZN7rocprim17ROCPRIM_400000_NS6detail17trampoline_kernelINS0_14default_configENS1_22reduce_config_selectorIdEEZNS1_11reduce_implILb1ES3_N6thrust23THRUST_200600_302600_NS6detail15normal_iteratorINS8_10device_ptrIdEEEEPiiNS8_4plusIiEEEE10hipError_tPvRmT1_T2_T3_mT4_P12ihipStream_tbEUlT_E1_NS1_11comp_targetILNS1_3genE3ELNS1_11target_archE908ELNS1_3gpuE7ELNS1_3repE0EEENS1_30default_config_static_selectorELNS0_4arch9wavefront6targetE1EEEvSK_ ; -- Begin function _ZN7rocprim17ROCPRIM_400000_NS6detail17trampoline_kernelINS0_14default_configENS1_22reduce_config_selectorIdEEZNS1_11reduce_implILb1ES3_N6thrust23THRUST_200600_302600_NS6detail15normal_iteratorINS8_10device_ptrIdEEEEPiiNS8_4plusIiEEEE10hipError_tPvRmT1_T2_T3_mT4_P12ihipStream_tbEUlT_E1_NS1_11comp_targetILNS1_3genE3ELNS1_11target_archE908ELNS1_3gpuE7ELNS1_3repE0EEENS1_30default_config_static_selectorELNS0_4arch9wavefront6targetE1EEEvSK_
	.globl	_ZN7rocprim17ROCPRIM_400000_NS6detail17trampoline_kernelINS0_14default_configENS1_22reduce_config_selectorIdEEZNS1_11reduce_implILb1ES3_N6thrust23THRUST_200600_302600_NS6detail15normal_iteratorINS8_10device_ptrIdEEEEPiiNS8_4plusIiEEEE10hipError_tPvRmT1_T2_T3_mT4_P12ihipStream_tbEUlT_E1_NS1_11comp_targetILNS1_3genE3ELNS1_11target_archE908ELNS1_3gpuE7ELNS1_3repE0EEENS1_30default_config_static_selectorELNS0_4arch9wavefront6targetE1EEEvSK_
	.p2align	8
	.type	_ZN7rocprim17ROCPRIM_400000_NS6detail17trampoline_kernelINS0_14default_configENS1_22reduce_config_selectorIdEEZNS1_11reduce_implILb1ES3_N6thrust23THRUST_200600_302600_NS6detail15normal_iteratorINS8_10device_ptrIdEEEEPiiNS8_4plusIiEEEE10hipError_tPvRmT1_T2_T3_mT4_P12ihipStream_tbEUlT_E1_NS1_11comp_targetILNS1_3genE3ELNS1_11target_archE908ELNS1_3gpuE7ELNS1_3repE0EEENS1_30default_config_static_selectorELNS0_4arch9wavefront6targetE1EEEvSK_,@function
_ZN7rocprim17ROCPRIM_400000_NS6detail17trampoline_kernelINS0_14default_configENS1_22reduce_config_selectorIdEEZNS1_11reduce_implILb1ES3_N6thrust23THRUST_200600_302600_NS6detail15normal_iteratorINS8_10device_ptrIdEEEEPiiNS8_4plusIiEEEE10hipError_tPvRmT1_T2_T3_mT4_P12ihipStream_tbEUlT_E1_NS1_11comp_targetILNS1_3genE3ELNS1_11target_archE908ELNS1_3gpuE7ELNS1_3repE0EEENS1_30default_config_static_selectorELNS0_4arch9wavefront6targetE1EEEvSK_: ; @_ZN7rocprim17ROCPRIM_400000_NS6detail17trampoline_kernelINS0_14default_configENS1_22reduce_config_selectorIdEEZNS1_11reduce_implILb1ES3_N6thrust23THRUST_200600_302600_NS6detail15normal_iteratorINS8_10device_ptrIdEEEEPiiNS8_4plusIiEEEE10hipError_tPvRmT1_T2_T3_mT4_P12ihipStream_tbEUlT_E1_NS1_11comp_targetILNS1_3genE3ELNS1_11target_archE908ELNS1_3gpuE7ELNS1_3repE0EEENS1_30default_config_static_selectorELNS0_4arch9wavefront6targetE1EEEvSK_
; %bb.0:
	.section	.rodata,"a",@progbits
	.p2align	6, 0x0
	.amdhsa_kernel _ZN7rocprim17ROCPRIM_400000_NS6detail17trampoline_kernelINS0_14default_configENS1_22reduce_config_selectorIdEEZNS1_11reduce_implILb1ES3_N6thrust23THRUST_200600_302600_NS6detail15normal_iteratorINS8_10device_ptrIdEEEEPiiNS8_4plusIiEEEE10hipError_tPvRmT1_T2_T3_mT4_P12ihipStream_tbEUlT_E1_NS1_11comp_targetILNS1_3genE3ELNS1_11target_archE908ELNS1_3gpuE7ELNS1_3repE0EEENS1_30default_config_static_selectorELNS0_4arch9wavefront6targetE1EEEvSK_
		.amdhsa_group_segment_fixed_size 0
		.amdhsa_private_segment_fixed_size 0
		.amdhsa_kernarg_size 40
		.amdhsa_user_sgpr_count 2
		.amdhsa_user_sgpr_dispatch_ptr 0
		.amdhsa_user_sgpr_queue_ptr 0
		.amdhsa_user_sgpr_kernarg_segment_ptr 1
		.amdhsa_user_sgpr_dispatch_id 0
		.amdhsa_user_sgpr_kernarg_preload_length 0
		.amdhsa_user_sgpr_kernarg_preload_offset 0
		.amdhsa_user_sgpr_private_segment_size 0
		.amdhsa_uses_dynamic_stack 0
		.amdhsa_enable_private_segment 0
		.amdhsa_system_sgpr_workgroup_id_x 1
		.amdhsa_system_sgpr_workgroup_id_y 0
		.amdhsa_system_sgpr_workgroup_id_z 0
		.amdhsa_system_sgpr_workgroup_info 0
		.amdhsa_system_vgpr_workitem_id 0
		.amdhsa_next_free_vgpr 1
		.amdhsa_next_free_sgpr 0
		.amdhsa_accum_offset 4
		.amdhsa_reserve_vcc 0
		.amdhsa_float_round_mode_32 0
		.amdhsa_float_round_mode_16_64 0
		.amdhsa_float_denorm_mode_32 3
		.amdhsa_float_denorm_mode_16_64 3
		.amdhsa_dx10_clamp 1
		.amdhsa_ieee_mode 1
		.amdhsa_fp16_overflow 0
		.amdhsa_tg_split 0
		.amdhsa_exception_fp_ieee_invalid_op 0
		.amdhsa_exception_fp_denorm_src 0
		.amdhsa_exception_fp_ieee_div_zero 0
		.amdhsa_exception_fp_ieee_overflow 0
		.amdhsa_exception_fp_ieee_underflow 0
		.amdhsa_exception_fp_ieee_inexact 0
		.amdhsa_exception_int_div_zero 0
	.end_amdhsa_kernel
	.section	.text._ZN7rocprim17ROCPRIM_400000_NS6detail17trampoline_kernelINS0_14default_configENS1_22reduce_config_selectorIdEEZNS1_11reduce_implILb1ES3_N6thrust23THRUST_200600_302600_NS6detail15normal_iteratorINS8_10device_ptrIdEEEEPiiNS8_4plusIiEEEE10hipError_tPvRmT1_T2_T3_mT4_P12ihipStream_tbEUlT_E1_NS1_11comp_targetILNS1_3genE3ELNS1_11target_archE908ELNS1_3gpuE7ELNS1_3repE0EEENS1_30default_config_static_selectorELNS0_4arch9wavefront6targetE1EEEvSK_,"axG",@progbits,_ZN7rocprim17ROCPRIM_400000_NS6detail17trampoline_kernelINS0_14default_configENS1_22reduce_config_selectorIdEEZNS1_11reduce_implILb1ES3_N6thrust23THRUST_200600_302600_NS6detail15normal_iteratorINS8_10device_ptrIdEEEEPiiNS8_4plusIiEEEE10hipError_tPvRmT1_T2_T3_mT4_P12ihipStream_tbEUlT_E1_NS1_11comp_targetILNS1_3genE3ELNS1_11target_archE908ELNS1_3gpuE7ELNS1_3repE0EEENS1_30default_config_static_selectorELNS0_4arch9wavefront6targetE1EEEvSK_,comdat
.Lfunc_end309:
	.size	_ZN7rocprim17ROCPRIM_400000_NS6detail17trampoline_kernelINS0_14default_configENS1_22reduce_config_selectorIdEEZNS1_11reduce_implILb1ES3_N6thrust23THRUST_200600_302600_NS6detail15normal_iteratorINS8_10device_ptrIdEEEEPiiNS8_4plusIiEEEE10hipError_tPvRmT1_T2_T3_mT4_P12ihipStream_tbEUlT_E1_NS1_11comp_targetILNS1_3genE3ELNS1_11target_archE908ELNS1_3gpuE7ELNS1_3repE0EEENS1_30default_config_static_selectorELNS0_4arch9wavefront6targetE1EEEvSK_, .Lfunc_end309-_ZN7rocprim17ROCPRIM_400000_NS6detail17trampoline_kernelINS0_14default_configENS1_22reduce_config_selectorIdEEZNS1_11reduce_implILb1ES3_N6thrust23THRUST_200600_302600_NS6detail15normal_iteratorINS8_10device_ptrIdEEEEPiiNS8_4plusIiEEEE10hipError_tPvRmT1_T2_T3_mT4_P12ihipStream_tbEUlT_E1_NS1_11comp_targetILNS1_3genE3ELNS1_11target_archE908ELNS1_3gpuE7ELNS1_3repE0EEENS1_30default_config_static_selectorELNS0_4arch9wavefront6targetE1EEEvSK_
                                        ; -- End function
	.set _ZN7rocprim17ROCPRIM_400000_NS6detail17trampoline_kernelINS0_14default_configENS1_22reduce_config_selectorIdEEZNS1_11reduce_implILb1ES3_N6thrust23THRUST_200600_302600_NS6detail15normal_iteratorINS8_10device_ptrIdEEEEPiiNS8_4plusIiEEEE10hipError_tPvRmT1_T2_T3_mT4_P12ihipStream_tbEUlT_E1_NS1_11comp_targetILNS1_3genE3ELNS1_11target_archE908ELNS1_3gpuE7ELNS1_3repE0EEENS1_30default_config_static_selectorELNS0_4arch9wavefront6targetE1EEEvSK_.num_vgpr, 0
	.set _ZN7rocprim17ROCPRIM_400000_NS6detail17trampoline_kernelINS0_14default_configENS1_22reduce_config_selectorIdEEZNS1_11reduce_implILb1ES3_N6thrust23THRUST_200600_302600_NS6detail15normal_iteratorINS8_10device_ptrIdEEEEPiiNS8_4plusIiEEEE10hipError_tPvRmT1_T2_T3_mT4_P12ihipStream_tbEUlT_E1_NS1_11comp_targetILNS1_3genE3ELNS1_11target_archE908ELNS1_3gpuE7ELNS1_3repE0EEENS1_30default_config_static_selectorELNS0_4arch9wavefront6targetE1EEEvSK_.num_agpr, 0
	.set _ZN7rocprim17ROCPRIM_400000_NS6detail17trampoline_kernelINS0_14default_configENS1_22reduce_config_selectorIdEEZNS1_11reduce_implILb1ES3_N6thrust23THRUST_200600_302600_NS6detail15normal_iteratorINS8_10device_ptrIdEEEEPiiNS8_4plusIiEEEE10hipError_tPvRmT1_T2_T3_mT4_P12ihipStream_tbEUlT_E1_NS1_11comp_targetILNS1_3genE3ELNS1_11target_archE908ELNS1_3gpuE7ELNS1_3repE0EEENS1_30default_config_static_selectorELNS0_4arch9wavefront6targetE1EEEvSK_.numbered_sgpr, 0
	.set _ZN7rocprim17ROCPRIM_400000_NS6detail17trampoline_kernelINS0_14default_configENS1_22reduce_config_selectorIdEEZNS1_11reduce_implILb1ES3_N6thrust23THRUST_200600_302600_NS6detail15normal_iteratorINS8_10device_ptrIdEEEEPiiNS8_4plusIiEEEE10hipError_tPvRmT1_T2_T3_mT4_P12ihipStream_tbEUlT_E1_NS1_11comp_targetILNS1_3genE3ELNS1_11target_archE908ELNS1_3gpuE7ELNS1_3repE0EEENS1_30default_config_static_selectorELNS0_4arch9wavefront6targetE1EEEvSK_.num_named_barrier, 0
	.set _ZN7rocprim17ROCPRIM_400000_NS6detail17trampoline_kernelINS0_14default_configENS1_22reduce_config_selectorIdEEZNS1_11reduce_implILb1ES3_N6thrust23THRUST_200600_302600_NS6detail15normal_iteratorINS8_10device_ptrIdEEEEPiiNS8_4plusIiEEEE10hipError_tPvRmT1_T2_T3_mT4_P12ihipStream_tbEUlT_E1_NS1_11comp_targetILNS1_3genE3ELNS1_11target_archE908ELNS1_3gpuE7ELNS1_3repE0EEENS1_30default_config_static_selectorELNS0_4arch9wavefront6targetE1EEEvSK_.private_seg_size, 0
	.set _ZN7rocprim17ROCPRIM_400000_NS6detail17trampoline_kernelINS0_14default_configENS1_22reduce_config_selectorIdEEZNS1_11reduce_implILb1ES3_N6thrust23THRUST_200600_302600_NS6detail15normal_iteratorINS8_10device_ptrIdEEEEPiiNS8_4plusIiEEEE10hipError_tPvRmT1_T2_T3_mT4_P12ihipStream_tbEUlT_E1_NS1_11comp_targetILNS1_3genE3ELNS1_11target_archE908ELNS1_3gpuE7ELNS1_3repE0EEENS1_30default_config_static_selectorELNS0_4arch9wavefront6targetE1EEEvSK_.uses_vcc, 0
	.set _ZN7rocprim17ROCPRIM_400000_NS6detail17trampoline_kernelINS0_14default_configENS1_22reduce_config_selectorIdEEZNS1_11reduce_implILb1ES3_N6thrust23THRUST_200600_302600_NS6detail15normal_iteratorINS8_10device_ptrIdEEEEPiiNS8_4plusIiEEEE10hipError_tPvRmT1_T2_T3_mT4_P12ihipStream_tbEUlT_E1_NS1_11comp_targetILNS1_3genE3ELNS1_11target_archE908ELNS1_3gpuE7ELNS1_3repE0EEENS1_30default_config_static_selectorELNS0_4arch9wavefront6targetE1EEEvSK_.uses_flat_scratch, 0
	.set _ZN7rocprim17ROCPRIM_400000_NS6detail17trampoline_kernelINS0_14default_configENS1_22reduce_config_selectorIdEEZNS1_11reduce_implILb1ES3_N6thrust23THRUST_200600_302600_NS6detail15normal_iteratorINS8_10device_ptrIdEEEEPiiNS8_4plusIiEEEE10hipError_tPvRmT1_T2_T3_mT4_P12ihipStream_tbEUlT_E1_NS1_11comp_targetILNS1_3genE3ELNS1_11target_archE908ELNS1_3gpuE7ELNS1_3repE0EEENS1_30default_config_static_selectorELNS0_4arch9wavefront6targetE1EEEvSK_.has_dyn_sized_stack, 0
	.set _ZN7rocprim17ROCPRIM_400000_NS6detail17trampoline_kernelINS0_14default_configENS1_22reduce_config_selectorIdEEZNS1_11reduce_implILb1ES3_N6thrust23THRUST_200600_302600_NS6detail15normal_iteratorINS8_10device_ptrIdEEEEPiiNS8_4plusIiEEEE10hipError_tPvRmT1_T2_T3_mT4_P12ihipStream_tbEUlT_E1_NS1_11comp_targetILNS1_3genE3ELNS1_11target_archE908ELNS1_3gpuE7ELNS1_3repE0EEENS1_30default_config_static_selectorELNS0_4arch9wavefront6targetE1EEEvSK_.has_recursion, 0
	.set _ZN7rocprim17ROCPRIM_400000_NS6detail17trampoline_kernelINS0_14default_configENS1_22reduce_config_selectorIdEEZNS1_11reduce_implILb1ES3_N6thrust23THRUST_200600_302600_NS6detail15normal_iteratorINS8_10device_ptrIdEEEEPiiNS8_4plusIiEEEE10hipError_tPvRmT1_T2_T3_mT4_P12ihipStream_tbEUlT_E1_NS1_11comp_targetILNS1_3genE3ELNS1_11target_archE908ELNS1_3gpuE7ELNS1_3repE0EEENS1_30default_config_static_selectorELNS0_4arch9wavefront6targetE1EEEvSK_.has_indirect_call, 0
	.section	.AMDGPU.csdata,"",@progbits
; Kernel info:
; codeLenInByte = 0
; TotalNumSgprs: 6
; NumVgprs: 0
; NumAgprs: 0
; TotalNumVgprs: 0
; ScratchSize: 0
; MemoryBound: 0
; FloatMode: 240
; IeeeMode: 1
; LDSByteSize: 0 bytes/workgroup (compile time only)
; SGPRBlocks: 0
; VGPRBlocks: 0
; NumSGPRsForWavesPerEU: 6
; NumVGPRsForWavesPerEU: 1
; AccumOffset: 4
; Occupancy: 8
; WaveLimiterHint : 0
; COMPUTE_PGM_RSRC2:SCRATCH_EN: 0
; COMPUTE_PGM_RSRC2:USER_SGPR: 2
; COMPUTE_PGM_RSRC2:TRAP_HANDLER: 0
; COMPUTE_PGM_RSRC2:TGID_X_EN: 1
; COMPUTE_PGM_RSRC2:TGID_Y_EN: 0
; COMPUTE_PGM_RSRC2:TGID_Z_EN: 0
; COMPUTE_PGM_RSRC2:TIDIG_COMP_CNT: 0
; COMPUTE_PGM_RSRC3_GFX90A:ACCUM_OFFSET: 0
; COMPUTE_PGM_RSRC3_GFX90A:TG_SPLIT: 0
	.section	.text._ZN7rocprim17ROCPRIM_400000_NS6detail17trampoline_kernelINS0_14default_configENS1_22reduce_config_selectorIdEEZNS1_11reduce_implILb1ES3_N6thrust23THRUST_200600_302600_NS6detail15normal_iteratorINS8_10device_ptrIdEEEEPiiNS8_4plusIiEEEE10hipError_tPvRmT1_T2_T3_mT4_P12ihipStream_tbEUlT_E1_NS1_11comp_targetILNS1_3genE2ELNS1_11target_archE906ELNS1_3gpuE6ELNS1_3repE0EEENS1_30default_config_static_selectorELNS0_4arch9wavefront6targetE1EEEvSK_,"axG",@progbits,_ZN7rocprim17ROCPRIM_400000_NS6detail17trampoline_kernelINS0_14default_configENS1_22reduce_config_selectorIdEEZNS1_11reduce_implILb1ES3_N6thrust23THRUST_200600_302600_NS6detail15normal_iteratorINS8_10device_ptrIdEEEEPiiNS8_4plusIiEEEE10hipError_tPvRmT1_T2_T3_mT4_P12ihipStream_tbEUlT_E1_NS1_11comp_targetILNS1_3genE2ELNS1_11target_archE906ELNS1_3gpuE6ELNS1_3repE0EEENS1_30default_config_static_selectorELNS0_4arch9wavefront6targetE1EEEvSK_,comdat
	.protected	_ZN7rocprim17ROCPRIM_400000_NS6detail17trampoline_kernelINS0_14default_configENS1_22reduce_config_selectorIdEEZNS1_11reduce_implILb1ES3_N6thrust23THRUST_200600_302600_NS6detail15normal_iteratorINS8_10device_ptrIdEEEEPiiNS8_4plusIiEEEE10hipError_tPvRmT1_T2_T3_mT4_P12ihipStream_tbEUlT_E1_NS1_11comp_targetILNS1_3genE2ELNS1_11target_archE906ELNS1_3gpuE6ELNS1_3repE0EEENS1_30default_config_static_selectorELNS0_4arch9wavefront6targetE1EEEvSK_ ; -- Begin function _ZN7rocprim17ROCPRIM_400000_NS6detail17trampoline_kernelINS0_14default_configENS1_22reduce_config_selectorIdEEZNS1_11reduce_implILb1ES3_N6thrust23THRUST_200600_302600_NS6detail15normal_iteratorINS8_10device_ptrIdEEEEPiiNS8_4plusIiEEEE10hipError_tPvRmT1_T2_T3_mT4_P12ihipStream_tbEUlT_E1_NS1_11comp_targetILNS1_3genE2ELNS1_11target_archE906ELNS1_3gpuE6ELNS1_3repE0EEENS1_30default_config_static_selectorELNS0_4arch9wavefront6targetE1EEEvSK_
	.globl	_ZN7rocprim17ROCPRIM_400000_NS6detail17trampoline_kernelINS0_14default_configENS1_22reduce_config_selectorIdEEZNS1_11reduce_implILb1ES3_N6thrust23THRUST_200600_302600_NS6detail15normal_iteratorINS8_10device_ptrIdEEEEPiiNS8_4plusIiEEEE10hipError_tPvRmT1_T2_T3_mT4_P12ihipStream_tbEUlT_E1_NS1_11comp_targetILNS1_3genE2ELNS1_11target_archE906ELNS1_3gpuE6ELNS1_3repE0EEENS1_30default_config_static_selectorELNS0_4arch9wavefront6targetE1EEEvSK_
	.p2align	8
	.type	_ZN7rocprim17ROCPRIM_400000_NS6detail17trampoline_kernelINS0_14default_configENS1_22reduce_config_selectorIdEEZNS1_11reduce_implILb1ES3_N6thrust23THRUST_200600_302600_NS6detail15normal_iteratorINS8_10device_ptrIdEEEEPiiNS8_4plusIiEEEE10hipError_tPvRmT1_T2_T3_mT4_P12ihipStream_tbEUlT_E1_NS1_11comp_targetILNS1_3genE2ELNS1_11target_archE906ELNS1_3gpuE6ELNS1_3repE0EEENS1_30default_config_static_selectorELNS0_4arch9wavefront6targetE1EEEvSK_,@function
_ZN7rocprim17ROCPRIM_400000_NS6detail17trampoline_kernelINS0_14default_configENS1_22reduce_config_selectorIdEEZNS1_11reduce_implILb1ES3_N6thrust23THRUST_200600_302600_NS6detail15normal_iteratorINS8_10device_ptrIdEEEEPiiNS8_4plusIiEEEE10hipError_tPvRmT1_T2_T3_mT4_P12ihipStream_tbEUlT_E1_NS1_11comp_targetILNS1_3genE2ELNS1_11target_archE906ELNS1_3gpuE6ELNS1_3repE0EEENS1_30default_config_static_selectorELNS0_4arch9wavefront6targetE1EEEvSK_: ; @_ZN7rocprim17ROCPRIM_400000_NS6detail17trampoline_kernelINS0_14default_configENS1_22reduce_config_selectorIdEEZNS1_11reduce_implILb1ES3_N6thrust23THRUST_200600_302600_NS6detail15normal_iteratorINS8_10device_ptrIdEEEEPiiNS8_4plusIiEEEE10hipError_tPvRmT1_T2_T3_mT4_P12ihipStream_tbEUlT_E1_NS1_11comp_targetILNS1_3genE2ELNS1_11target_archE906ELNS1_3gpuE6ELNS1_3repE0EEENS1_30default_config_static_selectorELNS0_4arch9wavefront6targetE1EEEvSK_
; %bb.0:
	.section	.rodata,"a",@progbits
	.p2align	6, 0x0
	.amdhsa_kernel _ZN7rocprim17ROCPRIM_400000_NS6detail17trampoline_kernelINS0_14default_configENS1_22reduce_config_selectorIdEEZNS1_11reduce_implILb1ES3_N6thrust23THRUST_200600_302600_NS6detail15normal_iteratorINS8_10device_ptrIdEEEEPiiNS8_4plusIiEEEE10hipError_tPvRmT1_T2_T3_mT4_P12ihipStream_tbEUlT_E1_NS1_11comp_targetILNS1_3genE2ELNS1_11target_archE906ELNS1_3gpuE6ELNS1_3repE0EEENS1_30default_config_static_selectorELNS0_4arch9wavefront6targetE1EEEvSK_
		.amdhsa_group_segment_fixed_size 0
		.amdhsa_private_segment_fixed_size 0
		.amdhsa_kernarg_size 40
		.amdhsa_user_sgpr_count 2
		.amdhsa_user_sgpr_dispatch_ptr 0
		.amdhsa_user_sgpr_queue_ptr 0
		.amdhsa_user_sgpr_kernarg_segment_ptr 1
		.amdhsa_user_sgpr_dispatch_id 0
		.amdhsa_user_sgpr_kernarg_preload_length 0
		.amdhsa_user_sgpr_kernarg_preload_offset 0
		.amdhsa_user_sgpr_private_segment_size 0
		.amdhsa_uses_dynamic_stack 0
		.amdhsa_enable_private_segment 0
		.amdhsa_system_sgpr_workgroup_id_x 1
		.amdhsa_system_sgpr_workgroup_id_y 0
		.amdhsa_system_sgpr_workgroup_id_z 0
		.amdhsa_system_sgpr_workgroup_info 0
		.amdhsa_system_vgpr_workitem_id 0
		.amdhsa_next_free_vgpr 1
		.amdhsa_next_free_sgpr 0
		.amdhsa_accum_offset 4
		.amdhsa_reserve_vcc 0
		.amdhsa_float_round_mode_32 0
		.amdhsa_float_round_mode_16_64 0
		.amdhsa_float_denorm_mode_32 3
		.amdhsa_float_denorm_mode_16_64 3
		.amdhsa_dx10_clamp 1
		.amdhsa_ieee_mode 1
		.amdhsa_fp16_overflow 0
		.amdhsa_tg_split 0
		.amdhsa_exception_fp_ieee_invalid_op 0
		.amdhsa_exception_fp_denorm_src 0
		.amdhsa_exception_fp_ieee_div_zero 0
		.amdhsa_exception_fp_ieee_overflow 0
		.amdhsa_exception_fp_ieee_underflow 0
		.amdhsa_exception_fp_ieee_inexact 0
		.amdhsa_exception_int_div_zero 0
	.end_amdhsa_kernel
	.section	.text._ZN7rocprim17ROCPRIM_400000_NS6detail17trampoline_kernelINS0_14default_configENS1_22reduce_config_selectorIdEEZNS1_11reduce_implILb1ES3_N6thrust23THRUST_200600_302600_NS6detail15normal_iteratorINS8_10device_ptrIdEEEEPiiNS8_4plusIiEEEE10hipError_tPvRmT1_T2_T3_mT4_P12ihipStream_tbEUlT_E1_NS1_11comp_targetILNS1_3genE2ELNS1_11target_archE906ELNS1_3gpuE6ELNS1_3repE0EEENS1_30default_config_static_selectorELNS0_4arch9wavefront6targetE1EEEvSK_,"axG",@progbits,_ZN7rocprim17ROCPRIM_400000_NS6detail17trampoline_kernelINS0_14default_configENS1_22reduce_config_selectorIdEEZNS1_11reduce_implILb1ES3_N6thrust23THRUST_200600_302600_NS6detail15normal_iteratorINS8_10device_ptrIdEEEEPiiNS8_4plusIiEEEE10hipError_tPvRmT1_T2_T3_mT4_P12ihipStream_tbEUlT_E1_NS1_11comp_targetILNS1_3genE2ELNS1_11target_archE906ELNS1_3gpuE6ELNS1_3repE0EEENS1_30default_config_static_selectorELNS0_4arch9wavefront6targetE1EEEvSK_,comdat
.Lfunc_end310:
	.size	_ZN7rocprim17ROCPRIM_400000_NS6detail17trampoline_kernelINS0_14default_configENS1_22reduce_config_selectorIdEEZNS1_11reduce_implILb1ES3_N6thrust23THRUST_200600_302600_NS6detail15normal_iteratorINS8_10device_ptrIdEEEEPiiNS8_4plusIiEEEE10hipError_tPvRmT1_T2_T3_mT4_P12ihipStream_tbEUlT_E1_NS1_11comp_targetILNS1_3genE2ELNS1_11target_archE906ELNS1_3gpuE6ELNS1_3repE0EEENS1_30default_config_static_selectorELNS0_4arch9wavefront6targetE1EEEvSK_, .Lfunc_end310-_ZN7rocprim17ROCPRIM_400000_NS6detail17trampoline_kernelINS0_14default_configENS1_22reduce_config_selectorIdEEZNS1_11reduce_implILb1ES3_N6thrust23THRUST_200600_302600_NS6detail15normal_iteratorINS8_10device_ptrIdEEEEPiiNS8_4plusIiEEEE10hipError_tPvRmT1_T2_T3_mT4_P12ihipStream_tbEUlT_E1_NS1_11comp_targetILNS1_3genE2ELNS1_11target_archE906ELNS1_3gpuE6ELNS1_3repE0EEENS1_30default_config_static_selectorELNS0_4arch9wavefront6targetE1EEEvSK_
                                        ; -- End function
	.set _ZN7rocprim17ROCPRIM_400000_NS6detail17trampoline_kernelINS0_14default_configENS1_22reduce_config_selectorIdEEZNS1_11reduce_implILb1ES3_N6thrust23THRUST_200600_302600_NS6detail15normal_iteratorINS8_10device_ptrIdEEEEPiiNS8_4plusIiEEEE10hipError_tPvRmT1_T2_T3_mT4_P12ihipStream_tbEUlT_E1_NS1_11comp_targetILNS1_3genE2ELNS1_11target_archE906ELNS1_3gpuE6ELNS1_3repE0EEENS1_30default_config_static_selectorELNS0_4arch9wavefront6targetE1EEEvSK_.num_vgpr, 0
	.set _ZN7rocprim17ROCPRIM_400000_NS6detail17trampoline_kernelINS0_14default_configENS1_22reduce_config_selectorIdEEZNS1_11reduce_implILb1ES3_N6thrust23THRUST_200600_302600_NS6detail15normal_iteratorINS8_10device_ptrIdEEEEPiiNS8_4plusIiEEEE10hipError_tPvRmT1_T2_T3_mT4_P12ihipStream_tbEUlT_E1_NS1_11comp_targetILNS1_3genE2ELNS1_11target_archE906ELNS1_3gpuE6ELNS1_3repE0EEENS1_30default_config_static_selectorELNS0_4arch9wavefront6targetE1EEEvSK_.num_agpr, 0
	.set _ZN7rocprim17ROCPRIM_400000_NS6detail17trampoline_kernelINS0_14default_configENS1_22reduce_config_selectorIdEEZNS1_11reduce_implILb1ES3_N6thrust23THRUST_200600_302600_NS6detail15normal_iteratorINS8_10device_ptrIdEEEEPiiNS8_4plusIiEEEE10hipError_tPvRmT1_T2_T3_mT4_P12ihipStream_tbEUlT_E1_NS1_11comp_targetILNS1_3genE2ELNS1_11target_archE906ELNS1_3gpuE6ELNS1_3repE0EEENS1_30default_config_static_selectorELNS0_4arch9wavefront6targetE1EEEvSK_.numbered_sgpr, 0
	.set _ZN7rocprim17ROCPRIM_400000_NS6detail17trampoline_kernelINS0_14default_configENS1_22reduce_config_selectorIdEEZNS1_11reduce_implILb1ES3_N6thrust23THRUST_200600_302600_NS6detail15normal_iteratorINS8_10device_ptrIdEEEEPiiNS8_4plusIiEEEE10hipError_tPvRmT1_T2_T3_mT4_P12ihipStream_tbEUlT_E1_NS1_11comp_targetILNS1_3genE2ELNS1_11target_archE906ELNS1_3gpuE6ELNS1_3repE0EEENS1_30default_config_static_selectorELNS0_4arch9wavefront6targetE1EEEvSK_.num_named_barrier, 0
	.set _ZN7rocprim17ROCPRIM_400000_NS6detail17trampoline_kernelINS0_14default_configENS1_22reduce_config_selectorIdEEZNS1_11reduce_implILb1ES3_N6thrust23THRUST_200600_302600_NS6detail15normal_iteratorINS8_10device_ptrIdEEEEPiiNS8_4plusIiEEEE10hipError_tPvRmT1_T2_T3_mT4_P12ihipStream_tbEUlT_E1_NS1_11comp_targetILNS1_3genE2ELNS1_11target_archE906ELNS1_3gpuE6ELNS1_3repE0EEENS1_30default_config_static_selectorELNS0_4arch9wavefront6targetE1EEEvSK_.private_seg_size, 0
	.set _ZN7rocprim17ROCPRIM_400000_NS6detail17trampoline_kernelINS0_14default_configENS1_22reduce_config_selectorIdEEZNS1_11reduce_implILb1ES3_N6thrust23THRUST_200600_302600_NS6detail15normal_iteratorINS8_10device_ptrIdEEEEPiiNS8_4plusIiEEEE10hipError_tPvRmT1_T2_T3_mT4_P12ihipStream_tbEUlT_E1_NS1_11comp_targetILNS1_3genE2ELNS1_11target_archE906ELNS1_3gpuE6ELNS1_3repE0EEENS1_30default_config_static_selectorELNS0_4arch9wavefront6targetE1EEEvSK_.uses_vcc, 0
	.set _ZN7rocprim17ROCPRIM_400000_NS6detail17trampoline_kernelINS0_14default_configENS1_22reduce_config_selectorIdEEZNS1_11reduce_implILb1ES3_N6thrust23THRUST_200600_302600_NS6detail15normal_iteratorINS8_10device_ptrIdEEEEPiiNS8_4plusIiEEEE10hipError_tPvRmT1_T2_T3_mT4_P12ihipStream_tbEUlT_E1_NS1_11comp_targetILNS1_3genE2ELNS1_11target_archE906ELNS1_3gpuE6ELNS1_3repE0EEENS1_30default_config_static_selectorELNS0_4arch9wavefront6targetE1EEEvSK_.uses_flat_scratch, 0
	.set _ZN7rocprim17ROCPRIM_400000_NS6detail17trampoline_kernelINS0_14default_configENS1_22reduce_config_selectorIdEEZNS1_11reduce_implILb1ES3_N6thrust23THRUST_200600_302600_NS6detail15normal_iteratorINS8_10device_ptrIdEEEEPiiNS8_4plusIiEEEE10hipError_tPvRmT1_T2_T3_mT4_P12ihipStream_tbEUlT_E1_NS1_11comp_targetILNS1_3genE2ELNS1_11target_archE906ELNS1_3gpuE6ELNS1_3repE0EEENS1_30default_config_static_selectorELNS0_4arch9wavefront6targetE1EEEvSK_.has_dyn_sized_stack, 0
	.set _ZN7rocprim17ROCPRIM_400000_NS6detail17trampoline_kernelINS0_14default_configENS1_22reduce_config_selectorIdEEZNS1_11reduce_implILb1ES3_N6thrust23THRUST_200600_302600_NS6detail15normal_iteratorINS8_10device_ptrIdEEEEPiiNS8_4plusIiEEEE10hipError_tPvRmT1_T2_T3_mT4_P12ihipStream_tbEUlT_E1_NS1_11comp_targetILNS1_3genE2ELNS1_11target_archE906ELNS1_3gpuE6ELNS1_3repE0EEENS1_30default_config_static_selectorELNS0_4arch9wavefront6targetE1EEEvSK_.has_recursion, 0
	.set _ZN7rocprim17ROCPRIM_400000_NS6detail17trampoline_kernelINS0_14default_configENS1_22reduce_config_selectorIdEEZNS1_11reduce_implILb1ES3_N6thrust23THRUST_200600_302600_NS6detail15normal_iteratorINS8_10device_ptrIdEEEEPiiNS8_4plusIiEEEE10hipError_tPvRmT1_T2_T3_mT4_P12ihipStream_tbEUlT_E1_NS1_11comp_targetILNS1_3genE2ELNS1_11target_archE906ELNS1_3gpuE6ELNS1_3repE0EEENS1_30default_config_static_selectorELNS0_4arch9wavefront6targetE1EEEvSK_.has_indirect_call, 0
	.section	.AMDGPU.csdata,"",@progbits
; Kernel info:
; codeLenInByte = 0
; TotalNumSgprs: 6
; NumVgprs: 0
; NumAgprs: 0
; TotalNumVgprs: 0
; ScratchSize: 0
; MemoryBound: 0
; FloatMode: 240
; IeeeMode: 1
; LDSByteSize: 0 bytes/workgroup (compile time only)
; SGPRBlocks: 0
; VGPRBlocks: 0
; NumSGPRsForWavesPerEU: 6
; NumVGPRsForWavesPerEU: 1
; AccumOffset: 4
; Occupancy: 8
; WaveLimiterHint : 0
; COMPUTE_PGM_RSRC2:SCRATCH_EN: 0
; COMPUTE_PGM_RSRC2:USER_SGPR: 2
; COMPUTE_PGM_RSRC2:TRAP_HANDLER: 0
; COMPUTE_PGM_RSRC2:TGID_X_EN: 1
; COMPUTE_PGM_RSRC2:TGID_Y_EN: 0
; COMPUTE_PGM_RSRC2:TGID_Z_EN: 0
; COMPUTE_PGM_RSRC2:TIDIG_COMP_CNT: 0
; COMPUTE_PGM_RSRC3_GFX90A:ACCUM_OFFSET: 0
; COMPUTE_PGM_RSRC3_GFX90A:TG_SPLIT: 0
	.section	.text._ZN7rocprim17ROCPRIM_400000_NS6detail17trampoline_kernelINS0_14default_configENS1_22reduce_config_selectorIdEEZNS1_11reduce_implILb1ES3_N6thrust23THRUST_200600_302600_NS6detail15normal_iteratorINS8_10device_ptrIdEEEEPiiNS8_4plusIiEEEE10hipError_tPvRmT1_T2_T3_mT4_P12ihipStream_tbEUlT_E1_NS1_11comp_targetILNS1_3genE10ELNS1_11target_archE1201ELNS1_3gpuE5ELNS1_3repE0EEENS1_30default_config_static_selectorELNS0_4arch9wavefront6targetE1EEEvSK_,"axG",@progbits,_ZN7rocprim17ROCPRIM_400000_NS6detail17trampoline_kernelINS0_14default_configENS1_22reduce_config_selectorIdEEZNS1_11reduce_implILb1ES3_N6thrust23THRUST_200600_302600_NS6detail15normal_iteratorINS8_10device_ptrIdEEEEPiiNS8_4plusIiEEEE10hipError_tPvRmT1_T2_T3_mT4_P12ihipStream_tbEUlT_E1_NS1_11comp_targetILNS1_3genE10ELNS1_11target_archE1201ELNS1_3gpuE5ELNS1_3repE0EEENS1_30default_config_static_selectorELNS0_4arch9wavefront6targetE1EEEvSK_,comdat
	.protected	_ZN7rocprim17ROCPRIM_400000_NS6detail17trampoline_kernelINS0_14default_configENS1_22reduce_config_selectorIdEEZNS1_11reduce_implILb1ES3_N6thrust23THRUST_200600_302600_NS6detail15normal_iteratorINS8_10device_ptrIdEEEEPiiNS8_4plusIiEEEE10hipError_tPvRmT1_T2_T3_mT4_P12ihipStream_tbEUlT_E1_NS1_11comp_targetILNS1_3genE10ELNS1_11target_archE1201ELNS1_3gpuE5ELNS1_3repE0EEENS1_30default_config_static_selectorELNS0_4arch9wavefront6targetE1EEEvSK_ ; -- Begin function _ZN7rocprim17ROCPRIM_400000_NS6detail17trampoline_kernelINS0_14default_configENS1_22reduce_config_selectorIdEEZNS1_11reduce_implILb1ES3_N6thrust23THRUST_200600_302600_NS6detail15normal_iteratorINS8_10device_ptrIdEEEEPiiNS8_4plusIiEEEE10hipError_tPvRmT1_T2_T3_mT4_P12ihipStream_tbEUlT_E1_NS1_11comp_targetILNS1_3genE10ELNS1_11target_archE1201ELNS1_3gpuE5ELNS1_3repE0EEENS1_30default_config_static_selectorELNS0_4arch9wavefront6targetE1EEEvSK_
	.globl	_ZN7rocprim17ROCPRIM_400000_NS6detail17trampoline_kernelINS0_14default_configENS1_22reduce_config_selectorIdEEZNS1_11reduce_implILb1ES3_N6thrust23THRUST_200600_302600_NS6detail15normal_iteratorINS8_10device_ptrIdEEEEPiiNS8_4plusIiEEEE10hipError_tPvRmT1_T2_T3_mT4_P12ihipStream_tbEUlT_E1_NS1_11comp_targetILNS1_3genE10ELNS1_11target_archE1201ELNS1_3gpuE5ELNS1_3repE0EEENS1_30default_config_static_selectorELNS0_4arch9wavefront6targetE1EEEvSK_
	.p2align	8
	.type	_ZN7rocprim17ROCPRIM_400000_NS6detail17trampoline_kernelINS0_14default_configENS1_22reduce_config_selectorIdEEZNS1_11reduce_implILb1ES3_N6thrust23THRUST_200600_302600_NS6detail15normal_iteratorINS8_10device_ptrIdEEEEPiiNS8_4plusIiEEEE10hipError_tPvRmT1_T2_T3_mT4_P12ihipStream_tbEUlT_E1_NS1_11comp_targetILNS1_3genE10ELNS1_11target_archE1201ELNS1_3gpuE5ELNS1_3repE0EEENS1_30default_config_static_selectorELNS0_4arch9wavefront6targetE1EEEvSK_,@function
_ZN7rocprim17ROCPRIM_400000_NS6detail17trampoline_kernelINS0_14default_configENS1_22reduce_config_selectorIdEEZNS1_11reduce_implILb1ES3_N6thrust23THRUST_200600_302600_NS6detail15normal_iteratorINS8_10device_ptrIdEEEEPiiNS8_4plusIiEEEE10hipError_tPvRmT1_T2_T3_mT4_P12ihipStream_tbEUlT_E1_NS1_11comp_targetILNS1_3genE10ELNS1_11target_archE1201ELNS1_3gpuE5ELNS1_3repE0EEENS1_30default_config_static_selectorELNS0_4arch9wavefront6targetE1EEEvSK_: ; @_ZN7rocprim17ROCPRIM_400000_NS6detail17trampoline_kernelINS0_14default_configENS1_22reduce_config_selectorIdEEZNS1_11reduce_implILb1ES3_N6thrust23THRUST_200600_302600_NS6detail15normal_iteratorINS8_10device_ptrIdEEEEPiiNS8_4plusIiEEEE10hipError_tPvRmT1_T2_T3_mT4_P12ihipStream_tbEUlT_E1_NS1_11comp_targetILNS1_3genE10ELNS1_11target_archE1201ELNS1_3gpuE5ELNS1_3repE0EEENS1_30default_config_static_selectorELNS0_4arch9wavefront6targetE1EEEvSK_
; %bb.0:
	.section	.rodata,"a",@progbits
	.p2align	6, 0x0
	.amdhsa_kernel _ZN7rocprim17ROCPRIM_400000_NS6detail17trampoline_kernelINS0_14default_configENS1_22reduce_config_selectorIdEEZNS1_11reduce_implILb1ES3_N6thrust23THRUST_200600_302600_NS6detail15normal_iteratorINS8_10device_ptrIdEEEEPiiNS8_4plusIiEEEE10hipError_tPvRmT1_T2_T3_mT4_P12ihipStream_tbEUlT_E1_NS1_11comp_targetILNS1_3genE10ELNS1_11target_archE1201ELNS1_3gpuE5ELNS1_3repE0EEENS1_30default_config_static_selectorELNS0_4arch9wavefront6targetE1EEEvSK_
		.amdhsa_group_segment_fixed_size 0
		.amdhsa_private_segment_fixed_size 0
		.amdhsa_kernarg_size 40
		.amdhsa_user_sgpr_count 2
		.amdhsa_user_sgpr_dispatch_ptr 0
		.amdhsa_user_sgpr_queue_ptr 0
		.amdhsa_user_sgpr_kernarg_segment_ptr 1
		.amdhsa_user_sgpr_dispatch_id 0
		.amdhsa_user_sgpr_kernarg_preload_length 0
		.amdhsa_user_sgpr_kernarg_preload_offset 0
		.amdhsa_user_sgpr_private_segment_size 0
		.amdhsa_uses_dynamic_stack 0
		.amdhsa_enable_private_segment 0
		.amdhsa_system_sgpr_workgroup_id_x 1
		.amdhsa_system_sgpr_workgroup_id_y 0
		.amdhsa_system_sgpr_workgroup_id_z 0
		.amdhsa_system_sgpr_workgroup_info 0
		.amdhsa_system_vgpr_workitem_id 0
		.amdhsa_next_free_vgpr 1
		.amdhsa_next_free_sgpr 0
		.amdhsa_accum_offset 4
		.amdhsa_reserve_vcc 0
		.amdhsa_float_round_mode_32 0
		.amdhsa_float_round_mode_16_64 0
		.amdhsa_float_denorm_mode_32 3
		.amdhsa_float_denorm_mode_16_64 3
		.amdhsa_dx10_clamp 1
		.amdhsa_ieee_mode 1
		.amdhsa_fp16_overflow 0
		.amdhsa_tg_split 0
		.amdhsa_exception_fp_ieee_invalid_op 0
		.amdhsa_exception_fp_denorm_src 0
		.amdhsa_exception_fp_ieee_div_zero 0
		.amdhsa_exception_fp_ieee_overflow 0
		.amdhsa_exception_fp_ieee_underflow 0
		.amdhsa_exception_fp_ieee_inexact 0
		.amdhsa_exception_int_div_zero 0
	.end_amdhsa_kernel
	.section	.text._ZN7rocprim17ROCPRIM_400000_NS6detail17trampoline_kernelINS0_14default_configENS1_22reduce_config_selectorIdEEZNS1_11reduce_implILb1ES3_N6thrust23THRUST_200600_302600_NS6detail15normal_iteratorINS8_10device_ptrIdEEEEPiiNS8_4plusIiEEEE10hipError_tPvRmT1_T2_T3_mT4_P12ihipStream_tbEUlT_E1_NS1_11comp_targetILNS1_3genE10ELNS1_11target_archE1201ELNS1_3gpuE5ELNS1_3repE0EEENS1_30default_config_static_selectorELNS0_4arch9wavefront6targetE1EEEvSK_,"axG",@progbits,_ZN7rocprim17ROCPRIM_400000_NS6detail17trampoline_kernelINS0_14default_configENS1_22reduce_config_selectorIdEEZNS1_11reduce_implILb1ES3_N6thrust23THRUST_200600_302600_NS6detail15normal_iteratorINS8_10device_ptrIdEEEEPiiNS8_4plusIiEEEE10hipError_tPvRmT1_T2_T3_mT4_P12ihipStream_tbEUlT_E1_NS1_11comp_targetILNS1_3genE10ELNS1_11target_archE1201ELNS1_3gpuE5ELNS1_3repE0EEENS1_30default_config_static_selectorELNS0_4arch9wavefront6targetE1EEEvSK_,comdat
.Lfunc_end311:
	.size	_ZN7rocprim17ROCPRIM_400000_NS6detail17trampoline_kernelINS0_14default_configENS1_22reduce_config_selectorIdEEZNS1_11reduce_implILb1ES3_N6thrust23THRUST_200600_302600_NS6detail15normal_iteratorINS8_10device_ptrIdEEEEPiiNS8_4plusIiEEEE10hipError_tPvRmT1_T2_T3_mT4_P12ihipStream_tbEUlT_E1_NS1_11comp_targetILNS1_3genE10ELNS1_11target_archE1201ELNS1_3gpuE5ELNS1_3repE0EEENS1_30default_config_static_selectorELNS0_4arch9wavefront6targetE1EEEvSK_, .Lfunc_end311-_ZN7rocprim17ROCPRIM_400000_NS6detail17trampoline_kernelINS0_14default_configENS1_22reduce_config_selectorIdEEZNS1_11reduce_implILb1ES3_N6thrust23THRUST_200600_302600_NS6detail15normal_iteratorINS8_10device_ptrIdEEEEPiiNS8_4plusIiEEEE10hipError_tPvRmT1_T2_T3_mT4_P12ihipStream_tbEUlT_E1_NS1_11comp_targetILNS1_3genE10ELNS1_11target_archE1201ELNS1_3gpuE5ELNS1_3repE0EEENS1_30default_config_static_selectorELNS0_4arch9wavefront6targetE1EEEvSK_
                                        ; -- End function
	.set _ZN7rocprim17ROCPRIM_400000_NS6detail17trampoline_kernelINS0_14default_configENS1_22reduce_config_selectorIdEEZNS1_11reduce_implILb1ES3_N6thrust23THRUST_200600_302600_NS6detail15normal_iteratorINS8_10device_ptrIdEEEEPiiNS8_4plusIiEEEE10hipError_tPvRmT1_T2_T3_mT4_P12ihipStream_tbEUlT_E1_NS1_11comp_targetILNS1_3genE10ELNS1_11target_archE1201ELNS1_3gpuE5ELNS1_3repE0EEENS1_30default_config_static_selectorELNS0_4arch9wavefront6targetE1EEEvSK_.num_vgpr, 0
	.set _ZN7rocprim17ROCPRIM_400000_NS6detail17trampoline_kernelINS0_14default_configENS1_22reduce_config_selectorIdEEZNS1_11reduce_implILb1ES3_N6thrust23THRUST_200600_302600_NS6detail15normal_iteratorINS8_10device_ptrIdEEEEPiiNS8_4plusIiEEEE10hipError_tPvRmT1_T2_T3_mT4_P12ihipStream_tbEUlT_E1_NS1_11comp_targetILNS1_3genE10ELNS1_11target_archE1201ELNS1_3gpuE5ELNS1_3repE0EEENS1_30default_config_static_selectorELNS0_4arch9wavefront6targetE1EEEvSK_.num_agpr, 0
	.set _ZN7rocprim17ROCPRIM_400000_NS6detail17trampoline_kernelINS0_14default_configENS1_22reduce_config_selectorIdEEZNS1_11reduce_implILb1ES3_N6thrust23THRUST_200600_302600_NS6detail15normal_iteratorINS8_10device_ptrIdEEEEPiiNS8_4plusIiEEEE10hipError_tPvRmT1_T2_T3_mT4_P12ihipStream_tbEUlT_E1_NS1_11comp_targetILNS1_3genE10ELNS1_11target_archE1201ELNS1_3gpuE5ELNS1_3repE0EEENS1_30default_config_static_selectorELNS0_4arch9wavefront6targetE1EEEvSK_.numbered_sgpr, 0
	.set _ZN7rocprim17ROCPRIM_400000_NS6detail17trampoline_kernelINS0_14default_configENS1_22reduce_config_selectorIdEEZNS1_11reduce_implILb1ES3_N6thrust23THRUST_200600_302600_NS6detail15normal_iteratorINS8_10device_ptrIdEEEEPiiNS8_4plusIiEEEE10hipError_tPvRmT1_T2_T3_mT4_P12ihipStream_tbEUlT_E1_NS1_11comp_targetILNS1_3genE10ELNS1_11target_archE1201ELNS1_3gpuE5ELNS1_3repE0EEENS1_30default_config_static_selectorELNS0_4arch9wavefront6targetE1EEEvSK_.num_named_barrier, 0
	.set _ZN7rocprim17ROCPRIM_400000_NS6detail17trampoline_kernelINS0_14default_configENS1_22reduce_config_selectorIdEEZNS1_11reduce_implILb1ES3_N6thrust23THRUST_200600_302600_NS6detail15normal_iteratorINS8_10device_ptrIdEEEEPiiNS8_4plusIiEEEE10hipError_tPvRmT1_T2_T3_mT4_P12ihipStream_tbEUlT_E1_NS1_11comp_targetILNS1_3genE10ELNS1_11target_archE1201ELNS1_3gpuE5ELNS1_3repE0EEENS1_30default_config_static_selectorELNS0_4arch9wavefront6targetE1EEEvSK_.private_seg_size, 0
	.set _ZN7rocprim17ROCPRIM_400000_NS6detail17trampoline_kernelINS0_14default_configENS1_22reduce_config_selectorIdEEZNS1_11reduce_implILb1ES3_N6thrust23THRUST_200600_302600_NS6detail15normal_iteratorINS8_10device_ptrIdEEEEPiiNS8_4plusIiEEEE10hipError_tPvRmT1_T2_T3_mT4_P12ihipStream_tbEUlT_E1_NS1_11comp_targetILNS1_3genE10ELNS1_11target_archE1201ELNS1_3gpuE5ELNS1_3repE0EEENS1_30default_config_static_selectorELNS0_4arch9wavefront6targetE1EEEvSK_.uses_vcc, 0
	.set _ZN7rocprim17ROCPRIM_400000_NS6detail17trampoline_kernelINS0_14default_configENS1_22reduce_config_selectorIdEEZNS1_11reduce_implILb1ES3_N6thrust23THRUST_200600_302600_NS6detail15normal_iteratorINS8_10device_ptrIdEEEEPiiNS8_4plusIiEEEE10hipError_tPvRmT1_T2_T3_mT4_P12ihipStream_tbEUlT_E1_NS1_11comp_targetILNS1_3genE10ELNS1_11target_archE1201ELNS1_3gpuE5ELNS1_3repE0EEENS1_30default_config_static_selectorELNS0_4arch9wavefront6targetE1EEEvSK_.uses_flat_scratch, 0
	.set _ZN7rocprim17ROCPRIM_400000_NS6detail17trampoline_kernelINS0_14default_configENS1_22reduce_config_selectorIdEEZNS1_11reduce_implILb1ES3_N6thrust23THRUST_200600_302600_NS6detail15normal_iteratorINS8_10device_ptrIdEEEEPiiNS8_4plusIiEEEE10hipError_tPvRmT1_T2_T3_mT4_P12ihipStream_tbEUlT_E1_NS1_11comp_targetILNS1_3genE10ELNS1_11target_archE1201ELNS1_3gpuE5ELNS1_3repE0EEENS1_30default_config_static_selectorELNS0_4arch9wavefront6targetE1EEEvSK_.has_dyn_sized_stack, 0
	.set _ZN7rocprim17ROCPRIM_400000_NS6detail17trampoline_kernelINS0_14default_configENS1_22reduce_config_selectorIdEEZNS1_11reduce_implILb1ES3_N6thrust23THRUST_200600_302600_NS6detail15normal_iteratorINS8_10device_ptrIdEEEEPiiNS8_4plusIiEEEE10hipError_tPvRmT1_T2_T3_mT4_P12ihipStream_tbEUlT_E1_NS1_11comp_targetILNS1_3genE10ELNS1_11target_archE1201ELNS1_3gpuE5ELNS1_3repE0EEENS1_30default_config_static_selectorELNS0_4arch9wavefront6targetE1EEEvSK_.has_recursion, 0
	.set _ZN7rocprim17ROCPRIM_400000_NS6detail17trampoline_kernelINS0_14default_configENS1_22reduce_config_selectorIdEEZNS1_11reduce_implILb1ES3_N6thrust23THRUST_200600_302600_NS6detail15normal_iteratorINS8_10device_ptrIdEEEEPiiNS8_4plusIiEEEE10hipError_tPvRmT1_T2_T3_mT4_P12ihipStream_tbEUlT_E1_NS1_11comp_targetILNS1_3genE10ELNS1_11target_archE1201ELNS1_3gpuE5ELNS1_3repE0EEENS1_30default_config_static_selectorELNS0_4arch9wavefront6targetE1EEEvSK_.has_indirect_call, 0
	.section	.AMDGPU.csdata,"",@progbits
; Kernel info:
; codeLenInByte = 0
; TotalNumSgprs: 6
; NumVgprs: 0
; NumAgprs: 0
; TotalNumVgprs: 0
; ScratchSize: 0
; MemoryBound: 0
; FloatMode: 240
; IeeeMode: 1
; LDSByteSize: 0 bytes/workgroup (compile time only)
; SGPRBlocks: 0
; VGPRBlocks: 0
; NumSGPRsForWavesPerEU: 6
; NumVGPRsForWavesPerEU: 1
; AccumOffset: 4
; Occupancy: 8
; WaveLimiterHint : 0
; COMPUTE_PGM_RSRC2:SCRATCH_EN: 0
; COMPUTE_PGM_RSRC2:USER_SGPR: 2
; COMPUTE_PGM_RSRC2:TRAP_HANDLER: 0
; COMPUTE_PGM_RSRC2:TGID_X_EN: 1
; COMPUTE_PGM_RSRC2:TGID_Y_EN: 0
; COMPUTE_PGM_RSRC2:TGID_Z_EN: 0
; COMPUTE_PGM_RSRC2:TIDIG_COMP_CNT: 0
; COMPUTE_PGM_RSRC3_GFX90A:ACCUM_OFFSET: 0
; COMPUTE_PGM_RSRC3_GFX90A:TG_SPLIT: 0
	.section	.text._ZN7rocprim17ROCPRIM_400000_NS6detail17trampoline_kernelINS0_14default_configENS1_22reduce_config_selectorIdEEZNS1_11reduce_implILb1ES3_N6thrust23THRUST_200600_302600_NS6detail15normal_iteratorINS8_10device_ptrIdEEEEPiiNS8_4plusIiEEEE10hipError_tPvRmT1_T2_T3_mT4_P12ihipStream_tbEUlT_E1_NS1_11comp_targetILNS1_3genE10ELNS1_11target_archE1200ELNS1_3gpuE4ELNS1_3repE0EEENS1_30default_config_static_selectorELNS0_4arch9wavefront6targetE1EEEvSK_,"axG",@progbits,_ZN7rocprim17ROCPRIM_400000_NS6detail17trampoline_kernelINS0_14default_configENS1_22reduce_config_selectorIdEEZNS1_11reduce_implILb1ES3_N6thrust23THRUST_200600_302600_NS6detail15normal_iteratorINS8_10device_ptrIdEEEEPiiNS8_4plusIiEEEE10hipError_tPvRmT1_T2_T3_mT4_P12ihipStream_tbEUlT_E1_NS1_11comp_targetILNS1_3genE10ELNS1_11target_archE1200ELNS1_3gpuE4ELNS1_3repE0EEENS1_30default_config_static_selectorELNS0_4arch9wavefront6targetE1EEEvSK_,comdat
	.protected	_ZN7rocprim17ROCPRIM_400000_NS6detail17trampoline_kernelINS0_14default_configENS1_22reduce_config_selectorIdEEZNS1_11reduce_implILb1ES3_N6thrust23THRUST_200600_302600_NS6detail15normal_iteratorINS8_10device_ptrIdEEEEPiiNS8_4plusIiEEEE10hipError_tPvRmT1_T2_T3_mT4_P12ihipStream_tbEUlT_E1_NS1_11comp_targetILNS1_3genE10ELNS1_11target_archE1200ELNS1_3gpuE4ELNS1_3repE0EEENS1_30default_config_static_selectorELNS0_4arch9wavefront6targetE1EEEvSK_ ; -- Begin function _ZN7rocprim17ROCPRIM_400000_NS6detail17trampoline_kernelINS0_14default_configENS1_22reduce_config_selectorIdEEZNS1_11reduce_implILb1ES3_N6thrust23THRUST_200600_302600_NS6detail15normal_iteratorINS8_10device_ptrIdEEEEPiiNS8_4plusIiEEEE10hipError_tPvRmT1_T2_T3_mT4_P12ihipStream_tbEUlT_E1_NS1_11comp_targetILNS1_3genE10ELNS1_11target_archE1200ELNS1_3gpuE4ELNS1_3repE0EEENS1_30default_config_static_selectorELNS0_4arch9wavefront6targetE1EEEvSK_
	.globl	_ZN7rocprim17ROCPRIM_400000_NS6detail17trampoline_kernelINS0_14default_configENS1_22reduce_config_selectorIdEEZNS1_11reduce_implILb1ES3_N6thrust23THRUST_200600_302600_NS6detail15normal_iteratorINS8_10device_ptrIdEEEEPiiNS8_4plusIiEEEE10hipError_tPvRmT1_T2_T3_mT4_P12ihipStream_tbEUlT_E1_NS1_11comp_targetILNS1_3genE10ELNS1_11target_archE1200ELNS1_3gpuE4ELNS1_3repE0EEENS1_30default_config_static_selectorELNS0_4arch9wavefront6targetE1EEEvSK_
	.p2align	8
	.type	_ZN7rocprim17ROCPRIM_400000_NS6detail17trampoline_kernelINS0_14default_configENS1_22reduce_config_selectorIdEEZNS1_11reduce_implILb1ES3_N6thrust23THRUST_200600_302600_NS6detail15normal_iteratorINS8_10device_ptrIdEEEEPiiNS8_4plusIiEEEE10hipError_tPvRmT1_T2_T3_mT4_P12ihipStream_tbEUlT_E1_NS1_11comp_targetILNS1_3genE10ELNS1_11target_archE1200ELNS1_3gpuE4ELNS1_3repE0EEENS1_30default_config_static_selectorELNS0_4arch9wavefront6targetE1EEEvSK_,@function
_ZN7rocprim17ROCPRIM_400000_NS6detail17trampoline_kernelINS0_14default_configENS1_22reduce_config_selectorIdEEZNS1_11reduce_implILb1ES3_N6thrust23THRUST_200600_302600_NS6detail15normal_iteratorINS8_10device_ptrIdEEEEPiiNS8_4plusIiEEEE10hipError_tPvRmT1_T2_T3_mT4_P12ihipStream_tbEUlT_E1_NS1_11comp_targetILNS1_3genE10ELNS1_11target_archE1200ELNS1_3gpuE4ELNS1_3repE0EEENS1_30default_config_static_selectorELNS0_4arch9wavefront6targetE1EEEvSK_: ; @_ZN7rocprim17ROCPRIM_400000_NS6detail17trampoline_kernelINS0_14default_configENS1_22reduce_config_selectorIdEEZNS1_11reduce_implILb1ES3_N6thrust23THRUST_200600_302600_NS6detail15normal_iteratorINS8_10device_ptrIdEEEEPiiNS8_4plusIiEEEE10hipError_tPvRmT1_T2_T3_mT4_P12ihipStream_tbEUlT_E1_NS1_11comp_targetILNS1_3genE10ELNS1_11target_archE1200ELNS1_3gpuE4ELNS1_3repE0EEENS1_30default_config_static_selectorELNS0_4arch9wavefront6targetE1EEEvSK_
; %bb.0:
	.section	.rodata,"a",@progbits
	.p2align	6, 0x0
	.amdhsa_kernel _ZN7rocprim17ROCPRIM_400000_NS6detail17trampoline_kernelINS0_14default_configENS1_22reduce_config_selectorIdEEZNS1_11reduce_implILb1ES3_N6thrust23THRUST_200600_302600_NS6detail15normal_iteratorINS8_10device_ptrIdEEEEPiiNS8_4plusIiEEEE10hipError_tPvRmT1_T2_T3_mT4_P12ihipStream_tbEUlT_E1_NS1_11comp_targetILNS1_3genE10ELNS1_11target_archE1200ELNS1_3gpuE4ELNS1_3repE0EEENS1_30default_config_static_selectorELNS0_4arch9wavefront6targetE1EEEvSK_
		.amdhsa_group_segment_fixed_size 0
		.amdhsa_private_segment_fixed_size 0
		.amdhsa_kernarg_size 40
		.amdhsa_user_sgpr_count 2
		.amdhsa_user_sgpr_dispatch_ptr 0
		.amdhsa_user_sgpr_queue_ptr 0
		.amdhsa_user_sgpr_kernarg_segment_ptr 1
		.amdhsa_user_sgpr_dispatch_id 0
		.amdhsa_user_sgpr_kernarg_preload_length 0
		.amdhsa_user_sgpr_kernarg_preload_offset 0
		.amdhsa_user_sgpr_private_segment_size 0
		.amdhsa_uses_dynamic_stack 0
		.amdhsa_enable_private_segment 0
		.amdhsa_system_sgpr_workgroup_id_x 1
		.amdhsa_system_sgpr_workgroup_id_y 0
		.amdhsa_system_sgpr_workgroup_id_z 0
		.amdhsa_system_sgpr_workgroup_info 0
		.amdhsa_system_vgpr_workitem_id 0
		.amdhsa_next_free_vgpr 1
		.amdhsa_next_free_sgpr 0
		.amdhsa_accum_offset 4
		.amdhsa_reserve_vcc 0
		.amdhsa_float_round_mode_32 0
		.amdhsa_float_round_mode_16_64 0
		.amdhsa_float_denorm_mode_32 3
		.amdhsa_float_denorm_mode_16_64 3
		.amdhsa_dx10_clamp 1
		.amdhsa_ieee_mode 1
		.amdhsa_fp16_overflow 0
		.amdhsa_tg_split 0
		.amdhsa_exception_fp_ieee_invalid_op 0
		.amdhsa_exception_fp_denorm_src 0
		.amdhsa_exception_fp_ieee_div_zero 0
		.amdhsa_exception_fp_ieee_overflow 0
		.amdhsa_exception_fp_ieee_underflow 0
		.amdhsa_exception_fp_ieee_inexact 0
		.amdhsa_exception_int_div_zero 0
	.end_amdhsa_kernel
	.section	.text._ZN7rocprim17ROCPRIM_400000_NS6detail17trampoline_kernelINS0_14default_configENS1_22reduce_config_selectorIdEEZNS1_11reduce_implILb1ES3_N6thrust23THRUST_200600_302600_NS6detail15normal_iteratorINS8_10device_ptrIdEEEEPiiNS8_4plusIiEEEE10hipError_tPvRmT1_T2_T3_mT4_P12ihipStream_tbEUlT_E1_NS1_11comp_targetILNS1_3genE10ELNS1_11target_archE1200ELNS1_3gpuE4ELNS1_3repE0EEENS1_30default_config_static_selectorELNS0_4arch9wavefront6targetE1EEEvSK_,"axG",@progbits,_ZN7rocprim17ROCPRIM_400000_NS6detail17trampoline_kernelINS0_14default_configENS1_22reduce_config_selectorIdEEZNS1_11reduce_implILb1ES3_N6thrust23THRUST_200600_302600_NS6detail15normal_iteratorINS8_10device_ptrIdEEEEPiiNS8_4plusIiEEEE10hipError_tPvRmT1_T2_T3_mT4_P12ihipStream_tbEUlT_E1_NS1_11comp_targetILNS1_3genE10ELNS1_11target_archE1200ELNS1_3gpuE4ELNS1_3repE0EEENS1_30default_config_static_selectorELNS0_4arch9wavefront6targetE1EEEvSK_,comdat
.Lfunc_end312:
	.size	_ZN7rocprim17ROCPRIM_400000_NS6detail17trampoline_kernelINS0_14default_configENS1_22reduce_config_selectorIdEEZNS1_11reduce_implILb1ES3_N6thrust23THRUST_200600_302600_NS6detail15normal_iteratorINS8_10device_ptrIdEEEEPiiNS8_4plusIiEEEE10hipError_tPvRmT1_T2_T3_mT4_P12ihipStream_tbEUlT_E1_NS1_11comp_targetILNS1_3genE10ELNS1_11target_archE1200ELNS1_3gpuE4ELNS1_3repE0EEENS1_30default_config_static_selectorELNS0_4arch9wavefront6targetE1EEEvSK_, .Lfunc_end312-_ZN7rocprim17ROCPRIM_400000_NS6detail17trampoline_kernelINS0_14default_configENS1_22reduce_config_selectorIdEEZNS1_11reduce_implILb1ES3_N6thrust23THRUST_200600_302600_NS6detail15normal_iteratorINS8_10device_ptrIdEEEEPiiNS8_4plusIiEEEE10hipError_tPvRmT1_T2_T3_mT4_P12ihipStream_tbEUlT_E1_NS1_11comp_targetILNS1_3genE10ELNS1_11target_archE1200ELNS1_3gpuE4ELNS1_3repE0EEENS1_30default_config_static_selectorELNS0_4arch9wavefront6targetE1EEEvSK_
                                        ; -- End function
	.set _ZN7rocprim17ROCPRIM_400000_NS6detail17trampoline_kernelINS0_14default_configENS1_22reduce_config_selectorIdEEZNS1_11reduce_implILb1ES3_N6thrust23THRUST_200600_302600_NS6detail15normal_iteratorINS8_10device_ptrIdEEEEPiiNS8_4plusIiEEEE10hipError_tPvRmT1_T2_T3_mT4_P12ihipStream_tbEUlT_E1_NS1_11comp_targetILNS1_3genE10ELNS1_11target_archE1200ELNS1_3gpuE4ELNS1_3repE0EEENS1_30default_config_static_selectorELNS0_4arch9wavefront6targetE1EEEvSK_.num_vgpr, 0
	.set _ZN7rocprim17ROCPRIM_400000_NS6detail17trampoline_kernelINS0_14default_configENS1_22reduce_config_selectorIdEEZNS1_11reduce_implILb1ES3_N6thrust23THRUST_200600_302600_NS6detail15normal_iteratorINS8_10device_ptrIdEEEEPiiNS8_4plusIiEEEE10hipError_tPvRmT1_T2_T3_mT4_P12ihipStream_tbEUlT_E1_NS1_11comp_targetILNS1_3genE10ELNS1_11target_archE1200ELNS1_3gpuE4ELNS1_3repE0EEENS1_30default_config_static_selectorELNS0_4arch9wavefront6targetE1EEEvSK_.num_agpr, 0
	.set _ZN7rocprim17ROCPRIM_400000_NS6detail17trampoline_kernelINS0_14default_configENS1_22reduce_config_selectorIdEEZNS1_11reduce_implILb1ES3_N6thrust23THRUST_200600_302600_NS6detail15normal_iteratorINS8_10device_ptrIdEEEEPiiNS8_4plusIiEEEE10hipError_tPvRmT1_T2_T3_mT4_P12ihipStream_tbEUlT_E1_NS1_11comp_targetILNS1_3genE10ELNS1_11target_archE1200ELNS1_3gpuE4ELNS1_3repE0EEENS1_30default_config_static_selectorELNS0_4arch9wavefront6targetE1EEEvSK_.numbered_sgpr, 0
	.set _ZN7rocprim17ROCPRIM_400000_NS6detail17trampoline_kernelINS0_14default_configENS1_22reduce_config_selectorIdEEZNS1_11reduce_implILb1ES3_N6thrust23THRUST_200600_302600_NS6detail15normal_iteratorINS8_10device_ptrIdEEEEPiiNS8_4plusIiEEEE10hipError_tPvRmT1_T2_T3_mT4_P12ihipStream_tbEUlT_E1_NS1_11comp_targetILNS1_3genE10ELNS1_11target_archE1200ELNS1_3gpuE4ELNS1_3repE0EEENS1_30default_config_static_selectorELNS0_4arch9wavefront6targetE1EEEvSK_.num_named_barrier, 0
	.set _ZN7rocprim17ROCPRIM_400000_NS6detail17trampoline_kernelINS0_14default_configENS1_22reduce_config_selectorIdEEZNS1_11reduce_implILb1ES3_N6thrust23THRUST_200600_302600_NS6detail15normal_iteratorINS8_10device_ptrIdEEEEPiiNS8_4plusIiEEEE10hipError_tPvRmT1_T2_T3_mT4_P12ihipStream_tbEUlT_E1_NS1_11comp_targetILNS1_3genE10ELNS1_11target_archE1200ELNS1_3gpuE4ELNS1_3repE0EEENS1_30default_config_static_selectorELNS0_4arch9wavefront6targetE1EEEvSK_.private_seg_size, 0
	.set _ZN7rocprim17ROCPRIM_400000_NS6detail17trampoline_kernelINS0_14default_configENS1_22reduce_config_selectorIdEEZNS1_11reduce_implILb1ES3_N6thrust23THRUST_200600_302600_NS6detail15normal_iteratorINS8_10device_ptrIdEEEEPiiNS8_4plusIiEEEE10hipError_tPvRmT1_T2_T3_mT4_P12ihipStream_tbEUlT_E1_NS1_11comp_targetILNS1_3genE10ELNS1_11target_archE1200ELNS1_3gpuE4ELNS1_3repE0EEENS1_30default_config_static_selectorELNS0_4arch9wavefront6targetE1EEEvSK_.uses_vcc, 0
	.set _ZN7rocprim17ROCPRIM_400000_NS6detail17trampoline_kernelINS0_14default_configENS1_22reduce_config_selectorIdEEZNS1_11reduce_implILb1ES3_N6thrust23THRUST_200600_302600_NS6detail15normal_iteratorINS8_10device_ptrIdEEEEPiiNS8_4plusIiEEEE10hipError_tPvRmT1_T2_T3_mT4_P12ihipStream_tbEUlT_E1_NS1_11comp_targetILNS1_3genE10ELNS1_11target_archE1200ELNS1_3gpuE4ELNS1_3repE0EEENS1_30default_config_static_selectorELNS0_4arch9wavefront6targetE1EEEvSK_.uses_flat_scratch, 0
	.set _ZN7rocprim17ROCPRIM_400000_NS6detail17trampoline_kernelINS0_14default_configENS1_22reduce_config_selectorIdEEZNS1_11reduce_implILb1ES3_N6thrust23THRUST_200600_302600_NS6detail15normal_iteratorINS8_10device_ptrIdEEEEPiiNS8_4plusIiEEEE10hipError_tPvRmT1_T2_T3_mT4_P12ihipStream_tbEUlT_E1_NS1_11comp_targetILNS1_3genE10ELNS1_11target_archE1200ELNS1_3gpuE4ELNS1_3repE0EEENS1_30default_config_static_selectorELNS0_4arch9wavefront6targetE1EEEvSK_.has_dyn_sized_stack, 0
	.set _ZN7rocprim17ROCPRIM_400000_NS6detail17trampoline_kernelINS0_14default_configENS1_22reduce_config_selectorIdEEZNS1_11reduce_implILb1ES3_N6thrust23THRUST_200600_302600_NS6detail15normal_iteratorINS8_10device_ptrIdEEEEPiiNS8_4plusIiEEEE10hipError_tPvRmT1_T2_T3_mT4_P12ihipStream_tbEUlT_E1_NS1_11comp_targetILNS1_3genE10ELNS1_11target_archE1200ELNS1_3gpuE4ELNS1_3repE0EEENS1_30default_config_static_selectorELNS0_4arch9wavefront6targetE1EEEvSK_.has_recursion, 0
	.set _ZN7rocprim17ROCPRIM_400000_NS6detail17trampoline_kernelINS0_14default_configENS1_22reduce_config_selectorIdEEZNS1_11reduce_implILb1ES3_N6thrust23THRUST_200600_302600_NS6detail15normal_iteratorINS8_10device_ptrIdEEEEPiiNS8_4plusIiEEEE10hipError_tPvRmT1_T2_T3_mT4_P12ihipStream_tbEUlT_E1_NS1_11comp_targetILNS1_3genE10ELNS1_11target_archE1200ELNS1_3gpuE4ELNS1_3repE0EEENS1_30default_config_static_selectorELNS0_4arch9wavefront6targetE1EEEvSK_.has_indirect_call, 0
	.section	.AMDGPU.csdata,"",@progbits
; Kernel info:
; codeLenInByte = 0
; TotalNumSgprs: 6
; NumVgprs: 0
; NumAgprs: 0
; TotalNumVgprs: 0
; ScratchSize: 0
; MemoryBound: 0
; FloatMode: 240
; IeeeMode: 1
; LDSByteSize: 0 bytes/workgroup (compile time only)
; SGPRBlocks: 0
; VGPRBlocks: 0
; NumSGPRsForWavesPerEU: 6
; NumVGPRsForWavesPerEU: 1
; AccumOffset: 4
; Occupancy: 8
; WaveLimiterHint : 0
; COMPUTE_PGM_RSRC2:SCRATCH_EN: 0
; COMPUTE_PGM_RSRC2:USER_SGPR: 2
; COMPUTE_PGM_RSRC2:TRAP_HANDLER: 0
; COMPUTE_PGM_RSRC2:TGID_X_EN: 1
; COMPUTE_PGM_RSRC2:TGID_Y_EN: 0
; COMPUTE_PGM_RSRC2:TGID_Z_EN: 0
; COMPUTE_PGM_RSRC2:TIDIG_COMP_CNT: 0
; COMPUTE_PGM_RSRC3_GFX90A:ACCUM_OFFSET: 0
; COMPUTE_PGM_RSRC3_GFX90A:TG_SPLIT: 0
	.section	.text._ZN7rocprim17ROCPRIM_400000_NS6detail17trampoline_kernelINS0_14default_configENS1_22reduce_config_selectorIdEEZNS1_11reduce_implILb1ES3_N6thrust23THRUST_200600_302600_NS6detail15normal_iteratorINS8_10device_ptrIdEEEEPiiNS8_4plusIiEEEE10hipError_tPvRmT1_T2_T3_mT4_P12ihipStream_tbEUlT_E1_NS1_11comp_targetILNS1_3genE9ELNS1_11target_archE1100ELNS1_3gpuE3ELNS1_3repE0EEENS1_30default_config_static_selectorELNS0_4arch9wavefront6targetE1EEEvSK_,"axG",@progbits,_ZN7rocprim17ROCPRIM_400000_NS6detail17trampoline_kernelINS0_14default_configENS1_22reduce_config_selectorIdEEZNS1_11reduce_implILb1ES3_N6thrust23THRUST_200600_302600_NS6detail15normal_iteratorINS8_10device_ptrIdEEEEPiiNS8_4plusIiEEEE10hipError_tPvRmT1_T2_T3_mT4_P12ihipStream_tbEUlT_E1_NS1_11comp_targetILNS1_3genE9ELNS1_11target_archE1100ELNS1_3gpuE3ELNS1_3repE0EEENS1_30default_config_static_selectorELNS0_4arch9wavefront6targetE1EEEvSK_,comdat
	.protected	_ZN7rocprim17ROCPRIM_400000_NS6detail17trampoline_kernelINS0_14default_configENS1_22reduce_config_selectorIdEEZNS1_11reduce_implILb1ES3_N6thrust23THRUST_200600_302600_NS6detail15normal_iteratorINS8_10device_ptrIdEEEEPiiNS8_4plusIiEEEE10hipError_tPvRmT1_T2_T3_mT4_P12ihipStream_tbEUlT_E1_NS1_11comp_targetILNS1_3genE9ELNS1_11target_archE1100ELNS1_3gpuE3ELNS1_3repE0EEENS1_30default_config_static_selectorELNS0_4arch9wavefront6targetE1EEEvSK_ ; -- Begin function _ZN7rocprim17ROCPRIM_400000_NS6detail17trampoline_kernelINS0_14default_configENS1_22reduce_config_selectorIdEEZNS1_11reduce_implILb1ES3_N6thrust23THRUST_200600_302600_NS6detail15normal_iteratorINS8_10device_ptrIdEEEEPiiNS8_4plusIiEEEE10hipError_tPvRmT1_T2_T3_mT4_P12ihipStream_tbEUlT_E1_NS1_11comp_targetILNS1_3genE9ELNS1_11target_archE1100ELNS1_3gpuE3ELNS1_3repE0EEENS1_30default_config_static_selectorELNS0_4arch9wavefront6targetE1EEEvSK_
	.globl	_ZN7rocprim17ROCPRIM_400000_NS6detail17trampoline_kernelINS0_14default_configENS1_22reduce_config_selectorIdEEZNS1_11reduce_implILb1ES3_N6thrust23THRUST_200600_302600_NS6detail15normal_iteratorINS8_10device_ptrIdEEEEPiiNS8_4plusIiEEEE10hipError_tPvRmT1_T2_T3_mT4_P12ihipStream_tbEUlT_E1_NS1_11comp_targetILNS1_3genE9ELNS1_11target_archE1100ELNS1_3gpuE3ELNS1_3repE0EEENS1_30default_config_static_selectorELNS0_4arch9wavefront6targetE1EEEvSK_
	.p2align	8
	.type	_ZN7rocprim17ROCPRIM_400000_NS6detail17trampoline_kernelINS0_14default_configENS1_22reduce_config_selectorIdEEZNS1_11reduce_implILb1ES3_N6thrust23THRUST_200600_302600_NS6detail15normal_iteratorINS8_10device_ptrIdEEEEPiiNS8_4plusIiEEEE10hipError_tPvRmT1_T2_T3_mT4_P12ihipStream_tbEUlT_E1_NS1_11comp_targetILNS1_3genE9ELNS1_11target_archE1100ELNS1_3gpuE3ELNS1_3repE0EEENS1_30default_config_static_selectorELNS0_4arch9wavefront6targetE1EEEvSK_,@function
_ZN7rocprim17ROCPRIM_400000_NS6detail17trampoline_kernelINS0_14default_configENS1_22reduce_config_selectorIdEEZNS1_11reduce_implILb1ES3_N6thrust23THRUST_200600_302600_NS6detail15normal_iteratorINS8_10device_ptrIdEEEEPiiNS8_4plusIiEEEE10hipError_tPvRmT1_T2_T3_mT4_P12ihipStream_tbEUlT_E1_NS1_11comp_targetILNS1_3genE9ELNS1_11target_archE1100ELNS1_3gpuE3ELNS1_3repE0EEENS1_30default_config_static_selectorELNS0_4arch9wavefront6targetE1EEEvSK_: ; @_ZN7rocprim17ROCPRIM_400000_NS6detail17trampoline_kernelINS0_14default_configENS1_22reduce_config_selectorIdEEZNS1_11reduce_implILb1ES3_N6thrust23THRUST_200600_302600_NS6detail15normal_iteratorINS8_10device_ptrIdEEEEPiiNS8_4plusIiEEEE10hipError_tPvRmT1_T2_T3_mT4_P12ihipStream_tbEUlT_E1_NS1_11comp_targetILNS1_3genE9ELNS1_11target_archE1100ELNS1_3gpuE3ELNS1_3repE0EEENS1_30default_config_static_selectorELNS0_4arch9wavefront6targetE1EEEvSK_
; %bb.0:
	.section	.rodata,"a",@progbits
	.p2align	6, 0x0
	.amdhsa_kernel _ZN7rocprim17ROCPRIM_400000_NS6detail17trampoline_kernelINS0_14default_configENS1_22reduce_config_selectorIdEEZNS1_11reduce_implILb1ES3_N6thrust23THRUST_200600_302600_NS6detail15normal_iteratorINS8_10device_ptrIdEEEEPiiNS8_4plusIiEEEE10hipError_tPvRmT1_T2_T3_mT4_P12ihipStream_tbEUlT_E1_NS1_11comp_targetILNS1_3genE9ELNS1_11target_archE1100ELNS1_3gpuE3ELNS1_3repE0EEENS1_30default_config_static_selectorELNS0_4arch9wavefront6targetE1EEEvSK_
		.amdhsa_group_segment_fixed_size 0
		.amdhsa_private_segment_fixed_size 0
		.amdhsa_kernarg_size 40
		.amdhsa_user_sgpr_count 2
		.amdhsa_user_sgpr_dispatch_ptr 0
		.amdhsa_user_sgpr_queue_ptr 0
		.amdhsa_user_sgpr_kernarg_segment_ptr 1
		.amdhsa_user_sgpr_dispatch_id 0
		.amdhsa_user_sgpr_kernarg_preload_length 0
		.amdhsa_user_sgpr_kernarg_preload_offset 0
		.amdhsa_user_sgpr_private_segment_size 0
		.amdhsa_uses_dynamic_stack 0
		.amdhsa_enable_private_segment 0
		.amdhsa_system_sgpr_workgroup_id_x 1
		.amdhsa_system_sgpr_workgroup_id_y 0
		.amdhsa_system_sgpr_workgroup_id_z 0
		.amdhsa_system_sgpr_workgroup_info 0
		.amdhsa_system_vgpr_workitem_id 0
		.amdhsa_next_free_vgpr 1
		.amdhsa_next_free_sgpr 0
		.amdhsa_accum_offset 4
		.amdhsa_reserve_vcc 0
		.amdhsa_float_round_mode_32 0
		.amdhsa_float_round_mode_16_64 0
		.amdhsa_float_denorm_mode_32 3
		.amdhsa_float_denorm_mode_16_64 3
		.amdhsa_dx10_clamp 1
		.amdhsa_ieee_mode 1
		.amdhsa_fp16_overflow 0
		.amdhsa_tg_split 0
		.amdhsa_exception_fp_ieee_invalid_op 0
		.amdhsa_exception_fp_denorm_src 0
		.amdhsa_exception_fp_ieee_div_zero 0
		.amdhsa_exception_fp_ieee_overflow 0
		.amdhsa_exception_fp_ieee_underflow 0
		.amdhsa_exception_fp_ieee_inexact 0
		.amdhsa_exception_int_div_zero 0
	.end_amdhsa_kernel
	.section	.text._ZN7rocprim17ROCPRIM_400000_NS6detail17trampoline_kernelINS0_14default_configENS1_22reduce_config_selectorIdEEZNS1_11reduce_implILb1ES3_N6thrust23THRUST_200600_302600_NS6detail15normal_iteratorINS8_10device_ptrIdEEEEPiiNS8_4plusIiEEEE10hipError_tPvRmT1_T2_T3_mT4_P12ihipStream_tbEUlT_E1_NS1_11comp_targetILNS1_3genE9ELNS1_11target_archE1100ELNS1_3gpuE3ELNS1_3repE0EEENS1_30default_config_static_selectorELNS0_4arch9wavefront6targetE1EEEvSK_,"axG",@progbits,_ZN7rocprim17ROCPRIM_400000_NS6detail17trampoline_kernelINS0_14default_configENS1_22reduce_config_selectorIdEEZNS1_11reduce_implILb1ES3_N6thrust23THRUST_200600_302600_NS6detail15normal_iteratorINS8_10device_ptrIdEEEEPiiNS8_4plusIiEEEE10hipError_tPvRmT1_T2_T3_mT4_P12ihipStream_tbEUlT_E1_NS1_11comp_targetILNS1_3genE9ELNS1_11target_archE1100ELNS1_3gpuE3ELNS1_3repE0EEENS1_30default_config_static_selectorELNS0_4arch9wavefront6targetE1EEEvSK_,comdat
.Lfunc_end313:
	.size	_ZN7rocprim17ROCPRIM_400000_NS6detail17trampoline_kernelINS0_14default_configENS1_22reduce_config_selectorIdEEZNS1_11reduce_implILb1ES3_N6thrust23THRUST_200600_302600_NS6detail15normal_iteratorINS8_10device_ptrIdEEEEPiiNS8_4plusIiEEEE10hipError_tPvRmT1_T2_T3_mT4_P12ihipStream_tbEUlT_E1_NS1_11comp_targetILNS1_3genE9ELNS1_11target_archE1100ELNS1_3gpuE3ELNS1_3repE0EEENS1_30default_config_static_selectorELNS0_4arch9wavefront6targetE1EEEvSK_, .Lfunc_end313-_ZN7rocprim17ROCPRIM_400000_NS6detail17trampoline_kernelINS0_14default_configENS1_22reduce_config_selectorIdEEZNS1_11reduce_implILb1ES3_N6thrust23THRUST_200600_302600_NS6detail15normal_iteratorINS8_10device_ptrIdEEEEPiiNS8_4plusIiEEEE10hipError_tPvRmT1_T2_T3_mT4_P12ihipStream_tbEUlT_E1_NS1_11comp_targetILNS1_3genE9ELNS1_11target_archE1100ELNS1_3gpuE3ELNS1_3repE0EEENS1_30default_config_static_selectorELNS0_4arch9wavefront6targetE1EEEvSK_
                                        ; -- End function
	.set _ZN7rocprim17ROCPRIM_400000_NS6detail17trampoline_kernelINS0_14default_configENS1_22reduce_config_selectorIdEEZNS1_11reduce_implILb1ES3_N6thrust23THRUST_200600_302600_NS6detail15normal_iteratorINS8_10device_ptrIdEEEEPiiNS8_4plusIiEEEE10hipError_tPvRmT1_T2_T3_mT4_P12ihipStream_tbEUlT_E1_NS1_11comp_targetILNS1_3genE9ELNS1_11target_archE1100ELNS1_3gpuE3ELNS1_3repE0EEENS1_30default_config_static_selectorELNS0_4arch9wavefront6targetE1EEEvSK_.num_vgpr, 0
	.set _ZN7rocprim17ROCPRIM_400000_NS6detail17trampoline_kernelINS0_14default_configENS1_22reduce_config_selectorIdEEZNS1_11reduce_implILb1ES3_N6thrust23THRUST_200600_302600_NS6detail15normal_iteratorINS8_10device_ptrIdEEEEPiiNS8_4plusIiEEEE10hipError_tPvRmT1_T2_T3_mT4_P12ihipStream_tbEUlT_E1_NS1_11comp_targetILNS1_3genE9ELNS1_11target_archE1100ELNS1_3gpuE3ELNS1_3repE0EEENS1_30default_config_static_selectorELNS0_4arch9wavefront6targetE1EEEvSK_.num_agpr, 0
	.set _ZN7rocprim17ROCPRIM_400000_NS6detail17trampoline_kernelINS0_14default_configENS1_22reduce_config_selectorIdEEZNS1_11reduce_implILb1ES3_N6thrust23THRUST_200600_302600_NS6detail15normal_iteratorINS8_10device_ptrIdEEEEPiiNS8_4plusIiEEEE10hipError_tPvRmT1_T2_T3_mT4_P12ihipStream_tbEUlT_E1_NS1_11comp_targetILNS1_3genE9ELNS1_11target_archE1100ELNS1_3gpuE3ELNS1_3repE0EEENS1_30default_config_static_selectorELNS0_4arch9wavefront6targetE1EEEvSK_.numbered_sgpr, 0
	.set _ZN7rocprim17ROCPRIM_400000_NS6detail17trampoline_kernelINS0_14default_configENS1_22reduce_config_selectorIdEEZNS1_11reduce_implILb1ES3_N6thrust23THRUST_200600_302600_NS6detail15normal_iteratorINS8_10device_ptrIdEEEEPiiNS8_4plusIiEEEE10hipError_tPvRmT1_T2_T3_mT4_P12ihipStream_tbEUlT_E1_NS1_11comp_targetILNS1_3genE9ELNS1_11target_archE1100ELNS1_3gpuE3ELNS1_3repE0EEENS1_30default_config_static_selectorELNS0_4arch9wavefront6targetE1EEEvSK_.num_named_barrier, 0
	.set _ZN7rocprim17ROCPRIM_400000_NS6detail17trampoline_kernelINS0_14default_configENS1_22reduce_config_selectorIdEEZNS1_11reduce_implILb1ES3_N6thrust23THRUST_200600_302600_NS6detail15normal_iteratorINS8_10device_ptrIdEEEEPiiNS8_4plusIiEEEE10hipError_tPvRmT1_T2_T3_mT4_P12ihipStream_tbEUlT_E1_NS1_11comp_targetILNS1_3genE9ELNS1_11target_archE1100ELNS1_3gpuE3ELNS1_3repE0EEENS1_30default_config_static_selectorELNS0_4arch9wavefront6targetE1EEEvSK_.private_seg_size, 0
	.set _ZN7rocprim17ROCPRIM_400000_NS6detail17trampoline_kernelINS0_14default_configENS1_22reduce_config_selectorIdEEZNS1_11reduce_implILb1ES3_N6thrust23THRUST_200600_302600_NS6detail15normal_iteratorINS8_10device_ptrIdEEEEPiiNS8_4plusIiEEEE10hipError_tPvRmT1_T2_T3_mT4_P12ihipStream_tbEUlT_E1_NS1_11comp_targetILNS1_3genE9ELNS1_11target_archE1100ELNS1_3gpuE3ELNS1_3repE0EEENS1_30default_config_static_selectorELNS0_4arch9wavefront6targetE1EEEvSK_.uses_vcc, 0
	.set _ZN7rocprim17ROCPRIM_400000_NS6detail17trampoline_kernelINS0_14default_configENS1_22reduce_config_selectorIdEEZNS1_11reduce_implILb1ES3_N6thrust23THRUST_200600_302600_NS6detail15normal_iteratorINS8_10device_ptrIdEEEEPiiNS8_4plusIiEEEE10hipError_tPvRmT1_T2_T3_mT4_P12ihipStream_tbEUlT_E1_NS1_11comp_targetILNS1_3genE9ELNS1_11target_archE1100ELNS1_3gpuE3ELNS1_3repE0EEENS1_30default_config_static_selectorELNS0_4arch9wavefront6targetE1EEEvSK_.uses_flat_scratch, 0
	.set _ZN7rocprim17ROCPRIM_400000_NS6detail17trampoline_kernelINS0_14default_configENS1_22reduce_config_selectorIdEEZNS1_11reduce_implILb1ES3_N6thrust23THRUST_200600_302600_NS6detail15normal_iteratorINS8_10device_ptrIdEEEEPiiNS8_4plusIiEEEE10hipError_tPvRmT1_T2_T3_mT4_P12ihipStream_tbEUlT_E1_NS1_11comp_targetILNS1_3genE9ELNS1_11target_archE1100ELNS1_3gpuE3ELNS1_3repE0EEENS1_30default_config_static_selectorELNS0_4arch9wavefront6targetE1EEEvSK_.has_dyn_sized_stack, 0
	.set _ZN7rocprim17ROCPRIM_400000_NS6detail17trampoline_kernelINS0_14default_configENS1_22reduce_config_selectorIdEEZNS1_11reduce_implILb1ES3_N6thrust23THRUST_200600_302600_NS6detail15normal_iteratorINS8_10device_ptrIdEEEEPiiNS8_4plusIiEEEE10hipError_tPvRmT1_T2_T3_mT4_P12ihipStream_tbEUlT_E1_NS1_11comp_targetILNS1_3genE9ELNS1_11target_archE1100ELNS1_3gpuE3ELNS1_3repE0EEENS1_30default_config_static_selectorELNS0_4arch9wavefront6targetE1EEEvSK_.has_recursion, 0
	.set _ZN7rocprim17ROCPRIM_400000_NS6detail17trampoline_kernelINS0_14default_configENS1_22reduce_config_selectorIdEEZNS1_11reduce_implILb1ES3_N6thrust23THRUST_200600_302600_NS6detail15normal_iteratorINS8_10device_ptrIdEEEEPiiNS8_4plusIiEEEE10hipError_tPvRmT1_T2_T3_mT4_P12ihipStream_tbEUlT_E1_NS1_11comp_targetILNS1_3genE9ELNS1_11target_archE1100ELNS1_3gpuE3ELNS1_3repE0EEENS1_30default_config_static_selectorELNS0_4arch9wavefront6targetE1EEEvSK_.has_indirect_call, 0
	.section	.AMDGPU.csdata,"",@progbits
; Kernel info:
; codeLenInByte = 0
; TotalNumSgprs: 6
; NumVgprs: 0
; NumAgprs: 0
; TotalNumVgprs: 0
; ScratchSize: 0
; MemoryBound: 0
; FloatMode: 240
; IeeeMode: 1
; LDSByteSize: 0 bytes/workgroup (compile time only)
; SGPRBlocks: 0
; VGPRBlocks: 0
; NumSGPRsForWavesPerEU: 6
; NumVGPRsForWavesPerEU: 1
; AccumOffset: 4
; Occupancy: 8
; WaveLimiterHint : 0
; COMPUTE_PGM_RSRC2:SCRATCH_EN: 0
; COMPUTE_PGM_RSRC2:USER_SGPR: 2
; COMPUTE_PGM_RSRC2:TRAP_HANDLER: 0
; COMPUTE_PGM_RSRC2:TGID_X_EN: 1
; COMPUTE_PGM_RSRC2:TGID_Y_EN: 0
; COMPUTE_PGM_RSRC2:TGID_Z_EN: 0
; COMPUTE_PGM_RSRC2:TIDIG_COMP_CNT: 0
; COMPUTE_PGM_RSRC3_GFX90A:ACCUM_OFFSET: 0
; COMPUTE_PGM_RSRC3_GFX90A:TG_SPLIT: 0
	.section	.text._ZN7rocprim17ROCPRIM_400000_NS6detail17trampoline_kernelINS0_14default_configENS1_22reduce_config_selectorIdEEZNS1_11reduce_implILb1ES3_N6thrust23THRUST_200600_302600_NS6detail15normal_iteratorINS8_10device_ptrIdEEEEPiiNS8_4plusIiEEEE10hipError_tPvRmT1_T2_T3_mT4_P12ihipStream_tbEUlT_E1_NS1_11comp_targetILNS1_3genE8ELNS1_11target_archE1030ELNS1_3gpuE2ELNS1_3repE0EEENS1_30default_config_static_selectorELNS0_4arch9wavefront6targetE1EEEvSK_,"axG",@progbits,_ZN7rocprim17ROCPRIM_400000_NS6detail17trampoline_kernelINS0_14default_configENS1_22reduce_config_selectorIdEEZNS1_11reduce_implILb1ES3_N6thrust23THRUST_200600_302600_NS6detail15normal_iteratorINS8_10device_ptrIdEEEEPiiNS8_4plusIiEEEE10hipError_tPvRmT1_T2_T3_mT4_P12ihipStream_tbEUlT_E1_NS1_11comp_targetILNS1_3genE8ELNS1_11target_archE1030ELNS1_3gpuE2ELNS1_3repE0EEENS1_30default_config_static_selectorELNS0_4arch9wavefront6targetE1EEEvSK_,comdat
	.protected	_ZN7rocprim17ROCPRIM_400000_NS6detail17trampoline_kernelINS0_14default_configENS1_22reduce_config_selectorIdEEZNS1_11reduce_implILb1ES3_N6thrust23THRUST_200600_302600_NS6detail15normal_iteratorINS8_10device_ptrIdEEEEPiiNS8_4plusIiEEEE10hipError_tPvRmT1_T2_T3_mT4_P12ihipStream_tbEUlT_E1_NS1_11comp_targetILNS1_3genE8ELNS1_11target_archE1030ELNS1_3gpuE2ELNS1_3repE0EEENS1_30default_config_static_selectorELNS0_4arch9wavefront6targetE1EEEvSK_ ; -- Begin function _ZN7rocprim17ROCPRIM_400000_NS6detail17trampoline_kernelINS0_14default_configENS1_22reduce_config_selectorIdEEZNS1_11reduce_implILb1ES3_N6thrust23THRUST_200600_302600_NS6detail15normal_iteratorINS8_10device_ptrIdEEEEPiiNS8_4plusIiEEEE10hipError_tPvRmT1_T2_T3_mT4_P12ihipStream_tbEUlT_E1_NS1_11comp_targetILNS1_3genE8ELNS1_11target_archE1030ELNS1_3gpuE2ELNS1_3repE0EEENS1_30default_config_static_selectorELNS0_4arch9wavefront6targetE1EEEvSK_
	.globl	_ZN7rocprim17ROCPRIM_400000_NS6detail17trampoline_kernelINS0_14default_configENS1_22reduce_config_selectorIdEEZNS1_11reduce_implILb1ES3_N6thrust23THRUST_200600_302600_NS6detail15normal_iteratorINS8_10device_ptrIdEEEEPiiNS8_4plusIiEEEE10hipError_tPvRmT1_T2_T3_mT4_P12ihipStream_tbEUlT_E1_NS1_11comp_targetILNS1_3genE8ELNS1_11target_archE1030ELNS1_3gpuE2ELNS1_3repE0EEENS1_30default_config_static_selectorELNS0_4arch9wavefront6targetE1EEEvSK_
	.p2align	8
	.type	_ZN7rocprim17ROCPRIM_400000_NS6detail17trampoline_kernelINS0_14default_configENS1_22reduce_config_selectorIdEEZNS1_11reduce_implILb1ES3_N6thrust23THRUST_200600_302600_NS6detail15normal_iteratorINS8_10device_ptrIdEEEEPiiNS8_4plusIiEEEE10hipError_tPvRmT1_T2_T3_mT4_P12ihipStream_tbEUlT_E1_NS1_11comp_targetILNS1_3genE8ELNS1_11target_archE1030ELNS1_3gpuE2ELNS1_3repE0EEENS1_30default_config_static_selectorELNS0_4arch9wavefront6targetE1EEEvSK_,@function
_ZN7rocprim17ROCPRIM_400000_NS6detail17trampoline_kernelINS0_14default_configENS1_22reduce_config_selectorIdEEZNS1_11reduce_implILb1ES3_N6thrust23THRUST_200600_302600_NS6detail15normal_iteratorINS8_10device_ptrIdEEEEPiiNS8_4plusIiEEEE10hipError_tPvRmT1_T2_T3_mT4_P12ihipStream_tbEUlT_E1_NS1_11comp_targetILNS1_3genE8ELNS1_11target_archE1030ELNS1_3gpuE2ELNS1_3repE0EEENS1_30default_config_static_selectorELNS0_4arch9wavefront6targetE1EEEvSK_: ; @_ZN7rocprim17ROCPRIM_400000_NS6detail17trampoline_kernelINS0_14default_configENS1_22reduce_config_selectorIdEEZNS1_11reduce_implILb1ES3_N6thrust23THRUST_200600_302600_NS6detail15normal_iteratorINS8_10device_ptrIdEEEEPiiNS8_4plusIiEEEE10hipError_tPvRmT1_T2_T3_mT4_P12ihipStream_tbEUlT_E1_NS1_11comp_targetILNS1_3genE8ELNS1_11target_archE1030ELNS1_3gpuE2ELNS1_3repE0EEENS1_30default_config_static_selectorELNS0_4arch9wavefront6targetE1EEEvSK_
; %bb.0:
	.section	.rodata,"a",@progbits
	.p2align	6, 0x0
	.amdhsa_kernel _ZN7rocprim17ROCPRIM_400000_NS6detail17trampoline_kernelINS0_14default_configENS1_22reduce_config_selectorIdEEZNS1_11reduce_implILb1ES3_N6thrust23THRUST_200600_302600_NS6detail15normal_iteratorINS8_10device_ptrIdEEEEPiiNS8_4plusIiEEEE10hipError_tPvRmT1_T2_T3_mT4_P12ihipStream_tbEUlT_E1_NS1_11comp_targetILNS1_3genE8ELNS1_11target_archE1030ELNS1_3gpuE2ELNS1_3repE0EEENS1_30default_config_static_selectorELNS0_4arch9wavefront6targetE1EEEvSK_
		.amdhsa_group_segment_fixed_size 0
		.amdhsa_private_segment_fixed_size 0
		.amdhsa_kernarg_size 40
		.amdhsa_user_sgpr_count 2
		.amdhsa_user_sgpr_dispatch_ptr 0
		.amdhsa_user_sgpr_queue_ptr 0
		.amdhsa_user_sgpr_kernarg_segment_ptr 1
		.amdhsa_user_sgpr_dispatch_id 0
		.amdhsa_user_sgpr_kernarg_preload_length 0
		.amdhsa_user_sgpr_kernarg_preload_offset 0
		.amdhsa_user_sgpr_private_segment_size 0
		.amdhsa_uses_dynamic_stack 0
		.amdhsa_enable_private_segment 0
		.amdhsa_system_sgpr_workgroup_id_x 1
		.amdhsa_system_sgpr_workgroup_id_y 0
		.amdhsa_system_sgpr_workgroup_id_z 0
		.amdhsa_system_sgpr_workgroup_info 0
		.amdhsa_system_vgpr_workitem_id 0
		.amdhsa_next_free_vgpr 1
		.amdhsa_next_free_sgpr 0
		.amdhsa_accum_offset 4
		.amdhsa_reserve_vcc 0
		.amdhsa_float_round_mode_32 0
		.amdhsa_float_round_mode_16_64 0
		.amdhsa_float_denorm_mode_32 3
		.amdhsa_float_denorm_mode_16_64 3
		.amdhsa_dx10_clamp 1
		.amdhsa_ieee_mode 1
		.amdhsa_fp16_overflow 0
		.amdhsa_tg_split 0
		.amdhsa_exception_fp_ieee_invalid_op 0
		.amdhsa_exception_fp_denorm_src 0
		.amdhsa_exception_fp_ieee_div_zero 0
		.amdhsa_exception_fp_ieee_overflow 0
		.amdhsa_exception_fp_ieee_underflow 0
		.amdhsa_exception_fp_ieee_inexact 0
		.amdhsa_exception_int_div_zero 0
	.end_amdhsa_kernel
	.section	.text._ZN7rocprim17ROCPRIM_400000_NS6detail17trampoline_kernelINS0_14default_configENS1_22reduce_config_selectorIdEEZNS1_11reduce_implILb1ES3_N6thrust23THRUST_200600_302600_NS6detail15normal_iteratorINS8_10device_ptrIdEEEEPiiNS8_4plusIiEEEE10hipError_tPvRmT1_T2_T3_mT4_P12ihipStream_tbEUlT_E1_NS1_11comp_targetILNS1_3genE8ELNS1_11target_archE1030ELNS1_3gpuE2ELNS1_3repE0EEENS1_30default_config_static_selectorELNS0_4arch9wavefront6targetE1EEEvSK_,"axG",@progbits,_ZN7rocprim17ROCPRIM_400000_NS6detail17trampoline_kernelINS0_14default_configENS1_22reduce_config_selectorIdEEZNS1_11reduce_implILb1ES3_N6thrust23THRUST_200600_302600_NS6detail15normal_iteratorINS8_10device_ptrIdEEEEPiiNS8_4plusIiEEEE10hipError_tPvRmT1_T2_T3_mT4_P12ihipStream_tbEUlT_E1_NS1_11comp_targetILNS1_3genE8ELNS1_11target_archE1030ELNS1_3gpuE2ELNS1_3repE0EEENS1_30default_config_static_selectorELNS0_4arch9wavefront6targetE1EEEvSK_,comdat
.Lfunc_end314:
	.size	_ZN7rocprim17ROCPRIM_400000_NS6detail17trampoline_kernelINS0_14default_configENS1_22reduce_config_selectorIdEEZNS1_11reduce_implILb1ES3_N6thrust23THRUST_200600_302600_NS6detail15normal_iteratorINS8_10device_ptrIdEEEEPiiNS8_4plusIiEEEE10hipError_tPvRmT1_T2_T3_mT4_P12ihipStream_tbEUlT_E1_NS1_11comp_targetILNS1_3genE8ELNS1_11target_archE1030ELNS1_3gpuE2ELNS1_3repE0EEENS1_30default_config_static_selectorELNS0_4arch9wavefront6targetE1EEEvSK_, .Lfunc_end314-_ZN7rocprim17ROCPRIM_400000_NS6detail17trampoline_kernelINS0_14default_configENS1_22reduce_config_selectorIdEEZNS1_11reduce_implILb1ES3_N6thrust23THRUST_200600_302600_NS6detail15normal_iteratorINS8_10device_ptrIdEEEEPiiNS8_4plusIiEEEE10hipError_tPvRmT1_T2_T3_mT4_P12ihipStream_tbEUlT_E1_NS1_11comp_targetILNS1_3genE8ELNS1_11target_archE1030ELNS1_3gpuE2ELNS1_3repE0EEENS1_30default_config_static_selectorELNS0_4arch9wavefront6targetE1EEEvSK_
                                        ; -- End function
	.set _ZN7rocprim17ROCPRIM_400000_NS6detail17trampoline_kernelINS0_14default_configENS1_22reduce_config_selectorIdEEZNS1_11reduce_implILb1ES3_N6thrust23THRUST_200600_302600_NS6detail15normal_iteratorINS8_10device_ptrIdEEEEPiiNS8_4plusIiEEEE10hipError_tPvRmT1_T2_T3_mT4_P12ihipStream_tbEUlT_E1_NS1_11comp_targetILNS1_3genE8ELNS1_11target_archE1030ELNS1_3gpuE2ELNS1_3repE0EEENS1_30default_config_static_selectorELNS0_4arch9wavefront6targetE1EEEvSK_.num_vgpr, 0
	.set _ZN7rocprim17ROCPRIM_400000_NS6detail17trampoline_kernelINS0_14default_configENS1_22reduce_config_selectorIdEEZNS1_11reduce_implILb1ES3_N6thrust23THRUST_200600_302600_NS6detail15normal_iteratorINS8_10device_ptrIdEEEEPiiNS8_4plusIiEEEE10hipError_tPvRmT1_T2_T3_mT4_P12ihipStream_tbEUlT_E1_NS1_11comp_targetILNS1_3genE8ELNS1_11target_archE1030ELNS1_3gpuE2ELNS1_3repE0EEENS1_30default_config_static_selectorELNS0_4arch9wavefront6targetE1EEEvSK_.num_agpr, 0
	.set _ZN7rocprim17ROCPRIM_400000_NS6detail17trampoline_kernelINS0_14default_configENS1_22reduce_config_selectorIdEEZNS1_11reduce_implILb1ES3_N6thrust23THRUST_200600_302600_NS6detail15normal_iteratorINS8_10device_ptrIdEEEEPiiNS8_4plusIiEEEE10hipError_tPvRmT1_T2_T3_mT4_P12ihipStream_tbEUlT_E1_NS1_11comp_targetILNS1_3genE8ELNS1_11target_archE1030ELNS1_3gpuE2ELNS1_3repE0EEENS1_30default_config_static_selectorELNS0_4arch9wavefront6targetE1EEEvSK_.numbered_sgpr, 0
	.set _ZN7rocprim17ROCPRIM_400000_NS6detail17trampoline_kernelINS0_14default_configENS1_22reduce_config_selectorIdEEZNS1_11reduce_implILb1ES3_N6thrust23THRUST_200600_302600_NS6detail15normal_iteratorINS8_10device_ptrIdEEEEPiiNS8_4plusIiEEEE10hipError_tPvRmT1_T2_T3_mT4_P12ihipStream_tbEUlT_E1_NS1_11comp_targetILNS1_3genE8ELNS1_11target_archE1030ELNS1_3gpuE2ELNS1_3repE0EEENS1_30default_config_static_selectorELNS0_4arch9wavefront6targetE1EEEvSK_.num_named_barrier, 0
	.set _ZN7rocprim17ROCPRIM_400000_NS6detail17trampoline_kernelINS0_14default_configENS1_22reduce_config_selectorIdEEZNS1_11reduce_implILb1ES3_N6thrust23THRUST_200600_302600_NS6detail15normal_iteratorINS8_10device_ptrIdEEEEPiiNS8_4plusIiEEEE10hipError_tPvRmT1_T2_T3_mT4_P12ihipStream_tbEUlT_E1_NS1_11comp_targetILNS1_3genE8ELNS1_11target_archE1030ELNS1_3gpuE2ELNS1_3repE0EEENS1_30default_config_static_selectorELNS0_4arch9wavefront6targetE1EEEvSK_.private_seg_size, 0
	.set _ZN7rocprim17ROCPRIM_400000_NS6detail17trampoline_kernelINS0_14default_configENS1_22reduce_config_selectorIdEEZNS1_11reduce_implILb1ES3_N6thrust23THRUST_200600_302600_NS6detail15normal_iteratorINS8_10device_ptrIdEEEEPiiNS8_4plusIiEEEE10hipError_tPvRmT1_T2_T3_mT4_P12ihipStream_tbEUlT_E1_NS1_11comp_targetILNS1_3genE8ELNS1_11target_archE1030ELNS1_3gpuE2ELNS1_3repE0EEENS1_30default_config_static_selectorELNS0_4arch9wavefront6targetE1EEEvSK_.uses_vcc, 0
	.set _ZN7rocprim17ROCPRIM_400000_NS6detail17trampoline_kernelINS0_14default_configENS1_22reduce_config_selectorIdEEZNS1_11reduce_implILb1ES3_N6thrust23THRUST_200600_302600_NS6detail15normal_iteratorINS8_10device_ptrIdEEEEPiiNS8_4plusIiEEEE10hipError_tPvRmT1_T2_T3_mT4_P12ihipStream_tbEUlT_E1_NS1_11comp_targetILNS1_3genE8ELNS1_11target_archE1030ELNS1_3gpuE2ELNS1_3repE0EEENS1_30default_config_static_selectorELNS0_4arch9wavefront6targetE1EEEvSK_.uses_flat_scratch, 0
	.set _ZN7rocprim17ROCPRIM_400000_NS6detail17trampoline_kernelINS0_14default_configENS1_22reduce_config_selectorIdEEZNS1_11reduce_implILb1ES3_N6thrust23THRUST_200600_302600_NS6detail15normal_iteratorINS8_10device_ptrIdEEEEPiiNS8_4plusIiEEEE10hipError_tPvRmT1_T2_T3_mT4_P12ihipStream_tbEUlT_E1_NS1_11comp_targetILNS1_3genE8ELNS1_11target_archE1030ELNS1_3gpuE2ELNS1_3repE0EEENS1_30default_config_static_selectorELNS0_4arch9wavefront6targetE1EEEvSK_.has_dyn_sized_stack, 0
	.set _ZN7rocprim17ROCPRIM_400000_NS6detail17trampoline_kernelINS0_14default_configENS1_22reduce_config_selectorIdEEZNS1_11reduce_implILb1ES3_N6thrust23THRUST_200600_302600_NS6detail15normal_iteratorINS8_10device_ptrIdEEEEPiiNS8_4plusIiEEEE10hipError_tPvRmT1_T2_T3_mT4_P12ihipStream_tbEUlT_E1_NS1_11comp_targetILNS1_3genE8ELNS1_11target_archE1030ELNS1_3gpuE2ELNS1_3repE0EEENS1_30default_config_static_selectorELNS0_4arch9wavefront6targetE1EEEvSK_.has_recursion, 0
	.set _ZN7rocprim17ROCPRIM_400000_NS6detail17trampoline_kernelINS0_14default_configENS1_22reduce_config_selectorIdEEZNS1_11reduce_implILb1ES3_N6thrust23THRUST_200600_302600_NS6detail15normal_iteratorINS8_10device_ptrIdEEEEPiiNS8_4plusIiEEEE10hipError_tPvRmT1_T2_T3_mT4_P12ihipStream_tbEUlT_E1_NS1_11comp_targetILNS1_3genE8ELNS1_11target_archE1030ELNS1_3gpuE2ELNS1_3repE0EEENS1_30default_config_static_selectorELNS0_4arch9wavefront6targetE1EEEvSK_.has_indirect_call, 0
	.section	.AMDGPU.csdata,"",@progbits
; Kernel info:
; codeLenInByte = 0
; TotalNumSgprs: 6
; NumVgprs: 0
; NumAgprs: 0
; TotalNumVgprs: 0
; ScratchSize: 0
; MemoryBound: 0
; FloatMode: 240
; IeeeMode: 1
; LDSByteSize: 0 bytes/workgroup (compile time only)
; SGPRBlocks: 0
; VGPRBlocks: 0
; NumSGPRsForWavesPerEU: 6
; NumVGPRsForWavesPerEU: 1
; AccumOffset: 4
; Occupancy: 8
; WaveLimiterHint : 0
; COMPUTE_PGM_RSRC2:SCRATCH_EN: 0
; COMPUTE_PGM_RSRC2:USER_SGPR: 2
; COMPUTE_PGM_RSRC2:TRAP_HANDLER: 0
; COMPUTE_PGM_RSRC2:TGID_X_EN: 1
; COMPUTE_PGM_RSRC2:TGID_Y_EN: 0
; COMPUTE_PGM_RSRC2:TGID_Z_EN: 0
; COMPUTE_PGM_RSRC2:TIDIG_COMP_CNT: 0
; COMPUTE_PGM_RSRC3_GFX90A:ACCUM_OFFSET: 0
; COMPUTE_PGM_RSRC3_GFX90A:TG_SPLIT: 0
	.section	.text._ZN7rocprim17ROCPRIM_400000_NS6detail17trampoline_kernelINS0_14default_configENS1_22reduce_config_selectorIdEEZNS1_11reduce_implILb1ES3_N6thrust23THRUST_200600_302600_NS6detail15normal_iteratorINS8_10device_ptrIdEEEEPffNS8_4plusIfEEEE10hipError_tPvRmT1_T2_T3_mT4_P12ihipStream_tbEUlT_E0_NS1_11comp_targetILNS1_3genE0ELNS1_11target_archE4294967295ELNS1_3gpuE0ELNS1_3repE0EEENS1_30default_config_static_selectorELNS0_4arch9wavefront6targetE1EEEvSK_,"axG",@progbits,_ZN7rocprim17ROCPRIM_400000_NS6detail17trampoline_kernelINS0_14default_configENS1_22reduce_config_selectorIdEEZNS1_11reduce_implILb1ES3_N6thrust23THRUST_200600_302600_NS6detail15normal_iteratorINS8_10device_ptrIdEEEEPffNS8_4plusIfEEEE10hipError_tPvRmT1_T2_T3_mT4_P12ihipStream_tbEUlT_E0_NS1_11comp_targetILNS1_3genE0ELNS1_11target_archE4294967295ELNS1_3gpuE0ELNS1_3repE0EEENS1_30default_config_static_selectorELNS0_4arch9wavefront6targetE1EEEvSK_,comdat
	.protected	_ZN7rocprim17ROCPRIM_400000_NS6detail17trampoline_kernelINS0_14default_configENS1_22reduce_config_selectorIdEEZNS1_11reduce_implILb1ES3_N6thrust23THRUST_200600_302600_NS6detail15normal_iteratorINS8_10device_ptrIdEEEEPffNS8_4plusIfEEEE10hipError_tPvRmT1_T2_T3_mT4_P12ihipStream_tbEUlT_E0_NS1_11comp_targetILNS1_3genE0ELNS1_11target_archE4294967295ELNS1_3gpuE0ELNS1_3repE0EEENS1_30default_config_static_selectorELNS0_4arch9wavefront6targetE1EEEvSK_ ; -- Begin function _ZN7rocprim17ROCPRIM_400000_NS6detail17trampoline_kernelINS0_14default_configENS1_22reduce_config_selectorIdEEZNS1_11reduce_implILb1ES3_N6thrust23THRUST_200600_302600_NS6detail15normal_iteratorINS8_10device_ptrIdEEEEPffNS8_4plusIfEEEE10hipError_tPvRmT1_T2_T3_mT4_P12ihipStream_tbEUlT_E0_NS1_11comp_targetILNS1_3genE0ELNS1_11target_archE4294967295ELNS1_3gpuE0ELNS1_3repE0EEENS1_30default_config_static_selectorELNS0_4arch9wavefront6targetE1EEEvSK_
	.globl	_ZN7rocprim17ROCPRIM_400000_NS6detail17trampoline_kernelINS0_14default_configENS1_22reduce_config_selectorIdEEZNS1_11reduce_implILb1ES3_N6thrust23THRUST_200600_302600_NS6detail15normal_iteratorINS8_10device_ptrIdEEEEPffNS8_4plusIfEEEE10hipError_tPvRmT1_T2_T3_mT4_P12ihipStream_tbEUlT_E0_NS1_11comp_targetILNS1_3genE0ELNS1_11target_archE4294967295ELNS1_3gpuE0ELNS1_3repE0EEENS1_30default_config_static_selectorELNS0_4arch9wavefront6targetE1EEEvSK_
	.p2align	8
	.type	_ZN7rocprim17ROCPRIM_400000_NS6detail17trampoline_kernelINS0_14default_configENS1_22reduce_config_selectorIdEEZNS1_11reduce_implILb1ES3_N6thrust23THRUST_200600_302600_NS6detail15normal_iteratorINS8_10device_ptrIdEEEEPffNS8_4plusIfEEEE10hipError_tPvRmT1_T2_T3_mT4_P12ihipStream_tbEUlT_E0_NS1_11comp_targetILNS1_3genE0ELNS1_11target_archE4294967295ELNS1_3gpuE0ELNS1_3repE0EEENS1_30default_config_static_selectorELNS0_4arch9wavefront6targetE1EEEvSK_,@function
_ZN7rocprim17ROCPRIM_400000_NS6detail17trampoline_kernelINS0_14default_configENS1_22reduce_config_selectorIdEEZNS1_11reduce_implILb1ES3_N6thrust23THRUST_200600_302600_NS6detail15normal_iteratorINS8_10device_ptrIdEEEEPffNS8_4plusIfEEEE10hipError_tPvRmT1_T2_T3_mT4_P12ihipStream_tbEUlT_E0_NS1_11comp_targetILNS1_3genE0ELNS1_11target_archE4294967295ELNS1_3gpuE0ELNS1_3repE0EEENS1_30default_config_static_selectorELNS0_4arch9wavefront6targetE1EEEvSK_: ; @_ZN7rocprim17ROCPRIM_400000_NS6detail17trampoline_kernelINS0_14default_configENS1_22reduce_config_selectorIdEEZNS1_11reduce_implILb1ES3_N6thrust23THRUST_200600_302600_NS6detail15normal_iteratorINS8_10device_ptrIdEEEEPffNS8_4plusIfEEEE10hipError_tPvRmT1_T2_T3_mT4_P12ihipStream_tbEUlT_E0_NS1_11comp_targetILNS1_3genE0ELNS1_11target_archE4294967295ELNS1_3gpuE0ELNS1_3repE0EEENS1_30default_config_static_selectorELNS0_4arch9wavefront6targetE1EEEvSK_
; %bb.0:
	s_load_dwordx8 s[36:43], s[0:1], 0x0
	s_load_dwordx4 s[44:47], s[0:1], 0x20
	v_lshlrev_b32_e32 v20, 3, v0
	v_mbcnt_lo_u32_b32 v1, -1, 0
	s_waitcnt lgkmcnt(0)
	s_lshl_b64 s[4:5], s[38:39], 3
	s_add_u32 s10, s36, s4
	s_addc_u32 s11, s37, s5
	s_lshl_b32 s4, s2, 12
	s_mov_b32 s5, 0
	s_lshr_b64 s[6:7], s[40:41], 12
	s_lshl_b64 s[8:9], s[4:5], 3
	s_add_u32 s30, s10, s8
	s_mov_b32 s3, s5
	s_addc_u32 s31, s11, s9
	s_cmp_lg_u64 s[6:7], s[2:3]
	s_cbranch_scc0 .LBB315_6
; %bb.1:
	v_mov_b32_e32 v21, 0
	v_lshl_add_u64 v[2:3], s[30:31], 0, v[20:21]
	v_add_co_u32_e32 v4, vcc, 0x1000, v2
	s_nop 1
	v_addc_co_u32_e32 v5, vcc, 0, v3, vcc
	flat_load_dwordx2 v[6:7], v[2:3]
	flat_load_dwordx2 v[8:9], v[2:3] offset:2048
	flat_load_dwordx2 v[10:11], v[4:5]
	flat_load_dwordx2 v[12:13], v[4:5] offset:2048
	v_add_co_u32_e32 v4, vcc, 0x2000, v2
	s_nop 1
	v_addc_co_u32_e32 v5, vcc, 0, v3, vcc
	v_add_co_u32_e32 v14, vcc, 0x3000, v2
	s_nop 1
	v_addc_co_u32_e32 v15, vcc, 0, v3, vcc
	flat_load_dwordx2 v[16:17], v[4:5]
	flat_load_dwordx2 v[18:19], v[4:5] offset:2048
	flat_load_dwordx2 v[22:23], v[14:15]
	flat_load_dwordx2 v[24:25], v[14:15] offset:2048
	v_add_co_u32_e32 v4, vcc, 0x4000, v2
	s_nop 1
	v_addc_co_u32_e32 v5, vcc, 0, v3, vcc
	;; [unrolled: 10-line block ×3, first 2 shown]
	flat_load_dwordx2 v[14:15], v[4:5]
	flat_load_dwordx2 v[34:35], v[4:5] offset:2048
	v_add_co_u32_e32 v2, vcc, 0x7000, v2
	s_waitcnt vmcnt(0) lgkmcnt(0)
	v_cvt_f32_f64_e32 v5, v[8:9]
	v_addc_co_u32_e32 v3, vcc, 0, v3, vcc
	flat_load_dwordx2 v[36:37], v[2:3]
	flat_load_dwordx2 v[38:39], v[2:3] offset:2048
	v_cvt_f32_f64_e32 v2, v[6:7]
	v_add_f32_e32 v2, v2, v5
	v_cvt_f32_f64_e32 v5, v[10:11]
	v_cvt_f32_f64_e32 v6, v[12:13]
	v_add_f32_e32 v2, v2, v5
	v_add_f32_e32 v2, v2, v6
	v_cvt_f32_f64_e32 v7, v[16:17]
	v_cvt_f32_f64_e32 v8, v[18:19]
	v_add_f32_e32 v2, v2, v7
	v_cvt_f32_f64_e32 v5, v[22:23]
	v_add_f32_e32 v2, v2, v8
	;; [unrolled: 2-line block ×3, first 2 shown]
	v_add_f32_e32 v2, v2, v9
	v_mbcnt_hi_u32_b32 v3, -1, v1
	v_lshlrev_b32_e32 v4, 2, v3
	v_cmp_eq_u32_e32 vcc, 0, v3
	v_cvt_f32_f64_e32 v6, v[26:27]
	v_cvt_f32_f64_e32 v10, v[28:29]
	v_add_f32_e32 v2, v2, v6
	v_cvt_f32_f64_e32 v7, v[30:31]
	v_add_f32_e32 v2, v2, v10
	;; [unrolled: 2-line block ×3, first 2 shown]
	v_add_f32_e32 v2, v2, v11
	v_cvt_f32_f64_e32 v8, v[14:15]
	v_cvt_f32_f64_e32 v12, v[34:35]
	v_add_f32_e32 v2, v2, v8
	v_add_f32_e32 v2, v2, v12
	s_waitcnt vmcnt(0) lgkmcnt(0)
	v_cvt_f32_f64_e32 v5, v[36:37]
	v_cvt_f32_f64_e32 v13, v[38:39]
	v_add_f32_e32 v2, v2, v5
	v_add_f32_e32 v2, v2, v13
	v_or_b32_e32 v5, 0xfc, v4
	s_nop 0
	v_add_f32_dpp v2, v2, v2 quad_perm:[1,0,3,2] row_mask:0xf bank_mask:0xf bound_ctrl:1
	s_nop 1
	v_add_f32_dpp v2, v2, v2 quad_perm:[2,3,0,1] row_mask:0xf bank_mask:0xf bound_ctrl:1
	s_nop 1
	v_add_f32_dpp v2, v2, v2 row_ror:4 row_mask:0xf bank_mask:0xf bound_ctrl:1
	s_nop 1
	v_add_f32_dpp v2, v2, v2 row_ror:8 row_mask:0xf bank_mask:0xf bound_ctrl:1
	s_nop 1
	v_add_f32_dpp v2, v2, v2 row_bcast:15 row_mask:0xf bank_mask:0xf bound_ctrl:1
	s_nop 1
	v_add_f32_dpp v2, v2, v2 row_bcast:31 row_mask:0xf bank_mask:0xf bound_ctrl:1
	ds_bpermute_b32 v2, v5, v2
	s_and_saveexec_b64 s[6:7], vcc
	s_cbranch_execz .LBB315_3
; %bb.2:
	v_lshrrev_b32_e32 v5, 4, v0
	v_and_b32_e32 v5, 12, v5
	s_waitcnt lgkmcnt(0)
	ds_write_b32 v5, v2
.LBB315_3:
	s_or_b64 exec, exec, s[6:7]
	v_cmp_gt_u32_e32 vcc, 64, v0
	s_waitcnt lgkmcnt(0)
	s_barrier
	s_and_saveexec_b64 s[6:7], vcc
	s_cbranch_execz .LBB315_5
; %bb.4:
	v_and_b32_e32 v2, 3, v3
	v_lshlrev_b32_e32 v5, 2, v2
	ds_read_b32 v5, v5
	v_cmp_ne_u32_e32 vcc, 3, v2
	s_nop 1
	v_addc_co_u32_e32 v2, vcc, 0, v3, vcc
	v_lshlrev_b32_e32 v2, 2, v2
	s_waitcnt lgkmcnt(0)
	ds_bpermute_b32 v2, v2, v5
	v_or_b32_e32 v3, 8, v4
	s_waitcnt lgkmcnt(0)
	v_add_f32_e32 v2, v5, v2
	ds_bpermute_b32 v3, v3, v2
	s_waitcnt lgkmcnt(0)
	v_add_f32_e32 v2, v2, v3
.LBB315_5:
	s_or_b64 exec, exec, s[6:7]
	s_load_dword s33, s[0:1], 0x30
	s_branch .LBB315_44
.LBB315_6:
                                        ; implicit-def: $vgpr2
	s_load_dword s33, s[0:1], 0x30
	s_cbranch_execz .LBB315_44
; %bb.7:
	s_sub_i32 s36, s40, s4
	v_mov_b32_e32 v2, 0
	v_cmp_gt_u32_e32 vcc, s36, v0
	v_mov_b32_e32 v3, v2
	v_mov_b32_e32 v4, v2
	;; [unrolled: 1-line block ×15, first 2 shown]
	s_and_saveexec_b64 s[0:1], vcc
	s_cbranch_execz .LBB315_9
; %bb.8:
	v_mov_b32_e32 v21, v2
	v_lshl_add_u64 v[4:5], s[30:31], 0, v[20:21]
	flat_load_dwordx2 v[22:23], v[4:5]
	v_mov_b32_e32 v5, v2
	v_mov_b32_e32 v6, v2
	;; [unrolled: 1-line block ×15, first 2 shown]
	s_waitcnt vmcnt(0) lgkmcnt(0)
	v_cvt_f32_f64_e32 v4, v[22:23]
	v_mov_b64_e32 v[2:3], v[4:5]
	v_mov_b64_e32 v[4:5], v[6:7]
	;; [unrolled: 1-line block ×8, first 2 shown]
.LBB315_9:
	s_or_b64 exec, exec, s[0:1]
	v_or_b32_e32 v18, 0x100, v0
	v_cmp_gt_u32_e32 vcc, s36, v18
	s_and_saveexec_b64 s[0:1], vcc
	s_cbranch_execz .LBB315_11
; %bb.10:
	v_mov_b32_e32 v21, 0
	v_lshl_add_u64 v[18:19], s[30:31], 0, v[20:21]
	flat_load_dwordx2 v[18:19], v[18:19] offset:2048
	s_waitcnt vmcnt(0) lgkmcnt(0)
	v_cvt_f32_f64_e32 v3, v[18:19]
.LBB315_11:
	s_or_b64 exec, exec, s[0:1]
	v_or_b32_e32 v18, 0x200, v0
	v_cmp_gt_u32_e64 s[0:1], s36, v18
	s_and_saveexec_b64 s[4:5], s[0:1]
	s_cbranch_execz .LBB315_13
; %bb.12:
	v_lshlrev_b32_e32 v18, 3, v18
	v_mov_b32_e32 v19, 0
	v_lshl_add_u64 v[18:19], s[30:31], 0, v[18:19]
	flat_load_dwordx2 v[18:19], v[18:19]
	s_waitcnt vmcnt(0) lgkmcnt(0)
	v_cvt_f32_f64_e32 v4, v[18:19]
.LBB315_13:
	s_or_b64 exec, exec, s[4:5]
	v_or_b32_e32 v18, 0x300, v0
	v_cmp_gt_u32_e64 s[4:5], s36, v18
	s_and_saveexec_b64 s[6:7], s[4:5]
	s_cbranch_execz .LBB315_15
; %bb.14:
	v_lshlrev_b32_e32 v18, 3, v18
	v_mov_b32_e32 v19, 0
	v_lshl_add_u64 v[18:19], s[30:31], 0, v[18:19]
	flat_load_dwordx2 v[18:19], v[18:19]
	s_waitcnt vmcnt(0) lgkmcnt(0)
	v_cvt_f32_f64_e32 v5, v[18:19]
.LBB315_15:
	s_or_b64 exec, exec, s[6:7]
	v_or_b32_e32 v18, 0x400, v0
	v_cmp_gt_u32_e64 s[6:7], s36, v18
	s_and_saveexec_b64 s[8:9], s[6:7]
	s_cbranch_execz .LBB315_17
; %bb.16:
	v_lshlrev_b32_e32 v18, 3, v18
	v_mov_b32_e32 v19, 0
	v_lshl_add_u64 v[18:19], s[30:31], 0, v[18:19]
	flat_load_dwordx2 v[18:19], v[18:19]
	s_waitcnt vmcnt(0) lgkmcnt(0)
	v_cvt_f32_f64_e32 v6, v[18:19]
.LBB315_17:
	s_or_b64 exec, exec, s[8:9]
	v_or_b32_e32 v18, 0x500, v0
	v_cmp_gt_u32_e64 s[8:9], s36, v18
	s_and_saveexec_b64 s[10:11], s[8:9]
	s_cbranch_execz .LBB315_19
; %bb.18:
	v_lshlrev_b32_e32 v18, 3, v18
	v_mov_b32_e32 v19, 0
	v_lshl_add_u64 v[18:19], s[30:31], 0, v[18:19]
	flat_load_dwordx2 v[18:19], v[18:19]
	s_waitcnt vmcnt(0) lgkmcnt(0)
	v_cvt_f32_f64_e32 v7, v[18:19]
.LBB315_19:
	s_or_b64 exec, exec, s[10:11]
	v_or_b32_e32 v18, 0x600, v0
	v_cmp_gt_u32_e64 s[10:11], s36, v18
	s_and_saveexec_b64 s[12:13], s[10:11]
	s_cbranch_execz .LBB315_21
; %bb.20:
	v_lshlrev_b32_e32 v18, 3, v18
	v_mov_b32_e32 v19, 0
	v_lshl_add_u64 v[18:19], s[30:31], 0, v[18:19]
	flat_load_dwordx2 v[18:19], v[18:19]
	s_waitcnt vmcnt(0) lgkmcnt(0)
	v_cvt_f32_f64_e32 v8, v[18:19]
.LBB315_21:
	s_or_b64 exec, exec, s[12:13]
	v_or_b32_e32 v18, 0x700, v0
	v_cmp_gt_u32_e64 s[12:13], s36, v18
	s_and_saveexec_b64 s[14:15], s[12:13]
	s_cbranch_execz .LBB315_23
; %bb.22:
	v_lshlrev_b32_e32 v18, 3, v18
	v_mov_b32_e32 v19, 0
	v_lshl_add_u64 v[18:19], s[30:31], 0, v[18:19]
	flat_load_dwordx2 v[18:19], v[18:19]
	s_waitcnt vmcnt(0) lgkmcnt(0)
	v_cvt_f32_f64_e32 v9, v[18:19]
.LBB315_23:
	s_or_b64 exec, exec, s[14:15]
	v_or_b32_e32 v18, 0x800, v0
	v_cmp_gt_u32_e64 s[14:15], s36, v18
	s_and_saveexec_b64 s[16:17], s[14:15]
	s_cbranch_execz .LBB315_25
; %bb.24:
	v_lshlrev_b32_e32 v18, 3, v18
	v_mov_b32_e32 v19, 0
	v_lshl_add_u64 v[18:19], s[30:31], 0, v[18:19]
	flat_load_dwordx2 v[18:19], v[18:19]
	s_waitcnt vmcnt(0) lgkmcnt(0)
	v_cvt_f32_f64_e32 v10, v[18:19]
.LBB315_25:
	s_or_b64 exec, exec, s[16:17]
	v_or_b32_e32 v18, 0x900, v0
	v_cmp_gt_u32_e64 s[16:17], s36, v18
	s_and_saveexec_b64 s[18:19], s[16:17]
	s_cbranch_execz .LBB315_27
; %bb.26:
	v_lshlrev_b32_e32 v18, 3, v18
	v_mov_b32_e32 v19, 0
	v_lshl_add_u64 v[18:19], s[30:31], 0, v[18:19]
	flat_load_dwordx2 v[18:19], v[18:19]
	s_waitcnt vmcnt(0) lgkmcnt(0)
	v_cvt_f32_f64_e32 v11, v[18:19]
.LBB315_27:
	s_or_b64 exec, exec, s[18:19]
	v_or_b32_e32 v18, 0xa00, v0
	v_cmp_gt_u32_e64 s[18:19], s36, v18
	s_and_saveexec_b64 s[20:21], s[18:19]
	s_cbranch_execz .LBB315_29
; %bb.28:
	v_lshlrev_b32_e32 v18, 3, v18
	v_mov_b32_e32 v19, 0
	v_lshl_add_u64 v[18:19], s[30:31], 0, v[18:19]
	flat_load_dwordx2 v[18:19], v[18:19]
	s_waitcnt vmcnt(0) lgkmcnt(0)
	v_cvt_f32_f64_e32 v12, v[18:19]
.LBB315_29:
	s_or_b64 exec, exec, s[20:21]
	v_or_b32_e32 v18, 0xb00, v0
	v_cmp_gt_u32_e64 s[20:21], s36, v18
	s_and_saveexec_b64 s[22:23], s[20:21]
	s_cbranch_execz .LBB315_31
; %bb.30:
	v_lshlrev_b32_e32 v18, 3, v18
	v_mov_b32_e32 v19, 0
	v_lshl_add_u64 v[18:19], s[30:31], 0, v[18:19]
	flat_load_dwordx2 v[18:19], v[18:19]
	s_waitcnt vmcnt(0) lgkmcnt(0)
	v_cvt_f32_f64_e32 v13, v[18:19]
.LBB315_31:
	s_or_b64 exec, exec, s[22:23]
	v_or_b32_e32 v18, 0xc00, v0
	v_cmp_gt_u32_e64 s[22:23], s36, v18
	s_and_saveexec_b64 s[24:25], s[22:23]
	s_cbranch_execz .LBB315_33
; %bb.32:
	v_lshlrev_b32_e32 v18, 3, v18
	v_mov_b32_e32 v19, 0
	v_lshl_add_u64 v[18:19], s[30:31], 0, v[18:19]
	flat_load_dwordx2 v[18:19], v[18:19]
	s_waitcnt vmcnt(0) lgkmcnt(0)
	v_cvt_f32_f64_e32 v14, v[18:19]
.LBB315_33:
	s_or_b64 exec, exec, s[24:25]
	v_or_b32_e32 v18, 0xd00, v0
	v_cmp_gt_u32_e64 s[24:25], s36, v18
	s_and_saveexec_b64 s[26:27], s[24:25]
	s_cbranch_execz .LBB315_35
; %bb.34:
	v_lshlrev_b32_e32 v18, 3, v18
	v_mov_b32_e32 v19, 0
	v_lshl_add_u64 v[18:19], s[30:31], 0, v[18:19]
	flat_load_dwordx2 v[18:19], v[18:19]
	s_waitcnt vmcnt(0) lgkmcnt(0)
	v_cvt_f32_f64_e32 v15, v[18:19]
.LBB315_35:
	s_or_b64 exec, exec, s[26:27]
	v_or_b32_e32 v18, 0xe00, v0
	v_cmp_gt_u32_e64 s[26:27], s36, v18
	s_and_saveexec_b64 s[28:29], s[26:27]
	s_cbranch_execz .LBB315_37
; %bb.36:
	v_lshlrev_b32_e32 v18, 3, v18
	v_mov_b32_e32 v19, 0
	v_lshl_add_u64 v[18:19], s[30:31], 0, v[18:19]
	flat_load_dwordx2 v[18:19], v[18:19]
	s_waitcnt vmcnt(0) lgkmcnt(0)
	v_cvt_f32_f64_e32 v16, v[18:19]
.LBB315_37:
	s_or_b64 exec, exec, s[28:29]
	v_or_b32_e32 v18, 0xf00, v0
	v_cmp_gt_u32_e64 s[28:29], s36, v18
	s_and_saveexec_b64 s[34:35], s[28:29]
	s_cbranch_execz .LBB315_39
; %bb.38:
	v_lshlrev_b32_e32 v18, 3, v18
	v_mov_b32_e32 v19, 0
	v_lshl_add_u64 v[18:19], s[30:31], 0, v[18:19]
	flat_load_dwordx2 v[18:19], v[18:19]
	s_waitcnt vmcnt(0) lgkmcnt(0)
	v_cvt_f32_f64_e32 v17, v[18:19]
.LBB315_39:
	s_or_b64 exec, exec, s[34:35]
	v_add_f32_e32 v3, v2, v3
	v_cndmask_b32_e32 v2, v2, v3, vcc
	v_add_f32_e32 v3, v4, v2
	v_cndmask_b32_e64 v2, v2, v3, s[0:1]
	v_add_f32_e32 v3, v5, v2
	v_cndmask_b32_e64 v2, v2, v3, s[4:5]
	;; [unrolled: 2-line block ×12, first 2 shown]
	v_add_f32_e32 v3, v16, v2
	v_mbcnt_hi_u32_b32 v1, -1, v1
	v_cndmask_b32_e64 v2, v2, v3, s[26:27]
	v_and_b32_e32 v4, 63, v1
	v_add_f32_e32 v3, v17, v2
	v_cmp_ne_u32_e32 vcc, 63, v4
	v_cndmask_b32_e64 v2, v2, v3, s[28:29]
	s_min_u32 s6, s36, 0x100
	v_addc_co_u32_e32 v3, vcc, 0, v1, vcc
	v_lshlrev_b32_e32 v3, 2, v3
	ds_bpermute_b32 v3, v3, v2
	v_and_b32_e32 v5, 0xc0, v0
	v_sub_u32_e64 v5, s6, v5 clamp
	v_add_u32_e32 v6, 1, v4
	v_cmp_gt_u32_e64 s[0:1], 62, v4
	s_waitcnt lgkmcnt(0)
	v_add_f32_e32 v3, v2, v3
	v_cmp_lt_u32_e32 vcc, v6, v5
	v_cndmask_b32_e64 v6, 0, 2, s[0:1]
	v_add_lshl_u32 v6, v6, v1, 2
	v_cndmask_b32_e32 v3, v2, v3, vcc
	ds_bpermute_b32 v6, v6, v3
	v_add_u32_e32 v7, 2, v4
	v_cmp_lt_u32_e64 s[0:1], v7, v5
	v_add_u32_e32 v7, 4, v4
	s_waitcnt lgkmcnt(0)
	v_add_f32_e32 v6, v3, v6
	v_cndmask_b32_e64 v3, v3, v6, s[0:1]
	v_cmp_gt_u32_e64 s[0:1], 60, v4
	s_nop 1
	v_cndmask_b32_e64 v6, 0, 4, s[0:1]
	v_add_lshl_u32 v6, v6, v1, 2
	ds_bpermute_b32 v6, v6, v3
	v_cmp_lt_u32_e64 s[0:1], v7, v5
	v_add_u32_e32 v7, 8, v4
	s_waitcnt lgkmcnt(0)
	v_add_f32_e32 v6, v3, v6
	v_cndmask_b32_e64 v3, v3, v6, s[0:1]
	v_cmp_gt_u32_e64 s[0:1], 56, v4
	s_nop 1
	v_cndmask_b32_e64 v6, 0, 8, s[0:1]
	v_add_lshl_u32 v6, v6, v1, 2
	ds_bpermute_b32 v6, v6, v3
	v_cmp_lt_u32_e64 s[0:1], v7, v5
	v_add_u32_e32 v7, 16, v4
	s_waitcnt lgkmcnt(0)
	v_add_f32_e32 v6, v3, v6
	v_cndmask_b32_e64 v3, v3, v6, s[0:1]
	v_cmp_gt_u32_e64 s[0:1], 48, v4
	v_add_u32_e32 v4, 32, v4
	s_nop 0
	v_cndmask_b32_e64 v6, 0, 16, s[0:1]
	v_add_lshl_u32 v6, v6, v1, 2
	ds_bpermute_b32 v6, v6, v3
	v_cmp_lt_u32_e64 s[0:1], v7, v5
	s_waitcnt lgkmcnt(0)
	v_add_f32_e32 v6, v3, v6
	v_cndmask_b32_e64 v6, v3, v6, s[0:1]
	v_lshlrev_b32_e32 v3, 2, v1
	v_or_b32_e32 v7, 0x80, v3
	ds_bpermute_b32 v7, v7, v6
	v_cmp_lt_u32_e64 s[0:1], v4, v5
	s_waitcnt lgkmcnt(0)
	v_add_f32_e32 v7, v6, v7
	v_cndmask_b32_e64 v4, v6, v7, s[0:1]
	v_cndmask_b32_e32 v2, v2, v4, vcc
	v_cmp_eq_u32_e32 vcc, 0, v1
	s_and_saveexec_b64 s[0:1], vcc
; %bb.40:
	v_lshrrev_b32_e32 v4, 4, v0
	v_and_b32_e32 v4, 12, v4
	ds_write_b32 v4, v2 offset:16
; %bb.41:
	s_or_b64 exec, exec, s[0:1]
	v_cmp_gt_u32_e32 vcc, 4, v0
	s_waitcnt lgkmcnt(0)
	s_barrier
	s_and_saveexec_b64 s[4:5], vcc
	s_cbranch_execz .LBB315_43
; %bb.42:
	ds_read_b32 v2, v3 offset:16
	v_and_b32_e32 v4, 3, v1
	v_cmp_ne_u32_e32 vcc, 3, v4
	s_add_i32 s6, s6, 63
	s_lshr_b32 s0, s6, 6
	v_addc_co_u32_e32 v1, vcc, 0, v1, vcc
	v_lshlrev_b32_e32 v1, 2, v1
	s_waitcnt lgkmcnt(0)
	ds_bpermute_b32 v1, v1, v2
	v_add_u32_e32 v5, 1, v4
	v_cmp_gt_u32_e32 vcc, s0, v5
	v_or_b32_e32 v3, 8, v3
	v_add_u32_e32 v4, 2, v4
	s_waitcnt lgkmcnt(0)
	v_add_f32_e32 v1, v2, v1
	v_cndmask_b32_e32 v1, v2, v1, vcc
	ds_bpermute_b32 v3, v3, v1
	v_cmp_gt_u32_e64 s[0:1], s0, v4
	s_waitcnt lgkmcnt(0)
	v_add_f32_e32 v3, v1, v3
	v_cndmask_b32_e64 v1, v1, v3, s[0:1]
	v_cndmask_b32_e32 v2, v2, v1, vcc
.LBB315_43:
	s_or_b64 exec, exec, s[4:5]
.LBB315_44:
	v_cmp_eq_u32_e32 vcc, 0, v0
	s_and_saveexec_b64 s[0:1], vcc
	s_cbranch_execnz .LBB315_46
; %bb.45:
	s_endpgm
.LBB315_46:
	s_mul_i32 s0, s46, s45
	s_mul_hi_u32 s1, s46, s44
	s_add_i32 s0, s1, s0
	s_mul_i32 s1, s47, s44
	s_add_i32 s1, s0, s1
	s_mul_i32 s0, s46, s44
	s_lshl_b64 s[0:1], s[0:1], 2
	s_add_u32 s4, s42, s0
	s_addc_u32 s5, s43, s1
	s_cmp_eq_u64 s[40:41], 0
	s_cselect_b64 vcc, -1, 0
	s_lshl_b64 s[0:1], s[2:3], 2
	s_waitcnt lgkmcnt(0)
	v_mov_b32_e32 v0, s33
	s_add_u32 s0, s4, s0
	v_cndmask_b32_e32 v0, v2, v0, vcc
	s_addc_u32 s1, s5, s1
	v_mov_b32_e32 v1, 0
	global_store_dword v1, v0, s[0:1]
	s_endpgm
	.section	.rodata,"a",@progbits
	.p2align	6, 0x0
	.amdhsa_kernel _ZN7rocprim17ROCPRIM_400000_NS6detail17trampoline_kernelINS0_14default_configENS1_22reduce_config_selectorIdEEZNS1_11reduce_implILb1ES3_N6thrust23THRUST_200600_302600_NS6detail15normal_iteratorINS8_10device_ptrIdEEEEPffNS8_4plusIfEEEE10hipError_tPvRmT1_T2_T3_mT4_P12ihipStream_tbEUlT_E0_NS1_11comp_targetILNS1_3genE0ELNS1_11target_archE4294967295ELNS1_3gpuE0ELNS1_3repE0EEENS1_30default_config_static_selectorELNS0_4arch9wavefront6targetE1EEEvSK_
		.amdhsa_group_segment_fixed_size 32
		.amdhsa_private_segment_fixed_size 0
		.amdhsa_kernarg_size 56
		.amdhsa_user_sgpr_count 2
		.amdhsa_user_sgpr_dispatch_ptr 0
		.amdhsa_user_sgpr_queue_ptr 0
		.amdhsa_user_sgpr_kernarg_segment_ptr 1
		.amdhsa_user_sgpr_dispatch_id 0
		.amdhsa_user_sgpr_kernarg_preload_length 0
		.amdhsa_user_sgpr_kernarg_preload_offset 0
		.amdhsa_user_sgpr_private_segment_size 0
		.amdhsa_uses_dynamic_stack 0
		.amdhsa_enable_private_segment 0
		.amdhsa_system_sgpr_workgroup_id_x 1
		.amdhsa_system_sgpr_workgroup_id_y 0
		.amdhsa_system_sgpr_workgroup_id_z 0
		.amdhsa_system_sgpr_workgroup_info 0
		.amdhsa_system_vgpr_workitem_id 0
		.amdhsa_next_free_vgpr 40
		.amdhsa_next_free_sgpr 48
		.amdhsa_accum_offset 40
		.amdhsa_reserve_vcc 1
		.amdhsa_float_round_mode_32 0
		.amdhsa_float_round_mode_16_64 0
		.amdhsa_float_denorm_mode_32 3
		.amdhsa_float_denorm_mode_16_64 3
		.amdhsa_dx10_clamp 1
		.amdhsa_ieee_mode 1
		.amdhsa_fp16_overflow 0
		.amdhsa_tg_split 0
		.amdhsa_exception_fp_ieee_invalid_op 0
		.amdhsa_exception_fp_denorm_src 0
		.amdhsa_exception_fp_ieee_div_zero 0
		.amdhsa_exception_fp_ieee_overflow 0
		.amdhsa_exception_fp_ieee_underflow 0
		.amdhsa_exception_fp_ieee_inexact 0
		.amdhsa_exception_int_div_zero 0
	.end_amdhsa_kernel
	.section	.text._ZN7rocprim17ROCPRIM_400000_NS6detail17trampoline_kernelINS0_14default_configENS1_22reduce_config_selectorIdEEZNS1_11reduce_implILb1ES3_N6thrust23THRUST_200600_302600_NS6detail15normal_iteratorINS8_10device_ptrIdEEEEPffNS8_4plusIfEEEE10hipError_tPvRmT1_T2_T3_mT4_P12ihipStream_tbEUlT_E0_NS1_11comp_targetILNS1_3genE0ELNS1_11target_archE4294967295ELNS1_3gpuE0ELNS1_3repE0EEENS1_30default_config_static_selectorELNS0_4arch9wavefront6targetE1EEEvSK_,"axG",@progbits,_ZN7rocprim17ROCPRIM_400000_NS6detail17trampoline_kernelINS0_14default_configENS1_22reduce_config_selectorIdEEZNS1_11reduce_implILb1ES3_N6thrust23THRUST_200600_302600_NS6detail15normal_iteratorINS8_10device_ptrIdEEEEPffNS8_4plusIfEEEE10hipError_tPvRmT1_T2_T3_mT4_P12ihipStream_tbEUlT_E0_NS1_11comp_targetILNS1_3genE0ELNS1_11target_archE4294967295ELNS1_3gpuE0ELNS1_3repE0EEENS1_30default_config_static_selectorELNS0_4arch9wavefront6targetE1EEEvSK_,comdat
.Lfunc_end315:
	.size	_ZN7rocprim17ROCPRIM_400000_NS6detail17trampoline_kernelINS0_14default_configENS1_22reduce_config_selectorIdEEZNS1_11reduce_implILb1ES3_N6thrust23THRUST_200600_302600_NS6detail15normal_iteratorINS8_10device_ptrIdEEEEPffNS8_4plusIfEEEE10hipError_tPvRmT1_T2_T3_mT4_P12ihipStream_tbEUlT_E0_NS1_11comp_targetILNS1_3genE0ELNS1_11target_archE4294967295ELNS1_3gpuE0ELNS1_3repE0EEENS1_30default_config_static_selectorELNS0_4arch9wavefront6targetE1EEEvSK_, .Lfunc_end315-_ZN7rocprim17ROCPRIM_400000_NS6detail17trampoline_kernelINS0_14default_configENS1_22reduce_config_selectorIdEEZNS1_11reduce_implILb1ES3_N6thrust23THRUST_200600_302600_NS6detail15normal_iteratorINS8_10device_ptrIdEEEEPffNS8_4plusIfEEEE10hipError_tPvRmT1_T2_T3_mT4_P12ihipStream_tbEUlT_E0_NS1_11comp_targetILNS1_3genE0ELNS1_11target_archE4294967295ELNS1_3gpuE0ELNS1_3repE0EEENS1_30default_config_static_selectorELNS0_4arch9wavefront6targetE1EEEvSK_
                                        ; -- End function
	.set _ZN7rocprim17ROCPRIM_400000_NS6detail17trampoline_kernelINS0_14default_configENS1_22reduce_config_selectorIdEEZNS1_11reduce_implILb1ES3_N6thrust23THRUST_200600_302600_NS6detail15normal_iteratorINS8_10device_ptrIdEEEEPffNS8_4plusIfEEEE10hipError_tPvRmT1_T2_T3_mT4_P12ihipStream_tbEUlT_E0_NS1_11comp_targetILNS1_3genE0ELNS1_11target_archE4294967295ELNS1_3gpuE0ELNS1_3repE0EEENS1_30default_config_static_selectorELNS0_4arch9wavefront6targetE1EEEvSK_.num_vgpr, 40
	.set _ZN7rocprim17ROCPRIM_400000_NS6detail17trampoline_kernelINS0_14default_configENS1_22reduce_config_selectorIdEEZNS1_11reduce_implILb1ES3_N6thrust23THRUST_200600_302600_NS6detail15normal_iteratorINS8_10device_ptrIdEEEEPffNS8_4plusIfEEEE10hipError_tPvRmT1_T2_T3_mT4_P12ihipStream_tbEUlT_E0_NS1_11comp_targetILNS1_3genE0ELNS1_11target_archE4294967295ELNS1_3gpuE0ELNS1_3repE0EEENS1_30default_config_static_selectorELNS0_4arch9wavefront6targetE1EEEvSK_.num_agpr, 0
	.set _ZN7rocprim17ROCPRIM_400000_NS6detail17trampoline_kernelINS0_14default_configENS1_22reduce_config_selectorIdEEZNS1_11reduce_implILb1ES3_N6thrust23THRUST_200600_302600_NS6detail15normal_iteratorINS8_10device_ptrIdEEEEPffNS8_4plusIfEEEE10hipError_tPvRmT1_T2_T3_mT4_P12ihipStream_tbEUlT_E0_NS1_11comp_targetILNS1_3genE0ELNS1_11target_archE4294967295ELNS1_3gpuE0ELNS1_3repE0EEENS1_30default_config_static_selectorELNS0_4arch9wavefront6targetE1EEEvSK_.numbered_sgpr, 48
	.set _ZN7rocprim17ROCPRIM_400000_NS6detail17trampoline_kernelINS0_14default_configENS1_22reduce_config_selectorIdEEZNS1_11reduce_implILb1ES3_N6thrust23THRUST_200600_302600_NS6detail15normal_iteratorINS8_10device_ptrIdEEEEPffNS8_4plusIfEEEE10hipError_tPvRmT1_T2_T3_mT4_P12ihipStream_tbEUlT_E0_NS1_11comp_targetILNS1_3genE0ELNS1_11target_archE4294967295ELNS1_3gpuE0ELNS1_3repE0EEENS1_30default_config_static_selectorELNS0_4arch9wavefront6targetE1EEEvSK_.num_named_barrier, 0
	.set _ZN7rocprim17ROCPRIM_400000_NS6detail17trampoline_kernelINS0_14default_configENS1_22reduce_config_selectorIdEEZNS1_11reduce_implILb1ES3_N6thrust23THRUST_200600_302600_NS6detail15normal_iteratorINS8_10device_ptrIdEEEEPffNS8_4plusIfEEEE10hipError_tPvRmT1_T2_T3_mT4_P12ihipStream_tbEUlT_E0_NS1_11comp_targetILNS1_3genE0ELNS1_11target_archE4294967295ELNS1_3gpuE0ELNS1_3repE0EEENS1_30default_config_static_selectorELNS0_4arch9wavefront6targetE1EEEvSK_.private_seg_size, 0
	.set _ZN7rocprim17ROCPRIM_400000_NS6detail17trampoline_kernelINS0_14default_configENS1_22reduce_config_selectorIdEEZNS1_11reduce_implILb1ES3_N6thrust23THRUST_200600_302600_NS6detail15normal_iteratorINS8_10device_ptrIdEEEEPffNS8_4plusIfEEEE10hipError_tPvRmT1_T2_T3_mT4_P12ihipStream_tbEUlT_E0_NS1_11comp_targetILNS1_3genE0ELNS1_11target_archE4294967295ELNS1_3gpuE0ELNS1_3repE0EEENS1_30default_config_static_selectorELNS0_4arch9wavefront6targetE1EEEvSK_.uses_vcc, 1
	.set _ZN7rocprim17ROCPRIM_400000_NS6detail17trampoline_kernelINS0_14default_configENS1_22reduce_config_selectorIdEEZNS1_11reduce_implILb1ES3_N6thrust23THRUST_200600_302600_NS6detail15normal_iteratorINS8_10device_ptrIdEEEEPffNS8_4plusIfEEEE10hipError_tPvRmT1_T2_T3_mT4_P12ihipStream_tbEUlT_E0_NS1_11comp_targetILNS1_3genE0ELNS1_11target_archE4294967295ELNS1_3gpuE0ELNS1_3repE0EEENS1_30default_config_static_selectorELNS0_4arch9wavefront6targetE1EEEvSK_.uses_flat_scratch, 0
	.set _ZN7rocprim17ROCPRIM_400000_NS6detail17trampoline_kernelINS0_14default_configENS1_22reduce_config_selectorIdEEZNS1_11reduce_implILb1ES3_N6thrust23THRUST_200600_302600_NS6detail15normal_iteratorINS8_10device_ptrIdEEEEPffNS8_4plusIfEEEE10hipError_tPvRmT1_T2_T3_mT4_P12ihipStream_tbEUlT_E0_NS1_11comp_targetILNS1_3genE0ELNS1_11target_archE4294967295ELNS1_3gpuE0ELNS1_3repE0EEENS1_30default_config_static_selectorELNS0_4arch9wavefront6targetE1EEEvSK_.has_dyn_sized_stack, 0
	.set _ZN7rocprim17ROCPRIM_400000_NS6detail17trampoline_kernelINS0_14default_configENS1_22reduce_config_selectorIdEEZNS1_11reduce_implILb1ES3_N6thrust23THRUST_200600_302600_NS6detail15normal_iteratorINS8_10device_ptrIdEEEEPffNS8_4plusIfEEEE10hipError_tPvRmT1_T2_T3_mT4_P12ihipStream_tbEUlT_E0_NS1_11comp_targetILNS1_3genE0ELNS1_11target_archE4294967295ELNS1_3gpuE0ELNS1_3repE0EEENS1_30default_config_static_selectorELNS0_4arch9wavefront6targetE1EEEvSK_.has_recursion, 0
	.set _ZN7rocprim17ROCPRIM_400000_NS6detail17trampoline_kernelINS0_14default_configENS1_22reduce_config_selectorIdEEZNS1_11reduce_implILb1ES3_N6thrust23THRUST_200600_302600_NS6detail15normal_iteratorINS8_10device_ptrIdEEEEPffNS8_4plusIfEEEE10hipError_tPvRmT1_T2_T3_mT4_P12ihipStream_tbEUlT_E0_NS1_11comp_targetILNS1_3genE0ELNS1_11target_archE4294967295ELNS1_3gpuE0ELNS1_3repE0EEENS1_30default_config_static_selectorELNS0_4arch9wavefront6targetE1EEEvSK_.has_indirect_call, 0
	.section	.AMDGPU.csdata,"",@progbits
; Kernel info:
; codeLenInByte = 2628
; TotalNumSgprs: 54
; NumVgprs: 40
; NumAgprs: 0
; TotalNumVgprs: 40
; ScratchSize: 0
; MemoryBound: 0
; FloatMode: 240
; IeeeMode: 1
; LDSByteSize: 32 bytes/workgroup (compile time only)
; SGPRBlocks: 6
; VGPRBlocks: 4
; NumSGPRsForWavesPerEU: 54
; NumVGPRsForWavesPerEU: 40
; AccumOffset: 40
; Occupancy: 8
; WaveLimiterHint : 1
; COMPUTE_PGM_RSRC2:SCRATCH_EN: 0
; COMPUTE_PGM_RSRC2:USER_SGPR: 2
; COMPUTE_PGM_RSRC2:TRAP_HANDLER: 0
; COMPUTE_PGM_RSRC2:TGID_X_EN: 1
; COMPUTE_PGM_RSRC2:TGID_Y_EN: 0
; COMPUTE_PGM_RSRC2:TGID_Z_EN: 0
; COMPUTE_PGM_RSRC2:TIDIG_COMP_CNT: 0
; COMPUTE_PGM_RSRC3_GFX90A:ACCUM_OFFSET: 9
; COMPUTE_PGM_RSRC3_GFX90A:TG_SPLIT: 0
	.section	.text._ZN7rocprim17ROCPRIM_400000_NS6detail17trampoline_kernelINS0_14default_configENS1_22reduce_config_selectorIdEEZNS1_11reduce_implILb1ES3_N6thrust23THRUST_200600_302600_NS6detail15normal_iteratorINS8_10device_ptrIdEEEEPffNS8_4plusIfEEEE10hipError_tPvRmT1_T2_T3_mT4_P12ihipStream_tbEUlT_E0_NS1_11comp_targetILNS1_3genE5ELNS1_11target_archE942ELNS1_3gpuE9ELNS1_3repE0EEENS1_30default_config_static_selectorELNS0_4arch9wavefront6targetE1EEEvSK_,"axG",@progbits,_ZN7rocprim17ROCPRIM_400000_NS6detail17trampoline_kernelINS0_14default_configENS1_22reduce_config_selectorIdEEZNS1_11reduce_implILb1ES3_N6thrust23THRUST_200600_302600_NS6detail15normal_iteratorINS8_10device_ptrIdEEEEPffNS8_4plusIfEEEE10hipError_tPvRmT1_T2_T3_mT4_P12ihipStream_tbEUlT_E0_NS1_11comp_targetILNS1_3genE5ELNS1_11target_archE942ELNS1_3gpuE9ELNS1_3repE0EEENS1_30default_config_static_selectorELNS0_4arch9wavefront6targetE1EEEvSK_,comdat
	.protected	_ZN7rocprim17ROCPRIM_400000_NS6detail17trampoline_kernelINS0_14default_configENS1_22reduce_config_selectorIdEEZNS1_11reduce_implILb1ES3_N6thrust23THRUST_200600_302600_NS6detail15normal_iteratorINS8_10device_ptrIdEEEEPffNS8_4plusIfEEEE10hipError_tPvRmT1_T2_T3_mT4_P12ihipStream_tbEUlT_E0_NS1_11comp_targetILNS1_3genE5ELNS1_11target_archE942ELNS1_3gpuE9ELNS1_3repE0EEENS1_30default_config_static_selectorELNS0_4arch9wavefront6targetE1EEEvSK_ ; -- Begin function _ZN7rocprim17ROCPRIM_400000_NS6detail17trampoline_kernelINS0_14default_configENS1_22reduce_config_selectorIdEEZNS1_11reduce_implILb1ES3_N6thrust23THRUST_200600_302600_NS6detail15normal_iteratorINS8_10device_ptrIdEEEEPffNS8_4plusIfEEEE10hipError_tPvRmT1_T2_T3_mT4_P12ihipStream_tbEUlT_E0_NS1_11comp_targetILNS1_3genE5ELNS1_11target_archE942ELNS1_3gpuE9ELNS1_3repE0EEENS1_30default_config_static_selectorELNS0_4arch9wavefront6targetE1EEEvSK_
	.globl	_ZN7rocprim17ROCPRIM_400000_NS6detail17trampoline_kernelINS0_14default_configENS1_22reduce_config_selectorIdEEZNS1_11reduce_implILb1ES3_N6thrust23THRUST_200600_302600_NS6detail15normal_iteratorINS8_10device_ptrIdEEEEPffNS8_4plusIfEEEE10hipError_tPvRmT1_T2_T3_mT4_P12ihipStream_tbEUlT_E0_NS1_11comp_targetILNS1_3genE5ELNS1_11target_archE942ELNS1_3gpuE9ELNS1_3repE0EEENS1_30default_config_static_selectorELNS0_4arch9wavefront6targetE1EEEvSK_
	.p2align	8
	.type	_ZN7rocprim17ROCPRIM_400000_NS6detail17trampoline_kernelINS0_14default_configENS1_22reduce_config_selectorIdEEZNS1_11reduce_implILb1ES3_N6thrust23THRUST_200600_302600_NS6detail15normal_iteratorINS8_10device_ptrIdEEEEPffNS8_4plusIfEEEE10hipError_tPvRmT1_T2_T3_mT4_P12ihipStream_tbEUlT_E0_NS1_11comp_targetILNS1_3genE5ELNS1_11target_archE942ELNS1_3gpuE9ELNS1_3repE0EEENS1_30default_config_static_selectorELNS0_4arch9wavefront6targetE1EEEvSK_,@function
_ZN7rocprim17ROCPRIM_400000_NS6detail17trampoline_kernelINS0_14default_configENS1_22reduce_config_selectorIdEEZNS1_11reduce_implILb1ES3_N6thrust23THRUST_200600_302600_NS6detail15normal_iteratorINS8_10device_ptrIdEEEEPffNS8_4plusIfEEEE10hipError_tPvRmT1_T2_T3_mT4_P12ihipStream_tbEUlT_E0_NS1_11comp_targetILNS1_3genE5ELNS1_11target_archE942ELNS1_3gpuE9ELNS1_3repE0EEENS1_30default_config_static_selectorELNS0_4arch9wavefront6targetE1EEEvSK_: ; @_ZN7rocprim17ROCPRIM_400000_NS6detail17trampoline_kernelINS0_14default_configENS1_22reduce_config_selectorIdEEZNS1_11reduce_implILb1ES3_N6thrust23THRUST_200600_302600_NS6detail15normal_iteratorINS8_10device_ptrIdEEEEPffNS8_4plusIfEEEE10hipError_tPvRmT1_T2_T3_mT4_P12ihipStream_tbEUlT_E0_NS1_11comp_targetILNS1_3genE5ELNS1_11target_archE942ELNS1_3gpuE9ELNS1_3repE0EEENS1_30default_config_static_selectorELNS0_4arch9wavefront6targetE1EEEvSK_
; %bb.0:
	.section	.rodata,"a",@progbits
	.p2align	6, 0x0
	.amdhsa_kernel _ZN7rocprim17ROCPRIM_400000_NS6detail17trampoline_kernelINS0_14default_configENS1_22reduce_config_selectorIdEEZNS1_11reduce_implILb1ES3_N6thrust23THRUST_200600_302600_NS6detail15normal_iteratorINS8_10device_ptrIdEEEEPffNS8_4plusIfEEEE10hipError_tPvRmT1_T2_T3_mT4_P12ihipStream_tbEUlT_E0_NS1_11comp_targetILNS1_3genE5ELNS1_11target_archE942ELNS1_3gpuE9ELNS1_3repE0EEENS1_30default_config_static_selectorELNS0_4arch9wavefront6targetE1EEEvSK_
		.amdhsa_group_segment_fixed_size 0
		.amdhsa_private_segment_fixed_size 0
		.amdhsa_kernarg_size 56
		.amdhsa_user_sgpr_count 2
		.amdhsa_user_sgpr_dispatch_ptr 0
		.amdhsa_user_sgpr_queue_ptr 0
		.amdhsa_user_sgpr_kernarg_segment_ptr 1
		.amdhsa_user_sgpr_dispatch_id 0
		.amdhsa_user_sgpr_kernarg_preload_length 0
		.amdhsa_user_sgpr_kernarg_preload_offset 0
		.amdhsa_user_sgpr_private_segment_size 0
		.amdhsa_uses_dynamic_stack 0
		.amdhsa_enable_private_segment 0
		.amdhsa_system_sgpr_workgroup_id_x 1
		.amdhsa_system_sgpr_workgroup_id_y 0
		.amdhsa_system_sgpr_workgroup_id_z 0
		.amdhsa_system_sgpr_workgroup_info 0
		.amdhsa_system_vgpr_workitem_id 0
		.amdhsa_next_free_vgpr 1
		.amdhsa_next_free_sgpr 0
		.amdhsa_accum_offset 4
		.amdhsa_reserve_vcc 0
		.amdhsa_float_round_mode_32 0
		.amdhsa_float_round_mode_16_64 0
		.amdhsa_float_denorm_mode_32 3
		.amdhsa_float_denorm_mode_16_64 3
		.amdhsa_dx10_clamp 1
		.amdhsa_ieee_mode 1
		.amdhsa_fp16_overflow 0
		.amdhsa_tg_split 0
		.amdhsa_exception_fp_ieee_invalid_op 0
		.amdhsa_exception_fp_denorm_src 0
		.amdhsa_exception_fp_ieee_div_zero 0
		.amdhsa_exception_fp_ieee_overflow 0
		.amdhsa_exception_fp_ieee_underflow 0
		.amdhsa_exception_fp_ieee_inexact 0
		.amdhsa_exception_int_div_zero 0
	.end_amdhsa_kernel
	.section	.text._ZN7rocprim17ROCPRIM_400000_NS6detail17trampoline_kernelINS0_14default_configENS1_22reduce_config_selectorIdEEZNS1_11reduce_implILb1ES3_N6thrust23THRUST_200600_302600_NS6detail15normal_iteratorINS8_10device_ptrIdEEEEPffNS8_4plusIfEEEE10hipError_tPvRmT1_T2_T3_mT4_P12ihipStream_tbEUlT_E0_NS1_11comp_targetILNS1_3genE5ELNS1_11target_archE942ELNS1_3gpuE9ELNS1_3repE0EEENS1_30default_config_static_selectorELNS0_4arch9wavefront6targetE1EEEvSK_,"axG",@progbits,_ZN7rocprim17ROCPRIM_400000_NS6detail17trampoline_kernelINS0_14default_configENS1_22reduce_config_selectorIdEEZNS1_11reduce_implILb1ES3_N6thrust23THRUST_200600_302600_NS6detail15normal_iteratorINS8_10device_ptrIdEEEEPffNS8_4plusIfEEEE10hipError_tPvRmT1_T2_T3_mT4_P12ihipStream_tbEUlT_E0_NS1_11comp_targetILNS1_3genE5ELNS1_11target_archE942ELNS1_3gpuE9ELNS1_3repE0EEENS1_30default_config_static_selectorELNS0_4arch9wavefront6targetE1EEEvSK_,comdat
.Lfunc_end316:
	.size	_ZN7rocprim17ROCPRIM_400000_NS6detail17trampoline_kernelINS0_14default_configENS1_22reduce_config_selectorIdEEZNS1_11reduce_implILb1ES3_N6thrust23THRUST_200600_302600_NS6detail15normal_iteratorINS8_10device_ptrIdEEEEPffNS8_4plusIfEEEE10hipError_tPvRmT1_T2_T3_mT4_P12ihipStream_tbEUlT_E0_NS1_11comp_targetILNS1_3genE5ELNS1_11target_archE942ELNS1_3gpuE9ELNS1_3repE0EEENS1_30default_config_static_selectorELNS0_4arch9wavefront6targetE1EEEvSK_, .Lfunc_end316-_ZN7rocprim17ROCPRIM_400000_NS6detail17trampoline_kernelINS0_14default_configENS1_22reduce_config_selectorIdEEZNS1_11reduce_implILb1ES3_N6thrust23THRUST_200600_302600_NS6detail15normal_iteratorINS8_10device_ptrIdEEEEPffNS8_4plusIfEEEE10hipError_tPvRmT1_T2_T3_mT4_P12ihipStream_tbEUlT_E0_NS1_11comp_targetILNS1_3genE5ELNS1_11target_archE942ELNS1_3gpuE9ELNS1_3repE0EEENS1_30default_config_static_selectorELNS0_4arch9wavefront6targetE1EEEvSK_
                                        ; -- End function
	.set _ZN7rocprim17ROCPRIM_400000_NS6detail17trampoline_kernelINS0_14default_configENS1_22reduce_config_selectorIdEEZNS1_11reduce_implILb1ES3_N6thrust23THRUST_200600_302600_NS6detail15normal_iteratorINS8_10device_ptrIdEEEEPffNS8_4plusIfEEEE10hipError_tPvRmT1_T2_T3_mT4_P12ihipStream_tbEUlT_E0_NS1_11comp_targetILNS1_3genE5ELNS1_11target_archE942ELNS1_3gpuE9ELNS1_3repE0EEENS1_30default_config_static_selectorELNS0_4arch9wavefront6targetE1EEEvSK_.num_vgpr, 0
	.set _ZN7rocprim17ROCPRIM_400000_NS6detail17trampoline_kernelINS0_14default_configENS1_22reduce_config_selectorIdEEZNS1_11reduce_implILb1ES3_N6thrust23THRUST_200600_302600_NS6detail15normal_iteratorINS8_10device_ptrIdEEEEPffNS8_4plusIfEEEE10hipError_tPvRmT1_T2_T3_mT4_P12ihipStream_tbEUlT_E0_NS1_11comp_targetILNS1_3genE5ELNS1_11target_archE942ELNS1_3gpuE9ELNS1_3repE0EEENS1_30default_config_static_selectorELNS0_4arch9wavefront6targetE1EEEvSK_.num_agpr, 0
	.set _ZN7rocprim17ROCPRIM_400000_NS6detail17trampoline_kernelINS0_14default_configENS1_22reduce_config_selectorIdEEZNS1_11reduce_implILb1ES3_N6thrust23THRUST_200600_302600_NS6detail15normal_iteratorINS8_10device_ptrIdEEEEPffNS8_4plusIfEEEE10hipError_tPvRmT1_T2_T3_mT4_P12ihipStream_tbEUlT_E0_NS1_11comp_targetILNS1_3genE5ELNS1_11target_archE942ELNS1_3gpuE9ELNS1_3repE0EEENS1_30default_config_static_selectorELNS0_4arch9wavefront6targetE1EEEvSK_.numbered_sgpr, 0
	.set _ZN7rocprim17ROCPRIM_400000_NS6detail17trampoline_kernelINS0_14default_configENS1_22reduce_config_selectorIdEEZNS1_11reduce_implILb1ES3_N6thrust23THRUST_200600_302600_NS6detail15normal_iteratorINS8_10device_ptrIdEEEEPffNS8_4plusIfEEEE10hipError_tPvRmT1_T2_T3_mT4_P12ihipStream_tbEUlT_E0_NS1_11comp_targetILNS1_3genE5ELNS1_11target_archE942ELNS1_3gpuE9ELNS1_3repE0EEENS1_30default_config_static_selectorELNS0_4arch9wavefront6targetE1EEEvSK_.num_named_barrier, 0
	.set _ZN7rocprim17ROCPRIM_400000_NS6detail17trampoline_kernelINS0_14default_configENS1_22reduce_config_selectorIdEEZNS1_11reduce_implILb1ES3_N6thrust23THRUST_200600_302600_NS6detail15normal_iteratorINS8_10device_ptrIdEEEEPffNS8_4plusIfEEEE10hipError_tPvRmT1_T2_T3_mT4_P12ihipStream_tbEUlT_E0_NS1_11comp_targetILNS1_3genE5ELNS1_11target_archE942ELNS1_3gpuE9ELNS1_3repE0EEENS1_30default_config_static_selectorELNS0_4arch9wavefront6targetE1EEEvSK_.private_seg_size, 0
	.set _ZN7rocprim17ROCPRIM_400000_NS6detail17trampoline_kernelINS0_14default_configENS1_22reduce_config_selectorIdEEZNS1_11reduce_implILb1ES3_N6thrust23THRUST_200600_302600_NS6detail15normal_iteratorINS8_10device_ptrIdEEEEPffNS8_4plusIfEEEE10hipError_tPvRmT1_T2_T3_mT4_P12ihipStream_tbEUlT_E0_NS1_11comp_targetILNS1_3genE5ELNS1_11target_archE942ELNS1_3gpuE9ELNS1_3repE0EEENS1_30default_config_static_selectorELNS0_4arch9wavefront6targetE1EEEvSK_.uses_vcc, 0
	.set _ZN7rocprim17ROCPRIM_400000_NS6detail17trampoline_kernelINS0_14default_configENS1_22reduce_config_selectorIdEEZNS1_11reduce_implILb1ES3_N6thrust23THRUST_200600_302600_NS6detail15normal_iteratorINS8_10device_ptrIdEEEEPffNS8_4plusIfEEEE10hipError_tPvRmT1_T2_T3_mT4_P12ihipStream_tbEUlT_E0_NS1_11comp_targetILNS1_3genE5ELNS1_11target_archE942ELNS1_3gpuE9ELNS1_3repE0EEENS1_30default_config_static_selectorELNS0_4arch9wavefront6targetE1EEEvSK_.uses_flat_scratch, 0
	.set _ZN7rocprim17ROCPRIM_400000_NS6detail17trampoline_kernelINS0_14default_configENS1_22reduce_config_selectorIdEEZNS1_11reduce_implILb1ES3_N6thrust23THRUST_200600_302600_NS6detail15normal_iteratorINS8_10device_ptrIdEEEEPffNS8_4plusIfEEEE10hipError_tPvRmT1_T2_T3_mT4_P12ihipStream_tbEUlT_E0_NS1_11comp_targetILNS1_3genE5ELNS1_11target_archE942ELNS1_3gpuE9ELNS1_3repE0EEENS1_30default_config_static_selectorELNS0_4arch9wavefront6targetE1EEEvSK_.has_dyn_sized_stack, 0
	.set _ZN7rocprim17ROCPRIM_400000_NS6detail17trampoline_kernelINS0_14default_configENS1_22reduce_config_selectorIdEEZNS1_11reduce_implILb1ES3_N6thrust23THRUST_200600_302600_NS6detail15normal_iteratorINS8_10device_ptrIdEEEEPffNS8_4plusIfEEEE10hipError_tPvRmT1_T2_T3_mT4_P12ihipStream_tbEUlT_E0_NS1_11comp_targetILNS1_3genE5ELNS1_11target_archE942ELNS1_3gpuE9ELNS1_3repE0EEENS1_30default_config_static_selectorELNS0_4arch9wavefront6targetE1EEEvSK_.has_recursion, 0
	.set _ZN7rocprim17ROCPRIM_400000_NS6detail17trampoline_kernelINS0_14default_configENS1_22reduce_config_selectorIdEEZNS1_11reduce_implILb1ES3_N6thrust23THRUST_200600_302600_NS6detail15normal_iteratorINS8_10device_ptrIdEEEEPffNS8_4plusIfEEEE10hipError_tPvRmT1_T2_T3_mT4_P12ihipStream_tbEUlT_E0_NS1_11comp_targetILNS1_3genE5ELNS1_11target_archE942ELNS1_3gpuE9ELNS1_3repE0EEENS1_30default_config_static_selectorELNS0_4arch9wavefront6targetE1EEEvSK_.has_indirect_call, 0
	.section	.AMDGPU.csdata,"",@progbits
; Kernel info:
; codeLenInByte = 0
; TotalNumSgprs: 6
; NumVgprs: 0
; NumAgprs: 0
; TotalNumVgprs: 0
; ScratchSize: 0
; MemoryBound: 0
; FloatMode: 240
; IeeeMode: 1
; LDSByteSize: 0 bytes/workgroup (compile time only)
; SGPRBlocks: 0
; VGPRBlocks: 0
; NumSGPRsForWavesPerEU: 6
; NumVGPRsForWavesPerEU: 1
; AccumOffset: 4
; Occupancy: 8
; WaveLimiterHint : 0
; COMPUTE_PGM_RSRC2:SCRATCH_EN: 0
; COMPUTE_PGM_RSRC2:USER_SGPR: 2
; COMPUTE_PGM_RSRC2:TRAP_HANDLER: 0
; COMPUTE_PGM_RSRC2:TGID_X_EN: 1
; COMPUTE_PGM_RSRC2:TGID_Y_EN: 0
; COMPUTE_PGM_RSRC2:TGID_Z_EN: 0
; COMPUTE_PGM_RSRC2:TIDIG_COMP_CNT: 0
; COMPUTE_PGM_RSRC3_GFX90A:ACCUM_OFFSET: 0
; COMPUTE_PGM_RSRC3_GFX90A:TG_SPLIT: 0
	.section	.text._ZN7rocprim17ROCPRIM_400000_NS6detail17trampoline_kernelINS0_14default_configENS1_22reduce_config_selectorIdEEZNS1_11reduce_implILb1ES3_N6thrust23THRUST_200600_302600_NS6detail15normal_iteratorINS8_10device_ptrIdEEEEPffNS8_4plusIfEEEE10hipError_tPvRmT1_T2_T3_mT4_P12ihipStream_tbEUlT_E0_NS1_11comp_targetILNS1_3genE4ELNS1_11target_archE910ELNS1_3gpuE8ELNS1_3repE0EEENS1_30default_config_static_selectorELNS0_4arch9wavefront6targetE1EEEvSK_,"axG",@progbits,_ZN7rocprim17ROCPRIM_400000_NS6detail17trampoline_kernelINS0_14default_configENS1_22reduce_config_selectorIdEEZNS1_11reduce_implILb1ES3_N6thrust23THRUST_200600_302600_NS6detail15normal_iteratorINS8_10device_ptrIdEEEEPffNS8_4plusIfEEEE10hipError_tPvRmT1_T2_T3_mT4_P12ihipStream_tbEUlT_E0_NS1_11comp_targetILNS1_3genE4ELNS1_11target_archE910ELNS1_3gpuE8ELNS1_3repE0EEENS1_30default_config_static_selectorELNS0_4arch9wavefront6targetE1EEEvSK_,comdat
	.protected	_ZN7rocprim17ROCPRIM_400000_NS6detail17trampoline_kernelINS0_14default_configENS1_22reduce_config_selectorIdEEZNS1_11reduce_implILb1ES3_N6thrust23THRUST_200600_302600_NS6detail15normal_iteratorINS8_10device_ptrIdEEEEPffNS8_4plusIfEEEE10hipError_tPvRmT1_T2_T3_mT4_P12ihipStream_tbEUlT_E0_NS1_11comp_targetILNS1_3genE4ELNS1_11target_archE910ELNS1_3gpuE8ELNS1_3repE0EEENS1_30default_config_static_selectorELNS0_4arch9wavefront6targetE1EEEvSK_ ; -- Begin function _ZN7rocprim17ROCPRIM_400000_NS6detail17trampoline_kernelINS0_14default_configENS1_22reduce_config_selectorIdEEZNS1_11reduce_implILb1ES3_N6thrust23THRUST_200600_302600_NS6detail15normal_iteratorINS8_10device_ptrIdEEEEPffNS8_4plusIfEEEE10hipError_tPvRmT1_T2_T3_mT4_P12ihipStream_tbEUlT_E0_NS1_11comp_targetILNS1_3genE4ELNS1_11target_archE910ELNS1_3gpuE8ELNS1_3repE0EEENS1_30default_config_static_selectorELNS0_4arch9wavefront6targetE1EEEvSK_
	.globl	_ZN7rocprim17ROCPRIM_400000_NS6detail17trampoline_kernelINS0_14default_configENS1_22reduce_config_selectorIdEEZNS1_11reduce_implILb1ES3_N6thrust23THRUST_200600_302600_NS6detail15normal_iteratorINS8_10device_ptrIdEEEEPffNS8_4plusIfEEEE10hipError_tPvRmT1_T2_T3_mT4_P12ihipStream_tbEUlT_E0_NS1_11comp_targetILNS1_3genE4ELNS1_11target_archE910ELNS1_3gpuE8ELNS1_3repE0EEENS1_30default_config_static_selectorELNS0_4arch9wavefront6targetE1EEEvSK_
	.p2align	8
	.type	_ZN7rocprim17ROCPRIM_400000_NS6detail17trampoline_kernelINS0_14default_configENS1_22reduce_config_selectorIdEEZNS1_11reduce_implILb1ES3_N6thrust23THRUST_200600_302600_NS6detail15normal_iteratorINS8_10device_ptrIdEEEEPffNS8_4plusIfEEEE10hipError_tPvRmT1_T2_T3_mT4_P12ihipStream_tbEUlT_E0_NS1_11comp_targetILNS1_3genE4ELNS1_11target_archE910ELNS1_3gpuE8ELNS1_3repE0EEENS1_30default_config_static_selectorELNS0_4arch9wavefront6targetE1EEEvSK_,@function
_ZN7rocprim17ROCPRIM_400000_NS6detail17trampoline_kernelINS0_14default_configENS1_22reduce_config_selectorIdEEZNS1_11reduce_implILb1ES3_N6thrust23THRUST_200600_302600_NS6detail15normal_iteratorINS8_10device_ptrIdEEEEPffNS8_4plusIfEEEE10hipError_tPvRmT1_T2_T3_mT4_P12ihipStream_tbEUlT_E0_NS1_11comp_targetILNS1_3genE4ELNS1_11target_archE910ELNS1_3gpuE8ELNS1_3repE0EEENS1_30default_config_static_selectorELNS0_4arch9wavefront6targetE1EEEvSK_: ; @_ZN7rocprim17ROCPRIM_400000_NS6detail17trampoline_kernelINS0_14default_configENS1_22reduce_config_selectorIdEEZNS1_11reduce_implILb1ES3_N6thrust23THRUST_200600_302600_NS6detail15normal_iteratorINS8_10device_ptrIdEEEEPffNS8_4plusIfEEEE10hipError_tPvRmT1_T2_T3_mT4_P12ihipStream_tbEUlT_E0_NS1_11comp_targetILNS1_3genE4ELNS1_11target_archE910ELNS1_3gpuE8ELNS1_3repE0EEENS1_30default_config_static_selectorELNS0_4arch9wavefront6targetE1EEEvSK_
; %bb.0:
	.section	.rodata,"a",@progbits
	.p2align	6, 0x0
	.amdhsa_kernel _ZN7rocprim17ROCPRIM_400000_NS6detail17trampoline_kernelINS0_14default_configENS1_22reduce_config_selectorIdEEZNS1_11reduce_implILb1ES3_N6thrust23THRUST_200600_302600_NS6detail15normal_iteratorINS8_10device_ptrIdEEEEPffNS8_4plusIfEEEE10hipError_tPvRmT1_T2_T3_mT4_P12ihipStream_tbEUlT_E0_NS1_11comp_targetILNS1_3genE4ELNS1_11target_archE910ELNS1_3gpuE8ELNS1_3repE0EEENS1_30default_config_static_selectorELNS0_4arch9wavefront6targetE1EEEvSK_
		.amdhsa_group_segment_fixed_size 0
		.amdhsa_private_segment_fixed_size 0
		.amdhsa_kernarg_size 56
		.amdhsa_user_sgpr_count 2
		.amdhsa_user_sgpr_dispatch_ptr 0
		.amdhsa_user_sgpr_queue_ptr 0
		.amdhsa_user_sgpr_kernarg_segment_ptr 1
		.amdhsa_user_sgpr_dispatch_id 0
		.amdhsa_user_sgpr_kernarg_preload_length 0
		.amdhsa_user_sgpr_kernarg_preload_offset 0
		.amdhsa_user_sgpr_private_segment_size 0
		.amdhsa_uses_dynamic_stack 0
		.amdhsa_enable_private_segment 0
		.amdhsa_system_sgpr_workgroup_id_x 1
		.amdhsa_system_sgpr_workgroup_id_y 0
		.amdhsa_system_sgpr_workgroup_id_z 0
		.amdhsa_system_sgpr_workgroup_info 0
		.amdhsa_system_vgpr_workitem_id 0
		.amdhsa_next_free_vgpr 1
		.amdhsa_next_free_sgpr 0
		.amdhsa_accum_offset 4
		.amdhsa_reserve_vcc 0
		.amdhsa_float_round_mode_32 0
		.amdhsa_float_round_mode_16_64 0
		.amdhsa_float_denorm_mode_32 3
		.amdhsa_float_denorm_mode_16_64 3
		.amdhsa_dx10_clamp 1
		.amdhsa_ieee_mode 1
		.amdhsa_fp16_overflow 0
		.amdhsa_tg_split 0
		.amdhsa_exception_fp_ieee_invalid_op 0
		.amdhsa_exception_fp_denorm_src 0
		.amdhsa_exception_fp_ieee_div_zero 0
		.amdhsa_exception_fp_ieee_overflow 0
		.amdhsa_exception_fp_ieee_underflow 0
		.amdhsa_exception_fp_ieee_inexact 0
		.amdhsa_exception_int_div_zero 0
	.end_amdhsa_kernel
	.section	.text._ZN7rocprim17ROCPRIM_400000_NS6detail17trampoline_kernelINS0_14default_configENS1_22reduce_config_selectorIdEEZNS1_11reduce_implILb1ES3_N6thrust23THRUST_200600_302600_NS6detail15normal_iteratorINS8_10device_ptrIdEEEEPffNS8_4plusIfEEEE10hipError_tPvRmT1_T2_T3_mT4_P12ihipStream_tbEUlT_E0_NS1_11comp_targetILNS1_3genE4ELNS1_11target_archE910ELNS1_3gpuE8ELNS1_3repE0EEENS1_30default_config_static_selectorELNS0_4arch9wavefront6targetE1EEEvSK_,"axG",@progbits,_ZN7rocprim17ROCPRIM_400000_NS6detail17trampoline_kernelINS0_14default_configENS1_22reduce_config_selectorIdEEZNS1_11reduce_implILb1ES3_N6thrust23THRUST_200600_302600_NS6detail15normal_iteratorINS8_10device_ptrIdEEEEPffNS8_4plusIfEEEE10hipError_tPvRmT1_T2_T3_mT4_P12ihipStream_tbEUlT_E0_NS1_11comp_targetILNS1_3genE4ELNS1_11target_archE910ELNS1_3gpuE8ELNS1_3repE0EEENS1_30default_config_static_selectorELNS0_4arch9wavefront6targetE1EEEvSK_,comdat
.Lfunc_end317:
	.size	_ZN7rocprim17ROCPRIM_400000_NS6detail17trampoline_kernelINS0_14default_configENS1_22reduce_config_selectorIdEEZNS1_11reduce_implILb1ES3_N6thrust23THRUST_200600_302600_NS6detail15normal_iteratorINS8_10device_ptrIdEEEEPffNS8_4plusIfEEEE10hipError_tPvRmT1_T2_T3_mT4_P12ihipStream_tbEUlT_E0_NS1_11comp_targetILNS1_3genE4ELNS1_11target_archE910ELNS1_3gpuE8ELNS1_3repE0EEENS1_30default_config_static_selectorELNS0_4arch9wavefront6targetE1EEEvSK_, .Lfunc_end317-_ZN7rocprim17ROCPRIM_400000_NS6detail17trampoline_kernelINS0_14default_configENS1_22reduce_config_selectorIdEEZNS1_11reduce_implILb1ES3_N6thrust23THRUST_200600_302600_NS6detail15normal_iteratorINS8_10device_ptrIdEEEEPffNS8_4plusIfEEEE10hipError_tPvRmT1_T2_T3_mT4_P12ihipStream_tbEUlT_E0_NS1_11comp_targetILNS1_3genE4ELNS1_11target_archE910ELNS1_3gpuE8ELNS1_3repE0EEENS1_30default_config_static_selectorELNS0_4arch9wavefront6targetE1EEEvSK_
                                        ; -- End function
	.set _ZN7rocprim17ROCPRIM_400000_NS6detail17trampoline_kernelINS0_14default_configENS1_22reduce_config_selectorIdEEZNS1_11reduce_implILb1ES3_N6thrust23THRUST_200600_302600_NS6detail15normal_iteratorINS8_10device_ptrIdEEEEPffNS8_4plusIfEEEE10hipError_tPvRmT1_T2_T3_mT4_P12ihipStream_tbEUlT_E0_NS1_11comp_targetILNS1_3genE4ELNS1_11target_archE910ELNS1_3gpuE8ELNS1_3repE0EEENS1_30default_config_static_selectorELNS0_4arch9wavefront6targetE1EEEvSK_.num_vgpr, 0
	.set _ZN7rocprim17ROCPRIM_400000_NS6detail17trampoline_kernelINS0_14default_configENS1_22reduce_config_selectorIdEEZNS1_11reduce_implILb1ES3_N6thrust23THRUST_200600_302600_NS6detail15normal_iteratorINS8_10device_ptrIdEEEEPffNS8_4plusIfEEEE10hipError_tPvRmT1_T2_T3_mT4_P12ihipStream_tbEUlT_E0_NS1_11comp_targetILNS1_3genE4ELNS1_11target_archE910ELNS1_3gpuE8ELNS1_3repE0EEENS1_30default_config_static_selectorELNS0_4arch9wavefront6targetE1EEEvSK_.num_agpr, 0
	.set _ZN7rocprim17ROCPRIM_400000_NS6detail17trampoline_kernelINS0_14default_configENS1_22reduce_config_selectorIdEEZNS1_11reduce_implILb1ES3_N6thrust23THRUST_200600_302600_NS6detail15normal_iteratorINS8_10device_ptrIdEEEEPffNS8_4plusIfEEEE10hipError_tPvRmT1_T2_T3_mT4_P12ihipStream_tbEUlT_E0_NS1_11comp_targetILNS1_3genE4ELNS1_11target_archE910ELNS1_3gpuE8ELNS1_3repE0EEENS1_30default_config_static_selectorELNS0_4arch9wavefront6targetE1EEEvSK_.numbered_sgpr, 0
	.set _ZN7rocprim17ROCPRIM_400000_NS6detail17trampoline_kernelINS0_14default_configENS1_22reduce_config_selectorIdEEZNS1_11reduce_implILb1ES3_N6thrust23THRUST_200600_302600_NS6detail15normal_iteratorINS8_10device_ptrIdEEEEPffNS8_4plusIfEEEE10hipError_tPvRmT1_T2_T3_mT4_P12ihipStream_tbEUlT_E0_NS1_11comp_targetILNS1_3genE4ELNS1_11target_archE910ELNS1_3gpuE8ELNS1_3repE0EEENS1_30default_config_static_selectorELNS0_4arch9wavefront6targetE1EEEvSK_.num_named_barrier, 0
	.set _ZN7rocprim17ROCPRIM_400000_NS6detail17trampoline_kernelINS0_14default_configENS1_22reduce_config_selectorIdEEZNS1_11reduce_implILb1ES3_N6thrust23THRUST_200600_302600_NS6detail15normal_iteratorINS8_10device_ptrIdEEEEPffNS8_4plusIfEEEE10hipError_tPvRmT1_T2_T3_mT4_P12ihipStream_tbEUlT_E0_NS1_11comp_targetILNS1_3genE4ELNS1_11target_archE910ELNS1_3gpuE8ELNS1_3repE0EEENS1_30default_config_static_selectorELNS0_4arch9wavefront6targetE1EEEvSK_.private_seg_size, 0
	.set _ZN7rocprim17ROCPRIM_400000_NS6detail17trampoline_kernelINS0_14default_configENS1_22reduce_config_selectorIdEEZNS1_11reduce_implILb1ES3_N6thrust23THRUST_200600_302600_NS6detail15normal_iteratorINS8_10device_ptrIdEEEEPffNS8_4plusIfEEEE10hipError_tPvRmT1_T2_T3_mT4_P12ihipStream_tbEUlT_E0_NS1_11comp_targetILNS1_3genE4ELNS1_11target_archE910ELNS1_3gpuE8ELNS1_3repE0EEENS1_30default_config_static_selectorELNS0_4arch9wavefront6targetE1EEEvSK_.uses_vcc, 0
	.set _ZN7rocprim17ROCPRIM_400000_NS6detail17trampoline_kernelINS0_14default_configENS1_22reduce_config_selectorIdEEZNS1_11reduce_implILb1ES3_N6thrust23THRUST_200600_302600_NS6detail15normal_iteratorINS8_10device_ptrIdEEEEPffNS8_4plusIfEEEE10hipError_tPvRmT1_T2_T3_mT4_P12ihipStream_tbEUlT_E0_NS1_11comp_targetILNS1_3genE4ELNS1_11target_archE910ELNS1_3gpuE8ELNS1_3repE0EEENS1_30default_config_static_selectorELNS0_4arch9wavefront6targetE1EEEvSK_.uses_flat_scratch, 0
	.set _ZN7rocprim17ROCPRIM_400000_NS6detail17trampoline_kernelINS0_14default_configENS1_22reduce_config_selectorIdEEZNS1_11reduce_implILb1ES3_N6thrust23THRUST_200600_302600_NS6detail15normal_iteratorINS8_10device_ptrIdEEEEPffNS8_4plusIfEEEE10hipError_tPvRmT1_T2_T3_mT4_P12ihipStream_tbEUlT_E0_NS1_11comp_targetILNS1_3genE4ELNS1_11target_archE910ELNS1_3gpuE8ELNS1_3repE0EEENS1_30default_config_static_selectorELNS0_4arch9wavefront6targetE1EEEvSK_.has_dyn_sized_stack, 0
	.set _ZN7rocprim17ROCPRIM_400000_NS6detail17trampoline_kernelINS0_14default_configENS1_22reduce_config_selectorIdEEZNS1_11reduce_implILb1ES3_N6thrust23THRUST_200600_302600_NS6detail15normal_iteratorINS8_10device_ptrIdEEEEPffNS8_4plusIfEEEE10hipError_tPvRmT1_T2_T3_mT4_P12ihipStream_tbEUlT_E0_NS1_11comp_targetILNS1_3genE4ELNS1_11target_archE910ELNS1_3gpuE8ELNS1_3repE0EEENS1_30default_config_static_selectorELNS0_4arch9wavefront6targetE1EEEvSK_.has_recursion, 0
	.set _ZN7rocprim17ROCPRIM_400000_NS6detail17trampoline_kernelINS0_14default_configENS1_22reduce_config_selectorIdEEZNS1_11reduce_implILb1ES3_N6thrust23THRUST_200600_302600_NS6detail15normal_iteratorINS8_10device_ptrIdEEEEPffNS8_4plusIfEEEE10hipError_tPvRmT1_T2_T3_mT4_P12ihipStream_tbEUlT_E0_NS1_11comp_targetILNS1_3genE4ELNS1_11target_archE910ELNS1_3gpuE8ELNS1_3repE0EEENS1_30default_config_static_selectorELNS0_4arch9wavefront6targetE1EEEvSK_.has_indirect_call, 0
	.section	.AMDGPU.csdata,"",@progbits
; Kernel info:
; codeLenInByte = 0
; TotalNumSgprs: 6
; NumVgprs: 0
; NumAgprs: 0
; TotalNumVgprs: 0
; ScratchSize: 0
; MemoryBound: 0
; FloatMode: 240
; IeeeMode: 1
; LDSByteSize: 0 bytes/workgroup (compile time only)
; SGPRBlocks: 0
; VGPRBlocks: 0
; NumSGPRsForWavesPerEU: 6
; NumVGPRsForWavesPerEU: 1
; AccumOffset: 4
; Occupancy: 8
; WaveLimiterHint : 0
; COMPUTE_PGM_RSRC2:SCRATCH_EN: 0
; COMPUTE_PGM_RSRC2:USER_SGPR: 2
; COMPUTE_PGM_RSRC2:TRAP_HANDLER: 0
; COMPUTE_PGM_RSRC2:TGID_X_EN: 1
; COMPUTE_PGM_RSRC2:TGID_Y_EN: 0
; COMPUTE_PGM_RSRC2:TGID_Z_EN: 0
; COMPUTE_PGM_RSRC2:TIDIG_COMP_CNT: 0
; COMPUTE_PGM_RSRC3_GFX90A:ACCUM_OFFSET: 0
; COMPUTE_PGM_RSRC3_GFX90A:TG_SPLIT: 0
	.section	.text._ZN7rocprim17ROCPRIM_400000_NS6detail17trampoline_kernelINS0_14default_configENS1_22reduce_config_selectorIdEEZNS1_11reduce_implILb1ES3_N6thrust23THRUST_200600_302600_NS6detail15normal_iteratorINS8_10device_ptrIdEEEEPffNS8_4plusIfEEEE10hipError_tPvRmT1_T2_T3_mT4_P12ihipStream_tbEUlT_E0_NS1_11comp_targetILNS1_3genE3ELNS1_11target_archE908ELNS1_3gpuE7ELNS1_3repE0EEENS1_30default_config_static_selectorELNS0_4arch9wavefront6targetE1EEEvSK_,"axG",@progbits,_ZN7rocprim17ROCPRIM_400000_NS6detail17trampoline_kernelINS0_14default_configENS1_22reduce_config_selectorIdEEZNS1_11reduce_implILb1ES3_N6thrust23THRUST_200600_302600_NS6detail15normal_iteratorINS8_10device_ptrIdEEEEPffNS8_4plusIfEEEE10hipError_tPvRmT1_T2_T3_mT4_P12ihipStream_tbEUlT_E0_NS1_11comp_targetILNS1_3genE3ELNS1_11target_archE908ELNS1_3gpuE7ELNS1_3repE0EEENS1_30default_config_static_selectorELNS0_4arch9wavefront6targetE1EEEvSK_,comdat
	.protected	_ZN7rocprim17ROCPRIM_400000_NS6detail17trampoline_kernelINS0_14default_configENS1_22reduce_config_selectorIdEEZNS1_11reduce_implILb1ES3_N6thrust23THRUST_200600_302600_NS6detail15normal_iteratorINS8_10device_ptrIdEEEEPffNS8_4plusIfEEEE10hipError_tPvRmT1_T2_T3_mT4_P12ihipStream_tbEUlT_E0_NS1_11comp_targetILNS1_3genE3ELNS1_11target_archE908ELNS1_3gpuE7ELNS1_3repE0EEENS1_30default_config_static_selectorELNS0_4arch9wavefront6targetE1EEEvSK_ ; -- Begin function _ZN7rocprim17ROCPRIM_400000_NS6detail17trampoline_kernelINS0_14default_configENS1_22reduce_config_selectorIdEEZNS1_11reduce_implILb1ES3_N6thrust23THRUST_200600_302600_NS6detail15normal_iteratorINS8_10device_ptrIdEEEEPffNS8_4plusIfEEEE10hipError_tPvRmT1_T2_T3_mT4_P12ihipStream_tbEUlT_E0_NS1_11comp_targetILNS1_3genE3ELNS1_11target_archE908ELNS1_3gpuE7ELNS1_3repE0EEENS1_30default_config_static_selectorELNS0_4arch9wavefront6targetE1EEEvSK_
	.globl	_ZN7rocprim17ROCPRIM_400000_NS6detail17trampoline_kernelINS0_14default_configENS1_22reduce_config_selectorIdEEZNS1_11reduce_implILb1ES3_N6thrust23THRUST_200600_302600_NS6detail15normal_iteratorINS8_10device_ptrIdEEEEPffNS8_4plusIfEEEE10hipError_tPvRmT1_T2_T3_mT4_P12ihipStream_tbEUlT_E0_NS1_11comp_targetILNS1_3genE3ELNS1_11target_archE908ELNS1_3gpuE7ELNS1_3repE0EEENS1_30default_config_static_selectorELNS0_4arch9wavefront6targetE1EEEvSK_
	.p2align	8
	.type	_ZN7rocprim17ROCPRIM_400000_NS6detail17trampoline_kernelINS0_14default_configENS1_22reduce_config_selectorIdEEZNS1_11reduce_implILb1ES3_N6thrust23THRUST_200600_302600_NS6detail15normal_iteratorINS8_10device_ptrIdEEEEPffNS8_4plusIfEEEE10hipError_tPvRmT1_T2_T3_mT4_P12ihipStream_tbEUlT_E0_NS1_11comp_targetILNS1_3genE3ELNS1_11target_archE908ELNS1_3gpuE7ELNS1_3repE0EEENS1_30default_config_static_selectorELNS0_4arch9wavefront6targetE1EEEvSK_,@function
_ZN7rocprim17ROCPRIM_400000_NS6detail17trampoline_kernelINS0_14default_configENS1_22reduce_config_selectorIdEEZNS1_11reduce_implILb1ES3_N6thrust23THRUST_200600_302600_NS6detail15normal_iteratorINS8_10device_ptrIdEEEEPffNS8_4plusIfEEEE10hipError_tPvRmT1_T2_T3_mT4_P12ihipStream_tbEUlT_E0_NS1_11comp_targetILNS1_3genE3ELNS1_11target_archE908ELNS1_3gpuE7ELNS1_3repE0EEENS1_30default_config_static_selectorELNS0_4arch9wavefront6targetE1EEEvSK_: ; @_ZN7rocprim17ROCPRIM_400000_NS6detail17trampoline_kernelINS0_14default_configENS1_22reduce_config_selectorIdEEZNS1_11reduce_implILb1ES3_N6thrust23THRUST_200600_302600_NS6detail15normal_iteratorINS8_10device_ptrIdEEEEPffNS8_4plusIfEEEE10hipError_tPvRmT1_T2_T3_mT4_P12ihipStream_tbEUlT_E0_NS1_11comp_targetILNS1_3genE3ELNS1_11target_archE908ELNS1_3gpuE7ELNS1_3repE0EEENS1_30default_config_static_selectorELNS0_4arch9wavefront6targetE1EEEvSK_
; %bb.0:
	.section	.rodata,"a",@progbits
	.p2align	6, 0x0
	.amdhsa_kernel _ZN7rocprim17ROCPRIM_400000_NS6detail17trampoline_kernelINS0_14default_configENS1_22reduce_config_selectorIdEEZNS1_11reduce_implILb1ES3_N6thrust23THRUST_200600_302600_NS6detail15normal_iteratorINS8_10device_ptrIdEEEEPffNS8_4plusIfEEEE10hipError_tPvRmT1_T2_T3_mT4_P12ihipStream_tbEUlT_E0_NS1_11comp_targetILNS1_3genE3ELNS1_11target_archE908ELNS1_3gpuE7ELNS1_3repE0EEENS1_30default_config_static_selectorELNS0_4arch9wavefront6targetE1EEEvSK_
		.amdhsa_group_segment_fixed_size 0
		.amdhsa_private_segment_fixed_size 0
		.amdhsa_kernarg_size 56
		.amdhsa_user_sgpr_count 2
		.amdhsa_user_sgpr_dispatch_ptr 0
		.amdhsa_user_sgpr_queue_ptr 0
		.amdhsa_user_sgpr_kernarg_segment_ptr 1
		.amdhsa_user_sgpr_dispatch_id 0
		.amdhsa_user_sgpr_kernarg_preload_length 0
		.amdhsa_user_sgpr_kernarg_preload_offset 0
		.amdhsa_user_sgpr_private_segment_size 0
		.amdhsa_uses_dynamic_stack 0
		.amdhsa_enable_private_segment 0
		.amdhsa_system_sgpr_workgroup_id_x 1
		.amdhsa_system_sgpr_workgroup_id_y 0
		.amdhsa_system_sgpr_workgroup_id_z 0
		.amdhsa_system_sgpr_workgroup_info 0
		.amdhsa_system_vgpr_workitem_id 0
		.amdhsa_next_free_vgpr 1
		.amdhsa_next_free_sgpr 0
		.amdhsa_accum_offset 4
		.amdhsa_reserve_vcc 0
		.amdhsa_float_round_mode_32 0
		.amdhsa_float_round_mode_16_64 0
		.amdhsa_float_denorm_mode_32 3
		.amdhsa_float_denorm_mode_16_64 3
		.amdhsa_dx10_clamp 1
		.amdhsa_ieee_mode 1
		.amdhsa_fp16_overflow 0
		.amdhsa_tg_split 0
		.amdhsa_exception_fp_ieee_invalid_op 0
		.amdhsa_exception_fp_denorm_src 0
		.amdhsa_exception_fp_ieee_div_zero 0
		.amdhsa_exception_fp_ieee_overflow 0
		.amdhsa_exception_fp_ieee_underflow 0
		.amdhsa_exception_fp_ieee_inexact 0
		.amdhsa_exception_int_div_zero 0
	.end_amdhsa_kernel
	.section	.text._ZN7rocprim17ROCPRIM_400000_NS6detail17trampoline_kernelINS0_14default_configENS1_22reduce_config_selectorIdEEZNS1_11reduce_implILb1ES3_N6thrust23THRUST_200600_302600_NS6detail15normal_iteratorINS8_10device_ptrIdEEEEPffNS8_4plusIfEEEE10hipError_tPvRmT1_T2_T3_mT4_P12ihipStream_tbEUlT_E0_NS1_11comp_targetILNS1_3genE3ELNS1_11target_archE908ELNS1_3gpuE7ELNS1_3repE0EEENS1_30default_config_static_selectorELNS0_4arch9wavefront6targetE1EEEvSK_,"axG",@progbits,_ZN7rocprim17ROCPRIM_400000_NS6detail17trampoline_kernelINS0_14default_configENS1_22reduce_config_selectorIdEEZNS1_11reduce_implILb1ES3_N6thrust23THRUST_200600_302600_NS6detail15normal_iteratorINS8_10device_ptrIdEEEEPffNS8_4plusIfEEEE10hipError_tPvRmT1_T2_T3_mT4_P12ihipStream_tbEUlT_E0_NS1_11comp_targetILNS1_3genE3ELNS1_11target_archE908ELNS1_3gpuE7ELNS1_3repE0EEENS1_30default_config_static_selectorELNS0_4arch9wavefront6targetE1EEEvSK_,comdat
.Lfunc_end318:
	.size	_ZN7rocprim17ROCPRIM_400000_NS6detail17trampoline_kernelINS0_14default_configENS1_22reduce_config_selectorIdEEZNS1_11reduce_implILb1ES3_N6thrust23THRUST_200600_302600_NS6detail15normal_iteratorINS8_10device_ptrIdEEEEPffNS8_4plusIfEEEE10hipError_tPvRmT1_T2_T3_mT4_P12ihipStream_tbEUlT_E0_NS1_11comp_targetILNS1_3genE3ELNS1_11target_archE908ELNS1_3gpuE7ELNS1_3repE0EEENS1_30default_config_static_selectorELNS0_4arch9wavefront6targetE1EEEvSK_, .Lfunc_end318-_ZN7rocprim17ROCPRIM_400000_NS6detail17trampoline_kernelINS0_14default_configENS1_22reduce_config_selectorIdEEZNS1_11reduce_implILb1ES3_N6thrust23THRUST_200600_302600_NS6detail15normal_iteratorINS8_10device_ptrIdEEEEPffNS8_4plusIfEEEE10hipError_tPvRmT1_T2_T3_mT4_P12ihipStream_tbEUlT_E0_NS1_11comp_targetILNS1_3genE3ELNS1_11target_archE908ELNS1_3gpuE7ELNS1_3repE0EEENS1_30default_config_static_selectorELNS0_4arch9wavefront6targetE1EEEvSK_
                                        ; -- End function
	.set _ZN7rocprim17ROCPRIM_400000_NS6detail17trampoline_kernelINS0_14default_configENS1_22reduce_config_selectorIdEEZNS1_11reduce_implILb1ES3_N6thrust23THRUST_200600_302600_NS6detail15normal_iteratorINS8_10device_ptrIdEEEEPffNS8_4plusIfEEEE10hipError_tPvRmT1_T2_T3_mT4_P12ihipStream_tbEUlT_E0_NS1_11comp_targetILNS1_3genE3ELNS1_11target_archE908ELNS1_3gpuE7ELNS1_3repE0EEENS1_30default_config_static_selectorELNS0_4arch9wavefront6targetE1EEEvSK_.num_vgpr, 0
	.set _ZN7rocprim17ROCPRIM_400000_NS6detail17trampoline_kernelINS0_14default_configENS1_22reduce_config_selectorIdEEZNS1_11reduce_implILb1ES3_N6thrust23THRUST_200600_302600_NS6detail15normal_iteratorINS8_10device_ptrIdEEEEPffNS8_4plusIfEEEE10hipError_tPvRmT1_T2_T3_mT4_P12ihipStream_tbEUlT_E0_NS1_11comp_targetILNS1_3genE3ELNS1_11target_archE908ELNS1_3gpuE7ELNS1_3repE0EEENS1_30default_config_static_selectorELNS0_4arch9wavefront6targetE1EEEvSK_.num_agpr, 0
	.set _ZN7rocprim17ROCPRIM_400000_NS6detail17trampoline_kernelINS0_14default_configENS1_22reduce_config_selectorIdEEZNS1_11reduce_implILb1ES3_N6thrust23THRUST_200600_302600_NS6detail15normal_iteratorINS8_10device_ptrIdEEEEPffNS8_4plusIfEEEE10hipError_tPvRmT1_T2_T3_mT4_P12ihipStream_tbEUlT_E0_NS1_11comp_targetILNS1_3genE3ELNS1_11target_archE908ELNS1_3gpuE7ELNS1_3repE0EEENS1_30default_config_static_selectorELNS0_4arch9wavefront6targetE1EEEvSK_.numbered_sgpr, 0
	.set _ZN7rocprim17ROCPRIM_400000_NS6detail17trampoline_kernelINS0_14default_configENS1_22reduce_config_selectorIdEEZNS1_11reduce_implILb1ES3_N6thrust23THRUST_200600_302600_NS6detail15normal_iteratorINS8_10device_ptrIdEEEEPffNS8_4plusIfEEEE10hipError_tPvRmT1_T2_T3_mT4_P12ihipStream_tbEUlT_E0_NS1_11comp_targetILNS1_3genE3ELNS1_11target_archE908ELNS1_3gpuE7ELNS1_3repE0EEENS1_30default_config_static_selectorELNS0_4arch9wavefront6targetE1EEEvSK_.num_named_barrier, 0
	.set _ZN7rocprim17ROCPRIM_400000_NS6detail17trampoline_kernelINS0_14default_configENS1_22reduce_config_selectorIdEEZNS1_11reduce_implILb1ES3_N6thrust23THRUST_200600_302600_NS6detail15normal_iteratorINS8_10device_ptrIdEEEEPffNS8_4plusIfEEEE10hipError_tPvRmT1_T2_T3_mT4_P12ihipStream_tbEUlT_E0_NS1_11comp_targetILNS1_3genE3ELNS1_11target_archE908ELNS1_3gpuE7ELNS1_3repE0EEENS1_30default_config_static_selectorELNS0_4arch9wavefront6targetE1EEEvSK_.private_seg_size, 0
	.set _ZN7rocprim17ROCPRIM_400000_NS6detail17trampoline_kernelINS0_14default_configENS1_22reduce_config_selectorIdEEZNS1_11reduce_implILb1ES3_N6thrust23THRUST_200600_302600_NS6detail15normal_iteratorINS8_10device_ptrIdEEEEPffNS8_4plusIfEEEE10hipError_tPvRmT1_T2_T3_mT4_P12ihipStream_tbEUlT_E0_NS1_11comp_targetILNS1_3genE3ELNS1_11target_archE908ELNS1_3gpuE7ELNS1_3repE0EEENS1_30default_config_static_selectorELNS0_4arch9wavefront6targetE1EEEvSK_.uses_vcc, 0
	.set _ZN7rocprim17ROCPRIM_400000_NS6detail17trampoline_kernelINS0_14default_configENS1_22reduce_config_selectorIdEEZNS1_11reduce_implILb1ES3_N6thrust23THRUST_200600_302600_NS6detail15normal_iteratorINS8_10device_ptrIdEEEEPffNS8_4plusIfEEEE10hipError_tPvRmT1_T2_T3_mT4_P12ihipStream_tbEUlT_E0_NS1_11comp_targetILNS1_3genE3ELNS1_11target_archE908ELNS1_3gpuE7ELNS1_3repE0EEENS1_30default_config_static_selectorELNS0_4arch9wavefront6targetE1EEEvSK_.uses_flat_scratch, 0
	.set _ZN7rocprim17ROCPRIM_400000_NS6detail17trampoline_kernelINS0_14default_configENS1_22reduce_config_selectorIdEEZNS1_11reduce_implILb1ES3_N6thrust23THRUST_200600_302600_NS6detail15normal_iteratorINS8_10device_ptrIdEEEEPffNS8_4plusIfEEEE10hipError_tPvRmT1_T2_T3_mT4_P12ihipStream_tbEUlT_E0_NS1_11comp_targetILNS1_3genE3ELNS1_11target_archE908ELNS1_3gpuE7ELNS1_3repE0EEENS1_30default_config_static_selectorELNS0_4arch9wavefront6targetE1EEEvSK_.has_dyn_sized_stack, 0
	.set _ZN7rocprim17ROCPRIM_400000_NS6detail17trampoline_kernelINS0_14default_configENS1_22reduce_config_selectorIdEEZNS1_11reduce_implILb1ES3_N6thrust23THRUST_200600_302600_NS6detail15normal_iteratorINS8_10device_ptrIdEEEEPffNS8_4plusIfEEEE10hipError_tPvRmT1_T2_T3_mT4_P12ihipStream_tbEUlT_E0_NS1_11comp_targetILNS1_3genE3ELNS1_11target_archE908ELNS1_3gpuE7ELNS1_3repE0EEENS1_30default_config_static_selectorELNS0_4arch9wavefront6targetE1EEEvSK_.has_recursion, 0
	.set _ZN7rocprim17ROCPRIM_400000_NS6detail17trampoline_kernelINS0_14default_configENS1_22reduce_config_selectorIdEEZNS1_11reduce_implILb1ES3_N6thrust23THRUST_200600_302600_NS6detail15normal_iteratorINS8_10device_ptrIdEEEEPffNS8_4plusIfEEEE10hipError_tPvRmT1_T2_T3_mT4_P12ihipStream_tbEUlT_E0_NS1_11comp_targetILNS1_3genE3ELNS1_11target_archE908ELNS1_3gpuE7ELNS1_3repE0EEENS1_30default_config_static_selectorELNS0_4arch9wavefront6targetE1EEEvSK_.has_indirect_call, 0
	.section	.AMDGPU.csdata,"",@progbits
; Kernel info:
; codeLenInByte = 0
; TotalNumSgprs: 6
; NumVgprs: 0
; NumAgprs: 0
; TotalNumVgprs: 0
; ScratchSize: 0
; MemoryBound: 0
; FloatMode: 240
; IeeeMode: 1
; LDSByteSize: 0 bytes/workgroup (compile time only)
; SGPRBlocks: 0
; VGPRBlocks: 0
; NumSGPRsForWavesPerEU: 6
; NumVGPRsForWavesPerEU: 1
; AccumOffset: 4
; Occupancy: 8
; WaveLimiterHint : 0
; COMPUTE_PGM_RSRC2:SCRATCH_EN: 0
; COMPUTE_PGM_RSRC2:USER_SGPR: 2
; COMPUTE_PGM_RSRC2:TRAP_HANDLER: 0
; COMPUTE_PGM_RSRC2:TGID_X_EN: 1
; COMPUTE_PGM_RSRC2:TGID_Y_EN: 0
; COMPUTE_PGM_RSRC2:TGID_Z_EN: 0
; COMPUTE_PGM_RSRC2:TIDIG_COMP_CNT: 0
; COMPUTE_PGM_RSRC3_GFX90A:ACCUM_OFFSET: 0
; COMPUTE_PGM_RSRC3_GFX90A:TG_SPLIT: 0
	.section	.text._ZN7rocprim17ROCPRIM_400000_NS6detail17trampoline_kernelINS0_14default_configENS1_22reduce_config_selectorIdEEZNS1_11reduce_implILb1ES3_N6thrust23THRUST_200600_302600_NS6detail15normal_iteratorINS8_10device_ptrIdEEEEPffNS8_4plusIfEEEE10hipError_tPvRmT1_T2_T3_mT4_P12ihipStream_tbEUlT_E0_NS1_11comp_targetILNS1_3genE2ELNS1_11target_archE906ELNS1_3gpuE6ELNS1_3repE0EEENS1_30default_config_static_selectorELNS0_4arch9wavefront6targetE1EEEvSK_,"axG",@progbits,_ZN7rocprim17ROCPRIM_400000_NS6detail17trampoline_kernelINS0_14default_configENS1_22reduce_config_selectorIdEEZNS1_11reduce_implILb1ES3_N6thrust23THRUST_200600_302600_NS6detail15normal_iteratorINS8_10device_ptrIdEEEEPffNS8_4plusIfEEEE10hipError_tPvRmT1_T2_T3_mT4_P12ihipStream_tbEUlT_E0_NS1_11comp_targetILNS1_3genE2ELNS1_11target_archE906ELNS1_3gpuE6ELNS1_3repE0EEENS1_30default_config_static_selectorELNS0_4arch9wavefront6targetE1EEEvSK_,comdat
	.protected	_ZN7rocprim17ROCPRIM_400000_NS6detail17trampoline_kernelINS0_14default_configENS1_22reduce_config_selectorIdEEZNS1_11reduce_implILb1ES3_N6thrust23THRUST_200600_302600_NS6detail15normal_iteratorINS8_10device_ptrIdEEEEPffNS8_4plusIfEEEE10hipError_tPvRmT1_T2_T3_mT4_P12ihipStream_tbEUlT_E0_NS1_11comp_targetILNS1_3genE2ELNS1_11target_archE906ELNS1_3gpuE6ELNS1_3repE0EEENS1_30default_config_static_selectorELNS0_4arch9wavefront6targetE1EEEvSK_ ; -- Begin function _ZN7rocprim17ROCPRIM_400000_NS6detail17trampoline_kernelINS0_14default_configENS1_22reduce_config_selectorIdEEZNS1_11reduce_implILb1ES3_N6thrust23THRUST_200600_302600_NS6detail15normal_iteratorINS8_10device_ptrIdEEEEPffNS8_4plusIfEEEE10hipError_tPvRmT1_T2_T3_mT4_P12ihipStream_tbEUlT_E0_NS1_11comp_targetILNS1_3genE2ELNS1_11target_archE906ELNS1_3gpuE6ELNS1_3repE0EEENS1_30default_config_static_selectorELNS0_4arch9wavefront6targetE1EEEvSK_
	.globl	_ZN7rocprim17ROCPRIM_400000_NS6detail17trampoline_kernelINS0_14default_configENS1_22reduce_config_selectorIdEEZNS1_11reduce_implILb1ES3_N6thrust23THRUST_200600_302600_NS6detail15normal_iteratorINS8_10device_ptrIdEEEEPffNS8_4plusIfEEEE10hipError_tPvRmT1_T2_T3_mT4_P12ihipStream_tbEUlT_E0_NS1_11comp_targetILNS1_3genE2ELNS1_11target_archE906ELNS1_3gpuE6ELNS1_3repE0EEENS1_30default_config_static_selectorELNS0_4arch9wavefront6targetE1EEEvSK_
	.p2align	8
	.type	_ZN7rocprim17ROCPRIM_400000_NS6detail17trampoline_kernelINS0_14default_configENS1_22reduce_config_selectorIdEEZNS1_11reduce_implILb1ES3_N6thrust23THRUST_200600_302600_NS6detail15normal_iteratorINS8_10device_ptrIdEEEEPffNS8_4plusIfEEEE10hipError_tPvRmT1_T2_T3_mT4_P12ihipStream_tbEUlT_E0_NS1_11comp_targetILNS1_3genE2ELNS1_11target_archE906ELNS1_3gpuE6ELNS1_3repE0EEENS1_30default_config_static_selectorELNS0_4arch9wavefront6targetE1EEEvSK_,@function
_ZN7rocprim17ROCPRIM_400000_NS6detail17trampoline_kernelINS0_14default_configENS1_22reduce_config_selectorIdEEZNS1_11reduce_implILb1ES3_N6thrust23THRUST_200600_302600_NS6detail15normal_iteratorINS8_10device_ptrIdEEEEPffNS8_4plusIfEEEE10hipError_tPvRmT1_T2_T3_mT4_P12ihipStream_tbEUlT_E0_NS1_11comp_targetILNS1_3genE2ELNS1_11target_archE906ELNS1_3gpuE6ELNS1_3repE0EEENS1_30default_config_static_selectorELNS0_4arch9wavefront6targetE1EEEvSK_: ; @_ZN7rocprim17ROCPRIM_400000_NS6detail17trampoline_kernelINS0_14default_configENS1_22reduce_config_selectorIdEEZNS1_11reduce_implILb1ES3_N6thrust23THRUST_200600_302600_NS6detail15normal_iteratorINS8_10device_ptrIdEEEEPffNS8_4plusIfEEEE10hipError_tPvRmT1_T2_T3_mT4_P12ihipStream_tbEUlT_E0_NS1_11comp_targetILNS1_3genE2ELNS1_11target_archE906ELNS1_3gpuE6ELNS1_3repE0EEENS1_30default_config_static_selectorELNS0_4arch9wavefront6targetE1EEEvSK_
; %bb.0:
	.section	.rodata,"a",@progbits
	.p2align	6, 0x0
	.amdhsa_kernel _ZN7rocprim17ROCPRIM_400000_NS6detail17trampoline_kernelINS0_14default_configENS1_22reduce_config_selectorIdEEZNS1_11reduce_implILb1ES3_N6thrust23THRUST_200600_302600_NS6detail15normal_iteratorINS8_10device_ptrIdEEEEPffNS8_4plusIfEEEE10hipError_tPvRmT1_T2_T3_mT4_P12ihipStream_tbEUlT_E0_NS1_11comp_targetILNS1_3genE2ELNS1_11target_archE906ELNS1_3gpuE6ELNS1_3repE0EEENS1_30default_config_static_selectorELNS0_4arch9wavefront6targetE1EEEvSK_
		.amdhsa_group_segment_fixed_size 0
		.amdhsa_private_segment_fixed_size 0
		.amdhsa_kernarg_size 56
		.amdhsa_user_sgpr_count 2
		.amdhsa_user_sgpr_dispatch_ptr 0
		.amdhsa_user_sgpr_queue_ptr 0
		.amdhsa_user_sgpr_kernarg_segment_ptr 1
		.amdhsa_user_sgpr_dispatch_id 0
		.amdhsa_user_sgpr_kernarg_preload_length 0
		.amdhsa_user_sgpr_kernarg_preload_offset 0
		.amdhsa_user_sgpr_private_segment_size 0
		.amdhsa_uses_dynamic_stack 0
		.amdhsa_enable_private_segment 0
		.amdhsa_system_sgpr_workgroup_id_x 1
		.amdhsa_system_sgpr_workgroup_id_y 0
		.amdhsa_system_sgpr_workgroup_id_z 0
		.amdhsa_system_sgpr_workgroup_info 0
		.amdhsa_system_vgpr_workitem_id 0
		.amdhsa_next_free_vgpr 1
		.amdhsa_next_free_sgpr 0
		.amdhsa_accum_offset 4
		.amdhsa_reserve_vcc 0
		.amdhsa_float_round_mode_32 0
		.amdhsa_float_round_mode_16_64 0
		.amdhsa_float_denorm_mode_32 3
		.amdhsa_float_denorm_mode_16_64 3
		.amdhsa_dx10_clamp 1
		.amdhsa_ieee_mode 1
		.amdhsa_fp16_overflow 0
		.amdhsa_tg_split 0
		.amdhsa_exception_fp_ieee_invalid_op 0
		.amdhsa_exception_fp_denorm_src 0
		.amdhsa_exception_fp_ieee_div_zero 0
		.amdhsa_exception_fp_ieee_overflow 0
		.amdhsa_exception_fp_ieee_underflow 0
		.amdhsa_exception_fp_ieee_inexact 0
		.amdhsa_exception_int_div_zero 0
	.end_amdhsa_kernel
	.section	.text._ZN7rocprim17ROCPRIM_400000_NS6detail17trampoline_kernelINS0_14default_configENS1_22reduce_config_selectorIdEEZNS1_11reduce_implILb1ES3_N6thrust23THRUST_200600_302600_NS6detail15normal_iteratorINS8_10device_ptrIdEEEEPffNS8_4plusIfEEEE10hipError_tPvRmT1_T2_T3_mT4_P12ihipStream_tbEUlT_E0_NS1_11comp_targetILNS1_3genE2ELNS1_11target_archE906ELNS1_3gpuE6ELNS1_3repE0EEENS1_30default_config_static_selectorELNS0_4arch9wavefront6targetE1EEEvSK_,"axG",@progbits,_ZN7rocprim17ROCPRIM_400000_NS6detail17trampoline_kernelINS0_14default_configENS1_22reduce_config_selectorIdEEZNS1_11reduce_implILb1ES3_N6thrust23THRUST_200600_302600_NS6detail15normal_iteratorINS8_10device_ptrIdEEEEPffNS8_4plusIfEEEE10hipError_tPvRmT1_T2_T3_mT4_P12ihipStream_tbEUlT_E0_NS1_11comp_targetILNS1_3genE2ELNS1_11target_archE906ELNS1_3gpuE6ELNS1_3repE0EEENS1_30default_config_static_selectorELNS0_4arch9wavefront6targetE1EEEvSK_,comdat
.Lfunc_end319:
	.size	_ZN7rocprim17ROCPRIM_400000_NS6detail17trampoline_kernelINS0_14default_configENS1_22reduce_config_selectorIdEEZNS1_11reduce_implILb1ES3_N6thrust23THRUST_200600_302600_NS6detail15normal_iteratorINS8_10device_ptrIdEEEEPffNS8_4plusIfEEEE10hipError_tPvRmT1_T2_T3_mT4_P12ihipStream_tbEUlT_E0_NS1_11comp_targetILNS1_3genE2ELNS1_11target_archE906ELNS1_3gpuE6ELNS1_3repE0EEENS1_30default_config_static_selectorELNS0_4arch9wavefront6targetE1EEEvSK_, .Lfunc_end319-_ZN7rocprim17ROCPRIM_400000_NS6detail17trampoline_kernelINS0_14default_configENS1_22reduce_config_selectorIdEEZNS1_11reduce_implILb1ES3_N6thrust23THRUST_200600_302600_NS6detail15normal_iteratorINS8_10device_ptrIdEEEEPffNS8_4plusIfEEEE10hipError_tPvRmT1_T2_T3_mT4_P12ihipStream_tbEUlT_E0_NS1_11comp_targetILNS1_3genE2ELNS1_11target_archE906ELNS1_3gpuE6ELNS1_3repE0EEENS1_30default_config_static_selectorELNS0_4arch9wavefront6targetE1EEEvSK_
                                        ; -- End function
	.set _ZN7rocprim17ROCPRIM_400000_NS6detail17trampoline_kernelINS0_14default_configENS1_22reduce_config_selectorIdEEZNS1_11reduce_implILb1ES3_N6thrust23THRUST_200600_302600_NS6detail15normal_iteratorINS8_10device_ptrIdEEEEPffNS8_4plusIfEEEE10hipError_tPvRmT1_T2_T3_mT4_P12ihipStream_tbEUlT_E0_NS1_11comp_targetILNS1_3genE2ELNS1_11target_archE906ELNS1_3gpuE6ELNS1_3repE0EEENS1_30default_config_static_selectorELNS0_4arch9wavefront6targetE1EEEvSK_.num_vgpr, 0
	.set _ZN7rocprim17ROCPRIM_400000_NS6detail17trampoline_kernelINS0_14default_configENS1_22reduce_config_selectorIdEEZNS1_11reduce_implILb1ES3_N6thrust23THRUST_200600_302600_NS6detail15normal_iteratorINS8_10device_ptrIdEEEEPffNS8_4plusIfEEEE10hipError_tPvRmT1_T2_T3_mT4_P12ihipStream_tbEUlT_E0_NS1_11comp_targetILNS1_3genE2ELNS1_11target_archE906ELNS1_3gpuE6ELNS1_3repE0EEENS1_30default_config_static_selectorELNS0_4arch9wavefront6targetE1EEEvSK_.num_agpr, 0
	.set _ZN7rocprim17ROCPRIM_400000_NS6detail17trampoline_kernelINS0_14default_configENS1_22reduce_config_selectorIdEEZNS1_11reduce_implILb1ES3_N6thrust23THRUST_200600_302600_NS6detail15normal_iteratorINS8_10device_ptrIdEEEEPffNS8_4plusIfEEEE10hipError_tPvRmT1_T2_T3_mT4_P12ihipStream_tbEUlT_E0_NS1_11comp_targetILNS1_3genE2ELNS1_11target_archE906ELNS1_3gpuE6ELNS1_3repE0EEENS1_30default_config_static_selectorELNS0_4arch9wavefront6targetE1EEEvSK_.numbered_sgpr, 0
	.set _ZN7rocprim17ROCPRIM_400000_NS6detail17trampoline_kernelINS0_14default_configENS1_22reduce_config_selectorIdEEZNS1_11reduce_implILb1ES3_N6thrust23THRUST_200600_302600_NS6detail15normal_iteratorINS8_10device_ptrIdEEEEPffNS8_4plusIfEEEE10hipError_tPvRmT1_T2_T3_mT4_P12ihipStream_tbEUlT_E0_NS1_11comp_targetILNS1_3genE2ELNS1_11target_archE906ELNS1_3gpuE6ELNS1_3repE0EEENS1_30default_config_static_selectorELNS0_4arch9wavefront6targetE1EEEvSK_.num_named_barrier, 0
	.set _ZN7rocprim17ROCPRIM_400000_NS6detail17trampoline_kernelINS0_14default_configENS1_22reduce_config_selectorIdEEZNS1_11reduce_implILb1ES3_N6thrust23THRUST_200600_302600_NS6detail15normal_iteratorINS8_10device_ptrIdEEEEPffNS8_4plusIfEEEE10hipError_tPvRmT1_T2_T3_mT4_P12ihipStream_tbEUlT_E0_NS1_11comp_targetILNS1_3genE2ELNS1_11target_archE906ELNS1_3gpuE6ELNS1_3repE0EEENS1_30default_config_static_selectorELNS0_4arch9wavefront6targetE1EEEvSK_.private_seg_size, 0
	.set _ZN7rocprim17ROCPRIM_400000_NS6detail17trampoline_kernelINS0_14default_configENS1_22reduce_config_selectorIdEEZNS1_11reduce_implILb1ES3_N6thrust23THRUST_200600_302600_NS6detail15normal_iteratorINS8_10device_ptrIdEEEEPffNS8_4plusIfEEEE10hipError_tPvRmT1_T2_T3_mT4_P12ihipStream_tbEUlT_E0_NS1_11comp_targetILNS1_3genE2ELNS1_11target_archE906ELNS1_3gpuE6ELNS1_3repE0EEENS1_30default_config_static_selectorELNS0_4arch9wavefront6targetE1EEEvSK_.uses_vcc, 0
	.set _ZN7rocprim17ROCPRIM_400000_NS6detail17trampoline_kernelINS0_14default_configENS1_22reduce_config_selectorIdEEZNS1_11reduce_implILb1ES3_N6thrust23THRUST_200600_302600_NS6detail15normal_iteratorINS8_10device_ptrIdEEEEPffNS8_4plusIfEEEE10hipError_tPvRmT1_T2_T3_mT4_P12ihipStream_tbEUlT_E0_NS1_11comp_targetILNS1_3genE2ELNS1_11target_archE906ELNS1_3gpuE6ELNS1_3repE0EEENS1_30default_config_static_selectorELNS0_4arch9wavefront6targetE1EEEvSK_.uses_flat_scratch, 0
	.set _ZN7rocprim17ROCPRIM_400000_NS6detail17trampoline_kernelINS0_14default_configENS1_22reduce_config_selectorIdEEZNS1_11reduce_implILb1ES3_N6thrust23THRUST_200600_302600_NS6detail15normal_iteratorINS8_10device_ptrIdEEEEPffNS8_4plusIfEEEE10hipError_tPvRmT1_T2_T3_mT4_P12ihipStream_tbEUlT_E0_NS1_11comp_targetILNS1_3genE2ELNS1_11target_archE906ELNS1_3gpuE6ELNS1_3repE0EEENS1_30default_config_static_selectorELNS0_4arch9wavefront6targetE1EEEvSK_.has_dyn_sized_stack, 0
	.set _ZN7rocprim17ROCPRIM_400000_NS6detail17trampoline_kernelINS0_14default_configENS1_22reduce_config_selectorIdEEZNS1_11reduce_implILb1ES3_N6thrust23THRUST_200600_302600_NS6detail15normal_iteratorINS8_10device_ptrIdEEEEPffNS8_4plusIfEEEE10hipError_tPvRmT1_T2_T3_mT4_P12ihipStream_tbEUlT_E0_NS1_11comp_targetILNS1_3genE2ELNS1_11target_archE906ELNS1_3gpuE6ELNS1_3repE0EEENS1_30default_config_static_selectorELNS0_4arch9wavefront6targetE1EEEvSK_.has_recursion, 0
	.set _ZN7rocprim17ROCPRIM_400000_NS6detail17trampoline_kernelINS0_14default_configENS1_22reduce_config_selectorIdEEZNS1_11reduce_implILb1ES3_N6thrust23THRUST_200600_302600_NS6detail15normal_iteratorINS8_10device_ptrIdEEEEPffNS8_4plusIfEEEE10hipError_tPvRmT1_T2_T3_mT4_P12ihipStream_tbEUlT_E0_NS1_11comp_targetILNS1_3genE2ELNS1_11target_archE906ELNS1_3gpuE6ELNS1_3repE0EEENS1_30default_config_static_selectorELNS0_4arch9wavefront6targetE1EEEvSK_.has_indirect_call, 0
	.section	.AMDGPU.csdata,"",@progbits
; Kernel info:
; codeLenInByte = 0
; TotalNumSgprs: 6
; NumVgprs: 0
; NumAgprs: 0
; TotalNumVgprs: 0
; ScratchSize: 0
; MemoryBound: 0
; FloatMode: 240
; IeeeMode: 1
; LDSByteSize: 0 bytes/workgroup (compile time only)
; SGPRBlocks: 0
; VGPRBlocks: 0
; NumSGPRsForWavesPerEU: 6
; NumVGPRsForWavesPerEU: 1
; AccumOffset: 4
; Occupancy: 8
; WaveLimiterHint : 0
; COMPUTE_PGM_RSRC2:SCRATCH_EN: 0
; COMPUTE_PGM_RSRC2:USER_SGPR: 2
; COMPUTE_PGM_RSRC2:TRAP_HANDLER: 0
; COMPUTE_PGM_RSRC2:TGID_X_EN: 1
; COMPUTE_PGM_RSRC2:TGID_Y_EN: 0
; COMPUTE_PGM_RSRC2:TGID_Z_EN: 0
; COMPUTE_PGM_RSRC2:TIDIG_COMP_CNT: 0
; COMPUTE_PGM_RSRC3_GFX90A:ACCUM_OFFSET: 0
; COMPUTE_PGM_RSRC3_GFX90A:TG_SPLIT: 0
	.section	.text._ZN7rocprim17ROCPRIM_400000_NS6detail17trampoline_kernelINS0_14default_configENS1_22reduce_config_selectorIdEEZNS1_11reduce_implILb1ES3_N6thrust23THRUST_200600_302600_NS6detail15normal_iteratorINS8_10device_ptrIdEEEEPffNS8_4plusIfEEEE10hipError_tPvRmT1_T2_T3_mT4_P12ihipStream_tbEUlT_E0_NS1_11comp_targetILNS1_3genE10ELNS1_11target_archE1201ELNS1_3gpuE5ELNS1_3repE0EEENS1_30default_config_static_selectorELNS0_4arch9wavefront6targetE1EEEvSK_,"axG",@progbits,_ZN7rocprim17ROCPRIM_400000_NS6detail17trampoline_kernelINS0_14default_configENS1_22reduce_config_selectorIdEEZNS1_11reduce_implILb1ES3_N6thrust23THRUST_200600_302600_NS6detail15normal_iteratorINS8_10device_ptrIdEEEEPffNS8_4plusIfEEEE10hipError_tPvRmT1_T2_T3_mT4_P12ihipStream_tbEUlT_E0_NS1_11comp_targetILNS1_3genE10ELNS1_11target_archE1201ELNS1_3gpuE5ELNS1_3repE0EEENS1_30default_config_static_selectorELNS0_4arch9wavefront6targetE1EEEvSK_,comdat
	.protected	_ZN7rocprim17ROCPRIM_400000_NS6detail17trampoline_kernelINS0_14default_configENS1_22reduce_config_selectorIdEEZNS1_11reduce_implILb1ES3_N6thrust23THRUST_200600_302600_NS6detail15normal_iteratorINS8_10device_ptrIdEEEEPffNS8_4plusIfEEEE10hipError_tPvRmT1_T2_T3_mT4_P12ihipStream_tbEUlT_E0_NS1_11comp_targetILNS1_3genE10ELNS1_11target_archE1201ELNS1_3gpuE5ELNS1_3repE0EEENS1_30default_config_static_selectorELNS0_4arch9wavefront6targetE1EEEvSK_ ; -- Begin function _ZN7rocprim17ROCPRIM_400000_NS6detail17trampoline_kernelINS0_14default_configENS1_22reduce_config_selectorIdEEZNS1_11reduce_implILb1ES3_N6thrust23THRUST_200600_302600_NS6detail15normal_iteratorINS8_10device_ptrIdEEEEPffNS8_4plusIfEEEE10hipError_tPvRmT1_T2_T3_mT4_P12ihipStream_tbEUlT_E0_NS1_11comp_targetILNS1_3genE10ELNS1_11target_archE1201ELNS1_3gpuE5ELNS1_3repE0EEENS1_30default_config_static_selectorELNS0_4arch9wavefront6targetE1EEEvSK_
	.globl	_ZN7rocprim17ROCPRIM_400000_NS6detail17trampoline_kernelINS0_14default_configENS1_22reduce_config_selectorIdEEZNS1_11reduce_implILb1ES3_N6thrust23THRUST_200600_302600_NS6detail15normal_iteratorINS8_10device_ptrIdEEEEPffNS8_4plusIfEEEE10hipError_tPvRmT1_T2_T3_mT4_P12ihipStream_tbEUlT_E0_NS1_11comp_targetILNS1_3genE10ELNS1_11target_archE1201ELNS1_3gpuE5ELNS1_3repE0EEENS1_30default_config_static_selectorELNS0_4arch9wavefront6targetE1EEEvSK_
	.p2align	8
	.type	_ZN7rocprim17ROCPRIM_400000_NS6detail17trampoline_kernelINS0_14default_configENS1_22reduce_config_selectorIdEEZNS1_11reduce_implILb1ES3_N6thrust23THRUST_200600_302600_NS6detail15normal_iteratorINS8_10device_ptrIdEEEEPffNS8_4plusIfEEEE10hipError_tPvRmT1_T2_T3_mT4_P12ihipStream_tbEUlT_E0_NS1_11comp_targetILNS1_3genE10ELNS1_11target_archE1201ELNS1_3gpuE5ELNS1_3repE0EEENS1_30default_config_static_selectorELNS0_4arch9wavefront6targetE1EEEvSK_,@function
_ZN7rocprim17ROCPRIM_400000_NS6detail17trampoline_kernelINS0_14default_configENS1_22reduce_config_selectorIdEEZNS1_11reduce_implILb1ES3_N6thrust23THRUST_200600_302600_NS6detail15normal_iteratorINS8_10device_ptrIdEEEEPffNS8_4plusIfEEEE10hipError_tPvRmT1_T2_T3_mT4_P12ihipStream_tbEUlT_E0_NS1_11comp_targetILNS1_3genE10ELNS1_11target_archE1201ELNS1_3gpuE5ELNS1_3repE0EEENS1_30default_config_static_selectorELNS0_4arch9wavefront6targetE1EEEvSK_: ; @_ZN7rocprim17ROCPRIM_400000_NS6detail17trampoline_kernelINS0_14default_configENS1_22reduce_config_selectorIdEEZNS1_11reduce_implILb1ES3_N6thrust23THRUST_200600_302600_NS6detail15normal_iteratorINS8_10device_ptrIdEEEEPffNS8_4plusIfEEEE10hipError_tPvRmT1_T2_T3_mT4_P12ihipStream_tbEUlT_E0_NS1_11comp_targetILNS1_3genE10ELNS1_11target_archE1201ELNS1_3gpuE5ELNS1_3repE0EEENS1_30default_config_static_selectorELNS0_4arch9wavefront6targetE1EEEvSK_
; %bb.0:
	.section	.rodata,"a",@progbits
	.p2align	6, 0x0
	.amdhsa_kernel _ZN7rocprim17ROCPRIM_400000_NS6detail17trampoline_kernelINS0_14default_configENS1_22reduce_config_selectorIdEEZNS1_11reduce_implILb1ES3_N6thrust23THRUST_200600_302600_NS6detail15normal_iteratorINS8_10device_ptrIdEEEEPffNS8_4plusIfEEEE10hipError_tPvRmT1_T2_T3_mT4_P12ihipStream_tbEUlT_E0_NS1_11comp_targetILNS1_3genE10ELNS1_11target_archE1201ELNS1_3gpuE5ELNS1_3repE0EEENS1_30default_config_static_selectorELNS0_4arch9wavefront6targetE1EEEvSK_
		.amdhsa_group_segment_fixed_size 0
		.amdhsa_private_segment_fixed_size 0
		.amdhsa_kernarg_size 56
		.amdhsa_user_sgpr_count 2
		.amdhsa_user_sgpr_dispatch_ptr 0
		.amdhsa_user_sgpr_queue_ptr 0
		.amdhsa_user_sgpr_kernarg_segment_ptr 1
		.amdhsa_user_sgpr_dispatch_id 0
		.amdhsa_user_sgpr_kernarg_preload_length 0
		.amdhsa_user_sgpr_kernarg_preload_offset 0
		.amdhsa_user_sgpr_private_segment_size 0
		.amdhsa_uses_dynamic_stack 0
		.amdhsa_enable_private_segment 0
		.amdhsa_system_sgpr_workgroup_id_x 1
		.amdhsa_system_sgpr_workgroup_id_y 0
		.amdhsa_system_sgpr_workgroup_id_z 0
		.amdhsa_system_sgpr_workgroup_info 0
		.amdhsa_system_vgpr_workitem_id 0
		.amdhsa_next_free_vgpr 1
		.amdhsa_next_free_sgpr 0
		.amdhsa_accum_offset 4
		.amdhsa_reserve_vcc 0
		.amdhsa_float_round_mode_32 0
		.amdhsa_float_round_mode_16_64 0
		.amdhsa_float_denorm_mode_32 3
		.amdhsa_float_denorm_mode_16_64 3
		.amdhsa_dx10_clamp 1
		.amdhsa_ieee_mode 1
		.amdhsa_fp16_overflow 0
		.amdhsa_tg_split 0
		.amdhsa_exception_fp_ieee_invalid_op 0
		.amdhsa_exception_fp_denorm_src 0
		.amdhsa_exception_fp_ieee_div_zero 0
		.amdhsa_exception_fp_ieee_overflow 0
		.amdhsa_exception_fp_ieee_underflow 0
		.amdhsa_exception_fp_ieee_inexact 0
		.amdhsa_exception_int_div_zero 0
	.end_amdhsa_kernel
	.section	.text._ZN7rocprim17ROCPRIM_400000_NS6detail17trampoline_kernelINS0_14default_configENS1_22reduce_config_selectorIdEEZNS1_11reduce_implILb1ES3_N6thrust23THRUST_200600_302600_NS6detail15normal_iteratorINS8_10device_ptrIdEEEEPffNS8_4plusIfEEEE10hipError_tPvRmT1_T2_T3_mT4_P12ihipStream_tbEUlT_E0_NS1_11comp_targetILNS1_3genE10ELNS1_11target_archE1201ELNS1_3gpuE5ELNS1_3repE0EEENS1_30default_config_static_selectorELNS0_4arch9wavefront6targetE1EEEvSK_,"axG",@progbits,_ZN7rocprim17ROCPRIM_400000_NS6detail17trampoline_kernelINS0_14default_configENS1_22reduce_config_selectorIdEEZNS1_11reduce_implILb1ES3_N6thrust23THRUST_200600_302600_NS6detail15normal_iteratorINS8_10device_ptrIdEEEEPffNS8_4plusIfEEEE10hipError_tPvRmT1_T2_T3_mT4_P12ihipStream_tbEUlT_E0_NS1_11comp_targetILNS1_3genE10ELNS1_11target_archE1201ELNS1_3gpuE5ELNS1_3repE0EEENS1_30default_config_static_selectorELNS0_4arch9wavefront6targetE1EEEvSK_,comdat
.Lfunc_end320:
	.size	_ZN7rocprim17ROCPRIM_400000_NS6detail17trampoline_kernelINS0_14default_configENS1_22reduce_config_selectorIdEEZNS1_11reduce_implILb1ES3_N6thrust23THRUST_200600_302600_NS6detail15normal_iteratorINS8_10device_ptrIdEEEEPffNS8_4plusIfEEEE10hipError_tPvRmT1_T2_T3_mT4_P12ihipStream_tbEUlT_E0_NS1_11comp_targetILNS1_3genE10ELNS1_11target_archE1201ELNS1_3gpuE5ELNS1_3repE0EEENS1_30default_config_static_selectorELNS0_4arch9wavefront6targetE1EEEvSK_, .Lfunc_end320-_ZN7rocprim17ROCPRIM_400000_NS6detail17trampoline_kernelINS0_14default_configENS1_22reduce_config_selectorIdEEZNS1_11reduce_implILb1ES3_N6thrust23THRUST_200600_302600_NS6detail15normal_iteratorINS8_10device_ptrIdEEEEPffNS8_4plusIfEEEE10hipError_tPvRmT1_T2_T3_mT4_P12ihipStream_tbEUlT_E0_NS1_11comp_targetILNS1_3genE10ELNS1_11target_archE1201ELNS1_3gpuE5ELNS1_3repE0EEENS1_30default_config_static_selectorELNS0_4arch9wavefront6targetE1EEEvSK_
                                        ; -- End function
	.set _ZN7rocprim17ROCPRIM_400000_NS6detail17trampoline_kernelINS0_14default_configENS1_22reduce_config_selectorIdEEZNS1_11reduce_implILb1ES3_N6thrust23THRUST_200600_302600_NS6detail15normal_iteratorINS8_10device_ptrIdEEEEPffNS8_4plusIfEEEE10hipError_tPvRmT1_T2_T3_mT4_P12ihipStream_tbEUlT_E0_NS1_11comp_targetILNS1_3genE10ELNS1_11target_archE1201ELNS1_3gpuE5ELNS1_3repE0EEENS1_30default_config_static_selectorELNS0_4arch9wavefront6targetE1EEEvSK_.num_vgpr, 0
	.set _ZN7rocprim17ROCPRIM_400000_NS6detail17trampoline_kernelINS0_14default_configENS1_22reduce_config_selectorIdEEZNS1_11reduce_implILb1ES3_N6thrust23THRUST_200600_302600_NS6detail15normal_iteratorINS8_10device_ptrIdEEEEPffNS8_4plusIfEEEE10hipError_tPvRmT1_T2_T3_mT4_P12ihipStream_tbEUlT_E0_NS1_11comp_targetILNS1_3genE10ELNS1_11target_archE1201ELNS1_3gpuE5ELNS1_3repE0EEENS1_30default_config_static_selectorELNS0_4arch9wavefront6targetE1EEEvSK_.num_agpr, 0
	.set _ZN7rocprim17ROCPRIM_400000_NS6detail17trampoline_kernelINS0_14default_configENS1_22reduce_config_selectorIdEEZNS1_11reduce_implILb1ES3_N6thrust23THRUST_200600_302600_NS6detail15normal_iteratorINS8_10device_ptrIdEEEEPffNS8_4plusIfEEEE10hipError_tPvRmT1_T2_T3_mT4_P12ihipStream_tbEUlT_E0_NS1_11comp_targetILNS1_3genE10ELNS1_11target_archE1201ELNS1_3gpuE5ELNS1_3repE0EEENS1_30default_config_static_selectorELNS0_4arch9wavefront6targetE1EEEvSK_.numbered_sgpr, 0
	.set _ZN7rocprim17ROCPRIM_400000_NS6detail17trampoline_kernelINS0_14default_configENS1_22reduce_config_selectorIdEEZNS1_11reduce_implILb1ES3_N6thrust23THRUST_200600_302600_NS6detail15normal_iteratorINS8_10device_ptrIdEEEEPffNS8_4plusIfEEEE10hipError_tPvRmT1_T2_T3_mT4_P12ihipStream_tbEUlT_E0_NS1_11comp_targetILNS1_3genE10ELNS1_11target_archE1201ELNS1_3gpuE5ELNS1_3repE0EEENS1_30default_config_static_selectorELNS0_4arch9wavefront6targetE1EEEvSK_.num_named_barrier, 0
	.set _ZN7rocprim17ROCPRIM_400000_NS6detail17trampoline_kernelINS0_14default_configENS1_22reduce_config_selectorIdEEZNS1_11reduce_implILb1ES3_N6thrust23THRUST_200600_302600_NS6detail15normal_iteratorINS8_10device_ptrIdEEEEPffNS8_4plusIfEEEE10hipError_tPvRmT1_T2_T3_mT4_P12ihipStream_tbEUlT_E0_NS1_11comp_targetILNS1_3genE10ELNS1_11target_archE1201ELNS1_3gpuE5ELNS1_3repE0EEENS1_30default_config_static_selectorELNS0_4arch9wavefront6targetE1EEEvSK_.private_seg_size, 0
	.set _ZN7rocprim17ROCPRIM_400000_NS6detail17trampoline_kernelINS0_14default_configENS1_22reduce_config_selectorIdEEZNS1_11reduce_implILb1ES3_N6thrust23THRUST_200600_302600_NS6detail15normal_iteratorINS8_10device_ptrIdEEEEPffNS8_4plusIfEEEE10hipError_tPvRmT1_T2_T3_mT4_P12ihipStream_tbEUlT_E0_NS1_11comp_targetILNS1_3genE10ELNS1_11target_archE1201ELNS1_3gpuE5ELNS1_3repE0EEENS1_30default_config_static_selectorELNS0_4arch9wavefront6targetE1EEEvSK_.uses_vcc, 0
	.set _ZN7rocprim17ROCPRIM_400000_NS6detail17trampoline_kernelINS0_14default_configENS1_22reduce_config_selectorIdEEZNS1_11reduce_implILb1ES3_N6thrust23THRUST_200600_302600_NS6detail15normal_iteratorINS8_10device_ptrIdEEEEPffNS8_4plusIfEEEE10hipError_tPvRmT1_T2_T3_mT4_P12ihipStream_tbEUlT_E0_NS1_11comp_targetILNS1_3genE10ELNS1_11target_archE1201ELNS1_3gpuE5ELNS1_3repE0EEENS1_30default_config_static_selectorELNS0_4arch9wavefront6targetE1EEEvSK_.uses_flat_scratch, 0
	.set _ZN7rocprim17ROCPRIM_400000_NS6detail17trampoline_kernelINS0_14default_configENS1_22reduce_config_selectorIdEEZNS1_11reduce_implILb1ES3_N6thrust23THRUST_200600_302600_NS6detail15normal_iteratorINS8_10device_ptrIdEEEEPffNS8_4plusIfEEEE10hipError_tPvRmT1_T2_T3_mT4_P12ihipStream_tbEUlT_E0_NS1_11comp_targetILNS1_3genE10ELNS1_11target_archE1201ELNS1_3gpuE5ELNS1_3repE0EEENS1_30default_config_static_selectorELNS0_4arch9wavefront6targetE1EEEvSK_.has_dyn_sized_stack, 0
	.set _ZN7rocprim17ROCPRIM_400000_NS6detail17trampoline_kernelINS0_14default_configENS1_22reduce_config_selectorIdEEZNS1_11reduce_implILb1ES3_N6thrust23THRUST_200600_302600_NS6detail15normal_iteratorINS8_10device_ptrIdEEEEPffNS8_4plusIfEEEE10hipError_tPvRmT1_T2_T3_mT4_P12ihipStream_tbEUlT_E0_NS1_11comp_targetILNS1_3genE10ELNS1_11target_archE1201ELNS1_3gpuE5ELNS1_3repE0EEENS1_30default_config_static_selectorELNS0_4arch9wavefront6targetE1EEEvSK_.has_recursion, 0
	.set _ZN7rocprim17ROCPRIM_400000_NS6detail17trampoline_kernelINS0_14default_configENS1_22reduce_config_selectorIdEEZNS1_11reduce_implILb1ES3_N6thrust23THRUST_200600_302600_NS6detail15normal_iteratorINS8_10device_ptrIdEEEEPffNS8_4plusIfEEEE10hipError_tPvRmT1_T2_T3_mT4_P12ihipStream_tbEUlT_E0_NS1_11comp_targetILNS1_3genE10ELNS1_11target_archE1201ELNS1_3gpuE5ELNS1_3repE0EEENS1_30default_config_static_selectorELNS0_4arch9wavefront6targetE1EEEvSK_.has_indirect_call, 0
	.section	.AMDGPU.csdata,"",@progbits
; Kernel info:
; codeLenInByte = 0
; TotalNumSgprs: 6
; NumVgprs: 0
; NumAgprs: 0
; TotalNumVgprs: 0
; ScratchSize: 0
; MemoryBound: 0
; FloatMode: 240
; IeeeMode: 1
; LDSByteSize: 0 bytes/workgroup (compile time only)
; SGPRBlocks: 0
; VGPRBlocks: 0
; NumSGPRsForWavesPerEU: 6
; NumVGPRsForWavesPerEU: 1
; AccumOffset: 4
; Occupancy: 8
; WaveLimiterHint : 0
; COMPUTE_PGM_RSRC2:SCRATCH_EN: 0
; COMPUTE_PGM_RSRC2:USER_SGPR: 2
; COMPUTE_PGM_RSRC2:TRAP_HANDLER: 0
; COMPUTE_PGM_RSRC2:TGID_X_EN: 1
; COMPUTE_PGM_RSRC2:TGID_Y_EN: 0
; COMPUTE_PGM_RSRC2:TGID_Z_EN: 0
; COMPUTE_PGM_RSRC2:TIDIG_COMP_CNT: 0
; COMPUTE_PGM_RSRC3_GFX90A:ACCUM_OFFSET: 0
; COMPUTE_PGM_RSRC3_GFX90A:TG_SPLIT: 0
	.section	.text._ZN7rocprim17ROCPRIM_400000_NS6detail17trampoline_kernelINS0_14default_configENS1_22reduce_config_selectorIdEEZNS1_11reduce_implILb1ES3_N6thrust23THRUST_200600_302600_NS6detail15normal_iteratorINS8_10device_ptrIdEEEEPffNS8_4plusIfEEEE10hipError_tPvRmT1_T2_T3_mT4_P12ihipStream_tbEUlT_E0_NS1_11comp_targetILNS1_3genE10ELNS1_11target_archE1200ELNS1_3gpuE4ELNS1_3repE0EEENS1_30default_config_static_selectorELNS0_4arch9wavefront6targetE1EEEvSK_,"axG",@progbits,_ZN7rocprim17ROCPRIM_400000_NS6detail17trampoline_kernelINS0_14default_configENS1_22reduce_config_selectorIdEEZNS1_11reduce_implILb1ES3_N6thrust23THRUST_200600_302600_NS6detail15normal_iteratorINS8_10device_ptrIdEEEEPffNS8_4plusIfEEEE10hipError_tPvRmT1_T2_T3_mT4_P12ihipStream_tbEUlT_E0_NS1_11comp_targetILNS1_3genE10ELNS1_11target_archE1200ELNS1_3gpuE4ELNS1_3repE0EEENS1_30default_config_static_selectorELNS0_4arch9wavefront6targetE1EEEvSK_,comdat
	.protected	_ZN7rocprim17ROCPRIM_400000_NS6detail17trampoline_kernelINS0_14default_configENS1_22reduce_config_selectorIdEEZNS1_11reduce_implILb1ES3_N6thrust23THRUST_200600_302600_NS6detail15normal_iteratorINS8_10device_ptrIdEEEEPffNS8_4plusIfEEEE10hipError_tPvRmT1_T2_T3_mT4_P12ihipStream_tbEUlT_E0_NS1_11comp_targetILNS1_3genE10ELNS1_11target_archE1200ELNS1_3gpuE4ELNS1_3repE0EEENS1_30default_config_static_selectorELNS0_4arch9wavefront6targetE1EEEvSK_ ; -- Begin function _ZN7rocprim17ROCPRIM_400000_NS6detail17trampoline_kernelINS0_14default_configENS1_22reduce_config_selectorIdEEZNS1_11reduce_implILb1ES3_N6thrust23THRUST_200600_302600_NS6detail15normal_iteratorINS8_10device_ptrIdEEEEPffNS8_4plusIfEEEE10hipError_tPvRmT1_T2_T3_mT4_P12ihipStream_tbEUlT_E0_NS1_11comp_targetILNS1_3genE10ELNS1_11target_archE1200ELNS1_3gpuE4ELNS1_3repE0EEENS1_30default_config_static_selectorELNS0_4arch9wavefront6targetE1EEEvSK_
	.globl	_ZN7rocprim17ROCPRIM_400000_NS6detail17trampoline_kernelINS0_14default_configENS1_22reduce_config_selectorIdEEZNS1_11reduce_implILb1ES3_N6thrust23THRUST_200600_302600_NS6detail15normal_iteratorINS8_10device_ptrIdEEEEPffNS8_4plusIfEEEE10hipError_tPvRmT1_T2_T3_mT4_P12ihipStream_tbEUlT_E0_NS1_11comp_targetILNS1_3genE10ELNS1_11target_archE1200ELNS1_3gpuE4ELNS1_3repE0EEENS1_30default_config_static_selectorELNS0_4arch9wavefront6targetE1EEEvSK_
	.p2align	8
	.type	_ZN7rocprim17ROCPRIM_400000_NS6detail17trampoline_kernelINS0_14default_configENS1_22reduce_config_selectorIdEEZNS1_11reduce_implILb1ES3_N6thrust23THRUST_200600_302600_NS6detail15normal_iteratorINS8_10device_ptrIdEEEEPffNS8_4plusIfEEEE10hipError_tPvRmT1_T2_T3_mT4_P12ihipStream_tbEUlT_E0_NS1_11comp_targetILNS1_3genE10ELNS1_11target_archE1200ELNS1_3gpuE4ELNS1_3repE0EEENS1_30default_config_static_selectorELNS0_4arch9wavefront6targetE1EEEvSK_,@function
_ZN7rocprim17ROCPRIM_400000_NS6detail17trampoline_kernelINS0_14default_configENS1_22reduce_config_selectorIdEEZNS1_11reduce_implILb1ES3_N6thrust23THRUST_200600_302600_NS6detail15normal_iteratorINS8_10device_ptrIdEEEEPffNS8_4plusIfEEEE10hipError_tPvRmT1_T2_T3_mT4_P12ihipStream_tbEUlT_E0_NS1_11comp_targetILNS1_3genE10ELNS1_11target_archE1200ELNS1_3gpuE4ELNS1_3repE0EEENS1_30default_config_static_selectorELNS0_4arch9wavefront6targetE1EEEvSK_: ; @_ZN7rocprim17ROCPRIM_400000_NS6detail17trampoline_kernelINS0_14default_configENS1_22reduce_config_selectorIdEEZNS1_11reduce_implILb1ES3_N6thrust23THRUST_200600_302600_NS6detail15normal_iteratorINS8_10device_ptrIdEEEEPffNS8_4plusIfEEEE10hipError_tPvRmT1_T2_T3_mT4_P12ihipStream_tbEUlT_E0_NS1_11comp_targetILNS1_3genE10ELNS1_11target_archE1200ELNS1_3gpuE4ELNS1_3repE0EEENS1_30default_config_static_selectorELNS0_4arch9wavefront6targetE1EEEvSK_
; %bb.0:
	.section	.rodata,"a",@progbits
	.p2align	6, 0x0
	.amdhsa_kernel _ZN7rocprim17ROCPRIM_400000_NS6detail17trampoline_kernelINS0_14default_configENS1_22reduce_config_selectorIdEEZNS1_11reduce_implILb1ES3_N6thrust23THRUST_200600_302600_NS6detail15normal_iteratorINS8_10device_ptrIdEEEEPffNS8_4plusIfEEEE10hipError_tPvRmT1_T2_T3_mT4_P12ihipStream_tbEUlT_E0_NS1_11comp_targetILNS1_3genE10ELNS1_11target_archE1200ELNS1_3gpuE4ELNS1_3repE0EEENS1_30default_config_static_selectorELNS0_4arch9wavefront6targetE1EEEvSK_
		.amdhsa_group_segment_fixed_size 0
		.amdhsa_private_segment_fixed_size 0
		.amdhsa_kernarg_size 56
		.amdhsa_user_sgpr_count 2
		.amdhsa_user_sgpr_dispatch_ptr 0
		.amdhsa_user_sgpr_queue_ptr 0
		.amdhsa_user_sgpr_kernarg_segment_ptr 1
		.amdhsa_user_sgpr_dispatch_id 0
		.amdhsa_user_sgpr_kernarg_preload_length 0
		.amdhsa_user_sgpr_kernarg_preload_offset 0
		.amdhsa_user_sgpr_private_segment_size 0
		.amdhsa_uses_dynamic_stack 0
		.amdhsa_enable_private_segment 0
		.amdhsa_system_sgpr_workgroup_id_x 1
		.amdhsa_system_sgpr_workgroup_id_y 0
		.amdhsa_system_sgpr_workgroup_id_z 0
		.amdhsa_system_sgpr_workgroup_info 0
		.amdhsa_system_vgpr_workitem_id 0
		.amdhsa_next_free_vgpr 1
		.amdhsa_next_free_sgpr 0
		.amdhsa_accum_offset 4
		.amdhsa_reserve_vcc 0
		.amdhsa_float_round_mode_32 0
		.amdhsa_float_round_mode_16_64 0
		.amdhsa_float_denorm_mode_32 3
		.amdhsa_float_denorm_mode_16_64 3
		.amdhsa_dx10_clamp 1
		.amdhsa_ieee_mode 1
		.amdhsa_fp16_overflow 0
		.amdhsa_tg_split 0
		.amdhsa_exception_fp_ieee_invalid_op 0
		.amdhsa_exception_fp_denorm_src 0
		.amdhsa_exception_fp_ieee_div_zero 0
		.amdhsa_exception_fp_ieee_overflow 0
		.amdhsa_exception_fp_ieee_underflow 0
		.amdhsa_exception_fp_ieee_inexact 0
		.amdhsa_exception_int_div_zero 0
	.end_amdhsa_kernel
	.section	.text._ZN7rocprim17ROCPRIM_400000_NS6detail17trampoline_kernelINS0_14default_configENS1_22reduce_config_selectorIdEEZNS1_11reduce_implILb1ES3_N6thrust23THRUST_200600_302600_NS6detail15normal_iteratorINS8_10device_ptrIdEEEEPffNS8_4plusIfEEEE10hipError_tPvRmT1_T2_T3_mT4_P12ihipStream_tbEUlT_E0_NS1_11comp_targetILNS1_3genE10ELNS1_11target_archE1200ELNS1_3gpuE4ELNS1_3repE0EEENS1_30default_config_static_selectorELNS0_4arch9wavefront6targetE1EEEvSK_,"axG",@progbits,_ZN7rocprim17ROCPRIM_400000_NS6detail17trampoline_kernelINS0_14default_configENS1_22reduce_config_selectorIdEEZNS1_11reduce_implILb1ES3_N6thrust23THRUST_200600_302600_NS6detail15normal_iteratorINS8_10device_ptrIdEEEEPffNS8_4plusIfEEEE10hipError_tPvRmT1_T2_T3_mT4_P12ihipStream_tbEUlT_E0_NS1_11comp_targetILNS1_3genE10ELNS1_11target_archE1200ELNS1_3gpuE4ELNS1_3repE0EEENS1_30default_config_static_selectorELNS0_4arch9wavefront6targetE1EEEvSK_,comdat
.Lfunc_end321:
	.size	_ZN7rocprim17ROCPRIM_400000_NS6detail17trampoline_kernelINS0_14default_configENS1_22reduce_config_selectorIdEEZNS1_11reduce_implILb1ES3_N6thrust23THRUST_200600_302600_NS6detail15normal_iteratorINS8_10device_ptrIdEEEEPffNS8_4plusIfEEEE10hipError_tPvRmT1_T2_T3_mT4_P12ihipStream_tbEUlT_E0_NS1_11comp_targetILNS1_3genE10ELNS1_11target_archE1200ELNS1_3gpuE4ELNS1_3repE0EEENS1_30default_config_static_selectorELNS0_4arch9wavefront6targetE1EEEvSK_, .Lfunc_end321-_ZN7rocprim17ROCPRIM_400000_NS6detail17trampoline_kernelINS0_14default_configENS1_22reduce_config_selectorIdEEZNS1_11reduce_implILb1ES3_N6thrust23THRUST_200600_302600_NS6detail15normal_iteratorINS8_10device_ptrIdEEEEPffNS8_4plusIfEEEE10hipError_tPvRmT1_T2_T3_mT4_P12ihipStream_tbEUlT_E0_NS1_11comp_targetILNS1_3genE10ELNS1_11target_archE1200ELNS1_3gpuE4ELNS1_3repE0EEENS1_30default_config_static_selectorELNS0_4arch9wavefront6targetE1EEEvSK_
                                        ; -- End function
	.set _ZN7rocprim17ROCPRIM_400000_NS6detail17trampoline_kernelINS0_14default_configENS1_22reduce_config_selectorIdEEZNS1_11reduce_implILb1ES3_N6thrust23THRUST_200600_302600_NS6detail15normal_iteratorINS8_10device_ptrIdEEEEPffNS8_4plusIfEEEE10hipError_tPvRmT1_T2_T3_mT4_P12ihipStream_tbEUlT_E0_NS1_11comp_targetILNS1_3genE10ELNS1_11target_archE1200ELNS1_3gpuE4ELNS1_3repE0EEENS1_30default_config_static_selectorELNS0_4arch9wavefront6targetE1EEEvSK_.num_vgpr, 0
	.set _ZN7rocprim17ROCPRIM_400000_NS6detail17trampoline_kernelINS0_14default_configENS1_22reduce_config_selectorIdEEZNS1_11reduce_implILb1ES3_N6thrust23THRUST_200600_302600_NS6detail15normal_iteratorINS8_10device_ptrIdEEEEPffNS8_4plusIfEEEE10hipError_tPvRmT1_T2_T3_mT4_P12ihipStream_tbEUlT_E0_NS1_11comp_targetILNS1_3genE10ELNS1_11target_archE1200ELNS1_3gpuE4ELNS1_3repE0EEENS1_30default_config_static_selectorELNS0_4arch9wavefront6targetE1EEEvSK_.num_agpr, 0
	.set _ZN7rocprim17ROCPRIM_400000_NS6detail17trampoline_kernelINS0_14default_configENS1_22reduce_config_selectorIdEEZNS1_11reduce_implILb1ES3_N6thrust23THRUST_200600_302600_NS6detail15normal_iteratorINS8_10device_ptrIdEEEEPffNS8_4plusIfEEEE10hipError_tPvRmT1_T2_T3_mT4_P12ihipStream_tbEUlT_E0_NS1_11comp_targetILNS1_3genE10ELNS1_11target_archE1200ELNS1_3gpuE4ELNS1_3repE0EEENS1_30default_config_static_selectorELNS0_4arch9wavefront6targetE1EEEvSK_.numbered_sgpr, 0
	.set _ZN7rocprim17ROCPRIM_400000_NS6detail17trampoline_kernelINS0_14default_configENS1_22reduce_config_selectorIdEEZNS1_11reduce_implILb1ES3_N6thrust23THRUST_200600_302600_NS6detail15normal_iteratorINS8_10device_ptrIdEEEEPffNS8_4plusIfEEEE10hipError_tPvRmT1_T2_T3_mT4_P12ihipStream_tbEUlT_E0_NS1_11comp_targetILNS1_3genE10ELNS1_11target_archE1200ELNS1_3gpuE4ELNS1_3repE0EEENS1_30default_config_static_selectorELNS0_4arch9wavefront6targetE1EEEvSK_.num_named_barrier, 0
	.set _ZN7rocprim17ROCPRIM_400000_NS6detail17trampoline_kernelINS0_14default_configENS1_22reduce_config_selectorIdEEZNS1_11reduce_implILb1ES3_N6thrust23THRUST_200600_302600_NS6detail15normal_iteratorINS8_10device_ptrIdEEEEPffNS8_4plusIfEEEE10hipError_tPvRmT1_T2_T3_mT4_P12ihipStream_tbEUlT_E0_NS1_11comp_targetILNS1_3genE10ELNS1_11target_archE1200ELNS1_3gpuE4ELNS1_3repE0EEENS1_30default_config_static_selectorELNS0_4arch9wavefront6targetE1EEEvSK_.private_seg_size, 0
	.set _ZN7rocprim17ROCPRIM_400000_NS6detail17trampoline_kernelINS0_14default_configENS1_22reduce_config_selectorIdEEZNS1_11reduce_implILb1ES3_N6thrust23THRUST_200600_302600_NS6detail15normal_iteratorINS8_10device_ptrIdEEEEPffNS8_4plusIfEEEE10hipError_tPvRmT1_T2_T3_mT4_P12ihipStream_tbEUlT_E0_NS1_11comp_targetILNS1_3genE10ELNS1_11target_archE1200ELNS1_3gpuE4ELNS1_3repE0EEENS1_30default_config_static_selectorELNS0_4arch9wavefront6targetE1EEEvSK_.uses_vcc, 0
	.set _ZN7rocprim17ROCPRIM_400000_NS6detail17trampoline_kernelINS0_14default_configENS1_22reduce_config_selectorIdEEZNS1_11reduce_implILb1ES3_N6thrust23THRUST_200600_302600_NS6detail15normal_iteratorINS8_10device_ptrIdEEEEPffNS8_4plusIfEEEE10hipError_tPvRmT1_T2_T3_mT4_P12ihipStream_tbEUlT_E0_NS1_11comp_targetILNS1_3genE10ELNS1_11target_archE1200ELNS1_3gpuE4ELNS1_3repE0EEENS1_30default_config_static_selectorELNS0_4arch9wavefront6targetE1EEEvSK_.uses_flat_scratch, 0
	.set _ZN7rocprim17ROCPRIM_400000_NS6detail17trampoline_kernelINS0_14default_configENS1_22reduce_config_selectorIdEEZNS1_11reduce_implILb1ES3_N6thrust23THRUST_200600_302600_NS6detail15normal_iteratorINS8_10device_ptrIdEEEEPffNS8_4plusIfEEEE10hipError_tPvRmT1_T2_T3_mT4_P12ihipStream_tbEUlT_E0_NS1_11comp_targetILNS1_3genE10ELNS1_11target_archE1200ELNS1_3gpuE4ELNS1_3repE0EEENS1_30default_config_static_selectorELNS0_4arch9wavefront6targetE1EEEvSK_.has_dyn_sized_stack, 0
	.set _ZN7rocprim17ROCPRIM_400000_NS6detail17trampoline_kernelINS0_14default_configENS1_22reduce_config_selectorIdEEZNS1_11reduce_implILb1ES3_N6thrust23THRUST_200600_302600_NS6detail15normal_iteratorINS8_10device_ptrIdEEEEPffNS8_4plusIfEEEE10hipError_tPvRmT1_T2_T3_mT4_P12ihipStream_tbEUlT_E0_NS1_11comp_targetILNS1_3genE10ELNS1_11target_archE1200ELNS1_3gpuE4ELNS1_3repE0EEENS1_30default_config_static_selectorELNS0_4arch9wavefront6targetE1EEEvSK_.has_recursion, 0
	.set _ZN7rocprim17ROCPRIM_400000_NS6detail17trampoline_kernelINS0_14default_configENS1_22reduce_config_selectorIdEEZNS1_11reduce_implILb1ES3_N6thrust23THRUST_200600_302600_NS6detail15normal_iteratorINS8_10device_ptrIdEEEEPffNS8_4plusIfEEEE10hipError_tPvRmT1_T2_T3_mT4_P12ihipStream_tbEUlT_E0_NS1_11comp_targetILNS1_3genE10ELNS1_11target_archE1200ELNS1_3gpuE4ELNS1_3repE0EEENS1_30default_config_static_selectorELNS0_4arch9wavefront6targetE1EEEvSK_.has_indirect_call, 0
	.section	.AMDGPU.csdata,"",@progbits
; Kernel info:
; codeLenInByte = 0
; TotalNumSgprs: 6
; NumVgprs: 0
; NumAgprs: 0
; TotalNumVgprs: 0
; ScratchSize: 0
; MemoryBound: 0
; FloatMode: 240
; IeeeMode: 1
; LDSByteSize: 0 bytes/workgroup (compile time only)
; SGPRBlocks: 0
; VGPRBlocks: 0
; NumSGPRsForWavesPerEU: 6
; NumVGPRsForWavesPerEU: 1
; AccumOffset: 4
; Occupancy: 8
; WaveLimiterHint : 0
; COMPUTE_PGM_RSRC2:SCRATCH_EN: 0
; COMPUTE_PGM_RSRC2:USER_SGPR: 2
; COMPUTE_PGM_RSRC2:TRAP_HANDLER: 0
; COMPUTE_PGM_RSRC2:TGID_X_EN: 1
; COMPUTE_PGM_RSRC2:TGID_Y_EN: 0
; COMPUTE_PGM_RSRC2:TGID_Z_EN: 0
; COMPUTE_PGM_RSRC2:TIDIG_COMP_CNT: 0
; COMPUTE_PGM_RSRC3_GFX90A:ACCUM_OFFSET: 0
; COMPUTE_PGM_RSRC3_GFX90A:TG_SPLIT: 0
	.section	.text._ZN7rocprim17ROCPRIM_400000_NS6detail17trampoline_kernelINS0_14default_configENS1_22reduce_config_selectorIdEEZNS1_11reduce_implILb1ES3_N6thrust23THRUST_200600_302600_NS6detail15normal_iteratorINS8_10device_ptrIdEEEEPffNS8_4plusIfEEEE10hipError_tPvRmT1_T2_T3_mT4_P12ihipStream_tbEUlT_E0_NS1_11comp_targetILNS1_3genE9ELNS1_11target_archE1100ELNS1_3gpuE3ELNS1_3repE0EEENS1_30default_config_static_selectorELNS0_4arch9wavefront6targetE1EEEvSK_,"axG",@progbits,_ZN7rocprim17ROCPRIM_400000_NS6detail17trampoline_kernelINS0_14default_configENS1_22reduce_config_selectorIdEEZNS1_11reduce_implILb1ES3_N6thrust23THRUST_200600_302600_NS6detail15normal_iteratorINS8_10device_ptrIdEEEEPffNS8_4plusIfEEEE10hipError_tPvRmT1_T2_T3_mT4_P12ihipStream_tbEUlT_E0_NS1_11comp_targetILNS1_3genE9ELNS1_11target_archE1100ELNS1_3gpuE3ELNS1_3repE0EEENS1_30default_config_static_selectorELNS0_4arch9wavefront6targetE1EEEvSK_,comdat
	.protected	_ZN7rocprim17ROCPRIM_400000_NS6detail17trampoline_kernelINS0_14default_configENS1_22reduce_config_selectorIdEEZNS1_11reduce_implILb1ES3_N6thrust23THRUST_200600_302600_NS6detail15normal_iteratorINS8_10device_ptrIdEEEEPffNS8_4plusIfEEEE10hipError_tPvRmT1_T2_T3_mT4_P12ihipStream_tbEUlT_E0_NS1_11comp_targetILNS1_3genE9ELNS1_11target_archE1100ELNS1_3gpuE3ELNS1_3repE0EEENS1_30default_config_static_selectorELNS0_4arch9wavefront6targetE1EEEvSK_ ; -- Begin function _ZN7rocprim17ROCPRIM_400000_NS6detail17trampoline_kernelINS0_14default_configENS1_22reduce_config_selectorIdEEZNS1_11reduce_implILb1ES3_N6thrust23THRUST_200600_302600_NS6detail15normal_iteratorINS8_10device_ptrIdEEEEPffNS8_4plusIfEEEE10hipError_tPvRmT1_T2_T3_mT4_P12ihipStream_tbEUlT_E0_NS1_11comp_targetILNS1_3genE9ELNS1_11target_archE1100ELNS1_3gpuE3ELNS1_3repE0EEENS1_30default_config_static_selectorELNS0_4arch9wavefront6targetE1EEEvSK_
	.globl	_ZN7rocprim17ROCPRIM_400000_NS6detail17trampoline_kernelINS0_14default_configENS1_22reduce_config_selectorIdEEZNS1_11reduce_implILb1ES3_N6thrust23THRUST_200600_302600_NS6detail15normal_iteratorINS8_10device_ptrIdEEEEPffNS8_4plusIfEEEE10hipError_tPvRmT1_T2_T3_mT4_P12ihipStream_tbEUlT_E0_NS1_11comp_targetILNS1_3genE9ELNS1_11target_archE1100ELNS1_3gpuE3ELNS1_3repE0EEENS1_30default_config_static_selectorELNS0_4arch9wavefront6targetE1EEEvSK_
	.p2align	8
	.type	_ZN7rocprim17ROCPRIM_400000_NS6detail17trampoline_kernelINS0_14default_configENS1_22reduce_config_selectorIdEEZNS1_11reduce_implILb1ES3_N6thrust23THRUST_200600_302600_NS6detail15normal_iteratorINS8_10device_ptrIdEEEEPffNS8_4plusIfEEEE10hipError_tPvRmT1_T2_T3_mT4_P12ihipStream_tbEUlT_E0_NS1_11comp_targetILNS1_3genE9ELNS1_11target_archE1100ELNS1_3gpuE3ELNS1_3repE0EEENS1_30default_config_static_selectorELNS0_4arch9wavefront6targetE1EEEvSK_,@function
_ZN7rocprim17ROCPRIM_400000_NS6detail17trampoline_kernelINS0_14default_configENS1_22reduce_config_selectorIdEEZNS1_11reduce_implILb1ES3_N6thrust23THRUST_200600_302600_NS6detail15normal_iteratorINS8_10device_ptrIdEEEEPffNS8_4plusIfEEEE10hipError_tPvRmT1_T2_T3_mT4_P12ihipStream_tbEUlT_E0_NS1_11comp_targetILNS1_3genE9ELNS1_11target_archE1100ELNS1_3gpuE3ELNS1_3repE0EEENS1_30default_config_static_selectorELNS0_4arch9wavefront6targetE1EEEvSK_: ; @_ZN7rocprim17ROCPRIM_400000_NS6detail17trampoline_kernelINS0_14default_configENS1_22reduce_config_selectorIdEEZNS1_11reduce_implILb1ES3_N6thrust23THRUST_200600_302600_NS6detail15normal_iteratorINS8_10device_ptrIdEEEEPffNS8_4plusIfEEEE10hipError_tPvRmT1_T2_T3_mT4_P12ihipStream_tbEUlT_E0_NS1_11comp_targetILNS1_3genE9ELNS1_11target_archE1100ELNS1_3gpuE3ELNS1_3repE0EEENS1_30default_config_static_selectorELNS0_4arch9wavefront6targetE1EEEvSK_
; %bb.0:
	.section	.rodata,"a",@progbits
	.p2align	6, 0x0
	.amdhsa_kernel _ZN7rocprim17ROCPRIM_400000_NS6detail17trampoline_kernelINS0_14default_configENS1_22reduce_config_selectorIdEEZNS1_11reduce_implILb1ES3_N6thrust23THRUST_200600_302600_NS6detail15normal_iteratorINS8_10device_ptrIdEEEEPffNS8_4plusIfEEEE10hipError_tPvRmT1_T2_T3_mT4_P12ihipStream_tbEUlT_E0_NS1_11comp_targetILNS1_3genE9ELNS1_11target_archE1100ELNS1_3gpuE3ELNS1_3repE0EEENS1_30default_config_static_selectorELNS0_4arch9wavefront6targetE1EEEvSK_
		.amdhsa_group_segment_fixed_size 0
		.amdhsa_private_segment_fixed_size 0
		.amdhsa_kernarg_size 56
		.amdhsa_user_sgpr_count 2
		.amdhsa_user_sgpr_dispatch_ptr 0
		.amdhsa_user_sgpr_queue_ptr 0
		.amdhsa_user_sgpr_kernarg_segment_ptr 1
		.amdhsa_user_sgpr_dispatch_id 0
		.amdhsa_user_sgpr_kernarg_preload_length 0
		.amdhsa_user_sgpr_kernarg_preload_offset 0
		.amdhsa_user_sgpr_private_segment_size 0
		.amdhsa_uses_dynamic_stack 0
		.amdhsa_enable_private_segment 0
		.amdhsa_system_sgpr_workgroup_id_x 1
		.amdhsa_system_sgpr_workgroup_id_y 0
		.amdhsa_system_sgpr_workgroup_id_z 0
		.amdhsa_system_sgpr_workgroup_info 0
		.amdhsa_system_vgpr_workitem_id 0
		.amdhsa_next_free_vgpr 1
		.amdhsa_next_free_sgpr 0
		.amdhsa_accum_offset 4
		.amdhsa_reserve_vcc 0
		.amdhsa_float_round_mode_32 0
		.amdhsa_float_round_mode_16_64 0
		.amdhsa_float_denorm_mode_32 3
		.amdhsa_float_denorm_mode_16_64 3
		.amdhsa_dx10_clamp 1
		.amdhsa_ieee_mode 1
		.amdhsa_fp16_overflow 0
		.amdhsa_tg_split 0
		.amdhsa_exception_fp_ieee_invalid_op 0
		.amdhsa_exception_fp_denorm_src 0
		.amdhsa_exception_fp_ieee_div_zero 0
		.amdhsa_exception_fp_ieee_overflow 0
		.amdhsa_exception_fp_ieee_underflow 0
		.amdhsa_exception_fp_ieee_inexact 0
		.amdhsa_exception_int_div_zero 0
	.end_amdhsa_kernel
	.section	.text._ZN7rocprim17ROCPRIM_400000_NS6detail17trampoline_kernelINS0_14default_configENS1_22reduce_config_selectorIdEEZNS1_11reduce_implILb1ES3_N6thrust23THRUST_200600_302600_NS6detail15normal_iteratorINS8_10device_ptrIdEEEEPffNS8_4plusIfEEEE10hipError_tPvRmT1_T2_T3_mT4_P12ihipStream_tbEUlT_E0_NS1_11comp_targetILNS1_3genE9ELNS1_11target_archE1100ELNS1_3gpuE3ELNS1_3repE0EEENS1_30default_config_static_selectorELNS0_4arch9wavefront6targetE1EEEvSK_,"axG",@progbits,_ZN7rocprim17ROCPRIM_400000_NS6detail17trampoline_kernelINS0_14default_configENS1_22reduce_config_selectorIdEEZNS1_11reduce_implILb1ES3_N6thrust23THRUST_200600_302600_NS6detail15normal_iteratorINS8_10device_ptrIdEEEEPffNS8_4plusIfEEEE10hipError_tPvRmT1_T2_T3_mT4_P12ihipStream_tbEUlT_E0_NS1_11comp_targetILNS1_3genE9ELNS1_11target_archE1100ELNS1_3gpuE3ELNS1_3repE0EEENS1_30default_config_static_selectorELNS0_4arch9wavefront6targetE1EEEvSK_,comdat
.Lfunc_end322:
	.size	_ZN7rocprim17ROCPRIM_400000_NS6detail17trampoline_kernelINS0_14default_configENS1_22reduce_config_selectorIdEEZNS1_11reduce_implILb1ES3_N6thrust23THRUST_200600_302600_NS6detail15normal_iteratorINS8_10device_ptrIdEEEEPffNS8_4plusIfEEEE10hipError_tPvRmT1_T2_T3_mT4_P12ihipStream_tbEUlT_E0_NS1_11comp_targetILNS1_3genE9ELNS1_11target_archE1100ELNS1_3gpuE3ELNS1_3repE0EEENS1_30default_config_static_selectorELNS0_4arch9wavefront6targetE1EEEvSK_, .Lfunc_end322-_ZN7rocprim17ROCPRIM_400000_NS6detail17trampoline_kernelINS0_14default_configENS1_22reduce_config_selectorIdEEZNS1_11reduce_implILb1ES3_N6thrust23THRUST_200600_302600_NS6detail15normal_iteratorINS8_10device_ptrIdEEEEPffNS8_4plusIfEEEE10hipError_tPvRmT1_T2_T3_mT4_P12ihipStream_tbEUlT_E0_NS1_11comp_targetILNS1_3genE9ELNS1_11target_archE1100ELNS1_3gpuE3ELNS1_3repE0EEENS1_30default_config_static_selectorELNS0_4arch9wavefront6targetE1EEEvSK_
                                        ; -- End function
	.set _ZN7rocprim17ROCPRIM_400000_NS6detail17trampoline_kernelINS0_14default_configENS1_22reduce_config_selectorIdEEZNS1_11reduce_implILb1ES3_N6thrust23THRUST_200600_302600_NS6detail15normal_iteratorINS8_10device_ptrIdEEEEPffNS8_4plusIfEEEE10hipError_tPvRmT1_T2_T3_mT4_P12ihipStream_tbEUlT_E0_NS1_11comp_targetILNS1_3genE9ELNS1_11target_archE1100ELNS1_3gpuE3ELNS1_3repE0EEENS1_30default_config_static_selectorELNS0_4arch9wavefront6targetE1EEEvSK_.num_vgpr, 0
	.set _ZN7rocprim17ROCPRIM_400000_NS6detail17trampoline_kernelINS0_14default_configENS1_22reduce_config_selectorIdEEZNS1_11reduce_implILb1ES3_N6thrust23THRUST_200600_302600_NS6detail15normal_iteratorINS8_10device_ptrIdEEEEPffNS8_4plusIfEEEE10hipError_tPvRmT1_T2_T3_mT4_P12ihipStream_tbEUlT_E0_NS1_11comp_targetILNS1_3genE9ELNS1_11target_archE1100ELNS1_3gpuE3ELNS1_3repE0EEENS1_30default_config_static_selectorELNS0_4arch9wavefront6targetE1EEEvSK_.num_agpr, 0
	.set _ZN7rocprim17ROCPRIM_400000_NS6detail17trampoline_kernelINS0_14default_configENS1_22reduce_config_selectorIdEEZNS1_11reduce_implILb1ES3_N6thrust23THRUST_200600_302600_NS6detail15normal_iteratorINS8_10device_ptrIdEEEEPffNS8_4plusIfEEEE10hipError_tPvRmT1_T2_T3_mT4_P12ihipStream_tbEUlT_E0_NS1_11comp_targetILNS1_3genE9ELNS1_11target_archE1100ELNS1_3gpuE3ELNS1_3repE0EEENS1_30default_config_static_selectorELNS0_4arch9wavefront6targetE1EEEvSK_.numbered_sgpr, 0
	.set _ZN7rocprim17ROCPRIM_400000_NS6detail17trampoline_kernelINS0_14default_configENS1_22reduce_config_selectorIdEEZNS1_11reduce_implILb1ES3_N6thrust23THRUST_200600_302600_NS6detail15normal_iteratorINS8_10device_ptrIdEEEEPffNS8_4plusIfEEEE10hipError_tPvRmT1_T2_T3_mT4_P12ihipStream_tbEUlT_E0_NS1_11comp_targetILNS1_3genE9ELNS1_11target_archE1100ELNS1_3gpuE3ELNS1_3repE0EEENS1_30default_config_static_selectorELNS0_4arch9wavefront6targetE1EEEvSK_.num_named_barrier, 0
	.set _ZN7rocprim17ROCPRIM_400000_NS6detail17trampoline_kernelINS0_14default_configENS1_22reduce_config_selectorIdEEZNS1_11reduce_implILb1ES3_N6thrust23THRUST_200600_302600_NS6detail15normal_iteratorINS8_10device_ptrIdEEEEPffNS8_4plusIfEEEE10hipError_tPvRmT1_T2_T3_mT4_P12ihipStream_tbEUlT_E0_NS1_11comp_targetILNS1_3genE9ELNS1_11target_archE1100ELNS1_3gpuE3ELNS1_3repE0EEENS1_30default_config_static_selectorELNS0_4arch9wavefront6targetE1EEEvSK_.private_seg_size, 0
	.set _ZN7rocprim17ROCPRIM_400000_NS6detail17trampoline_kernelINS0_14default_configENS1_22reduce_config_selectorIdEEZNS1_11reduce_implILb1ES3_N6thrust23THRUST_200600_302600_NS6detail15normal_iteratorINS8_10device_ptrIdEEEEPffNS8_4plusIfEEEE10hipError_tPvRmT1_T2_T3_mT4_P12ihipStream_tbEUlT_E0_NS1_11comp_targetILNS1_3genE9ELNS1_11target_archE1100ELNS1_3gpuE3ELNS1_3repE0EEENS1_30default_config_static_selectorELNS0_4arch9wavefront6targetE1EEEvSK_.uses_vcc, 0
	.set _ZN7rocprim17ROCPRIM_400000_NS6detail17trampoline_kernelINS0_14default_configENS1_22reduce_config_selectorIdEEZNS1_11reduce_implILb1ES3_N6thrust23THRUST_200600_302600_NS6detail15normal_iteratorINS8_10device_ptrIdEEEEPffNS8_4plusIfEEEE10hipError_tPvRmT1_T2_T3_mT4_P12ihipStream_tbEUlT_E0_NS1_11comp_targetILNS1_3genE9ELNS1_11target_archE1100ELNS1_3gpuE3ELNS1_3repE0EEENS1_30default_config_static_selectorELNS0_4arch9wavefront6targetE1EEEvSK_.uses_flat_scratch, 0
	.set _ZN7rocprim17ROCPRIM_400000_NS6detail17trampoline_kernelINS0_14default_configENS1_22reduce_config_selectorIdEEZNS1_11reduce_implILb1ES3_N6thrust23THRUST_200600_302600_NS6detail15normal_iteratorINS8_10device_ptrIdEEEEPffNS8_4plusIfEEEE10hipError_tPvRmT1_T2_T3_mT4_P12ihipStream_tbEUlT_E0_NS1_11comp_targetILNS1_3genE9ELNS1_11target_archE1100ELNS1_3gpuE3ELNS1_3repE0EEENS1_30default_config_static_selectorELNS0_4arch9wavefront6targetE1EEEvSK_.has_dyn_sized_stack, 0
	.set _ZN7rocprim17ROCPRIM_400000_NS6detail17trampoline_kernelINS0_14default_configENS1_22reduce_config_selectorIdEEZNS1_11reduce_implILb1ES3_N6thrust23THRUST_200600_302600_NS6detail15normal_iteratorINS8_10device_ptrIdEEEEPffNS8_4plusIfEEEE10hipError_tPvRmT1_T2_T3_mT4_P12ihipStream_tbEUlT_E0_NS1_11comp_targetILNS1_3genE9ELNS1_11target_archE1100ELNS1_3gpuE3ELNS1_3repE0EEENS1_30default_config_static_selectorELNS0_4arch9wavefront6targetE1EEEvSK_.has_recursion, 0
	.set _ZN7rocprim17ROCPRIM_400000_NS6detail17trampoline_kernelINS0_14default_configENS1_22reduce_config_selectorIdEEZNS1_11reduce_implILb1ES3_N6thrust23THRUST_200600_302600_NS6detail15normal_iteratorINS8_10device_ptrIdEEEEPffNS8_4plusIfEEEE10hipError_tPvRmT1_T2_T3_mT4_P12ihipStream_tbEUlT_E0_NS1_11comp_targetILNS1_3genE9ELNS1_11target_archE1100ELNS1_3gpuE3ELNS1_3repE0EEENS1_30default_config_static_selectorELNS0_4arch9wavefront6targetE1EEEvSK_.has_indirect_call, 0
	.section	.AMDGPU.csdata,"",@progbits
; Kernel info:
; codeLenInByte = 0
; TotalNumSgprs: 6
; NumVgprs: 0
; NumAgprs: 0
; TotalNumVgprs: 0
; ScratchSize: 0
; MemoryBound: 0
; FloatMode: 240
; IeeeMode: 1
; LDSByteSize: 0 bytes/workgroup (compile time only)
; SGPRBlocks: 0
; VGPRBlocks: 0
; NumSGPRsForWavesPerEU: 6
; NumVGPRsForWavesPerEU: 1
; AccumOffset: 4
; Occupancy: 8
; WaveLimiterHint : 0
; COMPUTE_PGM_RSRC2:SCRATCH_EN: 0
; COMPUTE_PGM_RSRC2:USER_SGPR: 2
; COMPUTE_PGM_RSRC2:TRAP_HANDLER: 0
; COMPUTE_PGM_RSRC2:TGID_X_EN: 1
; COMPUTE_PGM_RSRC2:TGID_Y_EN: 0
; COMPUTE_PGM_RSRC2:TGID_Z_EN: 0
; COMPUTE_PGM_RSRC2:TIDIG_COMP_CNT: 0
; COMPUTE_PGM_RSRC3_GFX90A:ACCUM_OFFSET: 0
; COMPUTE_PGM_RSRC3_GFX90A:TG_SPLIT: 0
	.section	.text._ZN7rocprim17ROCPRIM_400000_NS6detail17trampoline_kernelINS0_14default_configENS1_22reduce_config_selectorIdEEZNS1_11reduce_implILb1ES3_N6thrust23THRUST_200600_302600_NS6detail15normal_iteratorINS8_10device_ptrIdEEEEPffNS8_4plusIfEEEE10hipError_tPvRmT1_T2_T3_mT4_P12ihipStream_tbEUlT_E0_NS1_11comp_targetILNS1_3genE8ELNS1_11target_archE1030ELNS1_3gpuE2ELNS1_3repE0EEENS1_30default_config_static_selectorELNS0_4arch9wavefront6targetE1EEEvSK_,"axG",@progbits,_ZN7rocprim17ROCPRIM_400000_NS6detail17trampoline_kernelINS0_14default_configENS1_22reduce_config_selectorIdEEZNS1_11reduce_implILb1ES3_N6thrust23THRUST_200600_302600_NS6detail15normal_iteratorINS8_10device_ptrIdEEEEPffNS8_4plusIfEEEE10hipError_tPvRmT1_T2_T3_mT4_P12ihipStream_tbEUlT_E0_NS1_11comp_targetILNS1_3genE8ELNS1_11target_archE1030ELNS1_3gpuE2ELNS1_3repE0EEENS1_30default_config_static_selectorELNS0_4arch9wavefront6targetE1EEEvSK_,comdat
	.protected	_ZN7rocprim17ROCPRIM_400000_NS6detail17trampoline_kernelINS0_14default_configENS1_22reduce_config_selectorIdEEZNS1_11reduce_implILb1ES3_N6thrust23THRUST_200600_302600_NS6detail15normal_iteratorINS8_10device_ptrIdEEEEPffNS8_4plusIfEEEE10hipError_tPvRmT1_T2_T3_mT4_P12ihipStream_tbEUlT_E0_NS1_11comp_targetILNS1_3genE8ELNS1_11target_archE1030ELNS1_3gpuE2ELNS1_3repE0EEENS1_30default_config_static_selectorELNS0_4arch9wavefront6targetE1EEEvSK_ ; -- Begin function _ZN7rocprim17ROCPRIM_400000_NS6detail17trampoline_kernelINS0_14default_configENS1_22reduce_config_selectorIdEEZNS1_11reduce_implILb1ES3_N6thrust23THRUST_200600_302600_NS6detail15normal_iteratorINS8_10device_ptrIdEEEEPffNS8_4plusIfEEEE10hipError_tPvRmT1_T2_T3_mT4_P12ihipStream_tbEUlT_E0_NS1_11comp_targetILNS1_3genE8ELNS1_11target_archE1030ELNS1_3gpuE2ELNS1_3repE0EEENS1_30default_config_static_selectorELNS0_4arch9wavefront6targetE1EEEvSK_
	.globl	_ZN7rocprim17ROCPRIM_400000_NS6detail17trampoline_kernelINS0_14default_configENS1_22reduce_config_selectorIdEEZNS1_11reduce_implILb1ES3_N6thrust23THRUST_200600_302600_NS6detail15normal_iteratorINS8_10device_ptrIdEEEEPffNS8_4plusIfEEEE10hipError_tPvRmT1_T2_T3_mT4_P12ihipStream_tbEUlT_E0_NS1_11comp_targetILNS1_3genE8ELNS1_11target_archE1030ELNS1_3gpuE2ELNS1_3repE0EEENS1_30default_config_static_selectorELNS0_4arch9wavefront6targetE1EEEvSK_
	.p2align	8
	.type	_ZN7rocprim17ROCPRIM_400000_NS6detail17trampoline_kernelINS0_14default_configENS1_22reduce_config_selectorIdEEZNS1_11reduce_implILb1ES3_N6thrust23THRUST_200600_302600_NS6detail15normal_iteratorINS8_10device_ptrIdEEEEPffNS8_4plusIfEEEE10hipError_tPvRmT1_T2_T3_mT4_P12ihipStream_tbEUlT_E0_NS1_11comp_targetILNS1_3genE8ELNS1_11target_archE1030ELNS1_3gpuE2ELNS1_3repE0EEENS1_30default_config_static_selectorELNS0_4arch9wavefront6targetE1EEEvSK_,@function
_ZN7rocprim17ROCPRIM_400000_NS6detail17trampoline_kernelINS0_14default_configENS1_22reduce_config_selectorIdEEZNS1_11reduce_implILb1ES3_N6thrust23THRUST_200600_302600_NS6detail15normal_iteratorINS8_10device_ptrIdEEEEPffNS8_4plusIfEEEE10hipError_tPvRmT1_T2_T3_mT4_P12ihipStream_tbEUlT_E0_NS1_11comp_targetILNS1_3genE8ELNS1_11target_archE1030ELNS1_3gpuE2ELNS1_3repE0EEENS1_30default_config_static_selectorELNS0_4arch9wavefront6targetE1EEEvSK_: ; @_ZN7rocprim17ROCPRIM_400000_NS6detail17trampoline_kernelINS0_14default_configENS1_22reduce_config_selectorIdEEZNS1_11reduce_implILb1ES3_N6thrust23THRUST_200600_302600_NS6detail15normal_iteratorINS8_10device_ptrIdEEEEPffNS8_4plusIfEEEE10hipError_tPvRmT1_T2_T3_mT4_P12ihipStream_tbEUlT_E0_NS1_11comp_targetILNS1_3genE8ELNS1_11target_archE1030ELNS1_3gpuE2ELNS1_3repE0EEENS1_30default_config_static_selectorELNS0_4arch9wavefront6targetE1EEEvSK_
; %bb.0:
	.section	.rodata,"a",@progbits
	.p2align	6, 0x0
	.amdhsa_kernel _ZN7rocprim17ROCPRIM_400000_NS6detail17trampoline_kernelINS0_14default_configENS1_22reduce_config_selectorIdEEZNS1_11reduce_implILb1ES3_N6thrust23THRUST_200600_302600_NS6detail15normal_iteratorINS8_10device_ptrIdEEEEPffNS8_4plusIfEEEE10hipError_tPvRmT1_T2_T3_mT4_P12ihipStream_tbEUlT_E0_NS1_11comp_targetILNS1_3genE8ELNS1_11target_archE1030ELNS1_3gpuE2ELNS1_3repE0EEENS1_30default_config_static_selectorELNS0_4arch9wavefront6targetE1EEEvSK_
		.amdhsa_group_segment_fixed_size 0
		.amdhsa_private_segment_fixed_size 0
		.amdhsa_kernarg_size 56
		.amdhsa_user_sgpr_count 2
		.amdhsa_user_sgpr_dispatch_ptr 0
		.amdhsa_user_sgpr_queue_ptr 0
		.amdhsa_user_sgpr_kernarg_segment_ptr 1
		.amdhsa_user_sgpr_dispatch_id 0
		.amdhsa_user_sgpr_kernarg_preload_length 0
		.amdhsa_user_sgpr_kernarg_preload_offset 0
		.amdhsa_user_sgpr_private_segment_size 0
		.amdhsa_uses_dynamic_stack 0
		.amdhsa_enable_private_segment 0
		.amdhsa_system_sgpr_workgroup_id_x 1
		.amdhsa_system_sgpr_workgroup_id_y 0
		.amdhsa_system_sgpr_workgroup_id_z 0
		.amdhsa_system_sgpr_workgroup_info 0
		.amdhsa_system_vgpr_workitem_id 0
		.amdhsa_next_free_vgpr 1
		.amdhsa_next_free_sgpr 0
		.amdhsa_accum_offset 4
		.amdhsa_reserve_vcc 0
		.amdhsa_float_round_mode_32 0
		.amdhsa_float_round_mode_16_64 0
		.amdhsa_float_denorm_mode_32 3
		.amdhsa_float_denorm_mode_16_64 3
		.amdhsa_dx10_clamp 1
		.amdhsa_ieee_mode 1
		.amdhsa_fp16_overflow 0
		.amdhsa_tg_split 0
		.amdhsa_exception_fp_ieee_invalid_op 0
		.amdhsa_exception_fp_denorm_src 0
		.amdhsa_exception_fp_ieee_div_zero 0
		.amdhsa_exception_fp_ieee_overflow 0
		.amdhsa_exception_fp_ieee_underflow 0
		.amdhsa_exception_fp_ieee_inexact 0
		.amdhsa_exception_int_div_zero 0
	.end_amdhsa_kernel
	.section	.text._ZN7rocprim17ROCPRIM_400000_NS6detail17trampoline_kernelINS0_14default_configENS1_22reduce_config_selectorIdEEZNS1_11reduce_implILb1ES3_N6thrust23THRUST_200600_302600_NS6detail15normal_iteratorINS8_10device_ptrIdEEEEPffNS8_4plusIfEEEE10hipError_tPvRmT1_T2_T3_mT4_P12ihipStream_tbEUlT_E0_NS1_11comp_targetILNS1_3genE8ELNS1_11target_archE1030ELNS1_3gpuE2ELNS1_3repE0EEENS1_30default_config_static_selectorELNS0_4arch9wavefront6targetE1EEEvSK_,"axG",@progbits,_ZN7rocprim17ROCPRIM_400000_NS6detail17trampoline_kernelINS0_14default_configENS1_22reduce_config_selectorIdEEZNS1_11reduce_implILb1ES3_N6thrust23THRUST_200600_302600_NS6detail15normal_iteratorINS8_10device_ptrIdEEEEPffNS8_4plusIfEEEE10hipError_tPvRmT1_T2_T3_mT4_P12ihipStream_tbEUlT_E0_NS1_11comp_targetILNS1_3genE8ELNS1_11target_archE1030ELNS1_3gpuE2ELNS1_3repE0EEENS1_30default_config_static_selectorELNS0_4arch9wavefront6targetE1EEEvSK_,comdat
.Lfunc_end323:
	.size	_ZN7rocprim17ROCPRIM_400000_NS6detail17trampoline_kernelINS0_14default_configENS1_22reduce_config_selectorIdEEZNS1_11reduce_implILb1ES3_N6thrust23THRUST_200600_302600_NS6detail15normal_iteratorINS8_10device_ptrIdEEEEPffNS8_4plusIfEEEE10hipError_tPvRmT1_T2_T3_mT4_P12ihipStream_tbEUlT_E0_NS1_11comp_targetILNS1_3genE8ELNS1_11target_archE1030ELNS1_3gpuE2ELNS1_3repE0EEENS1_30default_config_static_selectorELNS0_4arch9wavefront6targetE1EEEvSK_, .Lfunc_end323-_ZN7rocprim17ROCPRIM_400000_NS6detail17trampoline_kernelINS0_14default_configENS1_22reduce_config_selectorIdEEZNS1_11reduce_implILb1ES3_N6thrust23THRUST_200600_302600_NS6detail15normal_iteratorINS8_10device_ptrIdEEEEPffNS8_4plusIfEEEE10hipError_tPvRmT1_T2_T3_mT4_P12ihipStream_tbEUlT_E0_NS1_11comp_targetILNS1_3genE8ELNS1_11target_archE1030ELNS1_3gpuE2ELNS1_3repE0EEENS1_30default_config_static_selectorELNS0_4arch9wavefront6targetE1EEEvSK_
                                        ; -- End function
	.set _ZN7rocprim17ROCPRIM_400000_NS6detail17trampoline_kernelINS0_14default_configENS1_22reduce_config_selectorIdEEZNS1_11reduce_implILb1ES3_N6thrust23THRUST_200600_302600_NS6detail15normal_iteratorINS8_10device_ptrIdEEEEPffNS8_4plusIfEEEE10hipError_tPvRmT1_T2_T3_mT4_P12ihipStream_tbEUlT_E0_NS1_11comp_targetILNS1_3genE8ELNS1_11target_archE1030ELNS1_3gpuE2ELNS1_3repE0EEENS1_30default_config_static_selectorELNS0_4arch9wavefront6targetE1EEEvSK_.num_vgpr, 0
	.set _ZN7rocprim17ROCPRIM_400000_NS6detail17trampoline_kernelINS0_14default_configENS1_22reduce_config_selectorIdEEZNS1_11reduce_implILb1ES3_N6thrust23THRUST_200600_302600_NS6detail15normal_iteratorINS8_10device_ptrIdEEEEPffNS8_4plusIfEEEE10hipError_tPvRmT1_T2_T3_mT4_P12ihipStream_tbEUlT_E0_NS1_11comp_targetILNS1_3genE8ELNS1_11target_archE1030ELNS1_3gpuE2ELNS1_3repE0EEENS1_30default_config_static_selectorELNS0_4arch9wavefront6targetE1EEEvSK_.num_agpr, 0
	.set _ZN7rocprim17ROCPRIM_400000_NS6detail17trampoline_kernelINS0_14default_configENS1_22reduce_config_selectorIdEEZNS1_11reduce_implILb1ES3_N6thrust23THRUST_200600_302600_NS6detail15normal_iteratorINS8_10device_ptrIdEEEEPffNS8_4plusIfEEEE10hipError_tPvRmT1_T2_T3_mT4_P12ihipStream_tbEUlT_E0_NS1_11comp_targetILNS1_3genE8ELNS1_11target_archE1030ELNS1_3gpuE2ELNS1_3repE0EEENS1_30default_config_static_selectorELNS0_4arch9wavefront6targetE1EEEvSK_.numbered_sgpr, 0
	.set _ZN7rocprim17ROCPRIM_400000_NS6detail17trampoline_kernelINS0_14default_configENS1_22reduce_config_selectorIdEEZNS1_11reduce_implILb1ES3_N6thrust23THRUST_200600_302600_NS6detail15normal_iteratorINS8_10device_ptrIdEEEEPffNS8_4plusIfEEEE10hipError_tPvRmT1_T2_T3_mT4_P12ihipStream_tbEUlT_E0_NS1_11comp_targetILNS1_3genE8ELNS1_11target_archE1030ELNS1_3gpuE2ELNS1_3repE0EEENS1_30default_config_static_selectorELNS0_4arch9wavefront6targetE1EEEvSK_.num_named_barrier, 0
	.set _ZN7rocprim17ROCPRIM_400000_NS6detail17trampoline_kernelINS0_14default_configENS1_22reduce_config_selectorIdEEZNS1_11reduce_implILb1ES3_N6thrust23THRUST_200600_302600_NS6detail15normal_iteratorINS8_10device_ptrIdEEEEPffNS8_4plusIfEEEE10hipError_tPvRmT1_T2_T3_mT4_P12ihipStream_tbEUlT_E0_NS1_11comp_targetILNS1_3genE8ELNS1_11target_archE1030ELNS1_3gpuE2ELNS1_3repE0EEENS1_30default_config_static_selectorELNS0_4arch9wavefront6targetE1EEEvSK_.private_seg_size, 0
	.set _ZN7rocprim17ROCPRIM_400000_NS6detail17trampoline_kernelINS0_14default_configENS1_22reduce_config_selectorIdEEZNS1_11reduce_implILb1ES3_N6thrust23THRUST_200600_302600_NS6detail15normal_iteratorINS8_10device_ptrIdEEEEPffNS8_4plusIfEEEE10hipError_tPvRmT1_T2_T3_mT4_P12ihipStream_tbEUlT_E0_NS1_11comp_targetILNS1_3genE8ELNS1_11target_archE1030ELNS1_3gpuE2ELNS1_3repE0EEENS1_30default_config_static_selectorELNS0_4arch9wavefront6targetE1EEEvSK_.uses_vcc, 0
	.set _ZN7rocprim17ROCPRIM_400000_NS6detail17trampoline_kernelINS0_14default_configENS1_22reduce_config_selectorIdEEZNS1_11reduce_implILb1ES3_N6thrust23THRUST_200600_302600_NS6detail15normal_iteratorINS8_10device_ptrIdEEEEPffNS8_4plusIfEEEE10hipError_tPvRmT1_T2_T3_mT4_P12ihipStream_tbEUlT_E0_NS1_11comp_targetILNS1_3genE8ELNS1_11target_archE1030ELNS1_3gpuE2ELNS1_3repE0EEENS1_30default_config_static_selectorELNS0_4arch9wavefront6targetE1EEEvSK_.uses_flat_scratch, 0
	.set _ZN7rocprim17ROCPRIM_400000_NS6detail17trampoline_kernelINS0_14default_configENS1_22reduce_config_selectorIdEEZNS1_11reduce_implILb1ES3_N6thrust23THRUST_200600_302600_NS6detail15normal_iteratorINS8_10device_ptrIdEEEEPffNS8_4plusIfEEEE10hipError_tPvRmT1_T2_T3_mT4_P12ihipStream_tbEUlT_E0_NS1_11comp_targetILNS1_3genE8ELNS1_11target_archE1030ELNS1_3gpuE2ELNS1_3repE0EEENS1_30default_config_static_selectorELNS0_4arch9wavefront6targetE1EEEvSK_.has_dyn_sized_stack, 0
	.set _ZN7rocprim17ROCPRIM_400000_NS6detail17trampoline_kernelINS0_14default_configENS1_22reduce_config_selectorIdEEZNS1_11reduce_implILb1ES3_N6thrust23THRUST_200600_302600_NS6detail15normal_iteratorINS8_10device_ptrIdEEEEPffNS8_4plusIfEEEE10hipError_tPvRmT1_T2_T3_mT4_P12ihipStream_tbEUlT_E0_NS1_11comp_targetILNS1_3genE8ELNS1_11target_archE1030ELNS1_3gpuE2ELNS1_3repE0EEENS1_30default_config_static_selectorELNS0_4arch9wavefront6targetE1EEEvSK_.has_recursion, 0
	.set _ZN7rocprim17ROCPRIM_400000_NS6detail17trampoline_kernelINS0_14default_configENS1_22reduce_config_selectorIdEEZNS1_11reduce_implILb1ES3_N6thrust23THRUST_200600_302600_NS6detail15normal_iteratorINS8_10device_ptrIdEEEEPffNS8_4plusIfEEEE10hipError_tPvRmT1_T2_T3_mT4_P12ihipStream_tbEUlT_E0_NS1_11comp_targetILNS1_3genE8ELNS1_11target_archE1030ELNS1_3gpuE2ELNS1_3repE0EEENS1_30default_config_static_selectorELNS0_4arch9wavefront6targetE1EEEvSK_.has_indirect_call, 0
	.section	.AMDGPU.csdata,"",@progbits
; Kernel info:
; codeLenInByte = 0
; TotalNumSgprs: 6
; NumVgprs: 0
; NumAgprs: 0
; TotalNumVgprs: 0
; ScratchSize: 0
; MemoryBound: 0
; FloatMode: 240
; IeeeMode: 1
; LDSByteSize: 0 bytes/workgroup (compile time only)
; SGPRBlocks: 0
; VGPRBlocks: 0
; NumSGPRsForWavesPerEU: 6
; NumVGPRsForWavesPerEU: 1
; AccumOffset: 4
; Occupancy: 8
; WaveLimiterHint : 0
; COMPUTE_PGM_RSRC2:SCRATCH_EN: 0
; COMPUTE_PGM_RSRC2:USER_SGPR: 2
; COMPUTE_PGM_RSRC2:TRAP_HANDLER: 0
; COMPUTE_PGM_RSRC2:TGID_X_EN: 1
; COMPUTE_PGM_RSRC2:TGID_Y_EN: 0
; COMPUTE_PGM_RSRC2:TGID_Z_EN: 0
; COMPUTE_PGM_RSRC2:TIDIG_COMP_CNT: 0
; COMPUTE_PGM_RSRC3_GFX90A:ACCUM_OFFSET: 0
; COMPUTE_PGM_RSRC3_GFX90A:TG_SPLIT: 0
	.section	.text._ZN7rocprim17ROCPRIM_400000_NS6detail17trampoline_kernelINS0_14default_configENS1_22reduce_config_selectorIdEEZNS1_11reduce_implILb1ES3_N6thrust23THRUST_200600_302600_NS6detail15normal_iteratorINS8_10device_ptrIdEEEEPffNS8_4plusIfEEEE10hipError_tPvRmT1_T2_T3_mT4_P12ihipStream_tbEUlT_E1_NS1_11comp_targetILNS1_3genE0ELNS1_11target_archE4294967295ELNS1_3gpuE0ELNS1_3repE0EEENS1_30default_config_static_selectorELNS0_4arch9wavefront6targetE1EEEvSK_,"axG",@progbits,_ZN7rocprim17ROCPRIM_400000_NS6detail17trampoline_kernelINS0_14default_configENS1_22reduce_config_selectorIdEEZNS1_11reduce_implILb1ES3_N6thrust23THRUST_200600_302600_NS6detail15normal_iteratorINS8_10device_ptrIdEEEEPffNS8_4plusIfEEEE10hipError_tPvRmT1_T2_T3_mT4_P12ihipStream_tbEUlT_E1_NS1_11comp_targetILNS1_3genE0ELNS1_11target_archE4294967295ELNS1_3gpuE0ELNS1_3repE0EEENS1_30default_config_static_selectorELNS0_4arch9wavefront6targetE1EEEvSK_,comdat
	.protected	_ZN7rocprim17ROCPRIM_400000_NS6detail17trampoline_kernelINS0_14default_configENS1_22reduce_config_selectorIdEEZNS1_11reduce_implILb1ES3_N6thrust23THRUST_200600_302600_NS6detail15normal_iteratorINS8_10device_ptrIdEEEEPffNS8_4plusIfEEEE10hipError_tPvRmT1_T2_T3_mT4_P12ihipStream_tbEUlT_E1_NS1_11comp_targetILNS1_3genE0ELNS1_11target_archE4294967295ELNS1_3gpuE0ELNS1_3repE0EEENS1_30default_config_static_selectorELNS0_4arch9wavefront6targetE1EEEvSK_ ; -- Begin function _ZN7rocprim17ROCPRIM_400000_NS6detail17trampoline_kernelINS0_14default_configENS1_22reduce_config_selectorIdEEZNS1_11reduce_implILb1ES3_N6thrust23THRUST_200600_302600_NS6detail15normal_iteratorINS8_10device_ptrIdEEEEPffNS8_4plusIfEEEE10hipError_tPvRmT1_T2_T3_mT4_P12ihipStream_tbEUlT_E1_NS1_11comp_targetILNS1_3genE0ELNS1_11target_archE4294967295ELNS1_3gpuE0ELNS1_3repE0EEENS1_30default_config_static_selectorELNS0_4arch9wavefront6targetE1EEEvSK_
	.globl	_ZN7rocprim17ROCPRIM_400000_NS6detail17trampoline_kernelINS0_14default_configENS1_22reduce_config_selectorIdEEZNS1_11reduce_implILb1ES3_N6thrust23THRUST_200600_302600_NS6detail15normal_iteratorINS8_10device_ptrIdEEEEPffNS8_4plusIfEEEE10hipError_tPvRmT1_T2_T3_mT4_P12ihipStream_tbEUlT_E1_NS1_11comp_targetILNS1_3genE0ELNS1_11target_archE4294967295ELNS1_3gpuE0ELNS1_3repE0EEENS1_30default_config_static_selectorELNS0_4arch9wavefront6targetE1EEEvSK_
	.p2align	8
	.type	_ZN7rocprim17ROCPRIM_400000_NS6detail17trampoline_kernelINS0_14default_configENS1_22reduce_config_selectorIdEEZNS1_11reduce_implILb1ES3_N6thrust23THRUST_200600_302600_NS6detail15normal_iteratorINS8_10device_ptrIdEEEEPffNS8_4plusIfEEEE10hipError_tPvRmT1_T2_T3_mT4_P12ihipStream_tbEUlT_E1_NS1_11comp_targetILNS1_3genE0ELNS1_11target_archE4294967295ELNS1_3gpuE0ELNS1_3repE0EEENS1_30default_config_static_selectorELNS0_4arch9wavefront6targetE1EEEvSK_,@function
_ZN7rocprim17ROCPRIM_400000_NS6detail17trampoline_kernelINS0_14default_configENS1_22reduce_config_selectorIdEEZNS1_11reduce_implILb1ES3_N6thrust23THRUST_200600_302600_NS6detail15normal_iteratorINS8_10device_ptrIdEEEEPffNS8_4plusIfEEEE10hipError_tPvRmT1_T2_T3_mT4_P12ihipStream_tbEUlT_E1_NS1_11comp_targetILNS1_3genE0ELNS1_11target_archE4294967295ELNS1_3gpuE0ELNS1_3repE0EEENS1_30default_config_static_selectorELNS0_4arch9wavefront6targetE1EEEvSK_: ; @_ZN7rocprim17ROCPRIM_400000_NS6detail17trampoline_kernelINS0_14default_configENS1_22reduce_config_selectorIdEEZNS1_11reduce_implILb1ES3_N6thrust23THRUST_200600_302600_NS6detail15normal_iteratorINS8_10device_ptrIdEEEEPffNS8_4plusIfEEEE10hipError_tPvRmT1_T2_T3_mT4_P12ihipStream_tbEUlT_E1_NS1_11comp_targetILNS1_3genE0ELNS1_11target_archE4294967295ELNS1_3gpuE0ELNS1_3repE0EEENS1_30default_config_static_selectorELNS0_4arch9wavefront6targetE1EEEvSK_
; %bb.0:
	s_load_dword s33, s[0:1], 0x4
	s_load_dwordx4 s[36:39], s[0:1], 0x8
	s_waitcnt lgkmcnt(0)
	s_cmp_lt_i32 s33, 4
	s_cbranch_scc1 .LBB324_11
; %bb.1:
	s_cmp_gt_i32 s33, 7
	s_cbranch_scc0 .LBB324_12
; %bb.2:
	s_cmp_gt_i32 s33, 15
	s_cbranch_scc0 .LBB324_13
; %bb.3:
	s_cmp_eq_u32 s33, 16
	s_mov_b64 s[34:35], 0
	s_cbranch_scc0 .LBB324_14
; %bb.4:
	s_mov_b32 s3, 0
	s_lshl_b32 s4, s2, 12
	s_mov_b32 s5, s3
	s_lshr_b64 s[6:7], s[38:39], 12
	s_lshl_b64 s[8:9], s[4:5], 3
	s_add_u32 s40, s36, s8
	s_addc_u32 s41, s37, s9
	s_cmp_lg_u64 s[6:7], s[2:3]
	s_cbranch_scc0 .LBB324_23
; %bb.5:
	v_lshlrev_b32_e32 v2, 3, v0
	v_mov_b32_e32 v3, 0
	v_lshl_add_u64 v[4:5], s[40:41], 0, v[2:3]
	global_load_dwordx2 v[6:7], v2, s[40:41]
	global_load_dwordx2 v[8:9], v2, s[40:41] offset:2048
	v_add_co_u32_e32 v2, vcc, 0x1000, v4
	v_mbcnt_lo_u32_b32 v1, -1, 0
	s_nop 0
	v_addc_co_u32_e32 v3, vcc, 0, v5, vcc
	v_add_co_u32_e32 v10, vcc, 0x2000, v4
	s_nop 1
	v_addc_co_u32_e32 v11, vcc, 0, v5, vcc
	global_load_dwordx2 v[12:13], v[2:3], off
	global_load_dwordx2 v[14:15], v[2:3], off offset:2048
	global_load_dwordx2 v[16:17], v[10:11], off
	global_load_dwordx2 v[18:19], v[10:11], off offset:2048
	v_add_co_u32_e32 v2, vcc, 0x3000, v4
	s_nop 1
	v_addc_co_u32_e32 v3, vcc, 0, v5, vcc
	v_add_co_u32_e32 v10, vcc, 0x4000, v4
	s_nop 1
	v_addc_co_u32_e32 v11, vcc, 0, v5, vcc
	global_load_dwordx2 v[20:21], v[2:3], off
	global_load_dwordx2 v[22:23], v[2:3], off offset:2048
	global_load_dwordx2 v[24:25], v[10:11], off
	global_load_dwordx2 v[26:27], v[10:11], off offset:2048
	v_add_co_u32_e32 v2, vcc, 0x5000, v4
	;; [unrolled: 10-line block ×3, first 2 shown]
	s_nop 1
	v_addc_co_u32_e32 v3, vcc, 0, v5, vcc
	global_load_dwordx2 v[4:5], v[2:3], off
	global_load_dwordx2 v[10:11], v[2:3], off offset:2048
	v_mbcnt_hi_u32_b32 v2, -1, v1
	v_lshlrev_b32_e32 v3, 2, v2
	v_cmp_eq_u32_e32 vcc, 0, v2
	s_waitcnt vmcnt(15)
	v_cvt_f32_f64_e32 v1, v[6:7]
	s_waitcnt vmcnt(14)
	v_cvt_f32_f64_e32 v6, v[8:9]
	v_add_f32_e32 v1, v1, v6
	s_waitcnt vmcnt(13)
	v_cvt_f32_f64_e32 v6, v[12:13]
	s_waitcnt vmcnt(12)
	v_cvt_f32_f64_e32 v7, v[14:15]
	v_add_f32_e32 v1, v1, v6
	s_waitcnt vmcnt(11)
	v_cvt_f32_f64_e32 v8, v[16:17]
	v_add_f32_e32 v1, v1, v7
	s_waitcnt vmcnt(10)
	v_cvt_f32_f64_e32 v9, v[18:19]
	v_add_f32_e32 v1, v1, v8
	v_add_f32_e32 v1, v1, v9
	s_waitcnt vmcnt(9)
	v_cvt_f32_f64_e32 v6, v[20:21]
	s_waitcnt vmcnt(8)
	v_cvt_f32_f64_e32 v12, v[22:23]
	v_add_f32_e32 v1, v1, v6
	s_waitcnt vmcnt(7)
	v_cvt_f32_f64_e32 v7, v[24:25]
	v_add_f32_e32 v1, v1, v12
	s_waitcnt vmcnt(6)
	v_cvt_f32_f64_e32 v13, v[26:27]
	v_add_f32_e32 v1, v1, v7
	v_add_f32_e32 v1, v1, v13
	s_waitcnt vmcnt(5)
	v_cvt_f32_f64_e32 v8, v[28:29]
	s_waitcnt vmcnt(4)
	v_cvt_f32_f64_e32 v14, v[30:31]
	v_add_f32_e32 v1, v1, v8
	s_waitcnt vmcnt(3)
	v_cvt_f32_f64_e32 v9, v[32:33]
	v_add_f32_e32 v1, v1, v14
	s_waitcnt vmcnt(2)
	v_cvt_f32_f64_e32 v15, v[34:35]
	v_add_f32_e32 v1, v1, v9
	v_add_f32_e32 v1, v1, v15
	s_waitcnt vmcnt(1)
	v_cvt_f32_f64_e32 v4, v[4:5]
	s_waitcnt vmcnt(0)
	v_cvt_f32_f64_e32 v5, v[10:11]
	v_add_f32_e32 v1, v1, v4
	v_add_f32_e32 v1, v1, v5
	v_or_b32_e32 v4, 0xfc, v3
	s_nop 0
	v_add_f32_dpp v1, v1, v1 quad_perm:[1,0,3,2] row_mask:0xf bank_mask:0xf bound_ctrl:1
	s_nop 1
	v_add_f32_dpp v1, v1, v1 quad_perm:[2,3,0,1] row_mask:0xf bank_mask:0xf bound_ctrl:1
	s_nop 1
	v_add_f32_dpp v1, v1, v1 row_ror:4 row_mask:0xf bank_mask:0xf bound_ctrl:1
	s_nop 1
	v_add_f32_dpp v1, v1, v1 row_ror:8 row_mask:0xf bank_mask:0xf bound_ctrl:1
	s_nop 1
	v_add_f32_dpp v1, v1, v1 row_bcast:15 row_mask:0xf bank_mask:0xf bound_ctrl:1
	s_nop 1
	v_add_f32_dpp v1, v1, v1 row_bcast:31 row_mask:0xf bank_mask:0xf bound_ctrl:1
	ds_bpermute_b32 v1, v4, v1
	s_and_saveexec_b64 s[6:7], vcc
	s_cbranch_execz .LBB324_7
; %bb.6:
	v_lshrrev_b32_e32 v4, 4, v0
	v_and_b32_e32 v4, 12, v4
	s_waitcnt lgkmcnt(0)
	ds_write_b32 v4, v1
.LBB324_7:
	s_or_b64 exec, exec, s[6:7]
	v_cmp_gt_u32_e32 vcc, 64, v0
	s_waitcnt lgkmcnt(0)
	s_barrier
	s_and_saveexec_b64 s[6:7], vcc
	s_cbranch_execz .LBB324_9
; %bb.8:
	v_and_b32_e32 v1, 3, v2
	v_lshlrev_b32_e32 v4, 2, v1
	ds_read_b32 v4, v4
	v_cmp_ne_u32_e32 vcc, 3, v1
	s_nop 1
	v_addc_co_u32_e32 v1, vcc, 0, v2, vcc
	v_lshlrev_b32_e32 v1, 2, v1
	s_waitcnt lgkmcnt(0)
	ds_bpermute_b32 v1, v1, v4
	v_or_b32_e32 v2, 8, v3
	s_waitcnt lgkmcnt(0)
	v_add_f32_e32 v1, v4, v1
	ds_bpermute_b32 v2, v2, v1
	s_waitcnt lgkmcnt(0)
	v_add_f32_e32 v1, v1, v2
.LBB324_9:
	s_or_b64 exec, exec, s[6:7]
.LBB324_10:
	v_cmp_eq_u32_e64 s[4:5], 0, v0
	s_and_b64 vcc, exec, s[34:35]
	s_cbranch_vccnz .LBB324_15
	s_branch .LBB324_61
.LBB324_11:
	s_mov_b64 s[4:5], 0
                                        ; implicit-def: $vgpr1
	s_cbranch_execnz .LBB324_110
	s_branch .LBB324_140
.LBB324_12:
	s_mov_b64 s[4:5], 0
                                        ; implicit-def: $vgpr1
	s_cbranch_execnz .LBB324_86
	s_branch .LBB324_94
.LBB324_13:
	s_mov_b64 s[34:35], -1
.LBB324_14:
	s_mov_b64 s[4:5], 0
                                        ; implicit-def: $vgpr1
	s_and_b64 vcc, exec, s[34:35]
	s_cbranch_vccz .LBB324_61
.LBB324_15:
	s_cmp_eq_u32 s33, 8
	s_cbranch_scc0 .LBB324_22
; %bb.16:
	s_mov_b32 s3, 0
	s_lshl_b32 s4, s2, 11
	s_mov_b32 s5, s3
	s_lshr_b64 s[6:7], s[38:39], 11
	s_lshl_b64 s[8:9], s[4:5], 3
	s_add_u32 s16, s36, s8
	s_addc_u32 s17, s37, s9
	s_cmp_lg_u64 s[6:7], s[2:3]
	s_cbranch_scc0 .LBB324_62
; %bb.17:
	v_lshlrev_b32_e32 v2, 3, v0
	v_mov_b32_e32 v3, 0
	v_lshl_add_u64 v[4:5], s[16:17], 0, v[2:3]
	global_load_dwordx2 v[6:7], v2, s[16:17]
	global_load_dwordx2 v[8:9], v2, s[16:17] offset:2048
	v_add_co_u32_e32 v2, vcc, 0x1000, v4
	v_mbcnt_lo_u32_b32 v1, -1, 0
	s_nop 0
	v_addc_co_u32_e32 v3, vcc, 0, v5, vcc
	v_add_co_u32_e32 v10, vcc, 0x2000, v4
	s_nop 1
	v_addc_co_u32_e32 v11, vcc, 0, v5, vcc
	global_load_dwordx2 v[12:13], v[2:3], off
	global_load_dwordx2 v[14:15], v[2:3], off offset:2048
	global_load_dwordx2 v[16:17], v[10:11], off
	global_load_dwordx2 v[18:19], v[10:11], off offset:2048
	v_add_co_u32_e32 v2, vcc, 0x3000, v4
	s_nop 1
	v_addc_co_u32_e32 v3, vcc, 0, v5, vcc
	global_load_dwordx2 v[4:5], v[2:3], off
	global_load_dwordx2 v[10:11], v[2:3], off offset:2048
	v_mbcnt_hi_u32_b32 v2, -1, v1
	v_lshlrev_b32_e32 v3, 2, v2
	v_cmp_eq_u32_e32 vcc, 0, v2
	s_waitcnt vmcnt(7)
	v_cvt_f32_f64_e32 v1, v[6:7]
	s_waitcnt vmcnt(6)
	v_cvt_f32_f64_e32 v6, v[8:9]
	v_add_f32_e32 v1, v1, v6
	s_waitcnt vmcnt(5)
	v_cvt_f32_f64_e32 v6, v[12:13]
	s_waitcnt vmcnt(4)
	v_cvt_f32_f64_e32 v7, v[14:15]
	v_add_f32_e32 v1, v1, v6
	s_waitcnt vmcnt(3)
	v_cvt_f32_f64_e32 v8, v[16:17]
	v_add_f32_e32 v1, v1, v7
	;; [unrolled: 3-line block ×3, first 2 shown]
	v_add_f32_e32 v1, v1, v9
	s_waitcnt vmcnt(1)
	v_cvt_f32_f64_e32 v4, v[4:5]
	s_waitcnt vmcnt(0)
	v_cvt_f32_f64_e32 v5, v[10:11]
	v_add_f32_e32 v1, v1, v4
	v_add_f32_e32 v1, v1, v5
	v_or_b32_e32 v4, 0xfc, v3
	s_nop 0
	v_add_f32_dpp v1, v1, v1 quad_perm:[1,0,3,2] row_mask:0xf bank_mask:0xf bound_ctrl:1
	s_nop 1
	v_add_f32_dpp v1, v1, v1 quad_perm:[2,3,0,1] row_mask:0xf bank_mask:0xf bound_ctrl:1
	s_nop 1
	v_add_f32_dpp v1, v1, v1 row_ror:4 row_mask:0xf bank_mask:0xf bound_ctrl:1
	s_nop 1
	v_add_f32_dpp v1, v1, v1 row_ror:8 row_mask:0xf bank_mask:0xf bound_ctrl:1
	s_nop 1
	v_add_f32_dpp v1, v1, v1 row_bcast:15 row_mask:0xf bank_mask:0xf bound_ctrl:1
	s_nop 1
	v_add_f32_dpp v1, v1, v1 row_bcast:31 row_mask:0xf bank_mask:0xf bound_ctrl:1
	ds_bpermute_b32 v1, v4, v1
	s_and_saveexec_b64 s[6:7], vcc
	s_cbranch_execz .LBB324_19
; %bb.18:
	v_lshrrev_b32_e32 v4, 4, v0
	v_and_b32_e32 v4, 12, v4
	s_waitcnt lgkmcnt(0)
	ds_write_b32 v4, v1 offset:64
.LBB324_19:
	s_or_b64 exec, exec, s[6:7]
	v_cmp_gt_u32_e32 vcc, 64, v0
	s_waitcnt lgkmcnt(0)
	s_barrier
	s_and_saveexec_b64 s[6:7], vcc
	s_cbranch_execz .LBB324_21
; %bb.20:
	v_and_b32_e32 v1, 3, v2
	v_lshlrev_b32_e32 v4, 2, v1
	ds_read_b32 v4, v4 offset:64
	v_cmp_ne_u32_e32 vcc, 3, v1
	s_nop 1
	v_addc_co_u32_e32 v1, vcc, 0, v2, vcc
	v_lshlrev_b32_e32 v1, 2, v1
	s_waitcnt lgkmcnt(0)
	ds_bpermute_b32 v1, v1, v4
	v_or_b32_e32 v2, 8, v3
	s_waitcnt lgkmcnt(0)
	v_add_f32_e32 v1, v4, v1
	ds_bpermute_b32 v2, v2, v1
	s_waitcnt lgkmcnt(0)
	v_add_f32_e32 v1, v1, v2
.LBB324_21:
	s_or_b64 exec, exec, s[6:7]
	s_mov_b64 s[6:7], 0
	s_branch .LBB324_63
.LBB324_22:
                                        ; implicit-def: $vgpr1
	s_branch .LBB324_94
.LBB324_23:
                                        ; implicit-def: $vgpr1
	s_cbranch_execz .LBB324_10
; %bb.24:
	s_sub_i32 s44, s38, s4
	v_mov_b32_e32 v2, 0
	v_cmp_gt_u32_e32 vcc, s44, v0
	v_mov_b32_e32 v3, v2
	v_mov_b32_e32 v4, v2
	;; [unrolled: 1-line block ×15, first 2 shown]
	s_and_saveexec_b64 s[4:5], vcc
	s_cbranch_execz .LBB324_26
; %bb.25:
	v_lshlrev_b32_e32 v1, 3, v0
	global_load_dwordx2 v[20:21], v1, s[40:41]
	v_mov_b32_e32 v5, v2
	v_mov_b32_e32 v6, v2
	;; [unrolled: 1-line block ×15, first 2 shown]
	s_waitcnt vmcnt(0)
	v_cvt_f32_f64_e32 v4, v[20:21]
	v_mov_b64_e32 v[2:3], v[4:5]
	v_mov_b64_e32 v[4:5], v[6:7]
	;; [unrolled: 1-line block ×8, first 2 shown]
.LBB324_26:
	s_or_b64 exec, exec, s[4:5]
	v_or_b32_e32 v1, 0x100, v0
	v_cmp_gt_u32_e32 vcc, s44, v1
	s_and_saveexec_b64 s[4:5], vcc
	s_cbranch_execz .LBB324_28
; %bb.27:
	v_lshlrev_b32_e32 v1, 3, v0
	global_load_dwordx2 v[18:19], v1, s[40:41] offset:2048
	s_waitcnt vmcnt(0)
	v_cvt_f32_f64_e32 v3, v[18:19]
.LBB324_28:
	s_or_b64 exec, exec, s[4:5]
	v_or_b32_e32 v1, 0x200, v0
	v_cmp_gt_u32_e64 s[4:5], s44, v1
	s_and_saveexec_b64 s[6:7], s[4:5]
	s_cbranch_execz .LBB324_30
; %bb.29:
	v_lshlrev_b32_e32 v1, 3, v1
	global_load_dwordx2 v[18:19], v1, s[40:41]
	s_waitcnt vmcnt(0)
	v_cvt_f32_f64_e32 v4, v[18:19]
.LBB324_30:
	s_or_b64 exec, exec, s[6:7]
	v_or_b32_e32 v1, 0x300, v0
	v_cmp_gt_u32_e64 s[6:7], s44, v1
	s_and_saveexec_b64 s[8:9], s[6:7]
	s_cbranch_execz .LBB324_32
; %bb.31:
	v_lshlrev_b32_e32 v1, 3, v1
	global_load_dwordx2 v[18:19], v1, s[40:41]
	s_waitcnt vmcnt(0)
	v_cvt_f32_f64_e32 v5, v[18:19]
.LBB324_32:
	;; [unrolled: 11-line block ×14, first 2 shown]
	s_or_b64 exec, exec, s[42:43]
	v_add_f32_e32 v1, v2, v3
	v_cndmask_b32_e32 v1, v2, v1, vcc
	v_add_f32_e32 v2, v4, v1
	v_cndmask_b32_e64 v1, v1, v2, s[4:5]
	v_add_f32_e32 v2, v5, v1
	v_cndmask_b32_e64 v1, v1, v2, s[6:7]
	;; [unrolled: 2-line block ×14, first 2 shown]
	v_mbcnt_lo_u32_b32 v2, -1, 0
	v_mbcnt_hi_u32_b32 v2, -1, v2
	v_and_b32_e32 v4, 63, v2
	v_cmp_ne_u32_e32 vcc, 63, v4
	s_min_u32 s8, s44, 0x100
	v_and_b32_e32 v5, 0xc0, v0
	v_addc_co_u32_e32 v3, vcc, 0, v2, vcc
	v_lshlrev_b32_e32 v3, 2, v3
	ds_bpermute_b32 v3, v3, v1
	v_sub_u32_e64 v5, s8, v5 clamp
	v_add_u32_e32 v6, 1, v4
	v_cmp_gt_u32_e64 s[4:5], 62, v4
	v_cmp_lt_u32_e32 vcc, v6, v5
	s_waitcnt lgkmcnt(0)
	v_add_f32_e32 v3, v1, v3
	v_cndmask_b32_e64 v6, 0, 2, s[4:5]
	v_cndmask_b32_e32 v3, v1, v3, vcc
	v_add_lshl_u32 v6, v6, v2, 2
	ds_bpermute_b32 v6, v6, v3
	v_add_u32_e32 v7, 2, v4
	v_cmp_lt_u32_e64 s[4:5], v7, v5
	v_add_u32_e32 v7, 4, v4
	s_waitcnt lgkmcnt(0)
	v_add_f32_e32 v6, v3, v6
	v_cndmask_b32_e64 v3, v3, v6, s[4:5]
	v_cmp_gt_u32_e64 s[4:5], 60, v4
	s_nop 1
	v_cndmask_b32_e64 v6, 0, 4, s[4:5]
	v_add_lshl_u32 v6, v6, v2, 2
	ds_bpermute_b32 v6, v6, v3
	v_cmp_lt_u32_e64 s[4:5], v7, v5
	v_add_u32_e32 v7, 8, v4
	s_waitcnt lgkmcnt(0)
	v_add_f32_e32 v6, v3, v6
	v_cndmask_b32_e64 v3, v3, v6, s[4:5]
	v_cmp_gt_u32_e64 s[4:5], 56, v4
	s_nop 1
	v_cndmask_b32_e64 v6, 0, 8, s[4:5]
	v_add_lshl_u32 v6, v6, v2, 2
	ds_bpermute_b32 v6, v6, v3
	v_cmp_lt_u32_e64 s[4:5], v7, v5
	v_add_u32_e32 v7, 16, v4
	s_waitcnt lgkmcnt(0)
	v_add_f32_e32 v6, v3, v6
	v_cndmask_b32_e64 v3, v3, v6, s[4:5]
	v_cmp_gt_u32_e64 s[4:5], 48, v4
	v_add_u32_e32 v4, 32, v4
	s_nop 0
	v_cndmask_b32_e64 v6, 0, 16, s[4:5]
	v_add_lshl_u32 v6, v6, v2, 2
	ds_bpermute_b32 v6, v6, v3
	v_cmp_lt_u32_e64 s[4:5], v7, v5
	s_waitcnt lgkmcnt(0)
	v_add_f32_e32 v6, v3, v6
	v_cndmask_b32_e64 v6, v3, v6, s[4:5]
	v_lshlrev_b32_e32 v3, 2, v2
	v_or_b32_e32 v7, 0x80, v3
	ds_bpermute_b32 v7, v7, v6
	v_cmp_lt_u32_e64 s[4:5], v4, v5
	s_waitcnt lgkmcnt(0)
	v_add_f32_e32 v7, v6, v7
	v_cndmask_b32_e64 v4, v6, v7, s[4:5]
	v_cndmask_b32_e32 v1, v1, v4, vcc
	v_cmp_eq_u32_e32 vcc, 0, v2
	s_and_saveexec_b64 s[4:5], vcc
; %bb.57:
	v_lshrrev_b32_e32 v4, 4, v0
	v_and_b32_e32 v4, 12, v4
	ds_write_b32 v4, v1 offset:80
; %bb.58:
	s_or_b64 exec, exec, s[4:5]
	v_cmp_gt_u32_e32 vcc, 4, v0
	s_waitcnt lgkmcnt(0)
	s_barrier
	s_and_saveexec_b64 s[6:7], vcc
	s_cbranch_execz .LBB324_60
; %bb.59:
	ds_read_b32 v1, v3 offset:80
	v_and_b32_e32 v4, 3, v2
	v_cmp_ne_u32_e32 vcc, 3, v4
	s_add_i32 s8, s8, 63
	s_lshr_b32 s4, s8, 6
	v_addc_co_u32_e32 v2, vcc, 0, v2, vcc
	v_lshlrev_b32_e32 v2, 2, v2
	s_waitcnt lgkmcnt(0)
	ds_bpermute_b32 v2, v2, v1
	v_add_u32_e32 v5, 1, v4
	v_cmp_gt_u32_e32 vcc, s4, v5
	v_or_b32_e32 v3, 8, v3
	v_add_u32_e32 v4, 2, v4
	s_waitcnt lgkmcnt(0)
	v_add_f32_e32 v2, v1, v2
	v_cndmask_b32_e32 v2, v1, v2, vcc
	ds_bpermute_b32 v3, v3, v2
	v_cmp_gt_u32_e64 s[4:5], s4, v4
	s_waitcnt lgkmcnt(0)
	v_add_f32_e32 v3, v2, v3
	v_cndmask_b32_e64 v2, v2, v3, s[4:5]
	v_cndmask_b32_e32 v1, v1, v2, vcc
.LBB324_60:
	s_or_b64 exec, exec, s[6:7]
	v_cmp_eq_u32_e64 s[4:5], 0, v0
	s_and_b64 vcc, exec, s[34:35]
	s_cbranch_vccnz .LBB324_15
.LBB324_61:
	s_branch .LBB324_94
.LBB324_62:
	s_mov_b64 s[6:7], -1
                                        ; implicit-def: $vgpr1
.LBB324_63:
	s_and_b64 vcc, exec, s[6:7]
	s_cbranch_vccz .LBB324_85
; %bb.64:
	s_sub_i32 s20, s38, s4
	v_mov_b32_e32 v2, 0
	v_cmp_gt_u32_e32 vcc, s20, v0
	v_mov_b32_e32 v3, v2
	v_mov_b32_e32 v4, v2
	;; [unrolled: 1-line block ×7, first 2 shown]
	s_and_saveexec_b64 s[4:5], vcc
	s_cbranch_execz .LBB324_66
; %bb.65:
	v_lshlrev_b32_e32 v1, 3, v0
	global_load_dwordx2 v[12:13], v1, s[16:17]
	v_mov_b32_e32 v5, v2
	v_mov_b32_e32 v6, v2
	;; [unrolled: 1-line block ×7, first 2 shown]
	s_waitcnt vmcnt(0)
	v_cvt_f32_f64_e32 v4, v[12:13]
	v_mov_b64_e32 v[2:3], v[4:5]
	v_mov_b64_e32 v[4:5], v[6:7]
	;; [unrolled: 1-line block ×4, first 2 shown]
.LBB324_66:
	s_or_b64 exec, exec, s[4:5]
	v_or_b32_e32 v1, 0x100, v0
	v_cmp_gt_u32_e32 vcc, s20, v1
	s_and_saveexec_b64 s[4:5], vcc
	s_cbranch_execz .LBB324_68
; %bb.67:
	v_lshlrev_b32_e32 v1, 3, v0
	global_load_dwordx2 v[10:11], v1, s[16:17] offset:2048
	s_waitcnt vmcnt(0)
	v_cvt_f32_f64_e32 v3, v[10:11]
.LBB324_68:
	s_or_b64 exec, exec, s[4:5]
	v_or_b32_e32 v1, 0x200, v0
	v_cmp_gt_u32_e64 s[4:5], s20, v1
	s_and_saveexec_b64 s[6:7], s[4:5]
	s_cbranch_execz .LBB324_70
; %bb.69:
	v_lshlrev_b32_e32 v1, 3, v1
	global_load_dwordx2 v[10:11], v1, s[16:17]
	s_waitcnt vmcnt(0)
	v_cvt_f32_f64_e32 v4, v[10:11]
.LBB324_70:
	s_or_b64 exec, exec, s[6:7]
	v_or_b32_e32 v1, 0x300, v0
	v_cmp_gt_u32_e64 s[6:7], s20, v1
	s_and_saveexec_b64 s[8:9], s[6:7]
	s_cbranch_execz .LBB324_72
; %bb.71:
	v_lshlrev_b32_e32 v1, 3, v1
	global_load_dwordx2 v[10:11], v1, s[16:17]
	s_waitcnt vmcnt(0)
	v_cvt_f32_f64_e32 v5, v[10:11]
.LBB324_72:
	;; [unrolled: 11-line block ×6, first 2 shown]
	s_or_b64 exec, exec, s[18:19]
	v_add_f32_e32 v1, v2, v3
	v_cndmask_b32_e32 v1, v2, v1, vcc
	v_add_f32_e32 v2, v4, v1
	v_cndmask_b32_e64 v1, v1, v2, s[4:5]
	v_add_f32_e32 v2, v5, v1
	v_cndmask_b32_e64 v1, v1, v2, s[6:7]
	;; [unrolled: 2-line block ×6, first 2 shown]
	v_mbcnt_lo_u32_b32 v2, -1, 0
	v_mbcnt_hi_u32_b32 v2, -1, v2
	v_and_b32_e32 v4, 63, v2
	v_cmp_ne_u32_e32 vcc, 63, v4
	s_min_u32 s8, s20, 0x100
	v_and_b32_e32 v5, 0xc0, v0
	v_addc_co_u32_e32 v3, vcc, 0, v2, vcc
	v_lshlrev_b32_e32 v3, 2, v3
	ds_bpermute_b32 v3, v3, v1
	v_sub_u32_e64 v5, s8, v5 clamp
	v_add_u32_e32 v6, 1, v4
	v_cmp_gt_u32_e64 s[4:5], 62, v4
	v_cmp_lt_u32_e32 vcc, v6, v5
	s_waitcnt lgkmcnt(0)
	v_add_f32_e32 v3, v1, v3
	v_cndmask_b32_e64 v6, 0, 2, s[4:5]
	v_cndmask_b32_e32 v3, v1, v3, vcc
	v_add_lshl_u32 v6, v6, v2, 2
	ds_bpermute_b32 v6, v6, v3
	v_add_u32_e32 v7, 2, v4
	v_cmp_lt_u32_e64 s[4:5], v7, v5
	v_add_u32_e32 v7, 4, v4
	s_waitcnt lgkmcnt(0)
	v_add_f32_e32 v6, v3, v6
	v_cndmask_b32_e64 v3, v3, v6, s[4:5]
	v_cmp_gt_u32_e64 s[4:5], 60, v4
	s_nop 1
	v_cndmask_b32_e64 v6, 0, 4, s[4:5]
	v_add_lshl_u32 v6, v6, v2, 2
	ds_bpermute_b32 v6, v6, v3
	v_cmp_lt_u32_e64 s[4:5], v7, v5
	v_add_u32_e32 v7, 8, v4
	s_waitcnt lgkmcnt(0)
	v_add_f32_e32 v6, v3, v6
	v_cndmask_b32_e64 v3, v3, v6, s[4:5]
	v_cmp_gt_u32_e64 s[4:5], 56, v4
	s_nop 1
	v_cndmask_b32_e64 v6, 0, 8, s[4:5]
	v_add_lshl_u32 v6, v6, v2, 2
	ds_bpermute_b32 v6, v6, v3
	v_cmp_lt_u32_e64 s[4:5], v7, v5
	v_add_u32_e32 v7, 16, v4
	s_waitcnt lgkmcnt(0)
	v_add_f32_e32 v6, v3, v6
	v_cndmask_b32_e64 v3, v3, v6, s[4:5]
	v_cmp_gt_u32_e64 s[4:5], 48, v4
	v_add_u32_e32 v4, 32, v4
	s_nop 0
	v_cndmask_b32_e64 v6, 0, 16, s[4:5]
	v_add_lshl_u32 v6, v6, v2, 2
	ds_bpermute_b32 v6, v6, v3
	v_cmp_lt_u32_e64 s[4:5], v7, v5
	s_waitcnt lgkmcnt(0)
	v_add_f32_e32 v6, v3, v6
	v_cndmask_b32_e64 v6, v3, v6, s[4:5]
	v_lshlrev_b32_e32 v3, 2, v2
	v_or_b32_e32 v7, 0x80, v3
	ds_bpermute_b32 v7, v7, v6
	v_cmp_lt_u32_e64 s[4:5], v4, v5
	s_waitcnt lgkmcnt(0)
	v_add_f32_e32 v7, v6, v7
	v_cndmask_b32_e64 v4, v6, v7, s[4:5]
	v_cndmask_b32_e32 v1, v1, v4, vcc
	v_cmp_eq_u32_e32 vcc, 0, v2
	s_and_saveexec_b64 s[4:5], vcc
; %bb.81:
	v_lshrrev_b32_e32 v4, 4, v0
	v_and_b32_e32 v4, 12, v4
	ds_write_b32 v4, v1 offset:80
; %bb.82:
	s_or_b64 exec, exec, s[4:5]
	v_cmp_gt_u32_e32 vcc, 4, v0
	s_waitcnt lgkmcnt(0)
	s_barrier
	s_and_saveexec_b64 s[6:7], vcc
	s_cbranch_execz .LBB324_84
; %bb.83:
	ds_read_b32 v1, v3 offset:80
	v_and_b32_e32 v4, 3, v2
	v_cmp_ne_u32_e32 vcc, 3, v4
	s_add_i32 s8, s8, 63
	s_lshr_b32 s4, s8, 6
	v_addc_co_u32_e32 v2, vcc, 0, v2, vcc
	v_lshlrev_b32_e32 v2, 2, v2
	s_waitcnt lgkmcnt(0)
	ds_bpermute_b32 v2, v2, v1
	v_add_u32_e32 v5, 1, v4
	v_cmp_gt_u32_e32 vcc, s4, v5
	v_or_b32_e32 v3, 8, v3
	v_add_u32_e32 v4, 2, v4
	s_waitcnt lgkmcnt(0)
	v_add_f32_e32 v2, v1, v2
	v_cndmask_b32_e32 v2, v1, v2, vcc
	ds_bpermute_b32 v3, v3, v2
	v_cmp_gt_u32_e64 s[4:5], s4, v4
	s_waitcnt lgkmcnt(0)
	v_add_f32_e32 v3, v2, v3
	v_cndmask_b32_e64 v2, v2, v3, s[4:5]
	v_cndmask_b32_e32 v1, v1, v2, vcc
.LBB324_84:
	s_or_b64 exec, exec, s[6:7]
.LBB324_85:
	v_cmp_eq_u32_e64 s[4:5], 0, v0
	s_branch .LBB324_94
.LBB324_86:
	s_cmp_eq_u32 s33, 4
	s_cbranch_scc0 .LBB324_93
; %bb.87:
	s_mov_b32 s3, 0
	s_lshl_b32 s4, s2, 10
	s_mov_b32 s5, s3
	s_lshr_b64 s[6:7], s[38:39], 10
	s_lshl_b64 s[8:9], s[4:5], 3
	s_add_u32 s8, s36, s8
	s_addc_u32 s9, s37, s9
	s_cmp_lg_u64 s[6:7], s[2:3]
	s_cbranch_scc0 .LBB324_95
; %bb.88:
	v_lshlrev_b32_e32 v2, 3, v0
	v_mov_b32_e32 v3, 0
	v_lshl_add_u64 v[4:5], s[8:9], 0, v[2:3]
	global_load_dwordx2 v[6:7], v2, s[8:9]
	global_load_dwordx2 v[8:9], v2, s[8:9] offset:2048
	v_add_co_u32_e32 v2, vcc, 0x1000, v4
	v_mbcnt_lo_u32_b32 v1, -1, 0
	s_nop 0
	v_addc_co_u32_e32 v3, vcc, 0, v5, vcc
	global_load_dwordx2 v[4:5], v[2:3], off
	global_load_dwordx2 v[10:11], v[2:3], off offset:2048
	v_mbcnt_hi_u32_b32 v2, -1, v1
	v_lshlrev_b32_e32 v3, 2, v2
	v_cmp_eq_u32_e32 vcc, 0, v2
	s_waitcnt vmcnt(3)
	v_cvt_f32_f64_e32 v1, v[6:7]
	s_waitcnt vmcnt(2)
	v_cvt_f32_f64_e32 v6, v[8:9]
	v_add_f32_e32 v1, v1, v6
	s_waitcnt vmcnt(1)
	v_cvt_f32_f64_e32 v4, v[4:5]
	s_waitcnt vmcnt(0)
	v_cvt_f32_f64_e32 v5, v[10:11]
	v_add_f32_e32 v1, v1, v4
	v_add_f32_e32 v1, v1, v5
	v_or_b32_e32 v4, 0xfc, v3
	s_nop 0
	v_add_f32_dpp v1, v1, v1 quad_perm:[1,0,3,2] row_mask:0xf bank_mask:0xf bound_ctrl:1
	s_nop 1
	v_add_f32_dpp v1, v1, v1 quad_perm:[2,3,0,1] row_mask:0xf bank_mask:0xf bound_ctrl:1
	s_nop 1
	v_add_f32_dpp v1, v1, v1 row_ror:4 row_mask:0xf bank_mask:0xf bound_ctrl:1
	s_nop 1
	v_add_f32_dpp v1, v1, v1 row_ror:8 row_mask:0xf bank_mask:0xf bound_ctrl:1
	s_nop 1
	v_add_f32_dpp v1, v1, v1 row_bcast:15 row_mask:0xf bank_mask:0xf bound_ctrl:1
	s_nop 1
	v_add_f32_dpp v1, v1, v1 row_bcast:31 row_mask:0xf bank_mask:0xf bound_ctrl:1
	ds_bpermute_b32 v1, v4, v1
	s_and_saveexec_b64 s[6:7], vcc
	s_cbranch_execz .LBB324_90
; %bb.89:
	v_lshrrev_b32_e32 v4, 4, v0
	v_and_b32_e32 v4, 12, v4
	s_waitcnt lgkmcnt(0)
	ds_write_b32 v4, v1 offset:48
.LBB324_90:
	s_or_b64 exec, exec, s[6:7]
	v_cmp_gt_u32_e32 vcc, 64, v0
	s_waitcnt lgkmcnt(0)
	s_barrier
	s_and_saveexec_b64 s[6:7], vcc
	s_cbranch_execz .LBB324_92
; %bb.91:
	v_and_b32_e32 v1, 3, v2
	v_lshlrev_b32_e32 v4, 2, v1
	ds_read_b32 v4, v4 offset:48
	v_cmp_ne_u32_e32 vcc, 3, v1
	s_nop 1
	v_addc_co_u32_e32 v1, vcc, 0, v2, vcc
	v_lshlrev_b32_e32 v1, 2, v1
	s_waitcnt lgkmcnt(0)
	ds_bpermute_b32 v1, v1, v4
	v_or_b32_e32 v2, 8, v3
	s_waitcnt lgkmcnt(0)
	v_add_f32_e32 v1, v4, v1
	ds_bpermute_b32 v2, v2, v1
	s_waitcnt lgkmcnt(0)
	v_add_f32_e32 v1, v1, v2
.LBB324_92:
	s_or_b64 exec, exec, s[6:7]
	s_branch .LBB324_109
.LBB324_93:
                                        ; implicit-def: $vgpr1
.LBB324_94:
	s_branch .LBB324_140
.LBB324_95:
                                        ; implicit-def: $vgpr1
	s_cbranch_execz .LBB324_109
; %bb.96:
	s_sub_i32 s12, s38, s4
	v_mov_b32_e32 v2, 0
	v_cmp_gt_u32_e32 vcc, s12, v0
	v_mov_b32_e32 v3, v2
	v_mov_b32_e32 v4, v2
	;; [unrolled: 1-line block ×3, first 2 shown]
	s_and_saveexec_b64 s[4:5], vcc
	s_cbranch_execz .LBB324_98
; %bb.97:
	v_lshlrev_b32_e32 v1, 3, v0
	global_load_dwordx2 v[8:9], v1, s[8:9]
	v_mov_b32_e32 v5, v2
	v_mov_b32_e32 v6, v2
	;; [unrolled: 1-line block ×3, first 2 shown]
	s_waitcnt vmcnt(0)
	v_cvt_f32_f64_e32 v4, v[8:9]
	v_mov_b64_e32 v[2:3], v[4:5]
	v_mov_b64_e32 v[4:5], v[6:7]
.LBB324_98:
	s_or_b64 exec, exec, s[4:5]
	v_or_b32_e32 v1, 0x100, v0
	v_cmp_gt_u32_e32 vcc, s12, v1
	s_and_saveexec_b64 s[4:5], vcc
	s_cbranch_execz .LBB324_100
; %bb.99:
	v_lshlrev_b32_e32 v1, 3, v0
	global_load_dwordx2 v[6:7], v1, s[8:9] offset:2048
	s_waitcnt vmcnt(0)
	v_cvt_f32_f64_e32 v3, v[6:7]
.LBB324_100:
	s_or_b64 exec, exec, s[4:5]
	v_or_b32_e32 v1, 0x200, v0
	v_cmp_gt_u32_e64 s[4:5], s12, v1
	s_and_saveexec_b64 s[6:7], s[4:5]
	s_cbranch_execz .LBB324_102
; %bb.101:
	v_lshlrev_b32_e32 v1, 3, v1
	global_load_dwordx2 v[6:7], v1, s[8:9]
	s_waitcnt vmcnt(0)
	v_cvt_f32_f64_e32 v4, v[6:7]
.LBB324_102:
	s_or_b64 exec, exec, s[6:7]
	v_or_b32_e32 v1, 0x300, v0
	v_cmp_gt_u32_e64 s[6:7], s12, v1
	s_and_saveexec_b64 s[10:11], s[6:7]
	s_cbranch_execz .LBB324_104
; %bb.103:
	v_lshlrev_b32_e32 v1, 3, v1
	global_load_dwordx2 v[6:7], v1, s[8:9]
	s_waitcnt vmcnt(0)
	v_cvt_f32_f64_e32 v5, v[6:7]
.LBB324_104:
	s_or_b64 exec, exec, s[10:11]
	v_add_f32_e32 v1, v2, v3
	v_cndmask_b32_e32 v1, v2, v1, vcc
	v_add_f32_e32 v2, v4, v1
	v_cndmask_b32_e64 v1, v1, v2, s[4:5]
	v_add_f32_e32 v2, v5, v1
	v_cndmask_b32_e64 v1, v1, v2, s[6:7]
	v_mbcnt_lo_u32_b32 v2, -1, 0
	v_mbcnt_hi_u32_b32 v2, -1, v2
	v_and_b32_e32 v4, 63, v2
	v_cmp_ne_u32_e32 vcc, 63, v4
	s_min_u32 s8, s12, 0x100
	v_and_b32_e32 v5, 0xc0, v0
	v_addc_co_u32_e32 v3, vcc, 0, v2, vcc
	v_lshlrev_b32_e32 v3, 2, v3
	ds_bpermute_b32 v3, v3, v1
	v_sub_u32_e64 v5, s8, v5 clamp
	v_add_u32_e32 v6, 1, v4
	v_cmp_gt_u32_e64 s[4:5], 62, v4
	v_cmp_lt_u32_e32 vcc, v6, v5
	s_waitcnt lgkmcnt(0)
	v_add_f32_e32 v3, v1, v3
	v_cndmask_b32_e64 v6, 0, 2, s[4:5]
	v_cndmask_b32_e32 v3, v1, v3, vcc
	v_add_lshl_u32 v6, v6, v2, 2
	ds_bpermute_b32 v6, v6, v3
	v_add_u32_e32 v7, 2, v4
	v_cmp_lt_u32_e64 s[4:5], v7, v5
	v_add_u32_e32 v7, 4, v4
	s_waitcnt lgkmcnt(0)
	v_add_f32_e32 v6, v3, v6
	v_cndmask_b32_e64 v3, v3, v6, s[4:5]
	v_cmp_gt_u32_e64 s[4:5], 60, v4
	s_nop 1
	v_cndmask_b32_e64 v6, 0, 4, s[4:5]
	v_add_lshl_u32 v6, v6, v2, 2
	ds_bpermute_b32 v6, v6, v3
	v_cmp_lt_u32_e64 s[4:5], v7, v5
	v_add_u32_e32 v7, 8, v4
	s_waitcnt lgkmcnt(0)
	v_add_f32_e32 v6, v3, v6
	v_cndmask_b32_e64 v3, v3, v6, s[4:5]
	v_cmp_gt_u32_e64 s[4:5], 56, v4
	s_nop 1
	v_cndmask_b32_e64 v6, 0, 8, s[4:5]
	v_add_lshl_u32 v6, v6, v2, 2
	ds_bpermute_b32 v6, v6, v3
	v_cmp_lt_u32_e64 s[4:5], v7, v5
	v_add_u32_e32 v7, 16, v4
	s_waitcnt lgkmcnt(0)
	v_add_f32_e32 v6, v3, v6
	v_cndmask_b32_e64 v3, v3, v6, s[4:5]
	v_cmp_gt_u32_e64 s[4:5], 48, v4
	v_add_u32_e32 v4, 32, v4
	s_nop 0
	v_cndmask_b32_e64 v6, 0, 16, s[4:5]
	v_add_lshl_u32 v6, v6, v2, 2
	ds_bpermute_b32 v6, v6, v3
	v_cmp_lt_u32_e64 s[4:5], v7, v5
	s_waitcnt lgkmcnt(0)
	v_add_f32_e32 v6, v3, v6
	v_cndmask_b32_e64 v6, v3, v6, s[4:5]
	v_lshlrev_b32_e32 v3, 2, v2
	v_or_b32_e32 v7, 0x80, v3
	ds_bpermute_b32 v7, v7, v6
	v_cmp_lt_u32_e64 s[4:5], v4, v5
	s_waitcnt lgkmcnt(0)
	v_add_f32_e32 v7, v6, v7
	v_cndmask_b32_e64 v4, v6, v7, s[4:5]
	v_cndmask_b32_e32 v1, v1, v4, vcc
	v_cmp_eq_u32_e32 vcc, 0, v2
	s_and_saveexec_b64 s[4:5], vcc
; %bb.105:
	v_lshrrev_b32_e32 v4, 4, v0
	v_and_b32_e32 v4, 12, v4
	ds_write_b32 v4, v1 offset:80
; %bb.106:
	s_or_b64 exec, exec, s[4:5]
	v_cmp_gt_u32_e32 vcc, 4, v0
	s_waitcnt lgkmcnt(0)
	s_barrier
	s_and_saveexec_b64 s[6:7], vcc
	s_cbranch_execz .LBB324_108
; %bb.107:
	ds_read_b32 v1, v3 offset:80
	v_and_b32_e32 v4, 3, v2
	v_cmp_ne_u32_e32 vcc, 3, v4
	s_add_i32 s8, s8, 63
	s_lshr_b32 s4, s8, 6
	v_addc_co_u32_e32 v2, vcc, 0, v2, vcc
	v_lshlrev_b32_e32 v2, 2, v2
	s_waitcnt lgkmcnt(0)
	ds_bpermute_b32 v2, v2, v1
	v_add_u32_e32 v5, 1, v4
	v_cmp_gt_u32_e32 vcc, s4, v5
	v_or_b32_e32 v3, 8, v3
	v_add_u32_e32 v4, 2, v4
	s_waitcnt lgkmcnt(0)
	v_add_f32_e32 v2, v1, v2
	v_cndmask_b32_e32 v2, v1, v2, vcc
	ds_bpermute_b32 v3, v3, v2
	v_cmp_gt_u32_e64 s[4:5], s4, v4
	s_waitcnt lgkmcnt(0)
	v_add_f32_e32 v3, v2, v3
	v_cndmask_b32_e64 v2, v2, v3, s[4:5]
	v_cndmask_b32_e32 v1, v1, v2, vcc
.LBB324_108:
	s_or_b64 exec, exec, s[6:7]
.LBB324_109:
	v_cmp_eq_u32_e64 s[4:5], 0, v0
	s_branch .LBB324_140
.LBB324_110:
	s_cmp_gt_i32 s33, 1
	s_cbranch_scc0 .LBB324_118
; %bb.111:
	s_cmp_eq_u32 s33, 2
	s_cbranch_scc0 .LBB324_119
; %bb.112:
	s_mov_b32 s3, 0
	s_lshl_b32 s6, s2, 9
	s_mov_b32 s7, s3
	s_lshr_b64 s[8:9], s[38:39], 9
	s_lshl_b64 s[4:5], s[6:7], 3
	s_add_u32 s4, s36, s4
	s_addc_u32 s5, s37, s5
	s_cmp_lg_u64 s[8:9], s[2:3]
	s_cbranch_scc0 .LBB324_120
; %bb.113:
	v_lshlrev_b32_e32 v1, 3, v0
	global_load_dwordx2 v[4:5], v1, s[4:5]
	global_load_dwordx2 v[6:7], v1, s[4:5] offset:2048
	v_mbcnt_lo_u32_b32 v1, -1, 0
	v_mbcnt_hi_u32_b32 v2, -1, v1
	v_lshlrev_b32_e32 v3, 2, v2
	v_cmp_eq_u32_e32 vcc, 0, v2
	s_waitcnt vmcnt(1)
	v_cvt_f32_f64_e32 v1, v[4:5]
	s_waitcnt vmcnt(0)
	v_cvt_f32_f64_e32 v4, v[6:7]
	v_add_f32_e32 v1, v1, v4
	v_or_b32_e32 v4, 0xfc, v3
	s_nop 0
	v_add_f32_dpp v1, v1, v1 quad_perm:[1,0,3,2] row_mask:0xf bank_mask:0xf bound_ctrl:1
	s_nop 1
	v_add_f32_dpp v1, v1, v1 quad_perm:[2,3,0,1] row_mask:0xf bank_mask:0xf bound_ctrl:1
	s_nop 1
	v_add_f32_dpp v1, v1, v1 row_ror:4 row_mask:0xf bank_mask:0xf bound_ctrl:1
	s_nop 1
	v_add_f32_dpp v1, v1, v1 row_ror:8 row_mask:0xf bank_mask:0xf bound_ctrl:1
	s_nop 1
	v_add_f32_dpp v1, v1, v1 row_bcast:15 row_mask:0xf bank_mask:0xf bound_ctrl:1
	s_nop 1
	v_add_f32_dpp v1, v1, v1 row_bcast:31 row_mask:0xf bank_mask:0xf bound_ctrl:1
	ds_bpermute_b32 v1, v4, v1
	s_and_saveexec_b64 s[8:9], vcc
	s_cbranch_execz .LBB324_115
; %bb.114:
	v_lshrrev_b32_e32 v4, 4, v0
	v_and_b32_e32 v4, 12, v4
	s_waitcnt lgkmcnt(0)
	ds_write_b32 v4, v1 offset:32
.LBB324_115:
	s_or_b64 exec, exec, s[8:9]
	v_cmp_gt_u32_e32 vcc, 64, v0
	s_waitcnt lgkmcnt(0)
	s_barrier
	s_and_saveexec_b64 s[8:9], vcc
	s_cbranch_execz .LBB324_117
; %bb.116:
	v_and_b32_e32 v1, 3, v2
	v_lshlrev_b32_e32 v4, 2, v1
	ds_read_b32 v4, v4 offset:32
	v_cmp_ne_u32_e32 vcc, 3, v1
	s_nop 1
	v_addc_co_u32_e32 v1, vcc, 0, v2, vcc
	v_lshlrev_b32_e32 v1, 2, v1
	s_waitcnt lgkmcnt(0)
	ds_bpermute_b32 v1, v1, v4
	v_or_b32_e32 v2, 8, v3
	s_waitcnt lgkmcnt(0)
	v_add_f32_e32 v1, v4, v1
	ds_bpermute_b32 v2, v2, v1
	s_waitcnt lgkmcnt(0)
	v_add_f32_e32 v1, v1, v2
.LBB324_117:
	s_or_b64 exec, exec, s[8:9]
	s_branch .LBB324_130
.LBB324_118:
                                        ; implicit-def: $vgpr1
	s_cbranch_execnz .LBB324_131
	s_branch .LBB324_140
.LBB324_119:
                                        ; implicit-def: $vgpr1
	s_branch .LBB324_140
.LBB324_120:
                                        ; implicit-def: $vgpr1
	s_cbranch_execz .LBB324_130
; %bb.121:
	s_sub_i32 s8, s38, s6
	v_mov_b32_e32 v2, 0
	v_cmp_gt_u32_e32 vcc, s8, v0
	v_mov_b32_e32 v3, v2
	s_and_saveexec_b64 s[6:7], vcc
	s_cbranch_execz .LBB324_123
; %bb.122:
	v_lshlrev_b32_e32 v1, 3, v0
	global_load_dwordx2 v[4:5], v1, s[4:5]
	s_waitcnt vmcnt(0)
	v_cvt_f32_f64_e32 v4, v[4:5]
	v_mov_b32_e32 v5, v2
	v_mov_b64_e32 v[2:3], v[4:5]
.LBB324_123:
	s_or_b64 exec, exec, s[6:7]
	v_or_b32_e32 v1, 0x100, v0
	v_cmp_gt_u32_e32 vcc, s8, v1
	s_and_saveexec_b64 s[6:7], vcc
	s_cbranch_execz .LBB324_125
; %bb.124:
	v_lshlrev_b32_e32 v1, 3, v0
	global_load_dwordx2 v[4:5], v1, s[4:5] offset:2048
	s_waitcnt vmcnt(0)
	v_cvt_f32_f64_e32 v3, v[4:5]
.LBB324_125:
	s_or_b64 exec, exec, s[6:7]
	v_add_f32_e32 v1, v3, v2
	v_cndmask_b32_e32 v1, v2, v1, vcc
	v_mbcnt_lo_u32_b32 v2, -1, 0
	v_mbcnt_hi_u32_b32 v2, -1, v2
	v_and_b32_e32 v4, 63, v2
	v_cmp_ne_u32_e32 vcc, 63, v4
	s_min_u32 s8, s8, 0x100
	v_and_b32_e32 v5, 0xc0, v0
	v_addc_co_u32_e32 v3, vcc, 0, v2, vcc
	v_lshlrev_b32_e32 v3, 2, v3
	ds_bpermute_b32 v3, v3, v1
	v_sub_u32_e64 v5, s8, v5 clamp
	v_add_u32_e32 v6, 1, v4
	v_cmp_gt_u32_e64 s[4:5], 62, v4
	v_cmp_lt_u32_e32 vcc, v6, v5
	s_waitcnt lgkmcnt(0)
	v_add_f32_e32 v3, v1, v3
	v_cndmask_b32_e64 v6, 0, 2, s[4:5]
	v_cndmask_b32_e32 v3, v1, v3, vcc
	v_add_lshl_u32 v6, v6, v2, 2
	ds_bpermute_b32 v6, v6, v3
	v_add_u32_e32 v7, 2, v4
	v_cmp_lt_u32_e64 s[4:5], v7, v5
	v_add_u32_e32 v7, 4, v4
	s_waitcnt lgkmcnt(0)
	v_add_f32_e32 v6, v3, v6
	v_cndmask_b32_e64 v3, v3, v6, s[4:5]
	v_cmp_gt_u32_e64 s[4:5], 60, v4
	s_nop 1
	v_cndmask_b32_e64 v6, 0, 4, s[4:5]
	v_add_lshl_u32 v6, v6, v2, 2
	ds_bpermute_b32 v6, v6, v3
	v_cmp_lt_u32_e64 s[4:5], v7, v5
	v_add_u32_e32 v7, 8, v4
	s_waitcnt lgkmcnt(0)
	v_add_f32_e32 v6, v3, v6
	v_cndmask_b32_e64 v3, v3, v6, s[4:5]
	v_cmp_gt_u32_e64 s[4:5], 56, v4
	s_nop 1
	v_cndmask_b32_e64 v6, 0, 8, s[4:5]
	v_add_lshl_u32 v6, v6, v2, 2
	ds_bpermute_b32 v6, v6, v3
	v_cmp_lt_u32_e64 s[4:5], v7, v5
	v_add_u32_e32 v7, 16, v4
	s_waitcnt lgkmcnt(0)
	v_add_f32_e32 v6, v3, v6
	v_cndmask_b32_e64 v3, v3, v6, s[4:5]
	v_cmp_gt_u32_e64 s[4:5], 48, v4
	v_add_u32_e32 v4, 32, v4
	s_nop 0
	v_cndmask_b32_e64 v6, 0, 16, s[4:5]
	v_add_lshl_u32 v6, v6, v2, 2
	ds_bpermute_b32 v6, v6, v3
	v_cmp_lt_u32_e64 s[4:5], v7, v5
	s_waitcnt lgkmcnt(0)
	v_add_f32_e32 v6, v3, v6
	v_cndmask_b32_e64 v6, v3, v6, s[4:5]
	v_lshlrev_b32_e32 v3, 2, v2
	v_or_b32_e32 v7, 0x80, v3
	ds_bpermute_b32 v7, v7, v6
	v_cmp_lt_u32_e64 s[4:5], v4, v5
	s_waitcnt lgkmcnt(0)
	v_add_f32_e32 v7, v6, v7
	v_cndmask_b32_e64 v4, v6, v7, s[4:5]
	v_cndmask_b32_e32 v1, v1, v4, vcc
	v_cmp_eq_u32_e32 vcc, 0, v2
	s_and_saveexec_b64 s[4:5], vcc
; %bb.126:
	v_lshrrev_b32_e32 v4, 4, v0
	v_and_b32_e32 v4, 12, v4
	ds_write_b32 v4, v1 offset:80
; %bb.127:
	s_or_b64 exec, exec, s[4:5]
	v_cmp_gt_u32_e32 vcc, 4, v0
	s_waitcnt lgkmcnt(0)
	s_barrier
	s_and_saveexec_b64 s[6:7], vcc
	s_cbranch_execz .LBB324_129
; %bb.128:
	ds_read_b32 v1, v3 offset:80
	v_and_b32_e32 v4, 3, v2
	v_cmp_ne_u32_e32 vcc, 3, v4
	s_add_i32 s8, s8, 63
	s_lshr_b32 s4, s8, 6
	v_addc_co_u32_e32 v2, vcc, 0, v2, vcc
	v_lshlrev_b32_e32 v2, 2, v2
	s_waitcnt lgkmcnt(0)
	ds_bpermute_b32 v2, v2, v1
	v_add_u32_e32 v5, 1, v4
	v_cmp_gt_u32_e32 vcc, s4, v5
	v_or_b32_e32 v3, 8, v3
	v_add_u32_e32 v4, 2, v4
	s_waitcnt lgkmcnt(0)
	v_add_f32_e32 v2, v1, v2
	v_cndmask_b32_e32 v2, v1, v2, vcc
	ds_bpermute_b32 v3, v3, v2
	v_cmp_gt_u32_e64 s[4:5], s4, v4
	s_waitcnt lgkmcnt(0)
	v_add_f32_e32 v3, v2, v3
	v_cndmask_b32_e64 v2, v2, v3, s[4:5]
	v_cndmask_b32_e32 v1, v1, v2, vcc
.LBB324_129:
	s_or_b64 exec, exec, s[6:7]
.LBB324_130:
	v_cmp_eq_u32_e64 s[4:5], 0, v0
	s_branch .LBB324_140
.LBB324_131:
	s_cmp_eq_u32 s33, 1
	s_cbranch_scc0 .LBB324_139
; %bb.132:
	s_mov_b32 s5, 0
	s_lshl_b32 s4, s2, 8
	s_mov_b32 s3, s5
	s_lshr_b64 s[6:7], s[38:39], 8
	s_cmp_lg_u64 s[6:7], s[2:3]
	v_mbcnt_lo_u32_b32 v2, -1, 0
	s_cbranch_scc0 .LBB324_143
; %bb.133:
	s_lshl_b64 s[6:7], s[4:5], 3
	s_add_u32 s6, s36, s6
	s_addc_u32 s7, s37, s7
	v_lshlrev_b32_e32 v1, 3, v0
	global_load_dwordx2 v[6:7], v1, s[6:7]
	v_mbcnt_hi_u32_b32 v3, -1, v2
	v_lshlrev_b32_e32 v4, 2, v3
	v_or_b32_e32 v5, 0xfc, v4
	v_cmp_eq_u32_e32 vcc, 0, v3
	s_waitcnt vmcnt(0)
	v_cvt_f32_f64_e32 v1, v[6:7]
	s_nop 1
	v_add_f32_dpp v1, v1, v1 quad_perm:[1,0,3,2] row_mask:0xf bank_mask:0xf bound_ctrl:1
	s_nop 1
	v_add_f32_dpp v1, v1, v1 quad_perm:[2,3,0,1] row_mask:0xf bank_mask:0xf bound_ctrl:1
	s_nop 1
	v_add_f32_dpp v1, v1, v1 row_ror:4 row_mask:0xf bank_mask:0xf bound_ctrl:1
	s_nop 1
	v_add_f32_dpp v1, v1, v1 row_ror:8 row_mask:0xf bank_mask:0xf bound_ctrl:1
	s_nop 1
	v_add_f32_dpp v1, v1, v1 row_bcast:15 row_mask:0xf bank_mask:0xf bound_ctrl:1
	s_nop 1
	v_add_f32_dpp v1, v1, v1 row_bcast:31 row_mask:0xf bank_mask:0xf bound_ctrl:1
	ds_bpermute_b32 v1, v5, v1
	s_and_saveexec_b64 s[6:7], vcc
	s_cbranch_execz .LBB324_135
; %bb.134:
	v_lshrrev_b32_e32 v5, 4, v0
	v_and_b32_e32 v5, 12, v5
	s_waitcnt lgkmcnt(0)
	ds_write_b32 v5, v1 offset:16
.LBB324_135:
	s_or_b64 exec, exec, s[6:7]
	v_cmp_gt_u32_e32 vcc, 64, v0
	s_waitcnt lgkmcnt(0)
	s_barrier
	s_and_saveexec_b64 s[6:7], vcc
	s_cbranch_execz .LBB324_137
; %bb.136:
	v_and_b32_e32 v1, 3, v3
	v_lshlrev_b32_e32 v5, 2, v1
	ds_read_b32 v5, v5 offset:16
	v_cmp_ne_u32_e32 vcc, 3, v1
	s_nop 1
	v_addc_co_u32_e32 v1, vcc, 0, v3, vcc
	v_lshlrev_b32_e32 v1, 2, v1
	s_waitcnt lgkmcnt(0)
	ds_bpermute_b32 v1, v1, v5
	v_or_b32_e32 v3, 8, v4
	s_waitcnt lgkmcnt(0)
	v_add_f32_e32 v1, v5, v1
	ds_bpermute_b32 v3, v3, v1
	s_waitcnt lgkmcnt(0)
	v_add_f32_e32 v1, v1, v3
.LBB324_137:
	s_or_b64 exec, exec, s[6:7]
.LBB324_138:
	v_cmp_eq_u32_e64 s[4:5], 0, v0
	s_and_saveexec_b64 s[6:7], s[4:5]
	s_cbranch_execnz .LBB324_141
	s_branch .LBB324_142
.LBB324_139:
                                        ; implicit-def: $vgpr1
                                        ; implicit-def: $sgpr2_sgpr3
.LBB324_140:
	s_and_saveexec_b64 s[6:7], s[4:5]
	s_cbranch_execz .LBB324_142
.LBB324_141:
	s_load_dwordx2 s[4:5], s[0:1], 0x18
	s_load_dword s6, s[0:1], 0x20
	s_lshl_b64 s[0:1], s[2:3], 2
	v_mov_b32_e32 v0, 0
	s_waitcnt lgkmcnt(0)
	s_add_u32 s0, s4, s0
	s_addc_u32 s1, s5, s1
	s_cmp_eq_u64 s[38:39], 0
	v_add_f32_e32 v1, s6, v1
	v_mov_b32_e32 v2, s6
	s_cselect_b64 vcc, -1, 0
	v_cndmask_b32_e32 v1, v1, v2, vcc
	global_store_dword v0, v1, s[0:1]
.LBB324_142:
	s_endpgm
.LBB324_143:
                                        ; implicit-def: $vgpr1
	s_cbranch_execz .LBB324_138
; %bb.144:
	s_sub_i32 s8, s38, s4
	v_cmp_gt_u32_e32 vcc, s8, v0
                                        ; implicit-def: $vgpr1
	s_and_saveexec_b64 s[6:7], vcc
	s_cbranch_execz .LBB324_146
; %bb.145:
	s_lshl_b64 s[4:5], s[4:5], 3
	s_add_u32 s4, s36, s4
	s_addc_u32 s5, s37, s5
	v_lshlrev_b32_e32 v1, 3, v0
	global_load_dwordx2 v[4:5], v1, s[4:5]
	s_waitcnt vmcnt(0)
	v_cvt_f32_f64_e32 v1, v[4:5]
.LBB324_146:
	s_or_b64 exec, exec, s[6:7]
	v_mbcnt_hi_u32_b32 v2, -1, v2
	v_and_b32_e32 v4, 63, v2
	v_cmp_ne_u32_e32 vcc, 63, v4
	s_min_u32 s8, s8, 0x100
	v_and_b32_e32 v5, 0xc0, v0
	v_addc_co_u32_e32 v3, vcc, 0, v2, vcc
	v_lshlrev_b32_e32 v3, 2, v3
	ds_bpermute_b32 v3, v3, v1
	v_sub_u32_e64 v5, s8, v5 clamp
	v_add_u32_e32 v6, 1, v4
	v_cmp_gt_u32_e64 s[4:5], 62, v4
	v_cmp_lt_u32_e32 vcc, v6, v5
	s_waitcnt lgkmcnt(0)
	v_add_f32_e32 v3, v1, v3
	v_cndmask_b32_e64 v6, 0, 2, s[4:5]
	v_cndmask_b32_e32 v3, v1, v3, vcc
	v_add_lshl_u32 v6, v6, v2, 2
	ds_bpermute_b32 v6, v6, v3
	v_add_u32_e32 v7, 2, v4
	v_cmp_lt_u32_e64 s[4:5], v7, v5
	v_add_u32_e32 v7, 4, v4
	s_waitcnt lgkmcnt(0)
	v_add_f32_e32 v6, v3, v6
	v_cndmask_b32_e64 v3, v3, v6, s[4:5]
	v_cmp_gt_u32_e64 s[4:5], 60, v4
	s_nop 1
	v_cndmask_b32_e64 v6, 0, 4, s[4:5]
	v_add_lshl_u32 v6, v6, v2, 2
	ds_bpermute_b32 v6, v6, v3
	v_cmp_lt_u32_e64 s[4:5], v7, v5
	v_add_u32_e32 v7, 8, v4
	s_waitcnt lgkmcnt(0)
	v_add_f32_e32 v6, v3, v6
	v_cndmask_b32_e64 v3, v3, v6, s[4:5]
	v_cmp_gt_u32_e64 s[4:5], 56, v4
	s_nop 1
	v_cndmask_b32_e64 v6, 0, 8, s[4:5]
	v_add_lshl_u32 v6, v6, v2, 2
	ds_bpermute_b32 v6, v6, v3
	v_cmp_lt_u32_e64 s[4:5], v7, v5
	v_add_u32_e32 v7, 16, v4
	s_waitcnt lgkmcnt(0)
	v_add_f32_e32 v6, v3, v6
	v_cndmask_b32_e64 v3, v3, v6, s[4:5]
	v_cmp_gt_u32_e64 s[4:5], 48, v4
	v_add_u32_e32 v4, 32, v4
	s_nop 0
	v_cndmask_b32_e64 v6, 0, 16, s[4:5]
	v_add_lshl_u32 v6, v6, v2, 2
	ds_bpermute_b32 v6, v6, v3
	v_cmp_lt_u32_e64 s[4:5], v7, v5
	s_waitcnt lgkmcnt(0)
	v_add_f32_e32 v6, v3, v6
	v_cndmask_b32_e64 v6, v3, v6, s[4:5]
	v_lshlrev_b32_e32 v3, 2, v2
	v_or_b32_e32 v7, 0x80, v3
	ds_bpermute_b32 v7, v7, v6
	v_cmp_lt_u32_e64 s[4:5], v4, v5
	s_waitcnt lgkmcnt(0)
	v_add_f32_e32 v7, v6, v7
	v_cndmask_b32_e64 v4, v6, v7, s[4:5]
	v_cndmask_b32_e32 v1, v1, v4, vcc
	v_cmp_eq_u32_e32 vcc, 0, v2
	s_and_saveexec_b64 s[4:5], vcc
; %bb.147:
	v_lshrrev_b32_e32 v4, 4, v0
	v_and_b32_e32 v4, 12, v4
	ds_write_b32 v4, v1 offset:80
; %bb.148:
	s_or_b64 exec, exec, s[4:5]
	v_cmp_gt_u32_e32 vcc, 4, v0
	s_waitcnt lgkmcnt(0)
	s_barrier
	s_and_saveexec_b64 s[6:7], vcc
	s_cbranch_execz .LBB324_150
; %bb.149:
	ds_read_b32 v1, v3 offset:80
	v_and_b32_e32 v4, 3, v2
	v_cmp_ne_u32_e32 vcc, 3, v4
	s_add_i32 s8, s8, 63
	s_lshr_b32 s4, s8, 6
	v_addc_co_u32_e32 v2, vcc, 0, v2, vcc
	v_lshlrev_b32_e32 v2, 2, v2
	s_waitcnt lgkmcnt(0)
	ds_bpermute_b32 v2, v2, v1
	v_add_u32_e32 v5, 1, v4
	v_cmp_gt_u32_e32 vcc, s4, v5
	v_or_b32_e32 v3, 8, v3
	v_add_u32_e32 v4, 2, v4
	s_waitcnt lgkmcnt(0)
	v_add_f32_e32 v2, v1, v2
	v_cndmask_b32_e32 v2, v1, v2, vcc
	ds_bpermute_b32 v3, v3, v2
	v_cmp_gt_u32_e64 s[4:5], s4, v4
	s_waitcnt lgkmcnt(0)
	v_add_f32_e32 v3, v2, v3
	v_cndmask_b32_e64 v2, v2, v3, s[4:5]
	v_cndmask_b32_e32 v1, v1, v2, vcc
.LBB324_150:
	s_or_b64 exec, exec, s[6:7]
	v_cmp_eq_u32_e64 s[4:5], 0, v0
	s_and_saveexec_b64 s[6:7], s[4:5]
	s_cbranch_execnz .LBB324_141
	s_branch .LBB324_142
	.section	.rodata,"a",@progbits
	.p2align	6, 0x0
	.amdhsa_kernel _ZN7rocprim17ROCPRIM_400000_NS6detail17trampoline_kernelINS0_14default_configENS1_22reduce_config_selectorIdEEZNS1_11reduce_implILb1ES3_N6thrust23THRUST_200600_302600_NS6detail15normal_iteratorINS8_10device_ptrIdEEEEPffNS8_4plusIfEEEE10hipError_tPvRmT1_T2_T3_mT4_P12ihipStream_tbEUlT_E1_NS1_11comp_targetILNS1_3genE0ELNS1_11target_archE4294967295ELNS1_3gpuE0ELNS1_3repE0EEENS1_30default_config_static_selectorELNS0_4arch9wavefront6targetE1EEEvSK_
		.amdhsa_group_segment_fixed_size 96
		.amdhsa_private_segment_fixed_size 0
		.amdhsa_kernarg_size 40
		.amdhsa_user_sgpr_count 2
		.amdhsa_user_sgpr_dispatch_ptr 0
		.amdhsa_user_sgpr_queue_ptr 0
		.amdhsa_user_sgpr_kernarg_segment_ptr 1
		.amdhsa_user_sgpr_dispatch_id 0
		.amdhsa_user_sgpr_kernarg_preload_length 0
		.amdhsa_user_sgpr_kernarg_preload_offset 0
		.amdhsa_user_sgpr_private_segment_size 0
		.amdhsa_uses_dynamic_stack 0
		.amdhsa_enable_private_segment 0
		.amdhsa_system_sgpr_workgroup_id_x 1
		.amdhsa_system_sgpr_workgroup_id_y 0
		.amdhsa_system_sgpr_workgroup_id_z 0
		.amdhsa_system_sgpr_workgroup_info 0
		.amdhsa_system_vgpr_workitem_id 0
		.amdhsa_next_free_vgpr 36
		.amdhsa_next_free_sgpr 45
		.amdhsa_accum_offset 36
		.amdhsa_reserve_vcc 1
		.amdhsa_float_round_mode_32 0
		.amdhsa_float_round_mode_16_64 0
		.amdhsa_float_denorm_mode_32 3
		.amdhsa_float_denorm_mode_16_64 3
		.amdhsa_dx10_clamp 1
		.amdhsa_ieee_mode 1
		.amdhsa_fp16_overflow 0
		.amdhsa_tg_split 0
		.amdhsa_exception_fp_ieee_invalid_op 0
		.amdhsa_exception_fp_denorm_src 0
		.amdhsa_exception_fp_ieee_div_zero 0
		.amdhsa_exception_fp_ieee_overflow 0
		.amdhsa_exception_fp_ieee_underflow 0
		.amdhsa_exception_fp_ieee_inexact 0
		.amdhsa_exception_int_div_zero 0
	.end_amdhsa_kernel
	.section	.text._ZN7rocprim17ROCPRIM_400000_NS6detail17trampoline_kernelINS0_14default_configENS1_22reduce_config_selectorIdEEZNS1_11reduce_implILb1ES3_N6thrust23THRUST_200600_302600_NS6detail15normal_iteratorINS8_10device_ptrIdEEEEPffNS8_4plusIfEEEE10hipError_tPvRmT1_T2_T3_mT4_P12ihipStream_tbEUlT_E1_NS1_11comp_targetILNS1_3genE0ELNS1_11target_archE4294967295ELNS1_3gpuE0ELNS1_3repE0EEENS1_30default_config_static_selectorELNS0_4arch9wavefront6targetE1EEEvSK_,"axG",@progbits,_ZN7rocprim17ROCPRIM_400000_NS6detail17trampoline_kernelINS0_14default_configENS1_22reduce_config_selectorIdEEZNS1_11reduce_implILb1ES3_N6thrust23THRUST_200600_302600_NS6detail15normal_iteratorINS8_10device_ptrIdEEEEPffNS8_4plusIfEEEE10hipError_tPvRmT1_T2_T3_mT4_P12ihipStream_tbEUlT_E1_NS1_11comp_targetILNS1_3genE0ELNS1_11target_archE4294967295ELNS1_3gpuE0ELNS1_3repE0EEENS1_30default_config_static_selectorELNS0_4arch9wavefront6targetE1EEEvSK_,comdat
.Lfunc_end324:
	.size	_ZN7rocprim17ROCPRIM_400000_NS6detail17trampoline_kernelINS0_14default_configENS1_22reduce_config_selectorIdEEZNS1_11reduce_implILb1ES3_N6thrust23THRUST_200600_302600_NS6detail15normal_iteratorINS8_10device_ptrIdEEEEPffNS8_4plusIfEEEE10hipError_tPvRmT1_T2_T3_mT4_P12ihipStream_tbEUlT_E1_NS1_11comp_targetILNS1_3genE0ELNS1_11target_archE4294967295ELNS1_3gpuE0ELNS1_3repE0EEENS1_30default_config_static_selectorELNS0_4arch9wavefront6targetE1EEEvSK_, .Lfunc_end324-_ZN7rocprim17ROCPRIM_400000_NS6detail17trampoline_kernelINS0_14default_configENS1_22reduce_config_selectorIdEEZNS1_11reduce_implILb1ES3_N6thrust23THRUST_200600_302600_NS6detail15normal_iteratorINS8_10device_ptrIdEEEEPffNS8_4plusIfEEEE10hipError_tPvRmT1_T2_T3_mT4_P12ihipStream_tbEUlT_E1_NS1_11comp_targetILNS1_3genE0ELNS1_11target_archE4294967295ELNS1_3gpuE0ELNS1_3repE0EEENS1_30default_config_static_selectorELNS0_4arch9wavefront6targetE1EEEvSK_
                                        ; -- End function
	.set _ZN7rocprim17ROCPRIM_400000_NS6detail17trampoline_kernelINS0_14default_configENS1_22reduce_config_selectorIdEEZNS1_11reduce_implILb1ES3_N6thrust23THRUST_200600_302600_NS6detail15normal_iteratorINS8_10device_ptrIdEEEEPffNS8_4plusIfEEEE10hipError_tPvRmT1_T2_T3_mT4_P12ihipStream_tbEUlT_E1_NS1_11comp_targetILNS1_3genE0ELNS1_11target_archE4294967295ELNS1_3gpuE0ELNS1_3repE0EEENS1_30default_config_static_selectorELNS0_4arch9wavefront6targetE1EEEvSK_.num_vgpr, 36
	.set _ZN7rocprim17ROCPRIM_400000_NS6detail17trampoline_kernelINS0_14default_configENS1_22reduce_config_selectorIdEEZNS1_11reduce_implILb1ES3_N6thrust23THRUST_200600_302600_NS6detail15normal_iteratorINS8_10device_ptrIdEEEEPffNS8_4plusIfEEEE10hipError_tPvRmT1_T2_T3_mT4_P12ihipStream_tbEUlT_E1_NS1_11comp_targetILNS1_3genE0ELNS1_11target_archE4294967295ELNS1_3gpuE0ELNS1_3repE0EEENS1_30default_config_static_selectorELNS0_4arch9wavefront6targetE1EEEvSK_.num_agpr, 0
	.set _ZN7rocprim17ROCPRIM_400000_NS6detail17trampoline_kernelINS0_14default_configENS1_22reduce_config_selectorIdEEZNS1_11reduce_implILb1ES3_N6thrust23THRUST_200600_302600_NS6detail15normal_iteratorINS8_10device_ptrIdEEEEPffNS8_4plusIfEEEE10hipError_tPvRmT1_T2_T3_mT4_P12ihipStream_tbEUlT_E1_NS1_11comp_targetILNS1_3genE0ELNS1_11target_archE4294967295ELNS1_3gpuE0ELNS1_3repE0EEENS1_30default_config_static_selectorELNS0_4arch9wavefront6targetE1EEEvSK_.numbered_sgpr, 45
	.set _ZN7rocprim17ROCPRIM_400000_NS6detail17trampoline_kernelINS0_14default_configENS1_22reduce_config_selectorIdEEZNS1_11reduce_implILb1ES3_N6thrust23THRUST_200600_302600_NS6detail15normal_iteratorINS8_10device_ptrIdEEEEPffNS8_4plusIfEEEE10hipError_tPvRmT1_T2_T3_mT4_P12ihipStream_tbEUlT_E1_NS1_11comp_targetILNS1_3genE0ELNS1_11target_archE4294967295ELNS1_3gpuE0ELNS1_3repE0EEENS1_30default_config_static_selectorELNS0_4arch9wavefront6targetE1EEEvSK_.num_named_barrier, 0
	.set _ZN7rocprim17ROCPRIM_400000_NS6detail17trampoline_kernelINS0_14default_configENS1_22reduce_config_selectorIdEEZNS1_11reduce_implILb1ES3_N6thrust23THRUST_200600_302600_NS6detail15normal_iteratorINS8_10device_ptrIdEEEEPffNS8_4plusIfEEEE10hipError_tPvRmT1_T2_T3_mT4_P12ihipStream_tbEUlT_E1_NS1_11comp_targetILNS1_3genE0ELNS1_11target_archE4294967295ELNS1_3gpuE0ELNS1_3repE0EEENS1_30default_config_static_selectorELNS0_4arch9wavefront6targetE1EEEvSK_.private_seg_size, 0
	.set _ZN7rocprim17ROCPRIM_400000_NS6detail17trampoline_kernelINS0_14default_configENS1_22reduce_config_selectorIdEEZNS1_11reduce_implILb1ES3_N6thrust23THRUST_200600_302600_NS6detail15normal_iteratorINS8_10device_ptrIdEEEEPffNS8_4plusIfEEEE10hipError_tPvRmT1_T2_T3_mT4_P12ihipStream_tbEUlT_E1_NS1_11comp_targetILNS1_3genE0ELNS1_11target_archE4294967295ELNS1_3gpuE0ELNS1_3repE0EEENS1_30default_config_static_selectorELNS0_4arch9wavefront6targetE1EEEvSK_.uses_vcc, 1
	.set _ZN7rocprim17ROCPRIM_400000_NS6detail17trampoline_kernelINS0_14default_configENS1_22reduce_config_selectorIdEEZNS1_11reduce_implILb1ES3_N6thrust23THRUST_200600_302600_NS6detail15normal_iteratorINS8_10device_ptrIdEEEEPffNS8_4plusIfEEEE10hipError_tPvRmT1_T2_T3_mT4_P12ihipStream_tbEUlT_E1_NS1_11comp_targetILNS1_3genE0ELNS1_11target_archE4294967295ELNS1_3gpuE0ELNS1_3repE0EEENS1_30default_config_static_selectorELNS0_4arch9wavefront6targetE1EEEvSK_.uses_flat_scratch, 0
	.set _ZN7rocprim17ROCPRIM_400000_NS6detail17trampoline_kernelINS0_14default_configENS1_22reduce_config_selectorIdEEZNS1_11reduce_implILb1ES3_N6thrust23THRUST_200600_302600_NS6detail15normal_iteratorINS8_10device_ptrIdEEEEPffNS8_4plusIfEEEE10hipError_tPvRmT1_T2_T3_mT4_P12ihipStream_tbEUlT_E1_NS1_11comp_targetILNS1_3genE0ELNS1_11target_archE4294967295ELNS1_3gpuE0ELNS1_3repE0EEENS1_30default_config_static_selectorELNS0_4arch9wavefront6targetE1EEEvSK_.has_dyn_sized_stack, 0
	.set _ZN7rocprim17ROCPRIM_400000_NS6detail17trampoline_kernelINS0_14default_configENS1_22reduce_config_selectorIdEEZNS1_11reduce_implILb1ES3_N6thrust23THRUST_200600_302600_NS6detail15normal_iteratorINS8_10device_ptrIdEEEEPffNS8_4plusIfEEEE10hipError_tPvRmT1_T2_T3_mT4_P12ihipStream_tbEUlT_E1_NS1_11comp_targetILNS1_3genE0ELNS1_11target_archE4294967295ELNS1_3gpuE0ELNS1_3repE0EEENS1_30default_config_static_selectorELNS0_4arch9wavefront6targetE1EEEvSK_.has_recursion, 0
	.set _ZN7rocprim17ROCPRIM_400000_NS6detail17trampoline_kernelINS0_14default_configENS1_22reduce_config_selectorIdEEZNS1_11reduce_implILb1ES3_N6thrust23THRUST_200600_302600_NS6detail15normal_iteratorINS8_10device_ptrIdEEEEPffNS8_4plusIfEEEE10hipError_tPvRmT1_T2_T3_mT4_P12ihipStream_tbEUlT_E1_NS1_11comp_targetILNS1_3genE0ELNS1_11target_archE4294967295ELNS1_3gpuE0ELNS1_3repE0EEENS1_30default_config_static_selectorELNS0_4arch9wavefront6targetE1EEEvSK_.has_indirect_call, 0
	.section	.AMDGPU.csdata,"",@progbits
; Kernel info:
; codeLenInByte = 7360
; TotalNumSgprs: 51
; NumVgprs: 36
; NumAgprs: 0
; TotalNumVgprs: 36
; ScratchSize: 0
; MemoryBound: 0
; FloatMode: 240
; IeeeMode: 1
; LDSByteSize: 96 bytes/workgroup (compile time only)
; SGPRBlocks: 6
; VGPRBlocks: 4
; NumSGPRsForWavesPerEU: 51
; NumVGPRsForWavesPerEU: 36
; AccumOffset: 36
; Occupancy: 8
; WaveLimiterHint : 1
; COMPUTE_PGM_RSRC2:SCRATCH_EN: 0
; COMPUTE_PGM_RSRC2:USER_SGPR: 2
; COMPUTE_PGM_RSRC2:TRAP_HANDLER: 0
; COMPUTE_PGM_RSRC2:TGID_X_EN: 1
; COMPUTE_PGM_RSRC2:TGID_Y_EN: 0
; COMPUTE_PGM_RSRC2:TGID_Z_EN: 0
; COMPUTE_PGM_RSRC2:TIDIG_COMP_CNT: 0
; COMPUTE_PGM_RSRC3_GFX90A:ACCUM_OFFSET: 8
; COMPUTE_PGM_RSRC3_GFX90A:TG_SPLIT: 0
	.section	.text._ZN7rocprim17ROCPRIM_400000_NS6detail17trampoline_kernelINS0_14default_configENS1_22reduce_config_selectorIdEEZNS1_11reduce_implILb1ES3_N6thrust23THRUST_200600_302600_NS6detail15normal_iteratorINS8_10device_ptrIdEEEEPffNS8_4plusIfEEEE10hipError_tPvRmT1_T2_T3_mT4_P12ihipStream_tbEUlT_E1_NS1_11comp_targetILNS1_3genE5ELNS1_11target_archE942ELNS1_3gpuE9ELNS1_3repE0EEENS1_30default_config_static_selectorELNS0_4arch9wavefront6targetE1EEEvSK_,"axG",@progbits,_ZN7rocprim17ROCPRIM_400000_NS6detail17trampoline_kernelINS0_14default_configENS1_22reduce_config_selectorIdEEZNS1_11reduce_implILb1ES3_N6thrust23THRUST_200600_302600_NS6detail15normal_iteratorINS8_10device_ptrIdEEEEPffNS8_4plusIfEEEE10hipError_tPvRmT1_T2_T3_mT4_P12ihipStream_tbEUlT_E1_NS1_11comp_targetILNS1_3genE5ELNS1_11target_archE942ELNS1_3gpuE9ELNS1_3repE0EEENS1_30default_config_static_selectorELNS0_4arch9wavefront6targetE1EEEvSK_,comdat
	.protected	_ZN7rocprim17ROCPRIM_400000_NS6detail17trampoline_kernelINS0_14default_configENS1_22reduce_config_selectorIdEEZNS1_11reduce_implILb1ES3_N6thrust23THRUST_200600_302600_NS6detail15normal_iteratorINS8_10device_ptrIdEEEEPffNS8_4plusIfEEEE10hipError_tPvRmT1_T2_T3_mT4_P12ihipStream_tbEUlT_E1_NS1_11comp_targetILNS1_3genE5ELNS1_11target_archE942ELNS1_3gpuE9ELNS1_3repE0EEENS1_30default_config_static_selectorELNS0_4arch9wavefront6targetE1EEEvSK_ ; -- Begin function _ZN7rocprim17ROCPRIM_400000_NS6detail17trampoline_kernelINS0_14default_configENS1_22reduce_config_selectorIdEEZNS1_11reduce_implILb1ES3_N6thrust23THRUST_200600_302600_NS6detail15normal_iteratorINS8_10device_ptrIdEEEEPffNS8_4plusIfEEEE10hipError_tPvRmT1_T2_T3_mT4_P12ihipStream_tbEUlT_E1_NS1_11comp_targetILNS1_3genE5ELNS1_11target_archE942ELNS1_3gpuE9ELNS1_3repE0EEENS1_30default_config_static_selectorELNS0_4arch9wavefront6targetE1EEEvSK_
	.globl	_ZN7rocprim17ROCPRIM_400000_NS6detail17trampoline_kernelINS0_14default_configENS1_22reduce_config_selectorIdEEZNS1_11reduce_implILb1ES3_N6thrust23THRUST_200600_302600_NS6detail15normal_iteratorINS8_10device_ptrIdEEEEPffNS8_4plusIfEEEE10hipError_tPvRmT1_T2_T3_mT4_P12ihipStream_tbEUlT_E1_NS1_11comp_targetILNS1_3genE5ELNS1_11target_archE942ELNS1_3gpuE9ELNS1_3repE0EEENS1_30default_config_static_selectorELNS0_4arch9wavefront6targetE1EEEvSK_
	.p2align	8
	.type	_ZN7rocprim17ROCPRIM_400000_NS6detail17trampoline_kernelINS0_14default_configENS1_22reduce_config_selectorIdEEZNS1_11reduce_implILb1ES3_N6thrust23THRUST_200600_302600_NS6detail15normal_iteratorINS8_10device_ptrIdEEEEPffNS8_4plusIfEEEE10hipError_tPvRmT1_T2_T3_mT4_P12ihipStream_tbEUlT_E1_NS1_11comp_targetILNS1_3genE5ELNS1_11target_archE942ELNS1_3gpuE9ELNS1_3repE0EEENS1_30default_config_static_selectorELNS0_4arch9wavefront6targetE1EEEvSK_,@function
_ZN7rocprim17ROCPRIM_400000_NS6detail17trampoline_kernelINS0_14default_configENS1_22reduce_config_selectorIdEEZNS1_11reduce_implILb1ES3_N6thrust23THRUST_200600_302600_NS6detail15normal_iteratorINS8_10device_ptrIdEEEEPffNS8_4plusIfEEEE10hipError_tPvRmT1_T2_T3_mT4_P12ihipStream_tbEUlT_E1_NS1_11comp_targetILNS1_3genE5ELNS1_11target_archE942ELNS1_3gpuE9ELNS1_3repE0EEENS1_30default_config_static_selectorELNS0_4arch9wavefront6targetE1EEEvSK_: ; @_ZN7rocprim17ROCPRIM_400000_NS6detail17trampoline_kernelINS0_14default_configENS1_22reduce_config_selectorIdEEZNS1_11reduce_implILb1ES3_N6thrust23THRUST_200600_302600_NS6detail15normal_iteratorINS8_10device_ptrIdEEEEPffNS8_4plusIfEEEE10hipError_tPvRmT1_T2_T3_mT4_P12ihipStream_tbEUlT_E1_NS1_11comp_targetILNS1_3genE5ELNS1_11target_archE942ELNS1_3gpuE9ELNS1_3repE0EEENS1_30default_config_static_selectorELNS0_4arch9wavefront6targetE1EEEvSK_
; %bb.0:
	.section	.rodata,"a",@progbits
	.p2align	6, 0x0
	.amdhsa_kernel _ZN7rocprim17ROCPRIM_400000_NS6detail17trampoline_kernelINS0_14default_configENS1_22reduce_config_selectorIdEEZNS1_11reduce_implILb1ES3_N6thrust23THRUST_200600_302600_NS6detail15normal_iteratorINS8_10device_ptrIdEEEEPffNS8_4plusIfEEEE10hipError_tPvRmT1_T2_T3_mT4_P12ihipStream_tbEUlT_E1_NS1_11comp_targetILNS1_3genE5ELNS1_11target_archE942ELNS1_3gpuE9ELNS1_3repE0EEENS1_30default_config_static_selectorELNS0_4arch9wavefront6targetE1EEEvSK_
		.amdhsa_group_segment_fixed_size 0
		.amdhsa_private_segment_fixed_size 0
		.amdhsa_kernarg_size 40
		.amdhsa_user_sgpr_count 2
		.amdhsa_user_sgpr_dispatch_ptr 0
		.amdhsa_user_sgpr_queue_ptr 0
		.amdhsa_user_sgpr_kernarg_segment_ptr 1
		.amdhsa_user_sgpr_dispatch_id 0
		.amdhsa_user_sgpr_kernarg_preload_length 0
		.amdhsa_user_sgpr_kernarg_preload_offset 0
		.amdhsa_user_sgpr_private_segment_size 0
		.amdhsa_uses_dynamic_stack 0
		.amdhsa_enable_private_segment 0
		.amdhsa_system_sgpr_workgroup_id_x 1
		.amdhsa_system_sgpr_workgroup_id_y 0
		.amdhsa_system_sgpr_workgroup_id_z 0
		.amdhsa_system_sgpr_workgroup_info 0
		.amdhsa_system_vgpr_workitem_id 0
		.amdhsa_next_free_vgpr 1
		.amdhsa_next_free_sgpr 0
		.amdhsa_accum_offset 4
		.amdhsa_reserve_vcc 0
		.amdhsa_float_round_mode_32 0
		.amdhsa_float_round_mode_16_64 0
		.amdhsa_float_denorm_mode_32 3
		.amdhsa_float_denorm_mode_16_64 3
		.amdhsa_dx10_clamp 1
		.amdhsa_ieee_mode 1
		.amdhsa_fp16_overflow 0
		.amdhsa_tg_split 0
		.amdhsa_exception_fp_ieee_invalid_op 0
		.amdhsa_exception_fp_denorm_src 0
		.amdhsa_exception_fp_ieee_div_zero 0
		.amdhsa_exception_fp_ieee_overflow 0
		.amdhsa_exception_fp_ieee_underflow 0
		.amdhsa_exception_fp_ieee_inexact 0
		.amdhsa_exception_int_div_zero 0
	.end_amdhsa_kernel
	.section	.text._ZN7rocprim17ROCPRIM_400000_NS6detail17trampoline_kernelINS0_14default_configENS1_22reduce_config_selectorIdEEZNS1_11reduce_implILb1ES3_N6thrust23THRUST_200600_302600_NS6detail15normal_iteratorINS8_10device_ptrIdEEEEPffNS8_4plusIfEEEE10hipError_tPvRmT1_T2_T3_mT4_P12ihipStream_tbEUlT_E1_NS1_11comp_targetILNS1_3genE5ELNS1_11target_archE942ELNS1_3gpuE9ELNS1_3repE0EEENS1_30default_config_static_selectorELNS0_4arch9wavefront6targetE1EEEvSK_,"axG",@progbits,_ZN7rocprim17ROCPRIM_400000_NS6detail17trampoline_kernelINS0_14default_configENS1_22reduce_config_selectorIdEEZNS1_11reduce_implILb1ES3_N6thrust23THRUST_200600_302600_NS6detail15normal_iteratorINS8_10device_ptrIdEEEEPffNS8_4plusIfEEEE10hipError_tPvRmT1_T2_T3_mT4_P12ihipStream_tbEUlT_E1_NS1_11comp_targetILNS1_3genE5ELNS1_11target_archE942ELNS1_3gpuE9ELNS1_3repE0EEENS1_30default_config_static_selectorELNS0_4arch9wavefront6targetE1EEEvSK_,comdat
.Lfunc_end325:
	.size	_ZN7rocprim17ROCPRIM_400000_NS6detail17trampoline_kernelINS0_14default_configENS1_22reduce_config_selectorIdEEZNS1_11reduce_implILb1ES3_N6thrust23THRUST_200600_302600_NS6detail15normal_iteratorINS8_10device_ptrIdEEEEPffNS8_4plusIfEEEE10hipError_tPvRmT1_T2_T3_mT4_P12ihipStream_tbEUlT_E1_NS1_11comp_targetILNS1_3genE5ELNS1_11target_archE942ELNS1_3gpuE9ELNS1_3repE0EEENS1_30default_config_static_selectorELNS0_4arch9wavefront6targetE1EEEvSK_, .Lfunc_end325-_ZN7rocprim17ROCPRIM_400000_NS6detail17trampoline_kernelINS0_14default_configENS1_22reduce_config_selectorIdEEZNS1_11reduce_implILb1ES3_N6thrust23THRUST_200600_302600_NS6detail15normal_iteratorINS8_10device_ptrIdEEEEPffNS8_4plusIfEEEE10hipError_tPvRmT1_T2_T3_mT4_P12ihipStream_tbEUlT_E1_NS1_11comp_targetILNS1_3genE5ELNS1_11target_archE942ELNS1_3gpuE9ELNS1_3repE0EEENS1_30default_config_static_selectorELNS0_4arch9wavefront6targetE1EEEvSK_
                                        ; -- End function
	.set _ZN7rocprim17ROCPRIM_400000_NS6detail17trampoline_kernelINS0_14default_configENS1_22reduce_config_selectorIdEEZNS1_11reduce_implILb1ES3_N6thrust23THRUST_200600_302600_NS6detail15normal_iteratorINS8_10device_ptrIdEEEEPffNS8_4plusIfEEEE10hipError_tPvRmT1_T2_T3_mT4_P12ihipStream_tbEUlT_E1_NS1_11comp_targetILNS1_3genE5ELNS1_11target_archE942ELNS1_3gpuE9ELNS1_3repE0EEENS1_30default_config_static_selectorELNS0_4arch9wavefront6targetE1EEEvSK_.num_vgpr, 0
	.set _ZN7rocprim17ROCPRIM_400000_NS6detail17trampoline_kernelINS0_14default_configENS1_22reduce_config_selectorIdEEZNS1_11reduce_implILb1ES3_N6thrust23THRUST_200600_302600_NS6detail15normal_iteratorINS8_10device_ptrIdEEEEPffNS8_4plusIfEEEE10hipError_tPvRmT1_T2_T3_mT4_P12ihipStream_tbEUlT_E1_NS1_11comp_targetILNS1_3genE5ELNS1_11target_archE942ELNS1_3gpuE9ELNS1_3repE0EEENS1_30default_config_static_selectorELNS0_4arch9wavefront6targetE1EEEvSK_.num_agpr, 0
	.set _ZN7rocprim17ROCPRIM_400000_NS6detail17trampoline_kernelINS0_14default_configENS1_22reduce_config_selectorIdEEZNS1_11reduce_implILb1ES3_N6thrust23THRUST_200600_302600_NS6detail15normal_iteratorINS8_10device_ptrIdEEEEPffNS8_4plusIfEEEE10hipError_tPvRmT1_T2_T3_mT4_P12ihipStream_tbEUlT_E1_NS1_11comp_targetILNS1_3genE5ELNS1_11target_archE942ELNS1_3gpuE9ELNS1_3repE0EEENS1_30default_config_static_selectorELNS0_4arch9wavefront6targetE1EEEvSK_.numbered_sgpr, 0
	.set _ZN7rocprim17ROCPRIM_400000_NS6detail17trampoline_kernelINS0_14default_configENS1_22reduce_config_selectorIdEEZNS1_11reduce_implILb1ES3_N6thrust23THRUST_200600_302600_NS6detail15normal_iteratorINS8_10device_ptrIdEEEEPffNS8_4plusIfEEEE10hipError_tPvRmT1_T2_T3_mT4_P12ihipStream_tbEUlT_E1_NS1_11comp_targetILNS1_3genE5ELNS1_11target_archE942ELNS1_3gpuE9ELNS1_3repE0EEENS1_30default_config_static_selectorELNS0_4arch9wavefront6targetE1EEEvSK_.num_named_barrier, 0
	.set _ZN7rocprim17ROCPRIM_400000_NS6detail17trampoline_kernelINS0_14default_configENS1_22reduce_config_selectorIdEEZNS1_11reduce_implILb1ES3_N6thrust23THRUST_200600_302600_NS6detail15normal_iteratorINS8_10device_ptrIdEEEEPffNS8_4plusIfEEEE10hipError_tPvRmT1_T2_T3_mT4_P12ihipStream_tbEUlT_E1_NS1_11comp_targetILNS1_3genE5ELNS1_11target_archE942ELNS1_3gpuE9ELNS1_3repE0EEENS1_30default_config_static_selectorELNS0_4arch9wavefront6targetE1EEEvSK_.private_seg_size, 0
	.set _ZN7rocprim17ROCPRIM_400000_NS6detail17trampoline_kernelINS0_14default_configENS1_22reduce_config_selectorIdEEZNS1_11reduce_implILb1ES3_N6thrust23THRUST_200600_302600_NS6detail15normal_iteratorINS8_10device_ptrIdEEEEPffNS8_4plusIfEEEE10hipError_tPvRmT1_T2_T3_mT4_P12ihipStream_tbEUlT_E1_NS1_11comp_targetILNS1_3genE5ELNS1_11target_archE942ELNS1_3gpuE9ELNS1_3repE0EEENS1_30default_config_static_selectorELNS0_4arch9wavefront6targetE1EEEvSK_.uses_vcc, 0
	.set _ZN7rocprim17ROCPRIM_400000_NS6detail17trampoline_kernelINS0_14default_configENS1_22reduce_config_selectorIdEEZNS1_11reduce_implILb1ES3_N6thrust23THRUST_200600_302600_NS6detail15normal_iteratorINS8_10device_ptrIdEEEEPffNS8_4plusIfEEEE10hipError_tPvRmT1_T2_T3_mT4_P12ihipStream_tbEUlT_E1_NS1_11comp_targetILNS1_3genE5ELNS1_11target_archE942ELNS1_3gpuE9ELNS1_3repE0EEENS1_30default_config_static_selectorELNS0_4arch9wavefront6targetE1EEEvSK_.uses_flat_scratch, 0
	.set _ZN7rocprim17ROCPRIM_400000_NS6detail17trampoline_kernelINS0_14default_configENS1_22reduce_config_selectorIdEEZNS1_11reduce_implILb1ES3_N6thrust23THRUST_200600_302600_NS6detail15normal_iteratorINS8_10device_ptrIdEEEEPffNS8_4plusIfEEEE10hipError_tPvRmT1_T2_T3_mT4_P12ihipStream_tbEUlT_E1_NS1_11comp_targetILNS1_3genE5ELNS1_11target_archE942ELNS1_3gpuE9ELNS1_3repE0EEENS1_30default_config_static_selectorELNS0_4arch9wavefront6targetE1EEEvSK_.has_dyn_sized_stack, 0
	.set _ZN7rocprim17ROCPRIM_400000_NS6detail17trampoline_kernelINS0_14default_configENS1_22reduce_config_selectorIdEEZNS1_11reduce_implILb1ES3_N6thrust23THRUST_200600_302600_NS6detail15normal_iteratorINS8_10device_ptrIdEEEEPffNS8_4plusIfEEEE10hipError_tPvRmT1_T2_T3_mT4_P12ihipStream_tbEUlT_E1_NS1_11comp_targetILNS1_3genE5ELNS1_11target_archE942ELNS1_3gpuE9ELNS1_3repE0EEENS1_30default_config_static_selectorELNS0_4arch9wavefront6targetE1EEEvSK_.has_recursion, 0
	.set _ZN7rocprim17ROCPRIM_400000_NS6detail17trampoline_kernelINS0_14default_configENS1_22reduce_config_selectorIdEEZNS1_11reduce_implILb1ES3_N6thrust23THRUST_200600_302600_NS6detail15normal_iteratorINS8_10device_ptrIdEEEEPffNS8_4plusIfEEEE10hipError_tPvRmT1_T2_T3_mT4_P12ihipStream_tbEUlT_E1_NS1_11comp_targetILNS1_3genE5ELNS1_11target_archE942ELNS1_3gpuE9ELNS1_3repE0EEENS1_30default_config_static_selectorELNS0_4arch9wavefront6targetE1EEEvSK_.has_indirect_call, 0
	.section	.AMDGPU.csdata,"",@progbits
; Kernel info:
; codeLenInByte = 0
; TotalNumSgprs: 6
; NumVgprs: 0
; NumAgprs: 0
; TotalNumVgprs: 0
; ScratchSize: 0
; MemoryBound: 0
; FloatMode: 240
; IeeeMode: 1
; LDSByteSize: 0 bytes/workgroup (compile time only)
; SGPRBlocks: 0
; VGPRBlocks: 0
; NumSGPRsForWavesPerEU: 6
; NumVGPRsForWavesPerEU: 1
; AccumOffset: 4
; Occupancy: 8
; WaveLimiterHint : 0
; COMPUTE_PGM_RSRC2:SCRATCH_EN: 0
; COMPUTE_PGM_RSRC2:USER_SGPR: 2
; COMPUTE_PGM_RSRC2:TRAP_HANDLER: 0
; COMPUTE_PGM_RSRC2:TGID_X_EN: 1
; COMPUTE_PGM_RSRC2:TGID_Y_EN: 0
; COMPUTE_PGM_RSRC2:TGID_Z_EN: 0
; COMPUTE_PGM_RSRC2:TIDIG_COMP_CNT: 0
; COMPUTE_PGM_RSRC3_GFX90A:ACCUM_OFFSET: 0
; COMPUTE_PGM_RSRC3_GFX90A:TG_SPLIT: 0
	.section	.text._ZN7rocprim17ROCPRIM_400000_NS6detail17trampoline_kernelINS0_14default_configENS1_22reduce_config_selectorIdEEZNS1_11reduce_implILb1ES3_N6thrust23THRUST_200600_302600_NS6detail15normal_iteratorINS8_10device_ptrIdEEEEPffNS8_4plusIfEEEE10hipError_tPvRmT1_T2_T3_mT4_P12ihipStream_tbEUlT_E1_NS1_11comp_targetILNS1_3genE4ELNS1_11target_archE910ELNS1_3gpuE8ELNS1_3repE0EEENS1_30default_config_static_selectorELNS0_4arch9wavefront6targetE1EEEvSK_,"axG",@progbits,_ZN7rocprim17ROCPRIM_400000_NS6detail17trampoline_kernelINS0_14default_configENS1_22reduce_config_selectorIdEEZNS1_11reduce_implILb1ES3_N6thrust23THRUST_200600_302600_NS6detail15normal_iteratorINS8_10device_ptrIdEEEEPffNS8_4plusIfEEEE10hipError_tPvRmT1_T2_T3_mT4_P12ihipStream_tbEUlT_E1_NS1_11comp_targetILNS1_3genE4ELNS1_11target_archE910ELNS1_3gpuE8ELNS1_3repE0EEENS1_30default_config_static_selectorELNS0_4arch9wavefront6targetE1EEEvSK_,comdat
	.protected	_ZN7rocprim17ROCPRIM_400000_NS6detail17trampoline_kernelINS0_14default_configENS1_22reduce_config_selectorIdEEZNS1_11reduce_implILb1ES3_N6thrust23THRUST_200600_302600_NS6detail15normal_iteratorINS8_10device_ptrIdEEEEPffNS8_4plusIfEEEE10hipError_tPvRmT1_T2_T3_mT4_P12ihipStream_tbEUlT_E1_NS1_11comp_targetILNS1_3genE4ELNS1_11target_archE910ELNS1_3gpuE8ELNS1_3repE0EEENS1_30default_config_static_selectorELNS0_4arch9wavefront6targetE1EEEvSK_ ; -- Begin function _ZN7rocprim17ROCPRIM_400000_NS6detail17trampoline_kernelINS0_14default_configENS1_22reduce_config_selectorIdEEZNS1_11reduce_implILb1ES3_N6thrust23THRUST_200600_302600_NS6detail15normal_iteratorINS8_10device_ptrIdEEEEPffNS8_4plusIfEEEE10hipError_tPvRmT1_T2_T3_mT4_P12ihipStream_tbEUlT_E1_NS1_11comp_targetILNS1_3genE4ELNS1_11target_archE910ELNS1_3gpuE8ELNS1_3repE0EEENS1_30default_config_static_selectorELNS0_4arch9wavefront6targetE1EEEvSK_
	.globl	_ZN7rocprim17ROCPRIM_400000_NS6detail17trampoline_kernelINS0_14default_configENS1_22reduce_config_selectorIdEEZNS1_11reduce_implILb1ES3_N6thrust23THRUST_200600_302600_NS6detail15normal_iteratorINS8_10device_ptrIdEEEEPffNS8_4plusIfEEEE10hipError_tPvRmT1_T2_T3_mT4_P12ihipStream_tbEUlT_E1_NS1_11comp_targetILNS1_3genE4ELNS1_11target_archE910ELNS1_3gpuE8ELNS1_3repE0EEENS1_30default_config_static_selectorELNS0_4arch9wavefront6targetE1EEEvSK_
	.p2align	8
	.type	_ZN7rocprim17ROCPRIM_400000_NS6detail17trampoline_kernelINS0_14default_configENS1_22reduce_config_selectorIdEEZNS1_11reduce_implILb1ES3_N6thrust23THRUST_200600_302600_NS6detail15normal_iteratorINS8_10device_ptrIdEEEEPffNS8_4plusIfEEEE10hipError_tPvRmT1_T2_T3_mT4_P12ihipStream_tbEUlT_E1_NS1_11comp_targetILNS1_3genE4ELNS1_11target_archE910ELNS1_3gpuE8ELNS1_3repE0EEENS1_30default_config_static_selectorELNS0_4arch9wavefront6targetE1EEEvSK_,@function
_ZN7rocprim17ROCPRIM_400000_NS6detail17trampoline_kernelINS0_14default_configENS1_22reduce_config_selectorIdEEZNS1_11reduce_implILb1ES3_N6thrust23THRUST_200600_302600_NS6detail15normal_iteratorINS8_10device_ptrIdEEEEPffNS8_4plusIfEEEE10hipError_tPvRmT1_T2_T3_mT4_P12ihipStream_tbEUlT_E1_NS1_11comp_targetILNS1_3genE4ELNS1_11target_archE910ELNS1_3gpuE8ELNS1_3repE0EEENS1_30default_config_static_selectorELNS0_4arch9wavefront6targetE1EEEvSK_: ; @_ZN7rocprim17ROCPRIM_400000_NS6detail17trampoline_kernelINS0_14default_configENS1_22reduce_config_selectorIdEEZNS1_11reduce_implILb1ES3_N6thrust23THRUST_200600_302600_NS6detail15normal_iteratorINS8_10device_ptrIdEEEEPffNS8_4plusIfEEEE10hipError_tPvRmT1_T2_T3_mT4_P12ihipStream_tbEUlT_E1_NS1_11comp_targetILNS1_3genE4ELNS1_11target_archE910ELNS1_3gpuE8ELNS1_3repE0EEENS1_30default_config_static_selectorELNS0_4arch9wavefront6targetE1EEEvSK_
; %bb.0:
	.section	.rodata,"a",@progbits
	.p2align	6, 0x0
	.amdhsa_kernel _ZN7rocprim17ROCPRIM_400000_NS6detail17trampoline_kernelINS0_14default_configENS1_22reduce_config_selectorIdEEZNS1_11reduce_implILb1ES3_N6thrust23THRUST_200600_302600_NS6detail15normal_iteratorINS8_10device_ptrIdEEEEPffNS8_4plusIfEEEE10hipError_tPvRmT1_T2_T3_mT4_P12ihipStream_tbEUlT_E1_NS1_11comp_targetILNS1_3genE4ELNS1_11target_archE910ELNS1_3gpuE8ELNS1_3repE0EEENS1_30default_config_static_selectorELNS0_4arch9wavefront6targetE1EEEvSK_
		.amdhsa_group_segment_fixed_size 0
		.amdhsa_private_segment_fixed_size 0
		.amdhsa_kernarg_size 40
		.amdhsa_user_sgpr_count 2
		.amdhsa_user_sgpr_dispatch_ptr 0
		.amdhsa_user_sgpr_queue_ptr 0
		.amdhsa_user_sgpr_kernarg_segment_ptr 1
		.amdhsa_user_sgpr_dispatch_id 0
		.amdhsa_user_sgpr_kernarg_preload_length 0
		.amdhsa_user_sgpr_kernarg_preload_offset 0
		.amdhsa_user_sgpr_private_segment_size 0
		.amdhsa_uses_dynamic_stack 0
		.amdhsa_enable_private_segment 0
		.amdhsa_system_sgpr_workgroup_id_x 1
		.amdhsa_system_sgpr_workgroup_id_y 0
		.amdhsa_system_sgpr_workgroup_id_z 0
		.amdhsa_system_sgpr_workgroup_info 0
		.amdhsa_system_vgpr_workitem_id 0
		.amdhsa_next_free_vgpr 1
		.amdhsa_next_free_sgpr 0
		.amdhsa_accum_offset 4
		.amdhsa_reserve_vcc 0
		.amdhsa_float_round_mode_32 0
		.amdhsa_float_round_mode_16_64 0
		.amdhsa_float_denorm_mode_32 3
		.amdhsa_float_denorm_mode_16_64 3
		.amdhsa_dx10_clamp 1
		.amdhsa_ieee_mode 1
		.amdhsa_fp16_overflow 0
		.amdhsa_tg_split 0
		.amdhsa_exception_fp_ieee_invalid_op 0
		.amdhsa_exception_fp_denorm_src 0
		.amdhsa_exception_fp_ieee_div_zero 0
		.amdhsa_exception_fp_ieee_overflow 0
		.amdhsa_exception_fp_ieee_underflow 0
		.amdhsa_exception_fp_ieee_inexact 0
		.amdhsa_exception_int_div_zero 0
	.end_amdhsa_kernel
	.section	.text._ZN7rocprim17ROCPRIM_400000_NS6detail17trampoline_kernelINS0_14default_configENS1_22reduce_config_selectorIdEEZNS1_11reduce_implILb1ES3_N6thrust23THRUST_200600_302600_NS6detail15normal_iteratorINS8_10device_ptrIdEEEEPffNS8_4plusIfEEEE10hipError_tPvRmT1_T2_T3_mT4_P12ihipStream_tbEUlT_E1_NS1_11comp_targetILNS1_3genE4ELNS1_11target_archE910ELNS1_3gpuE8ELNS1_3repE0EEENS1_30default_config_static_selectorELNS0_4arch9wavefront6targetE1EEEvSK_,"axG",@progbits,_ZN7rocprim17ROCPRIM_400000_NS6detail17trampoline_kernelINS0_14default_configENS1_22reduce_config_selectorIdEEZNS1_11reduce_implILb1ES3_N6thrust23THRUST_200600_302600_NS6detail15normal_iteratorINS8_10device_ptrIdEEEEPffNS8_4plusIfEEEE10hipError_tPvRmT1_T2_T3_mT4_P12ihipStream_tbEUlT_E1_NS1_11comp_targetILNS1_3genE4ELNS1_11target_archE910ELNS1_3gpuE8ELNS1_3repE0EEENS1_30default_config_static_selectorELNS0_4arch9wavefront6targetE1EEEvSK_,comdat
.Lfunc_end326:
	.size	_ZN7rocprim17ROCPRIM_400000_NS6detail17trampoline_kernelINS0_14default_configENS1_22reduce_config_selectorIdEEZNS1_11reduce_implILb1ES3_N6thrust23THRUST_200600_302600_NS6detail15normal_iteratorINS8_10device_ptrIdEEEEPffNS8_4plusIfEEEE10hipError_tPvRmT1_T2_T3_mT4_P12ihipStream_tbEUlT_E1_NS1_11comp_targetILNS1_3genE4ELNS1_11target_archE910ELNS1_3gpuE8ELNS1_3repE0EEENS1_30default_config_static_selectorELNS0_4arch9wavefront6targetE1EEEvSK_, .Lfunc_end326-_ZN7rocprim17ROCPRIM_400000_NS6detail17trampoline_kernelINS0_14default_configENS1_22reduce_config_selectorIdEEZNS1_11reduce_implILb1ES3_N6thrust23THRUST_200600_302600_NS6detail15normal_iteratorINS8_10device_ptrIdEEEEPffNS8_4plusIfEEEE10hipError_tPvRmT1_T2_T3_mT4_P12ihipStream_tbEUlT_E1_NS1_11comp_targetILNS1_3genE4ELNS1_11target_archE910ELNS1_3gpuE8ELNS1_3repE0EEENS1_30default_config_static_selectorELNS0_4arch9wavefront6targetE1EEEvSK_
                                        ; -- End function
	.set _ZN7rocprim17ROCPRIM_400000_NS6detail17trampoline_kernelINS0_14default_configENS1_22reduce_config_selectorIdEEZNS1_11reduce_implILb1ES3_N6thrust23THRUST_200600_302600_NS6detail15normal_iteratorINS8_10device_ptrIdEEEEPffNS8_4plusIfEEEE10hipError_tPvRmT1_T2_T3_mT4_P12ihipStream_tbEUlT_E1_NS1_11comp_targetILNS1_3genE4ELNS1_11target_archE910ELNS1_3gpuE8ELNS1_3repE0EEENS1_30default_config_static_selectorELNS0_4arch9wavefront6targetE1EEEvSK_.num_vgpr, 0
	.set _ZN7rocprim17ROCPRIM_400000_NS6detail17trampoline_kernelINS0_14default_configENS1_22reduce_config_selectorIdEEZNS1_11reduce_implILb1ES3_N6thrust23THRUST_200600_302600_NS6detail15normal_iteratorINS8_10device_ptrIdEEEEPffNS8_4plusIfEEEE10hipError_tPvRmT1_T2_T3_mT4_P12ihipStream_tbEUlT_E1_NS1_11comp_targetILNS1_3genE4ELNS1_11target_archE910ELNS1_3gpuE8ELNS1_3repE0EEENS1_30default_config_static_selectorELNS0_4arch9wavefront6targetE1EEEvSK_.num_agpr, 0
	.set _ZN7rocprim17ROCPRIM_400000_NS6detail17trampoline_kernelINS0_14default_configENS1_22reduce_config_selectorIdEEZNS1_11reduce_implILb1ES3_N6thrust23THRUST_200600_302600_NS6detail15normal_iteratorINS8_10device_ptrIdEEEEPffNS8_4plusIfEEEE10hipError_tPvRmT1_T2_T3_mT4_P12ihipStream_tbEUlT_E1_NS1_11comp_targetILNS1_3genE4ELNS1_11target_archE910ELNS1_3gpuE8ELNS1_3repE0EEENS1_30default_config_static_selectorELNS0_4arch9wavefront6targetE1EEEvSK_.numbered_sgpr, 0
	.set _ZN7rocprim17ROCPRIM_400000_NS6detail17trampoline_kernelINS0_14default_configENS1_22reduce_config_selectorIdEEZNS1_11reduce_implILb1ES3_N6thrust23THRUST_200600_302600_NS6detail15normal_iteratorINS8_10device_ptrIdEEEEPffNS8_4plusIfEEEE10hipError_tPvRmT1_T2_T3_mT4_P12ihipStream_tbEUlT_E1_NS1_11comp_targetILNS1_3genE4ELNS1_11target_archE910ELNS1_3gpuE8ELNS1_3repE0EEENS1_30default_config_static_selectorELNS0_4arch9wavefront6targetE1EEEvSK_.num_named_barrier, 0
	.set _ZN7rocprim17ROCPRIM_400000_NS6detail17trampoline_kernelINS0_14default_configENS1_22reduce_config_selectorIdEEZNS1_11reduce_implILb1ES3_N6thrust23THRUST_200600_302600_NS6detail15normal_iteratorINS8_10device_ptrIdEEEEPffNS8_4plusIfEEEE10hipError_tPvRmT1_T2_T3_mT4_P12ihipStream_tbEUlT_E1_NS1_11comp_targetILNS1_3genE4ELNS1_11target_archE910ELNS1_3gpuE8ELNS1_3repE0EEENS1_30default_config_static_selectorELNS0_4arch9wavefront6targetE1EEEvSK_.private_seg_size, 0
	.set _ZN7rocprim17ROCPRIM_400000_NS6detail17trampoline_kernelINS0_14default_configENS1_22reduce_config_selectorIdEEZNS1_11reduce_implILb1ES3_N6thrust23THRUST_200600_302600_NS6detail15normal_iteratorINS8_10device_ptrIdEEEEPffNS8_4plusIfEEEE10hipError_tPvRmT1_T2_T3_mT4_P12ihipStream_tbEUlT_E1_NS1_11comp_targetILNS1_3genE4ELNS1_11target_archE910ELNS1_3gpuE8ELNS1_3repE0EEENS1_30default_config_static_selectorELNS0_4arch9wavefront6targetE1EEEvSK_.uses_vcc, 0
	.set _ZN7rocprim17ROCPRIM_400000_NS6detail17trampoline_kernelINS0_14default_configENS1_22reduce_config_selectorIdEEZNS1_11reduce_implILb1ES3_N6thrust23THRUST_200600_302600_NS6detail15normal_iteratorINS8_10device_ptrIdEEEEPffNS8_4plusIfEEEE10hipError_tPvRmT1_T2_T3_mT4_P12ihipStream_tbEUlT_E1_NS1_11comp_targetILNS1_3genE4ELNS1_11target_archE910ELNS1_3gpuE8ELNS1_3repE0EEENS1_30default_config_static_selectorELNS0_4arch9wavefront6targetE1EEEvSK_.uses_flat_scratch, 0
	.set _ZN7rocprim17ROCPRIM_400000_NS6detail17trampoline_kernelINS0_14default_configENS1_22reduce_config_selectorIdEEZNS1_11reduce_implILb1ES3_N6thrust23THRUST_200600_302600_NS6detail15normal_iteratorINS8_10device_ptrIdEEEEPffNS8_4plusIfEEEE10hipError_tPvRmT1_T2_T3_mT4_P12ihipStream_tbEUlT_E1_NS1_11comp_targetILNS1_3genE4ELNS1_11target_archE910ELNS1_3gpuE8ELNS1_3repE0EEENS1_30default_config_static_selectorELNS0_4arch9wavefront6targetE1EEEvSK_.has_dyn_sized_stack, 0
	.set _ZN7rocprim17ROCPRIM_400000_NS6detail17trampoline_kernelINS0_14default_configENS1_22reduce_config_selectorIdEEZNS1_11reduce_implILb1ES3_N6thrust23THRUST_200600_302600_NS6detail15normal_iteratorINS8_10device_ptrIdEEEEPffNS8_4plusIfEEEE10hipError_tPvRmT1_T2_T3_mT4_P12ihipStream_tbEUlT_E1_NS1_11comp_targetILNS1_3genE4ELNS1_11target_archE910ELNS1_3gpuE8ELNS1_3repE0EEENS1_30default_config_static_selectorELNS0_4arch9wavefront6targetE1EEEvSK_.has_recursion, 0
	.set _ZN7rocprim17ROCPRIM_400000_NS6detail17trampoline_kernelINS0_14default_configENS1_22reduce_config_selectorIdEEZNS1_11reduce_implILb1ES3_N6thrust23THRUST_200600_302600_NS6detail15normal_iteratorINS8_10device_ptrIdEEEEPffNS8_4plusIfEEEE10hipError_tPvRmT1_T2_T3_mT4_P12ihipStream_tbEUlT_E1_NS1_11comp_targetILNS1_3genE4ELNS1_11target_archE910ELNS1_3gpuE8ELNS1_3repE0EEENS1_30default_config_static_selectorELNS0_4arch9wavefront6targetE1EEEvSK_.has_indirect_call, 0
	.section	.AMDGPU.csdata,"",@progbits
; Kernel info:
; codeLenInByte = 0
; TotalNumSgprs: 6
; NumVgprs: 0
; NumAgprs: 0
; TotalNumVgprs: 0
; ScratchSize: 0
; MemoryBound: 0
; FloatMode: 240
; IeeeMode: 1
; LDSByteSize: 0 bytes/workgroup (compile time only)
; SGPRBlocks: 0
; VGPRBlocks: 0
; NumSGPRsForWavesPerEU: 6
; NumVGPRsForWavesPerEU: 1
; AccumOffset: 4
; Occupancy: 8
; WaveLimiterHint : 0
; COMPUTE_PGM_RSRC2:SCRATCH_EN: 0
; COMPUTE_PGM_RSRC2:USER_SGPR: 2
; COMPUTE_PGM_RSRC2:TRAP_HANDLER: 0
; COMPUTE_PGM_RSRC2:TGID_X_EN: 1
; COMPUTE_PGM_RSRC2:TGID_Y_EN: 0
; COMPUTE_PGM_RSRC2:TGID_Z_EN: 0
; COMPUTE_PGM_RSRC2:TIDIG_COMP_CNT: 0
; COMPUTE_PGM_RSRC3_GFX90A:ACCUM_OFFSET: 0
; COMPUTE_PGM_RSRC3_GFX90A:TG_SPLIT: 0
	.section	.text._ZN7rocprim17ROCPRIM_400000_NS6detail17trampoline_kernelINS0_14default_configENS1_22reduce_config_selectorIdEEZNS1_11reduce_implILb1ES3_N6thrust23THRUST_200600_302600_NS6detail15normal_iteratorINS8_10device_ptrIdEEEEPffNS8_4plusIfEEEE10hipError_tPvRmT1_T2_T3_mT4_P12ihipStream_tbEUlT_E1_NS1_11comp_targetILNS1_3genE3ELNS1_11target_archE908ELNS1_3gpuE7ELNS1_3repE0EEENS1_30default_config_static_selectorELNS0_4arch9wavefront6targetE1EEEvSK_,"axG",@progbits,_ZN7rocprim17ROCPRIM_400000_NS6detail17trampoline_kernelINS0_14default_configENS1_22reduce_config_selectorIdEEZNS1_11reduce_implILb1ES3_N6thrust23THRUST_200600_302600_NS6detail15normal_iteratorINS8_10device_ptrIdEEEEPffNS8_4plusIfEEEE10hipError_tPvRmT1_T2_T3_mT4_P12ihipStream_tbEUlT_E1_NS1_11comp_targetILNS1_3genE3ELNS1_11target_archE908ELNS1_3gpuE7ELNS1_3repE0EEENS1_30default_config_static_selectorELNS0_4arch9wavefront6targetE1EEEvSK_,comdat
	.protected	_ZN7rocprim17ROCPRIM_400000_NS6detail17trampoline_kernelINS0_14default_configENS1_22reduce_config_selectorIdEEZNS1_11reduce_implILb1ES3_N6thrust23THRUST_200600_302600_NS6detail15normal_iteratorINS8_10device_ptrIdEEEEPffNS8_4plusIfEEEE10hipError_tPvRmT1_T2_T3_mT4_P12ihipStream_tbEUlT_E1_NS1_11comp_targetILNS1_3genE3ELNS1_11target_archE908ELNS1_3gpuE7ELNS1_3repE0EEENS1_30default_config_static_selectorELNS0_4arch9wavefront6targetE1EEEvSK_ ; -- Begin function _ZN7rocprim17ROCPRIM_400000_NS6detail17trampoline_kernelINS0_14default_configENS1_22reduce_config_selectorIdEEZNS1_11reduce_implILb1ES3_N6thrust23THRUST_200600_302600_NS6detail15normal_iteratorINS8_10device_ptrIdEEEEPffNS8_4plusIfEEEE10hipError_tPvRmT1_T2_T3_mT4_P12ihipStream_tbEUlT_E1_NS1_11comp_targetILNS1_3genE3ELNS1_11target_archE908ELNS1_3gpuE7ELNS1_3repE0EEENS1_30default_config_static_selectorELNS0_4arch9wavefront6targetE1EEEvSK_
	.globl	_ZN7rocprim17ROCPRIM_400000_NS6detail17trampoline_kernelINS0_14default_configENS1_22reduce_config_selectorIdEEZNS1_11reduce_implILb1ES3_N6thrust23THRUST_200600_302600_NS6detail15normal_iteratorINS8_10device_ptrIdEEEEPffNS8_4plusIfEEEE10hipError_tPvRmT1_T2_T3_mT4_P12ihipStream_tbEUlT_E1_NS1_11comp_targetILNS1_3genE3ELNS1_11target_archE908ELNS1_3gpuE7ELNS1_3repE0EEENS1_30default_config_static_selectorELNS0_4arch9wavefront6targetE1EEEvSK_
	.p2align	8
	.type	_ZN7rocprim17ROCPRIM_400000_NS6detail17trampoline_kernelINS0_14default_configENS1_22reduce_config_selectorIdEEZNS1_11reduce_implILb1ES3_N6thrust23THRUST_200600_302600_NS6detail15normal_iteratorINS8_10device_ptrIdEEEEPffNS8_4plusIfEEEE10hipError_tPvRmT1_T2_T3_mT4_P12ihipStream_tbEUlT_E1_NS1_11comp_targetILNS1_3genE3ELNS1_11target_archE908ELNS1_3gpuE7ELNS1_3repE0EEENS1_30default_config_static_selectorELNS0_4arch9wavefront6targetE1EEEvSK_,@function
_ZN7rocprim17ROCPRIM_400000_NS6detail17trampoline_kernelINS0_14default_configENS1_22reduce_config_selectorIdEEZNS1_11reduce_implILb1ES3_N6thrust23THRUST_200600_302600_NS6detail15normal_iteratorINS8_10device_ptrIdEEEEPffNS8_4plusIfEEEE10hipError_tPvRmT1_T2_T3_mT4_P12ihipStream_tbEUlT_E1_NS1_11comp_targetILNS1_3genE3ELNS1_11target_archE908ELNS1_3gpuE7ELNS1_3repE0EEENS1_30default_config_static_selectorELNS0_4arch9wavefront6targetE1EEEvSK_: ; @_ZN7rocprim17ROCPRIM_400000_NS6detail17trampoline_kernelINS0_14default_configENS1_22reduce_config_selectorIdEEZNS1_11reduce_implILb1ES3_N6thrust23THRUST_200600_302600_NS6detail15normal_iteratorINS8_10device_ptrIdEEEEPffNS8_4plusIfEEEE10hipError_tPvRmT1_T2_T3_mT4_P12ihipStream_tbEUlT_E1_NS1_11comp_targetILNS1_3genE3ELNS1_11target_archE908ELNS1_3gpuE7ELNS1_3repE0EEENS1_30default_config_static_selectorELNS0_4arch9wavefront6targetE1EEEvSK_
; %bb.0:
	.section	.rodata,"a",@progbits
	.p2align	6, 0x0
	.amdhsa_kernel _ZN7rocprim17ROCPRIM_400000_NS6detail17trampoline_kernelINS0_14default_configENS1_22reduce_config_selectorIdEEZNS1_11reduce_implILb1ES3_N6thrust23THRUST_200600_302600_NS6detail15normal_iteratorINS8_10device_ptrIdEEEEPffNS8_4plusIfEEEE10hipError_tPvRmT1_T2_T3_mT4_P12ihipStream_tbEUlT_E1_NS1_11comp_targetILNS1_3genE3ELNS1_11target_archE908ELNS1_3gpuE7ELNS1_3repE0EEENS1_30default_config_static_selectorELNS0_4arch9wavefront6targetE1EEEvSK_
		.amdhsa_group_segment_fixed_size 0
		.amdhsa_private_segment_fixed_size 0
		.amdhsa_kernarg_size 40
		.amdhsa_user_sgpr_count 2
		.amdhsa_user_sgpr_dispatch_ptr 0
		.amdhsa_user_sgpr_queue_ptr 0
		.amdhsa_user_sgpr_kernarg_segment_ptr 1
		.amdhsa_user_sgpr_dispatch_id 0
		.amdhsa_user_sgpr_kernarg_preload_length 0
		.amdhsa_user_sgpr_kernarg_preload_offset 0
		.amdhsa_user_sgpr_private_segment_size 0
		.amdhsa_uses_dynamic_stack 0
		.amdhsa_enable_private_segment 0
		.amdhsa_system_sgpr_workgroup_id_x 1
		.amdhsa_system_sgpr_workgroup_id_y 0
		.amdhsa_system_sgpr_workgroup_id_z 0
		.amdhsa_system_sgpr_workgroup_info 0
		.amdhsa_system_vgpr_workitem_id 0
		.amdhsa_next_free_vgpr 1
		.amdhsa_next_free_sgpr 0
		.amdhsa_accum_offset 4
		.amdhsa_reserve_vcc 0
		.amdhsa_float_round_mode_32 0
		.amdhsa_float_round_mode_16_64 0
		.amdhsa_float_denorm_mode_32 3
		.amdhsa_float_denorm_mode_16_64 3
		.amdhsa_dx10_clamp 1
		.amdhsa_ieee_mode 1
		.amdhsa_fp16_overflow 0
		.amdhsa_tg_split 0
		.amdhsa_exception_fp_ieee_invalid_op 0
		.amdhsa_exception_fp_denorm_src 0
		.amdhsa_exception_fp_ieee_div_zero 0
		.amdhsa_exception_fp_ieee_overflow 0
		.amdhsa_exception_fp_ieee_underflow 0
		.amdhsa_exception_fp_ieee_inexact 0
		.amdhsa_exception_int_div_zero 0
	.end_amdhsa_kernel
	.section	.text._ZN7rocprim17ROCPRIM_400000_NS6detail17trampoline_kernelINS0_14default_configENS1_22reduce_config_selectorIdEEZNS1_11reduce_implILb1ES3_N6thrust23THRUST_200600_302600_NS6detail15normal_iteratorINS8_10device_ptrIdEEEEPffNS8_4plusIfEEEE10hipError_tPvRmT1_T2_T3_mT4_P12ihipStream_tbEUlT_E1_NS1_11comp_targetILNS1_3genE3ELNS1_11target_archE908ELNS1_3gpuE7ELNS1_3repE0EEENS1_30default_config_static_selectorELNS0_4arch9wavefront6targetE1EEEvSK_,"axG",@progbits,_ZN7rocprim17ROCPRIM_400000_NS6detail17trampoline_kernelINS0_14default_configENS1_22reduce_config_selectorIdEEZNS1_11reduce_implILb1ES3_N6thrust23THRUST_200600_302600_NS6detail15normal_iteratorINS8_10device_ptrIdEEEEPffNS8_4plusIfEEEE10hipError_tPvRmT1_T2_T3_mT4_P12ihipStream_tbEUlT_E1_NS1_11comp_targetILNS1_3genE3ELNS1_11target_archE908ELNS1_3gpuE7ELNS1_3repE0EEENS1_30default_config_static_selectorELNS0_4arch9wavefront6targetE1EEEvSK_,comdat
.Lfunc_end327:
	.size	_ZN7rocprim17ROCPRIM_400000_NS6detail17trampoline_kernelINS0_14default_configENS1_22reduce_config_selectorIdEEZNS1_11reduce_implILb1ES3_N6thrust23THRUST_200600_302600_NS6detail15normal_iteratorINS8_10device_ptrIdEEEEPffNS8_4plusIfEEEE10hipError_tPvRmT1_T2_T3_mT4_P12ihipStream_tbEUlT_E1_NS1_11comp_targetILNS1_3genE3ELNS1_11target_archE908ELNS1_3gpuE7ELNS1_3repE0EEENS1_30default_config_static_selectorELNS0_4arch9wavefront6targetE1EEEvSK_, .Lfunc_end327-_ZN7rocprim17ROCPRIM_400000_NS6detail17trampoline_kernelINS0_14default_configENS1_22reduce_config_selectorIdEEZNS1_11reduce_implILb1ES3_N6thrust23THRUST_200600_302600_NS6detail15normal_iteratorINS8_10device_ptrIdEEEEPffNS8_4plusIfEEEE10hipError_tPvRmT1_T2_T3_mT4_P12ihipStream_tbEUlT_E1_NS1_11comp_targetILNS1_3genE3ELNS1_11target_archE908ELNS1_3gpuE7ELNS1_3repE0EEENS1_30default_config_static_selectorELNS0_4arch9wavefront6targetE1EEEvSK_
                                        ; -- End function
	.set _ZN7rocprim17ROCPRIM_400000_NS6detail17trampoline_kernelINS0_14default_configENS1_22reduce_config_selectorIdEEZNS1_11reduce_implILb1ES3_N6thrust23THRUST_200600_302600_NS6detail15normal_iteratorINS8_10device_ptrIdEEEEPffNS8_4plusIfEEEE10hipError_tPvRmT1_T2_T3_mT4_P12ihipStream_tbEUlT_E1_NS1_11comp_targetILNS1_3genE3ELNS1_11target_archE908ELNS1_3gpuE7ELNS1_3repE0EEENS1_30default_config_static_selectorELNS0_4arch9wavefront6targetE1EEEvSK_.num_vgpr, 0
	.set _ZN7rocprim17ROCPRIM_400000_NS6detail17trampoline_kernelINS0_14default_configENS1_22reduce_config_selectorIdEEZNS1_11reduce_implILb1ES3_N6thrust23THRUST_200600_302600_NS6detail15normal_iteratorINS8_10device_ptrIdEEEEPffNS8_4plusIfEEEE10hipError_tPvRmT1_T2_T3_mT4_P12ihipStream_tbEUlT_E1_NS1_11comp_targetILNS1_3genE3ELNS1_11target_archE908ELNS1_3gpuE7ELNS1_3repE0EEENS1_30default_config_static_selectorELNS0_4arch9wavefront6targetE1EEEvSK_.num_agpr, 0
	.set _ZN7rocprim17ROCPRIM_400000_NS6detail17trampoline_kernelINS0_14default_configENS1_22reduce_config_selectorIdEEZNS1_11reduce_implILb1ES3_N6thrust23THRUST_200600_302600_NS6detail15normal_iteratorINS8_10device_ptrIdEEEEPffNS8_4plusIfEEEE10hipError_tPvRmT1_T2_T3_mT4_P12ihipStream_tbEUlT_E1_NS1_11comp_targetILNS1_3genE3ELNS1_11target_archE908ELNS1_3gpuE7ELNS1_3repE0EEENS1_30default_config_static_selectorELNS0_4arch9wavefront6targetE1EEEvSK_.numbered_sgpr, 0
	.set _ZN7rocprim17ROCPRIM_400000_NS6detail17trampoline_kernelINS0_14default_configENS1_22reduce_config_selectorIdEEZNS1_11reduce_implILb1ES3_N6thrust23THRUST_200600_302600_NS6detail15normal_iteratorINS8_10device_ptrIdEEEEPffNS8_4plusIfEEEE10hipError_tPvRmT1_T2_T3_mT4_P12ihipStream_tbEUlT_E1_NS1_11comp_targetILNS1_3genE3ELNS1_11target_archE908ELNS1_3gpuE7ELNS1_3repE0EEENS1_30default_config_static_selectorELNS0_4arch9wavefront6targetE1EEEvSK_.num_named_barrier, 0
	.set _ZN7rocprim17ROCPRIM_400000_NS6detail17trampoline_kernelINS0_14default_configENS1_22reduce_config_selectorIdEEZNS1_11reduce_implILb1ES3_N6thrust23THRUST_200600_302600_NS6detail15normal_iteratorINS8_10device_ptrIdEEEEPffNS8_4plusIfEEEE10hipError_tPvRmT1_T2_T3_mT4_P12ihipStream_tbEUlT_E1_NS1_11comp_targetILNS1_3genE3ELNS1_11target_archE908ELNS1_3gpuE7ELNS1_3repE0EEENS1_30default_config_static_selectorELNS0_4arch9wavefront6targetE1EEEvSK_.private_seg_size, 0
	.set _ZN7rocprim17ROCPRIM_400000_NS6detail17trampoline_kernelINS0_14default_configENS1_22reduce_config_selectorIdEEZNS1_11reduce_implILb1ES3_N6thrust23THRUST_200600_302600_NS6detail15normal_iteratorINS8_10device_ptrIdEEEEPffNS8_4plusIfEEEE10hipError_tPvRmT1_T2_T3_mT4_P12ihipStream_tbEUlT_E1_NS1_11comp_targetILNS1_3genE3ELNS1_11target_archE908ELNS1_3gpuE7ELNS1_3repE0EEENS1_30default_config_static_selectorELNS0_4arch9wavefront6targetE1EEEvSK_.uses_vcc, 0
	.set _ZN7rocprim17ROCPRIM_400000_NS6detail17trampoline_kernelINS0_14default_configENS1_22reduce_config_selectorIdEEZNS1_11reduce_implILb1ES3_N6thrust23THRUST_200600_302600_NS6detail15normal_iteratorINS8_10device_ptrIdEEEEPffNS8_4plusIfEEEE10hipError_tPvRmT1_T2_T3_mT4_P12ihipStream_tbEUlT_E1_NS1_11comp_targetILNS1_3genE3ELNS1_11target_archE908ELNS1_3gpuE7ELNS1_3repE0EEENS1_30default_config_static_selectorELNS0_4arch9wavefront6targetE1EEEvSK_.uses_flat_scratch, 0
	.set _ZN7rocprim17ROCPRIM_400000_NS6detail17trampoline_kernelINS0_14default_configENS1_22reduce_config_selectorIdEEZNS1_11reduce_implILb1ES3_N6thrust23THRUST_200600_302600_NS6detail15normal_iteratorINS8_10device_ptrIdEEEEPffNS8_4plusIfEEEE10hipError_tPvRmT1_T2_T3_mT4_P12ihipStream_tbEUlT_E1_NS1_11comp_targetILNS1_3genE3ELNS1_11target_archE908ELNS1_3gpuE7ELNS1_3repE0EEENS1_30default_config_static_selectorELNS0_4arch9wavefront6targetE1EEEvSK_.has_dyn_sized_stack, 0
	.set _ZN7rocprim17ROCPRIM_400000_NS6detail17trampoline_kernelINS0_14default_configENS1_22reduce_config_selectorIdEEZNS1_11reduce_implILb1ES3_N6thrust23THRUST_200600_302600_NS6detail15normal_iteratorINS8_10device_ptrIdEEEEPffNS8_4plusIfEEEE10hipError_tPvRmT1_T2_T3_mT4_P12ihipStream_tbEUlT_E1_NS1_11comp_targetILNS1_3genE3ELNS1_11target_archE908ELNS1_3gpuE7ELNS1_3repE0EEENS1_30default_config_static_selectorELNS0_4arch9wavefront6targetE1EEEvSK_.has_recursion, 0
	.set _ZN7rocprim17ROCPRIM_400000_NS6detail17trampoline_kernelINS0_14default_configENS1_22reduce_config_selectorIdEEZNS1_11reduce_implILb1ES3_N6thrust23THRUST_200600_302600_NS6detail15normal_iteratorINS8_10device_ptrIdEEEEPffNS8_4plusIfEEEE10hipError_tPvRmT1_T2_T3_mT4_P12ihipStream_tbEUlT_E1_NS1_11comp_targetILNS1_3genE3ELNS1_11target_archE908ELNS1_3gpuE7ELNS1_3repE0EEENS1_30default_config_static_selectorELNS0_4arch9wavefront6targetE1EEEvSK_.has_indirect_call, 0
	.section	.AMDGPU.csdata,"",@progbits
; Kernel info:
; codeLenInByte = 0
; TotalNumSgprs: 6
; NumVgprs: 0
; NumAgprs: 0
; TotalNumVgprs: 0
; ScratchSize: 0
; MemoryBound: 0
; FloatMode: 240
; IeeeMode: 1
; LDSByteSize: 0 bytes/workgroup (compile time only)
; SGPRBlocks: 0
; VGPRBlocks: 0
; NumSGPRsForWavesPerEU: 6
; NumVGPRsForWavesPerEU: 1
; AccumOffset: 4
; Occupancy: 8
; WaveLimiterHint : 0
; COMPUTE_PGM_RSRC2:SCRATCH_EN: 0
; COMPUTE_PGM_RSRC2:USER_SGPR: 2
; COMPUTE_PGM_RSRC2:TRAP_HANDLER: 0
; COMPUTE_PGM_RSRC2:TGID_X_EN: 1
; COMPUTE_PGM_RSRC2:TGID_Y_EN: 0
; COMPUTE_PGM_RSRC2:TGID_Z_EN: 0
; COMPUTE_PGM_RSRC2:TIDIG_COMP_CNT: 0
; COMPUTE_PGM_RSRC3_GFX90A:ACCUM_OFFSET: 0
; COMPUTE_PGM_RSRC3_GFX90A:TG_SPLIT: 0
	.section	.text._ZN7rocprim17ROCPRIM_400000_NS6detail17trampoline_kernelINS0_14default_configENS1_22reduce_config_selectorIdEEZNS1_11reduce_implILb1ES3_N6thrust23THRUST_200600_302600_NS6detail15normal_iteratorINS8_10device_ptrIdEEEEPffNS8_4plusIfEEEE10hipError_tPvRmT1_T2_T3_mT4_P12ihipStream_tbEUlT_E1_NS1_11comp_targetILNS1_3genE2ELNS1_11target_archE906ELNS1_3gpuE6ELNS1_3repE0EEENS1_30default_config_static_selectorELNS0_4arch9wavefront6targetE1EEEvSK_,"axG",@progbits,_ZN7rocprim17ROCPRIM_400000_NS6detail17trampoline_kernelINS0_14default_configENS1_22reduce_config_selectorIdEEZNS1_11reduce_implILb1ES3_N6thrust23THRUST_200600_302600_NS6detail15normal_iteratorINS8_10device_ptrIdEEEEPffNS8_4plusIfEEEE10hipError_tPvRmT1_T2_T3_mT4_P12ihipStream_tbEUlT_E1_NS1_11comp_targetILNS1_3genE2ELNS1_11target_archE906ELNS1_3gpuE6ELNS1_3repE0EEENS1_30default_config_static_selectorELNS0_4arch9wavefront6targetE1EEEvSK_,comdat
	.protected	_ZN7rocprim17ROCPRIM_400000_NS6detail17trampoline_kernelINS0_14default_configENS1_22reduce_config_selectorIdEEZNS1_11reduce_implILb1ES3_N6thrust23THRUST_200600_302600_NS6detail15normal_iteratorINS8_10device_ptrIdEEEEPffNS8_4plusIfEEEE10hipError_tPvRmT1_T2_T3_mT4_P12ihipStream_tbEUlT_E1_NS1_11comp_targetILNS1_3genE2ELNS1_11target_archE906ELNS1_3gpuE6ELNS1_3repE0EEENS1_30default_config_static_selectorELNS0_4arch9wavefront6targetE1EEEvSK_ ; -- Begin function _ZN7rocprim17ROCPRIM_400000_NS6detail17trampoline_kernelINS0_14default_configENS1_22reduce_config_selectorIdEEZNS1_11reduce_implILb1ES3_N6thrust23THRUST_200600_302600_NS6detail15normal_iteratorINS8_10device_ptrIdEEEEPffNS8_4plusIfEEEE10hipError_tPvRmT1_T2_T3_mT4_P12ihipStream_tbEUlT_E1_NS1_11comp_targetILNS1_3genE2ELNS1_11target_archE906ELNS1_3gpuE6ELNS1_3repE0EEENS1_30default_config_static_selectorELNS0_4arch9wavefront6targetE1EEEvSK_
	.globl	_ZN7rocprim17ROCPRIM_400000_NS6detail17trampoline_kernelINS0_14default_configENS1_22reduce_config_selectorIdEEZNS1_11reduce_implILb1ES3_N6thrust23THRUST_200600_302600_NS6detail15normal_iteratorINS8_10device_ptrIdEEEEPffNS8_4plusIfEEEE10hipError_tPvRmT1_T2_T3_mT4_P12ihipStream_tbEUlT_E1_NS1_11comp_targetILNS1_3genE2ELNS1_11target_archE906ELNS1_3gpuE6ELNS1_3repE0EEENS1_30default_config_static_selectorELNS0_4arch9wavefront6targetE1EEEvSK_
	.p2align	8
	.type	_ZN7rocprim17ROCPRIM_400000_NS6detail17trampoline_kernelINS0_14default_configENS1_22reduce_config_selectorIdEEZNS1_11reduce_implILb1ES3_N6thrust23THRUST_200600_302600_NS6detail15normal_iteratorINS8_10device_ptrIdEEEEPffNS8_4plusIfEEEE10hipError_tPvRmT1_T2_T3_mT4_P12ihipStream_tbEUlT_E1_NS1_11comp_targetILNS1_3genE2ELNS1_11target_archE906ELNS1_3gpuE6ELNS1_3repE0EEENS1_30default_config_static_selectorELNS0_4arch9wavefront6targetE1EEEvSK_,@function
_ZN7rocprim17ROCPRIM_400000_NS6detail17trampoline_kernelINS0_14default_configENS1_22reduce_config_selectorIdEEZNS1_11reduce_implILb1ES3_N6thrust23THRUST_200600_302600_NS6detail15normal_iteratorINS8_10device_ptrIdEEEEPffNS8_4plusIfEEEE10hipError_tPvRmT1_T2_T3_mT4_P12ihipStream_tbEUlT_E1_NS1_11comp_targetILNS1_3genE2ELNS1_11target_archE906ELNS1_3gpuE6ELNS1_3repE0EEENS1_30default_config_static_selectorELNS0_4arch9wavefront6targetE1EEEvSK_: ; @_ZN7rocprim17ROCPRIM_400000_NS6detail17trampoline_kernelINS0_14default_configENS1_22reduce_config_selectorIdEEZNS1_11reduce_implILb1ES3_N6thrust23THRUST_200600_302600_NS6detail15normal_iteratorINS8_10device_ptrIdEEEEPffNS8_4plusIfEEEE10hipError_tPvRmT1_T2_T3_mT4_P12ihipStream_tbEUlT_E1_NS1_11comp_targetILNS1_3genE2ELNS1_11target_archE906ELNS1_3gpuE6ELNS1_3repE0EEENS1_30default_config_static_selectorELNS0_4arch9wavefront6targetE1EEEvSK_
; %bb.0:
	.section	.rodata,"a",@progbits
	.p2align	6, 0x0
	.amdhsa_kernel _ZN7rocprim17ROCPRIM_400000_NS6detail17trampoline_kernelINS0_14default_configENS1_22reduce_config_selectorIdEEZNS1_11reduce_implILb1ES3_N6thrust23THRUST_200600_302600_NS6detail15normal_iteratorINS8_10device_ptrIdEEEEPffNS8_4plusIfEEEE10hipError_tPvRmT1_T2_T3_mT4_P12ihipStream_tbEUlT_E1_NS1_11comp_targetILNS1_3genE2ELNS1_11target_archE906ELNS1_3gpuE6ELNS1_3repE0EEENS1_30default_config_static_selectorELNS0_4arch9wavefront6targetE1EEEvSK_
		.amdhsa_group_segment_fixed_size 0
		.amdhsa_private_segment_fixed_size 0
		.amdhsa_kernarg_size 40
		.amdhsa_user_sgpr_count 2
		.amdhsa_user_sgpr_dispatch_ptr 0
		.amdhsa_user_sgpr_queue_ptr 0
		.amdhsa_user_sgpr_kernarg_segment_ptr 1
		.amdhsa_user_sgpr_dispatch_id 0
		.amdhsa_user_sgpr_kernarg_preload_length 0
		.amdhsa_user_sgpr_kernarg_preload_offset 0
		.amdhsa_user_sgpr_private_segment_size 0
		.amdhsa_uses_dynamic_stack 0
		.amdhsa_enable_private_segment 0
		.amdhsa_system_sgpr_workgroup_id_x 1
		.amdhsa_system_sgpr_workgroup_id_y 0
		.amdhsa_system_sgpr_workgroup_id_z 0
		.amdhsa_system_sgpr_workgroup_info 0
		.amdhsa_system_vgpr_workitem_id 0
		.amdhsa_next_free_vgpr 1
		.amdhsa_next_free_sgpr 0
		.amdhsa_accum_offset 4
		.amdhsa_reserve_vcc 0
		.amdhsa_float_round_mode_32 0
		.amdhsa_float_round_mode_16_64 0
		.amdhsa_float_denorm_mode_32 3
		.amdhsa_float_denorm_mode_16_64 3
		.amdhsa_dx10_clamp 1
		.amdhsa_ieee_mode 1
		.amdhsa_fp16_overflow 0
		.amdhsa_tg_split 0
		.amdhsa_exception_fp_ieee_invalid_op 0
		.amdhsa_exception_fp_denorm_src 0
		.amdhsa_exception_fp_ieee_div_zero 0
		.amdhsa_exception_fp_ieee_overflow 0
		.amdhsa_exception_fp_ieee_underflow 0
		.amdhsa_exception_fp_ieee_inexact 0
		.amdhsa_exception_int_div_zero 0
	.end_amdhsa_kernel
	.section	.text._ZN7rocprim17ROCPRIM_400000_NS6detail17trampoline_kernelINS0_14default_configENS1_22reduce_config_selectorIdEEZNS1_11reduce_implILb1ES3_N6thrust23THRUST_200600_302600_NS6detail15normal_iteratorINS8_10device_ptrIdEEEEPffNS8_4plusIfEEEE10hipError_tPvRmT1_T2_T3_mT4_P12ihipStream_tbEUlT_E1_NS1_11comp_targetILNS1_3genE2ELNS1_11target_archE906ELNS1_3gpuE6ELNS1_3repE0EEENS1_30default_config_static_selectorELNS0_4arch9wavefront6targetE1EEEvSK_,"axG",@progbits,_ZN7rocprim17ROCPRIM_400000_NS6detail17trampoline_kernelINS0_14default_configENS1_22reduce_config_selectorIdEEZNS1_11reduce_implILb1ES3_N6thrust23THRUST_200600_302600_NS6detail15normal_iteratorINS8_10device_ptrIdEEEEPffNS8_4plusIfEEEE10hipError_tPvRmT1_T2_T3_mT4_P12ihipStream_tbEUlT_E1_NS1_11comp_targetILNS1_3genE2ELNS1_11target_archE906ELNS1_3gpuE6ELNS1_3repE0EEENS1_30default_config_static_selectorELNS0_4arch9wavefront6targetE1EEEvSK_,comdat
.Lfunc_end328:
	.size	_ZN7rocprim17ROCPRIM_400000_NS6detail17trampoline_kernelINS0_14default_configENS1_22reduce_config_selectorIdEEZNS1_11reduce_implILb1ES3_N6thrust23THRUST_200600_302600_NS6detail15normal_iteratorINS8_10device_ptrIdEEEEPffNS8_4plusIfEEEE10hipError_tPvRmT1_T2_T3_mT4_P12ihipStream_tbEUlT_E1_NS1_11comp_targetILNS1_3genE2ELNS1_11target_archE906ELNS1_3gpuE6ELNS1_3repE0EEENS1_30default_config_static_selectorELNS0_4arch9wavefront6targetE1EEEvSK_, .Lfunc_end328-_ZN7rocprim17ROCPRIM_400000_NS6detail17trampoline_kernelINS0_14default_configENS1_22reduce_config_selectorIdEEZNS1_11reduce_implILb1ES3_N6thrust23THRUST_200600_302600_NS6detail15normal_iteratorINS8_10device_ptrIdEEEEPffNS8_4plusIfEEEE10hipError_tPvRmT1_T2_T3_mT4_P12ihipStream_tbEUlT_E1_NS1_11comp_targetILNS1_3genE2ELNS1_11target_archE906ELNS1_3gpuE6ELNS1_3repE0EEENS1_30default_config_static_selectorELNS0_4arch9wavefront6targetE1EEEvSK_
                                        ; -- End function
	.set _ZN7rocprim17ROCPRIM_400000_NS6detail17trampoline_kernelINS0_14default_configENS1_22reduce_config_selectorIdEEZNS1_11reduce_implILb1ES3_N6thrust23THRUST_200600_302600_NS6detail15normal_iteratorINS8_10device_ptrIdEEEEPffNS8_4plusIfEEEE10hipError_tPvRmT1_T2_T3_mT4_P12ihipStream_tbEUlT_E1_NS1_11comp_targetILNS1_3genE2ELNS1_11target_archE906ELNS1_3gpuE6ELNS1_3repE0EEENS1_30default_config_static_selectorELNS0_4arch9wavefront6targetE1EEEvSK_.num_vgpr, 0
	.set _ZN7rocprim17ROCPRIM_400000_NS6detail17trampoline_kernelINS0_14default_configENS1_22reduce_config_selectorIdEEZNS1_11reduce_implILb1ES3_N6thrust23THRUST_200600_302600_NS6detail15normal_iteratorINS8_10device_ptrIdEEEEPffNS8_4plusIfEEEE10hipError_tPvRmT1_T2_T3_mT4_P12ihipStream_tbEUlT_E1_NS1_11comp_targetILNS1_3genE2ELNS1_11target_archE906ELNS1_3gpuE6ELNS1_3repE0EEENS1_30default_config_static_selectorELNS0_4arch9wavefront6targetE1EEEvSK_.num_agpr, 0
	.set _ZN7rocprim17ROCPRIM_400000_NS6detail17trampoline_kernelINS0_14default_configENS1_22reduce_config_selectorIdEEZNS1_11reduce_implILb1ES3_N6thrust23THRUST_200600_302600_NS6detail15normal_iteratorINS8_10device_ptrIdEEEEPffNS8_4plusIfEEEE10hipError_tPvRmT1_T2_T3_mT4_P12ihipStream_tbEUlT_E1_NS1_11comp_targetILNS1_3genE2ELNS1_11target_archE906ELNS1_3gpuE6ELNS1_3repE0EEENS1_30default_config_static_selectorELNS0_4arch9wavefront6targetE1EEEvSK_.numbered_sgpr, 0
	.set _ZN7rocprim17ROCPRIM_400000_NS6detail17trampoline_kernelINS0_14default_configENS1_22reduce_config_selectorIdEEZNS1_11reduce_implILb1ES3_N6thrust23THRUST_200600_302600_NS6detail15normal_iteratorINS8_10device_ptrIdEEEEPffNS8_4plusIfEEEE10hipError_tPvRmT1_T2_T3_mT4_P12ihipStream_tbEUlT_E1_NS1_11comp_targetILNS1_3genE2ELNS1_11target_archE906ELNS1_3gpuE6ELNS1_3repE0EEENS1_30default_config_static_selectorELNS0_4arch9wavefront6targetE1EEEvSK_.num_named_barrier, 0
	.set _ZN7rocprim17ROCPRIM_400000_NS6detail17trampoline_kernelINS0_14default_configENS1_22reduce_config_selectorIdEEZNS1_11reduce_implILb1ES3_N6thrust23THRUST_200600_302600_NS6detail15normal_iteratorINS8_10device_ptrIdEEEEPffNS8_4plusIfEEEE10hipError_tPvRmT1_T2_T3_mT4_P12ihipStream_tbEUlT_E1_NS1_11comp_targetILNS1_3genE2ELNS1_11target_archE906ELNS1_3gpuE6ELNS1_3repE0EEENS1_30default_config_static_selectorELNS0_4arch9wavefront6targetE1EEEvSK_.private_seg_size, 0
	.set _ZN7rocprim17ROCPRIM_400000_NS6detail17trampoline_kernelINS0_14default_configENS1_22reduce_config_selectorIdEEZNS1_11reduce_implILb1ES3_N6thrust23THRUST_200600_302600_NS6detail15normal_iteratorINS8_10device_ptrIdEEEEPffNS8_4plusIfEEEE10hipError_tPvRmT1_T2_T3_mT4_P12ihipStream_tbEUlT_E1_NS1_11comp_targetILNS1_3genE2ELNS1_11target_archE906ELNS1_3gpuE6ELNS1_3repE0EEENS1_30default_config_static_selectorELNS0_4arch9wavefront6targetE1EEEvSK_.uses_vcc, 0
	.set _ZN7rocprim17ROCPRIM_400000_NS6detail17trampoline_kernelINS0_14default_configENS1_22reduce_config_selectorIdEEZNS1_11reduce_implILb1ES3_N6thrust23THRUST_200600_302600_NS6detail15normal_iteratorINS8_10device_ptrIdEEEEPffNS8_4plusIfEEEE10hipError_tPvRmT1_T2_T3_mT4_P12ihipStream_tbEUlT_E1_NS1_11comp_targetILNS1_3genE2ELNS1_11target_archE906ELNS1_3gpuE6ELNS1_3repE0EEENS1_30default_config_static_selectorELNS0_4arch9wavefront6targetE1EEEvSK_.uses_flat_scratch, 0
	.set _ZN7rocprim17ROCPRIM_400000_NS6detail17trampoline_kernelINS0_14default_configENS1_22reduce_config_selectorIdEEZNS1_11reduce_implILb1ES3_N6thrust23THRUST_200600_302600_NS6detail15normal_iteratorINS8_10device_ptrIdEEEEPffNS8_4plusIfEEEE10hipError_tPvRmT1_T2_T3_mT4_P12ihipStream_tbEUlT_E1_NS1_11comp_targetILNS1_3genE2ELNS1_11target_archE906ELNS1_3gpuE6ELNS1_3repE0EEENS1_30default_config_static_selectorELNS0_4arch9wavefront6targetE1EEEvSK_.has_dyn_sized_stack, 0
	.set _ZN7rocprim17ROCPRIM_400000_NS6detail17trampoline_kernelINS0_14default_configENS1_22reduce_config_selectorIdEEZNS1_11reduce_implILb1ES3_N6thrust23THRUST_200600_302600_NS6detail15normal_iteratorINS8_10device_ptrIdEEEEPffNS8_4plusIfEEEE10hipError_tPvRmT1_T2_T3_mT4_P12ihipStream_tbEUlT_E1_NS1_11comp_targetILNS1_3genE2ELNS1_11target_archE906ELNS1_3gpuE6ELNS1_3repE0EEENS1_30default_config_static_selectorELNS0_4arch9wavefront6targetE1EEEvSK_.has_recursion, 0
	.set _ZN7rocprim17ROCPRIM_400000_NS6detail17trampoline_kernelINS0_14default_configENS1_22reduce_config_selectorIdEEZNS1_11reduce_implILb1ES3_N6thrust23THRUST_200600_302600_NS6detail15normal_iteratorINS8_10device_ptrIdEEEEPffNS8_4plusIfEEEE10hipError_tPvRmT1_T2_T3_mT4_P12ihipStream_tbEUlT_E1_NS1_11comp_targetILNS1_3genE2ELNS1_11target_archE906ELNS1_3gpuE6ELNS1_3repE0EEENS1_30default_config_static_selectorELNS0_4arch9wavefront6targetE1EEEvSK_.has_indirect_call, 0
	.section	.AMDGPU.csdata,"",@progbits
; Kernel info:
; codeLenInByte = 0
; TotalNumSgprs: 6
; NumVgprs: 0
; NumAgprs: 0
; TotalNumVgprs: 0
; ScratchSize: 0
; MemoryBound: 0
; FloatMode: 240
; IeeeMode: 1
; LDSByteSize: 0 bytes/workgroup (compile time only)
; SGPRBlocks: 0
; VGPRBlocks: 0
; NumSGPRsForWavesPerEU: 6
; NumVGPRsForWavesPerEU: 1
; AccumOffset: 4
; Occupancy: 8
; WaveLimiterHint : 0
; COMPUTE_PGM_RSRC2:SCRATCH_EN: 0
; COMPUTE_PGM_RSRC2:USER_SGPR: 2
; COMPUTE_PGM_RSRC2:TRAP_HANDLER: 0
; COMPUTE_PGM_RSRC2:TGID_X_EN: 1
; COMPUTE_PGM_RSRC2:TGID_Y_EN: 0
; COMPUTE_PGM_RSRC2:TGID_Z_EN: 0
; COMPUTE_PGM_RSRC2:TIDIG_COMP_CNT: 0
; COMPUTE_PGM_RSRC3_GFX90A:ACCUM_OFFSET: 0
; COMPUTE_PGM_RSRC3_GFX90A:TG_SPLIT: 0
	.section	.text._ZN7rocprim17ROCPRIM_400000_NS6detail17trampoline_kernelINS0_14default_configENS1_22reduce_config_selectorIdEEZNS1_11reduce_implILb1ES3_N6thrust23THRUST_200600_302600_NS6detail15normal_iteratorINS8_10device_ptrIdEEEEPffNS8_4plusIfEEEE10hipError_tPvRmT1_T2_T3_mT4_P12ihipStream_tbEUlT_E1_NS1_11comp_targetILNS1_3genE10ELNS1_11target_archE1201ELNS1_3gpuE5ELNS1_3repE0EEENS1_30default_config_static_selectorELNS0_4arch9wavefront6targetE1EEEvSK_,"axG",@progbits,_ZN7rocprim17ROCPRIM_400000_NS6detail17trampoline_kernelINS0_14default_configENS1_22reduce_config_selectorIdEEZNS1_11reduce_implILb1ES3_N6thrust23THRUST_200600_302600_NS6detail15normal_iteratorINS8_10device_ptrIdEEEEPffNS8_4plusIfEEEE10hipError_tPvRmT1_T2_T3_mT4_P12ihipStream_tbEUlT_E1_NS1_11comp_targetILNS1_3genE10ELNS1_11target_archE1201ELNS1_3gpuE5ELNS1_3repE0EEENS1_30default_config_static_selectorELNS0_4arch9wavefront6targetE1EEEvSK_,comdat
	.protected	_ZN7rocprim17ROCPRIM_400000_NS6detail17trampoline_kernelINS0_14default_configENS1_22reduce_config_selectorIdEEZNS1_11reduce_implILb1ES3_N6thrust23THRUST_200600_302600_NS6detail15normal_iteratorINS8_10device_ptrIdEEEEPffNS8_4plusIfEEEE10hipError_tPvRmT1_T2_T3_mT4_P12ihipStream_tbEUlT_E1_NS1_11comp_targetILNS1_3genE10ELNS1_11target_archE1201ELNS1_3gpuE5ELNS1_3repE0EEENS1_30default_config_static_selectorELNS0_4arch9wavefront6targetE1EEEvSK_ ; -- Begin function _ZN7rocprim17ROCPRIM_400000_NS6detail17trampoline_kernelINS0_14default_configENS1_22reduce_config_selectorIdEEZNS1_11reduce_implILb1ES3_N6thrust23THRUST_200600_302600_NS6detail15normal_iteratorINS8_10device_ptrIdEEEEPffNS8_4plusIfEEEE10hipError_tPvRmT1_T2_T3_mT4_P12ihipStream_tbEUlT_E1_NS1_11comp_targetILNS1_3genE10ELNS1_11target_archE1201ELNS1_3gpuE5ELNS1_3repE0EEENS1_30default_config_static_selectorELNS0_4arch9wavefront6targetE1EEEvSK_
	.globl	_ZN7rocprim17ROCPRIM_400000_NS6detail17trampoline_kernelINS0_14default_configENS1_22reduce_config_selectorIdEEZNS1_11reduce_implILb1ES3_N6thrust23THRUST_200600_302600_NS6detail15normal_iteratorINS8_10device_ptrIdEEEEPffNS8_4plusIfEEEE10hipError_tPvRmT1_T2_T3_mT4_P12ihipStream_tbEUlT_E1_NS1_11comp_targetILNS1_3genE10ELNS1_11target_archE1201ELNS1_3gpuE5ELNS1_3repE0EEENS1_30default_config_static_selectorELNS0_4arch9wavefront6targetE1EEEvSK_
	.p2align	8
	.type	_ZN7rocprim17ROCPRIM_400000_NS6detail17trampoline_kernelINS0_14default_configENS1_22reduce_config_selectorIdEEZNS1_11reduce_implILb1ES3_N6thrust23THRUST_200600_302600_NS6detail15normal_iteratorINS8_10device_ptrIdEEEEPffNS8_4plusIfEEEE10hipError_tPvRmT1_T2_T3_mT4_P12ihipStream_tbEUlT_E1_NS1_11comp_targetILNS1_3genE10ELNS1_11target_archE1201ELNS1_3gpuE5ELNS1_3repE0EEENS1_30default_config_static_selectorELNS0_4arch9wavefront6targetE1EEEvSK_,@function
_ZN7rocprim17ROCPRIM_400000_NS6detail17trampoline_kernelINS0_14default_configENS1_22reduce_config_selectorIdEEZNS1_11reduce_implILb1ES3_N6thrust23THRUST_200600_302600_NS6detail15normal_iteratorINS8_10device_ptrIdEEEEPffNS8_4plusIfEEEE10hipError_tPvRmT1_T2_T3_mT4_P12ihipStream_tbEUlT_E1_NS1_11comp_targetILNS1_3genE10ELNS1_11target_archE1201ELNS1_3gpuE5ELNS1_3repE0EEENS1_30default_config_static_selectorELNS0_4arch9wavefront6targetE1EEEvSK_: ; @_ZN7rocprim17ROCPRIM_400000_NS6detail17trampoline_kernelINS0_14default_configENS1_22reduce_config_selectorIdEEZNS1_11reduce_implILb1ES3_N6thrust23THRUST_200600_302600_NS6detail15normal_iteratorINS8_10device_ptrIdEEEEPffNS8_4plusIfEEEE10hipError_tPvRmT1_T2_T3_mT4_P12ihipStream_tbEUlT_E1_NS1_11comp_targetILNS1_3genE10ELNS1_11target_archE1201ELNS1_3gpuE5ELNS1_3repE0EEENS1_30default_config_static_selectorELNS0_4arch9wavefront6targetE1EEEvSK_
; %bb.0:
	.section	.rodata,"a",@progbits
	.p2align	6, 0x0
	.amdhsa_kernel _ZN7rocprim17ROCPRIM_400000_NS6detail17trampoline_kernelINS0_14default_configENS1_22reduce_config_selectorIdEEZNS1_11reduce_implILb1ES3_N6thrust23THRUST_200600_302600_NS6detail15normal_iteratorINS8_10device_ptrIdEEEEPffNS8_4plusIfEEEE10hipError_tPvRmT1_T2_T3_mT4_P12ihipStream_tbEUlT_E1_NS1_11comp_targetILNS1_3genE10ELNS1_11target_archE1201ELNS1_3gpuE5ELNS1_3repE0EEENS1_30default_config_static_selectorELNS0_4arch9wavefront6targetE1EEEvSK_
		.amdhsa_group_segment_fixed_size 0
		.amdhsa_private_segment_fixed_size 0
		.amdhsa_kernarg_size 40
		.amdhsa_user_sgpr_count 2
		.amdhsa_user_sgpr_dispatch_ptr 0
		.amdhsa_user_sgpr_queue_ptr 0
		.amdhsa_user_sgpr_kernarg_segment_ptr 1
		.amdhsa_user_sgpr_dispatch_id 0
		.amdhsa_user_sgpr_kernarg_preload_length 0
		.amdhsa_user_sgpr_kernarg_preload_offset 0
		.amdhsa_user_sgpr_private_segment_size 0
		.amdhsa_uses_dynamic_stack 0
		.amdhsa_enable_private_segment 0
		.amdhsa_system_sgpr_workgroup_id_x 1
		.amdhsa_system_sgpr_workgroup_id_y 0
		.amdhsa_system_sgpr_workgroup_id_z 0
		.amdhsa_system_sgpr_workgroup_info 0
		.amdhsa_system_vgpr_workitem_id 0
		.amdhsa_next_free_vgpr 1
		.amdhsa_next_free_sgpr 0
		.amdhsa_accum_offset 4
		.amdhsa_reserve_vcc 0
		.amdhsa_float_round_mode_32 0
		.amdhsa_float_round_mode_16_64 0
		.amdhsa_float_denorm_mode_32 3
		.amdhsa_float_denorm_mode_16_64 3
		.amdhsa_dx10_clamp 1
		.amdhsa_ieee_mode 1
		.amdhsa_fp16_overflow 0
		.amdhsa_tg_split 0
		.amdhsa_exception_fp_ieee_invalid_op 0
		.amdhsa_exception_fp_denorm_src 0
		.amdhsa_exception_fp_ieee_div_zero 0
		.amdhsa_exception_fp_ieee_overflow 0
		.amdhsa_exception_fp_ieee_underflow 0
		.amdhsa_exception_fp_ieee_inexact 0
		.amdhsa_exception_int_div_zero 0
	.end_amdhsa_kernel
	.section	.text._ZN7rocprim17ROCPRIM_400000_NS6detail17trampoline_kernelINS0_14default_configENS1_22reduce_config_selectorIdEEZNS1_11reduce_implILb1ES3_N6thrust23THRUST_200600_302600_NS6detail15normal_iteratorINS8_10device_ptrIdEEEEPffNS8_4plusIfEEEE10hipError_tPvRmT1_T2_T3_mT4_P12ihipStream_tbEUlT_E1_NS1_11comp_targetILNS1_3genE10ELNS1_11target_archE1201ELNS1_3gpuE5ELNS1_3repE0EEENS1_30default_config_static_selectorELNS0_4arch9wavefront6targetE1EEEvSK_,"axG",@progbits,_ZN7rocprim17ROCPRIM_400000_NS6detail17trampoline_kernelINS0_14default_configENS1_22reduce_config_selectorIdEEZNS1_11reduce_implILb1ES3_N6thrust23THRUST_200600_302600_NS6detail15normal_iteratorINS8_10device_ptrIdEEEEPffNS8_4plusIfEEEE10hipError_tPvRmT1_T2_T3_mT4_P12ihipStream_tbEUlT_E1_NS1_11comp_targetILNS1_3genE10ELNS1_11target_archE1201ELNS1_3gpuE5ELNS1_3repE0EEENS1_30default_config_static_selectorELNS0_4arch9wavefront6targetE1EEEvSK_,comdat
.Lfunc_end329:
	.size	_ZN7rocprim17ROCPRIM_400000_NS6detail17trampoline_kernelINS0_14default_configENS1_22reduce_config_selectorIdEEZNS1_11reduce_implILb1ES3_N6thrust23THRUST_200600_302600_NS6detail15normal_iteratorINS8_10device_ptrIdEEEEPffNS8_4plusIfEEEE10hipError_tPvRmT1_T2_T3_mT4_P12ihipStream_tbEUlT_E1_NS1_11comp_targetILNS1_3genE10ELNS1_11target_archE1201ELNS1_3gpuE5ELNS1_3repE0EEENS1_30default_config_static_selectorELNS0_4arch9wavefront6targetE1EEEvSK_, .Lfunc_end329-_ZN7rocprim17ROCPRIM_400000_NS6detail17trampoline_kernelINS0_14default_configENS1_22reduce_config_selectorIdEEZNS1_11reduce_implILb1ES3_N6thrust23THRUST_200600_302600_NS6detail15normal_iteratorINS8_10device_ptrIdEEEEPffNS8_4plusIfEEEE10hipError_tPvRmT1_T2_T3_mT4_P12ihipStream_tbEUlT_E1_NS1_11comp_targetILNS1_3genE10ELNS1_11target_archE1201ELNS1_3gpuE5ELNS1_3repE0EEENS1_30default_config_static_selectorELNS0_4arch9wavefront6targetE1EEEvSK_
                                        ; -- End function
	.set _ZN7rocprim17ROCPRIM_400000_NS6detail17trampoline_kernelINS0_14default_configENS1_22reduce_config_selectorIdEEZNS1_11reduce_implILb1ES3_N6thrust23THRUST_200600_302600_NS6detail15normal_iteratorINS8_10device_ptrIdEEEEPffNS8_4plusIfEEEE10hipError_tPvRmT1_T2_T3_mT4_P12ihipStream_tbEUlT_E1_NS1_11comp_targetILNS1_3genE10ELNS1_11target_archE1201ELNS1_3gpuE5ELNS1_3repE0EEENS1_30default_config_static_selectorELNS0_4arch9wavefront6targetE1EEEvSK_.num_vgpr, 0
	.set _ZN7rocprim17ROCPRIM_400000_NS6detail17trampoline_kernelINS0_14default_configENS1_22reduce_config_selectorIdEEZNS1_11reduce_implILb1ES3_N6thrust23THRUST_200600_302600_NS6detail15normal_iteratorINS8_10device_ptrIdEEEEPffNS8_4plusIfEEEE10hipError_tPvRmT1_T2_T3_mT4_P12ihipStream_tbEUlT_E1_NS1_11comp_targetILNS1_3genE10ELNS1_11target_archE1201ELNS1_3gpuE5ELNS1_3repE0EEENS1_30default_config_static_selectorELNS0_4arch9wavefront6targetE1EEEvSK_.num_agpr, 0
	.set _ZN7rocprim17ROCPRIM_400000_NS6detail17trampoline_kernelINS0_14default_configENS1_22reduce_config_selectorIdEEZNS1_11reduce_implILb1ES3_N6thrust23THRUST_200600_302600_NS6detail15normal_iteratorINS8_10device_ptrIdEEEEPffNS8_4plusIfEEEE10hipError_tPvRmT1_T2_T3_mT4_P12ihipStream_tbEUlT_E1_NS1_11comp_targetILNS1_3genE10ELNS1_11target_archE1201ELNS1_3gpuE5ELNS1_3repE0EEENS1_30default_config_static_selectorELNS0_4arch9wavefront6targetE1EEEvSK_.numbered_sgpr, 0
	.set _ZN7rocprim17ROCPRIM_400000_NS6detail17trampoline_kernelINS0_14default_configENS1_22reduce_config_selectorIdEEZNS1_11reduce_implILb1ES3_N6thrust23THRUST_200600_302600_NS6detail15normal_iteratorINS8_10device_ptrIdEEEEPffNS8_4plusIfEEEE10hipError_tPvRmT1_T2_T3_mT4_P12ihipStream_tbEUlT_E1_NS1_11comp_targetILNS1_3genE10ELNS1_11target_archE1201ELNS1_3gpuE5ELNS1_3repE0EEENS1_30default_config_static_selectorELNS0_4arch9wavefront6targetE1EEEvSK_.num_named_barrier, 0
	.set _ZN7rocprim17ROCPRIM_400000_NS6detail17trampoline_kernelINS0_14default_configENS1_22reduce_config_selectorIdEEZNS1_11reduce_implILb1ES3_N6thrust23THRUST_200600_302600_NS6detail15normal_iteratorINS8_10device_ptrIdEEEEPffNS8_4plusIfEEEE10hipError_tPvRmT1_T2_T3_mT4_P12ihipStream_tbEUlT_E1_NS1_11comp_targetILNS1_3genE10ELNS1_11target_archE1201ELNS1_3gpuE5ELNS1_3repE0EEENS1_30default_config_static_selectorELNS0_4arch9wavefront6targetE1EEEvSK_.private_seg_size, 0
	.set _ZN7rocprim17ROCPRIM_400000_NS6detail17trampoline_kernelINS0_14default_configENS1_22reduce_config_selectorIdEEZNS1_11reduce_implILb1ES3_N6thrust23THRUST_200600_302600_NS6detail15normal_iteratorINS8_10device_ptrIdEEEEPffNS8_4plusIfEEEE10hipError_tPvRmT1_T2_T3_mT4_P12ihipStream_tbEUlT_E1_NS1_11comp_targetILNS1_3genE10ELNS1_11target_archE1201ELNS1_3gpuE5ELNS1_3repE0EEENS1_30default_config_static_selectorELNS0_4arch9wavefront6targetE1EEEvSK_.uses_vcc, 0
	.set _ZN7rocprim17ROCPRIM_400000_NS6detail17trampoline_kernelINS0_14default_configENS1_22reduce_config_selectorIdEEZNS1_11reduce_implILb1ES3_N6thrust23THRUST_200600_302600_NS6detail15normal_iteratorINS8_10device_ptrIdEEEEPffNS8_4plusIfEEEE10hipError_tPvRmT1_T2_T3_mT4_P12ihipStream_tbEUlT_E1_NS1_11comp_targetILNS1_3genE10ELNS1_11target_archE1201ELNS1_3gpuE5ELNS1_3repE0EEENS1_30default_config_static_selectorELNS0_4arch9wavefront6targetE1EEEvSK_.uses_flat_scratch, 0
	.set _ZN7rocprim17ROCPRIM_400000_NS6detail17trampoline_kernelINS0_14default_configENS1_22reduce_config_selectorIdEEZNS1_11reduce_implILb1ES3_N6thrust23THRUST_200600_302600_NS6detail15normal_iteratorINS8_10device_ptrIdEEEEPffNS8_4plusIfEEEE10hipError_tPvRmT1_T2_T3_mT4_P12ihipStream_tbEUlT_E1_NS1_11comp_targetILNS1_3genE10ELNS1_11target_archE1201ELNS1_3gpuE5ELNS1_3repE0EEENS1_30default_config_static_selectorELNS0_4arch9wavefront6targetE1EEEvSK_.has_dyn_sized_stack, 0
	.set _ZN7rocprim17ROCPRIM_400000_NS6detail17trampoline_kernelINS0_14default_configENS1_22reduce_config_selectorIdEEZNS1_11reduce_implILb1ES3_N6thrust23THRUST_200600_302600_NS6detail15normal_iteratorINS8_10device_ptrIdEEEEPffNS8_4plusIfEEEE10hipError_tPvRmT1_T2_T3_mT4_P12ihipStream_tbEUlT_E1_NS1_11comp_targetILNS1_3genE10ELNS1_11target_archE1201ELNS1_3gpuE5ELNS1_3repE0EEENS1_30default_config_static_selectorELNS0_4arch9wavefront6targetE1EEEvSK_.has_recursion, 0
	.set _ZN7rocprim17ROCPRIM_400000_NS6detail17trampoline_kernelINS0_14default_configENS1_22reduce_config_selectorIdEEZNS1_11reduce_implILb1ES3_N6thrust23THRUST_200600_302600_NS6detail15normal_iteratorINS8_10device_ptrIdEEEEPffNS8_4plusIfEEEE10hipError_tPvRmT1_T2_T3_mT4_P12ihipStream_tbEUlT_E1_NS1_11comp_targetILNS1_3genE10ELNS1_11target_archE1201ELNS1_3gpuE5ELNS1_3repE0EEENS1_30default_config_static_selectorELNS0_4arch9wavefront6targetE1EEEvSK_.has_indirect_call, 0
	.section	.AMDGPU.csdata,"",@progbits
; Kernel info:
; codeLenInByte = 0
; TotalNumSgprs: 6
; NumVgprs: 0
; NumAgprs: 0
; TotalNumVgprs: 0
; ScratchSize: 0
; MemoryBound: 0
; FloatMode: 240
; IeeeMode: 1
; LDSByteSize: 0 bytes/workgroup (compile time only)
; SGPRBlocks: 0
; VGPRBlocks: 0
; NumSGPRsForWavesPerEU: 6
; NumVGPRsForWavesPerEU: 1
; AccumOffset: 4
; Occupancy: 8
; WaveLimiterHint : 0
; COMPUTE_PGM_RSRC2:SCRATCH_EN: 0
; COMPUTE_PGM_RSRC2:USER_SGPR: 2
; COMPUTE_PGM_RSRC2:TRAP_HANDLER: 0
; COMPUTE_PGM_RSRC2:TGID_X_EN: 1
; COMPUTE_PGM_RSRC2:TGID_Y_EN: 0
; COMPUTE_PGM_RSRC2:TGID_Z_EN: 0
; COMPUTE_PGM_RSRC2:TIDIG_COMP_CNT: 0
; COMPUTE_PGM_RSRC3_GFX90A:ACCUM_OFFSET: 0
; COMPUTE_PGM_RSRC3_GFX90A:TG_SPLIT: 0
	.section	.text._ZN7rocprim17ROCPRIM_400000_NS6detail17trampoline_kernelINS0_14default_configENS1_22reduce_config_selectorIdEEZNS1_11reduce_implILb1ES3_N6thrust23THRUST_200600_302600_NS6detail15normal_iteratorINS8_10device_ptrIdEEEEPffNS8_4plusIfEEEE10hipError_tPvRmT1_T2_T3_mT4_P12ihipStream_tbEUlT_E1_NS1_11comp_targetILNS1_3genE10ELNS1_11target_archE1200ELNS1_3gpuE4ELNS1_3repE0EEENS1_30default_config_static_selectorELNS0_4arch9wavefront6targetE1EEEvSK_,"axG",@progbits,_ZN7rocprim17ROCPRIM_400000_NS6detail17trampoline_kernelINS0_14default_configENS1_22reduce_config_selectorIdEEZNS1_11reduce_implILb1ES3_N6thrust23THRUST_200600_302600_NS6detail15normal_iteratorINS8_10device_ptrIdEEEEPffNS8_4plusIfEEEE10hipError_tPvRmT1_T2_T3_mT4_P12ihipStream_tbEUlT_E1_NS1_11comp_targetILNS1_3genE10ELNS1_11target_archE1200ELNS1_3gpuE4ELNS1_3repE0EEENS1_30default_config_static_selectorELNS0_4arch9wavefront6targetE1EEEvSK_,comdat
	.protected	_ZN7rocprim17ROCPRIM_400000_NS6detail17trampoline_kernelINS0_14default_configENS1_22reduce_config_selectorIdEEZNS1_11reduce_implILb1ES3_N6thrust23THRUST_200600_302600_NS6detail15normal_iteratorINS8_10device_ptrIdEEEEPffNS8_4plusIfEEEE10hipError_tPvRmT1_T2_T3_mT4_P12ihipStream_tbEUlT_E1_NS1_11comp_targetILNS1_3genE10ELNS1_11target_archE1200ELNS1_3gpuE4ELNS1_3repE0EEENS1_30default_config_static_selectorELNS0_4arch9wavefront6targetE1EEEvSK_ ; -- Begin function _ZN7rocprim17ROCPRIM_400000_NS6detail17trampoline_kernelINS0_14default_configENS1_22reduce_config_selectorIdEEZNS1_11reduce_implILb1ES3_N6thrust23THRUST_200600_302600_NS6detail15normal_iteratorINS8_10device_ptrIdEEEEPffNS8_4plusIfEEEE10hipError_tPvRmT1_T2_T3_mT4_P12ihipStream_tbEUlT_E1_NS1_11comp_targetILNS1_3genE10ELNS1_11target_archE1200ELNS1_3gpuE4ELNS1_3repE0EEENS1_30default_config_static_selectorELNS0_4arch9wavefront6targetE1EEEvSK_
	.globl	_ZN7rocprim17ROCPRIM_400000_NS6detail17trampoline_kernelINS0_14default_configENS1_22reduce_config_selectorIdEEZNS1_11reduce_implILb1ES3_N6thrust23THRUST_200600_302600_NS6detail15normal_iteratorINS8_10device_ptrIdEEEEPffNS8_4plusIfEEEE10hipError_tPvRmT1_T2_T3_mT4_P12ihipStream_tbEUlT_E1_NS1_11comp_targetILNS1_3genE10ELNS1_11target_archE1200ELNS1_3gpuE4ELNS1_3repE0EEENS1_30default_config_static_selectorELNS0_4arch9wavefront6targetE1EEEvSK_
	.p2align	8
	.type	_ZN7rocprim17ROCPRIM_400000_NS6detail17trampoline_kernelINS0_14default_configENS1_22reduce_config_selectorIdEEZNS1_11reduce_implILb1ES3_N6thrust23THRUST_200600_302600_NS6detail15normal_iteratorINS8_10device_ptrIdEEEEPffNS8_4plusIfEEEE10hipError_tPvRmT1_T2_T3_mT4_P12ihipStream_tbEUlT_E1_NS1_11comp_targetILNS1_3genE10ELNS1_11target_archE1200ELNS1_3gpuE4ELNS1_3repE0EEENS1_30default_config_static_selectorELNS0_4arch9wavefront6targetE1EEEvSK_,@function
_ZN7rocprim17ROCPRIM_400000_NS6detail17trampoline_kernelINS0_14default_configENS1_22reduce_config_selectorIdEEZNS1_11reduce_implILb1ES3_N6thrust23THRUST_200600_302600_NS6detail15normal_iteratorINS8_10device_ptrIdEEEEPffNS8_4plusIfEEEE10hipError_tPvRmT1_T2_T3_mT4_P12ihipStream_tbEUlT_E1_NS1_11comp_targetILNS1_3genE10ELNS1_11target_archE1200ELNS1_3gpuE4ELNS1_3repE0EEENS1_30default_config_static_selectorELNS0_4arch9wavefront6targetE1EEEvSK_: ; @_ZN7rocprim17ROCPRIM_400000_NS6detail17trampoline_kernelINS0_14default_configENS1_22reduce_config_selectorIdEEZNS1_11reduce_implILb1ES3_N6thrust23THRUST_200600_302600_NS6detail15normal_iteratorINS8_10device_ptrIdEEEEPffNS8_4plusIfEEEE10hipError_tPvRmT1_T2_T3_mT4_P12ihipStream_tbEUlT_E1_NS1_11comp_targetILNS1_3genE10ELNS1_11target_archE1200ELNS1_3gpuE4ELNS1_3repE0EEENS1_30default_config_static_selectorELNS0_4arch9wavefront6targetE1EEEvSK_
; %bb.0:
	.section	.rodata,"a",@progbits
	.p2align	6, 0x0
	.amdhsa_kernel _ZN7rocprim17ROCPRIM_400000_NS6detail17trampoline_kernelINS0_14default_configENS1_22reduce_config_selectorIdEEZNS1_11reduce_implILb1ES3_N6thrust23THRUST_200600_302600_NS6detail15normal_iteratorINS8_10device_ptrIdEEEEPffNS8_4plusIfEEEE10hipError_tPvRmT1_T2_T3_mT4_P12ihipStream_tbEUlT_E1_NS1_11comp_targetILNS1_3genE10ELNS1_11target_archE1200ELNS1_3gpuE4ELNS1_3repE0EEENS1_30default_config_static_selectorELNS0_4arch9wavefront6targetE1EEEvSK_
		.amdhsa_group_segment_fixed_size 0
		.amdhsa_private_segment_fixed_size 0
		.amdhsa_kernarg_size 40
		.amdhsa_user_sgpr_count 2
		.amdhsa_user_sgpr_dispatch_ptr 0
		.amdhsa_user_sgpr_queue_ptr 0
		.amdhsa_user_sgpr_kernarg_segment_ptr 1
		.amdhsa_user_sgpr_dispatch_id 0
		.amdhsa_user_sgpr_kernarg_preload_length 0
		.amdhsa_user_sgpr_kernarg_preload_offset 0
		.amdhsa_user_sgpr_private_segment_size 0
		.amdhsa_uses_dynamic_stack 0
		.amdhsa_enable_private_segment 0
		.amdhsa_system_sgpr_workgroup_id_x 1
		.amdhsa_system_sgpr_workgroup_id_y 0
		.amdhsa_system_sgpr_workgroup_id_z 0
		.amdhsa_system_sgpr_workgroup_info 0
		.amdhsa_system_vgpr_workitem_id 0
		.amdhsa_next_free_vgpr 1
		.amdhsa_next_free_sgpr 0
		.amdhsa_accum_offset 4
		.amdhsa_reserve_vcc 0
		.amdhsa_float_round_mode_32 0
		.amdhsa_float_round_mode_16_64 0
		.amdhsa_float_denorm_mode_32 3
		.amdhsa_float_denorm_mode_16_64 3
		.amdhsa_dx10_clamp 1
		.amdhsa_ieee_mode 1
		.amdhsa_fp16_overflow 0
		.amdhsa_tg_split 0
		.amdhsa_exception_fp_ieee_invalid_op 0
		.amdhsa_exception_fp_denorm_src 0
		.amdhsa_exception_fp_ieee_div_zero 0
		.amdhsa_exception_fp_ieee_overflow 0
		.amdhsa_exception_fp_ieee_underflow 0
		.amdhsa_exception_fp_ieee_inexact 0
		.amdhsa_exception_int_div_zero 0
	.end_amdhsa_kernel
	.section	.text._ZN7rocprim17ROCPRIM_400000_NS6detail17trampoline_kernelINS0_14default_configENS1_22reduce_config_selectorIdEEZNS1_11reduce_implILb1ES3_N6thrust23THRUST_200600_302600_NS6detail15normal_iteratorINS8_10device_ptrIdEEEEPffNS8_4plusIfEEEE10hipError_tPvRmT1_T2_T3_mT4_P12ihipStream_tbEUlT_E1_NS1_11comp_targetILNS1_3genE10ELNS1_11target_archE1200ELNS1_3gpuE4ELNS1_3repE0EEENS1_30default_config_static_selectorELNS0_4arch9wavefront6targetE1EEEvSK_,"axG",@progbits,_ZN7rocprim17ROCPRIM_400000_NS6detail17trampoline_kernelINS0_14default_configENS1_22reduce_config_selectorIdEEZNS1_11reduce_implILb1ES3_N6thrust23THRUST_200600_302600_NS6detail15normal_iteratorINS8_10device_ptrIdEEEEPffNS8_4plusIfEEEE10hipError_tPvRmT1_T2_T3_mT4_P12ihipStream_tbEUlT_E1_NS1_11comp_targetILNS1_3genE10ELNS1_11target_archE1200ELNS1_3gpuE4ELNS1_3repE0EEENS1_30default_config_static_selectorELNS0_4arch9wavefront6targetE1EEEvSK_,comdat
.Lfunc_end330:
	.size	_ZN7rocprim17ROCPRIM_400000_NS6detail17trampoline_kernelINS0_14default_configENS1_22reduce_config_selectorIdEEZNS1_11reduce_implILb1ES3_N6thrust23THRUST_200600_302600_NS6detail15normal_iteratorINS8_10device_ptrIdEEEEPffNS8_4plusIfEEEE10hipError_tPvRmT1_T2_T3_mT4_P12ihipStream_tbEUlT_E1_NS1_11comp_targetILNS1_3genE10ELNS1_11target_archE1200ELNS1_3gpuE4ELNS1_3repE0EEENS1_30default_config_static_selectorELNS0_4arch9wavefront6targetE1EEEvSK_, .Lfunc_end330-_ZN7rocprim17ROCPRIM_400000_NS6detail17trampoline_kernelINS0_14default_configENS1_22reduce_config_selectorIdEEZNS1_11reduce_implILb1ES3_N6thrust23THRUST_200600_302600_NS6detail15normal_iteratorINS8_10device_ptrIdEEEEPffNS8_4plusIfEEEE10hipError_tPvRmT1_T2_T3_mT4_P12ihipStream_tbEUlT_E1_NS1_11comp_targetILNS1_3genE10ELNS1_11target_archE1200ELNS1_3gpuE4ELNS1_3repE0EEENS1_30default_config_static_selectorELNS0_4arch9wavefront6targetE1EEEvSK_
                                        ; -- End function
	.set _ZN7rocprim17ROCPRIM_400000_NS6detail17trampoline_kernelINS0_14default_configENS1_22reduce_config_selectorIdEEZNS1_11reduce_implILb1ES3_N6thrust23THRUST_200600_302600_NS6detail15normal_iteratorINS8_10device_ptrIdEEEEPffNS8_4plusIfEEEE10hipError_tPvRmT1_T2_T3_mT4_P12ihipStream_tbEUlT_E1_NS1_11comp_targetILNS1_3genE10ELNS1_11target_archE1200ELNS1_3gpuE4ELNS1_3repE0EEENS1_30default_config_static_selectorELNS0_4arch9wavefront6targetE1EEEvSK_.num_vgpr, 0
	.set _ZN7rocprim17ROCPRIM_400000_NS6detail17trampoline_kernelINS0_14default_configENS1_22reduce_config_selectorIdEEZNS1_11reduce_implILb1ES3_N6thrust23THRUST_200600_302600_NS6detail15normal_iteratorINS8_10device_ptrIdEEEEPffNS8_4plusIfEEEE10hipError_tPvRmT1_T2_T3_mT4_P12ihipStream_tbEUlT_E1_NS1_11comp_targetILNS1_3genE10ELNS1_11target_archE1200ELNS1_3gpuE4ELNS1_3repE0EEENS1_30default_config_static_selectorELNS0_4arch9wavefront6targetE1EEEvSK_.num_agpr, 0
	.set _ZN7rocprim17ROCPRIM_400000_NS6detail17trampoline_kernelINS0_14default_configENS1_22reduce_config_selectorIdEEZNS1_11reduce_implILb1ES3_N6thrust23THRUST_200600_302600_NS6detail15normal_iteratorINS8_10device_ptrIdEEEEPffNS8_4plusIfEEEE10hipError_tPvRmT1_T2_T3_mT4_P12ihipStream_tbEUlT_E1_NS1_11comp_targetILNS1_3genE10ELNS1_11target_archE1200ELNS1_3gpuE4ELNS1_3repE0EEENS1_30default_config_static_selectorELNS0_4arch9wavefront6targetE1EEEvSK_.numbered_sgpr, 0
	.set _ZN7rocprim17ROCPRIM_400000_NS6detail17trampoline_kernelINS0_14default_configENS1_22reduce_config_selectorIdEEZNS1_11reduce_implILb1ES3_N6thrust23THRUST_200600_302600_NS6detail15normal_iteratorINS8_10device_ptrIdEEEEPffNS8_4plusIfEEEE10hipError_tPvRmT1_T2_T3_mT4_P12ihipStream_tbEUlT_E1_NS1_11comp_targetILNS1_3genE10ELNS1_11target_archE1200ELNS1_3gpuE4ELNS1_3repE0EEENS1_30default_config_static_selectorELNS0_4arch9wavefront6targetE1EEEvSK_.num_named_barrier, 0
	.set _ZN7rocprim17ROCPRIM_400000_NS6detail17trampoline_kernelINS0_14default_configENS1_22reduce_config_selectorIdEEZNS1_11reduce_implILb1ES3_N6thrust23THRUST_200600_302600_NS6detail15normal_iteratorINS8_10device_ptrIdEEEEPffNS8_4plusIfEEEE10hipError_tPvRmT1_T2_T3_mT4_P12ihipStream_tbEUlT_E1_NS1_11comp_targetILNS1_3genE10ELNS1_11target_archE1200ELNS1_3gpuE4ELNS1_3repE0EEENS1_30default_config_static_selectorELNS0_4arch9wavefront6targetE1EEEvSK_.private_seg_size, 0
	.set _ZN7rocprim17ROCPRIM_400000_NS6detail17trampoline_kernelINS0_14default_configENS1_22reduce_config_selectorIdEEZNS1_11reduce_implILb1ES3_N6thrust23THRUST_200600_302600_NS6detail15normal_iteratorINS8_10device_ptrIdEEEEPffNS8_4plusIfEEEE10hipError_tPvRmT1_T2_T3_mT4_P12ihipStream_tbEUlT_E1_NS1_11comp_targetILNS1_3genE10ELNS1_11target_archE1200ELNS1_3gpuE4ELNS1_3repE0EEENS1_30default_config_static_selectorELNS0_4arch9wavefront6targetE1EEEvSK_.uses_vcc, 0
	.set _ZN7rocprim17ROCPRIM_400000_NS6detail17trampoline_kernelINS0_14default_configENS1_22reduce_config_selectorIdEEZNS1_11reduce_implILb1ES3_N6thrust23THRUST_200600_302600_NS6detail15normal_iteratorINS8_10device_ptrIdEEEEPffNS8_4plusIfEEEE10hipError_tPvRmT1_T2_T3_mT4_P12ihipStream_tbEUlT_E1_NS1_11comp_targetILNS1_3genE10ELNS1_11target_archE1200ELNS1_3gpuE4ELNS1_3repE0EEENS1_30default_config_static_selectorELNS0_4arch9wavefront6targetE1EEEvSK_.uses_flat_scratch, 0
	.set _ZN7rocprim17ROCPRIM_400000_NS6detail17trampoline_kernelINS0_14default_configENS1_22reduce_config_selectorIdEEZNS1_11reduce_implILb1ES3_N6thrust23THRUST_200600_302600_NS6detail15normal_iteratorINS8_10device_ptrIdEEEEPffNS8_4plusIfEEEE10hipError_tPvRmT1_T2_T3_mT4_P12ihipStream_tbEUlT_E1_NS1_11comp_targetILNS1_3genE10ELNS1_11target_archE1200ELNS1_3gpuE4ELNS1_3repE0EEENS1_30default_config_static_selectorELNS0_4arch9wavefront6targetE1EEEvSK_.has_dyn_sized_stack, 0
	.set _ZN7rocprim17ROCPRIM_400000_NS6detail17trampoline_kernelINS0_14default_configENS1_22reduce_config_selectorIdEEZNS1_11reduce_implILb1ES3_N6thrust23THRUST_200600_302600_NS6detail15normal_iteratorINS8_10device_ptrIdEEEEPffNS8_4plusIfEEEE10hipError_tPvRmT1_T2_T3_mT4_P12ihipStream_tbEUlT_E1_NS1_11comp_targetILNS1_3genE10ELNS1_11target_archE1200ELNS1_3gpuE4ELNS1_3repE0EEENS1_30default_config_static_selectorELNS0_4arch9wavefront6targetE1EEEvSK_.has_recursion, 0
	.set _ZN7rocprim17ROCPRIM_400000_NS6detail17trampoline_kernelINS0_14default_configENS1_22reduce_config_selectorIdEEZNS1_11reduce_implILb1ES3_N6thrust23THRUST_200600_302600_NS6detail15normal_iteratorINS8_10device_ptrIdEEEEPffNS8_4plusIfEEEE10hipError_tPvRmT1_T2_T3_mT4_P12ihipStream_tbEUlT_E1_NS1_11comp_targetILNS1_3genE10ELNS1_11target_archE1200ELNS1_3gpuE4ELNS1_3repE0EEENS1_30default_config_static_selectorELNS0_4arch9wavefront6targetE1EEEvSK_.has_indirect_call, 0
	.section	.AMDGPU.csdata,"",@progbits
; Kernel info:
; codeLenInByte = 0
; TotalNumSgprs: 6
; NumVgprs: 0
; NumAgprs: 0
; TotalNumVgprs: 0
; ScratchSize: 0
; MemoryBound: 0
; FloatMode: 240
; IeeeMode: 1
; LDSByteSize: 0 bytes/workgroup (compile time only)
; SGPRBlocks: 0
; VGPRBlocks: 0
; NumSGPRsForWavesPerEU: 6
; NumVGPRsForWavesPerEU: 1
; AccumOffset: 4
; Occupancy: 8
; WaveLimiterHint : 0
; COMPUTE_PGM_RSRC2:SCRATCH_EN: 0
; COMPUTE_PGM_RSRC2:USER_SGPR: 2
; COMPUTE_PGM_RSRC2:TRAP_HANDLER: 0
; COMPUTE_PGM_RSRC2:TGID_X_EN: 1
; COMPUTE_PGM_RSRC2:TGID_Y_EN: 0
; COMPUTE_PGM_RSRC2:TGID_Z_EN: 0
; COMPUTE_PGM_RSRC2:TIDIG_COMP_CNT: 0
; COMPUTE_PGM_RSRC3_GFX90A:ACCUM_OFFSET: 0
; COMPUTE_PGM_RSRC3_GFX90A:TG_SPLIT: 0
	.section	.text._ZN7rocprim17ROCPRIM_400000_NS6detail17trampoline_kernelINS0_14default_configENS1_22reduce_config_selectorIdEEZNS1_11reduce_implILb1ES3_N6thrust23THRUST_200600_302600_NS6detail15normal_iteratorINS8_10device_ptrIdEEEEPffNS8_4plusIfEEEE10hipError_tPvRmT1_T2_T3_mT4_P12ihipStream_tbEUlT_E1_NS1_11comp_targetILNS1_3genE9ELNS1_11target_archE1100ELNS1_3gpuE3ELNS1_3repE0EEENS1_30default_config_static_selectorELNS0_4arch9wavefront6targetE1EEEvSK_,"axG",@progbits,_ZN7rocprim17ROCPRIM_400000_NS6detail17trampoline_kernelINS0_14default_configENS1_22reduce_config_selectorIdEEZNS1_11reduce_implILb1ES3_N6thrust23THRUST_200600_302600_NS6detail15normal_iteratorINS8_10device_ptrIdEEEEPffNS8_4plusIfEEEE10hipError_tPvRmT1_T2_T3_mT4_P12ihipStream_tbEUlT_E1_NS1_11comp_targetILNS1_3genE9ELNS1_11target_archE1100ELNS1_3gpuE3ELNS1_3repE0EEENS1_30default_config_static_selectorELNS0_4arch9wavefront6targetE1EEEvSK_,comdat
	.protected	_ZN7rocprim17ROCPRIM_400000_NS6detail17trampoline_kernelINS0_14default_configENS1_22reduce_config_selectorIdEEZNS1_11reduce_implILb1ES3_N6thrust23THRUST_200600_302600_NS6detail15normal_iteratorINS8_10device_ptrIdEEEEPffNS8_4plusIfEEEE10hipError_tPvRmT1_T2_T3_mT4_P12ihipStream_tbEUlT_E1_NS1_11comp_targetILNS1_3genE9ELNS1_11target_archE1100ELNS1_3gpuE3ELNS1_3repE0EEENS1_30default_config_static_selectorELNS0_4arch9wavefront6targetE1EEEvSK_ ; -- Begin function _ZN7rocprim17ROCPRIM_400000_NS6detail17trampoline_kernelINS0_14default_configENS1_22reduce_config_selectorIdEEZNS1_11reduce_implILb1ES3_N6thrust23THRUST_200600_302600_NS6detail15normal_iteratorINS8_10device_ptrIdEEEEPffNS8_4plusIfEEEE10hipError_tPvRmT1_T2_T3_mT4_P12ihipStream_tbEUlT_E1_NS1_11comp_targetILNS1_3genE9ELNS1_11target_archE1100ELNS1_3gpuE3ELNS1_3repE0EEENS1_30default_config_static_selectorELNS0_4arch9wavefront6targetE1EEEvSK_
	.globl	_ZN7rocprim17ROCPRIM_400000_NS6detail17trampoline_kernelINS0_14default_configENS1_22reduce_config_selectorIdEEZNS1_11reduce_implILb1ES3_N6thrust23THRUST_200600_302600_NS6detail15normal_iteratorINS8_10device_ptrIdEEEEPffNS8_4plusIfEEEE10hipError_tPvRmT1_T2_T3_mT4_P12ihipStream_tbEUlT_E1_NS1_11comp_targetILNS1_3genE9ELNS1_11target_archE1100ELNS1_3gpuE3ELNS1_3repE0EEENS1_30default_config_static_selectorELNS0_4arch9wavefront6targetE1EEEvSK_
	.p2align	8
	.type	_ZN7rocprim17ROCPRIM_400000_NS6detail17trampoline_kernelINS0_14default_configENS1_22reduce_config_selectorIdEEZNS1_11reduce_implILb1ES3_N6thrust23THRUST_200600_302600_NS6detail15normal_iteratorINS8_10device_ptrIdEEEEPffNS8_4plusIfEEEE10hipError_tPvRmT1_T2_T3_mT4_P12ihipStream_tbEUlT_E1_NS1_11comp_targetILNS1_3genE9ELNS1_11target_archE1100ELNS1_3gpuE3ELNS1_3repE0EEENS1_30default_config_static_selectorELNS0_4arch9wavefront6targetE1EEEvSK_,@function
_ZN7rocprim17ROCPRIM_400000_NS6detail17trampoline_kernelINS0_14default_configENS1_22reduce_config_selectorIdEEZNS1_11reduce_implILb1ES3_N6thrust23THRUST_200600_302600_NS6detail15normal_iteratorINS8_10device_ptrIdEEEEPffNS8_4plusIfEEEE10hipError_tPvRmT1_T2_T3_mT4_P12ihipStream_tbEUlT_E1_NS1_11comp_targetILNS1_3genE9ELNS1_11target_archE1100ELNS1_3gpuE3ELNS1_3repE0EEENS1_30default_config_static_selectorELNS0_4arch9wavefront6targetE1EEEvSK_: ; @_ZN7rocprim17ROCPRIM_400000_NS6detail17trampoline_kernelINS0_14default_configENS1_22reduce_config_selectorIdEEZNS1_11reduce_implILb1ES3_N6thrust23THRUST_200600_302600_NS6detail15normal_iteratorINS8_10device_ptrIdEEEEPffNS8_4plusIfEEEE10hipError_tPvRmT1_T2_T3_mT4_P12ihipStream_tbEUlT_E1_NS1_11comp_targetILNS1_3genE9ELNS1_11target_archE1100ELNS1_3gpuE3ELNS1_3repE0EEENS1_30default_config_static_selectorELNS0_4arch9wavefront6targetE1EEEvSK_
; %bb.0:
	.section	.rodata,"a",@progbits
	.p2align	6, 0x0
	.amdhsa_kernel _ZN7rocprim17ROCPRIM_400000_NS6detail17trampoline_kernelINS0_14default_configENS1_22reduce_config_selectorIdEEZNS1_11reduce_implILb1ES3_N6thrust23THRUST_200600_302600_NS6detail15normal_iteratorINS8_10device_ptrIdEEEEPffNS8_4plusIfEEEE10hipError_tPvRmT1_T2_T3_mT4_P12ihipStream_tbEUlT_E1_NS1_11comp_targetILNS1_3genE9ELNS1_11target_archE1100ELNS1_3gpuE3ELNS1_3repE0EEENS1_30default_config_static_selectorELNS0_4arch9wavefront6targetE1EEEvSK_
		.amdhsa_group_segment_fixed_size 0
		.amdhsa_private_segment_fixed_size 0
		.amdhsa_kernarg_size 40
		.amdhsa_user_sgpr_count 2
		.amdhsa_user_sgpr_dispatch_ptr 0
		.amdhsa_user_sgpr_queue_ptr 0
		.amdhsa_user_sgpr_kernarg_segment_ptr 1
		.amdhsa_user_sgpr_dispatch_id 0
		.amdhsa_user_sgpr_kernarg_preload_length 0
		.amdhsa_user_sgpr_kernarg_preload_offset 0
		.amdhsa_user_sgpr_private_segment_size 0
		.amdhsa_uses_dynamic_stack 0
		.amdhsa_enable_private_segment 0
		.amdhsa_system_sgpr_workgroup_id_x 1
		.amdhsa_system_sgpr_workgroup_id_y 0
		.amdhsa_system_sgpr_workgroup_id_z 0
		.amdhsa_system_sgpr_workgroup_info 0
		.amdhsa_system_vgpr_workitem_id 0
		.amdhsa_next_free_vgpr 1
		.amdhsa_next_free_sgpr 0
		.amdhsa_accum_offset 4
		.amdhsa_reserve_vcc 0
		.amdhsa_float_round_mode_32 0
		.amdhsa_float_round_mode_16_64 0
		.amdhsa_float_denorm_mode_32 3
		.amdhsa_float_denorm_mode_16_64 3
		.amdhsa_dx10_clamp 1
		.amdhsa_ieee_mode 1
		.amdhsa_fp16_overflow 0
		.amdhsa_tg_split 0
		.amdhsa_exception_fp_ieee_invalid_op 0
		.amdhsa_exception_fp_denorm_src 0
		.amdhsa_exception_fp_ieee_div_zero 0
		.amdhsa_exception_fp_ieee_overflow 0
		.amdhsa_exception_fp_ieee_underflow 0
		.amdhsa_exception_fp_ieee_inexact 0
		.amdhsa_exception_int_div_zero 0
	.end_amdhsa_kernel
	.section	.text._ZN7rocprim17ROCPRIM_400000_NS6detail17trampoline_kernelINS0_14default_configENS1_22reduce_config_selectorIdEEZNS1_11reduce_implILb1ES3_N6thrust23THRUST_200600_302600_NS6detail15normal_iteratorINS8_10device_ptrIdEEEEPffNS8_4plusIfEEEE10hipError_tPvRmT1_T2_T3_mT4_P12ihipStream_tbEUlT_E1_NS1_11comp_targetILNS1_3genE9ELNS1_11target_archE1100ELNS1_3gpuE3ELNS1_3repE0EEENS1_30default_config_static_selectorELNS0_4arch9wavefront6targetE1EEEvSK_,"axG",@progbits,_ZN7rocprim17ROCPRIM_400000_NS6detail17trampoline_kernelINS0_14default_configENS1_22reduce_config_selectorIdEEZNS1_11reduce_implILb1ES3_N6thrust23THRUST_200600_302600_NS6detail15normal_iteratorINS8_10device_ptrIdEEEEPffNS8_4plusIfEEEE10hipError_tPvRmT1_T2_T3_mT4_P12ihipStream_tbEUlT_E1_NS1_11comp_targetILNS1_3genE9ELNS1_11target_archE1100ELNS1_3gpuE3ELNS1_3repE0EEENS1_30default_config_static_selectorELNS0_4arch9wavefront6targetE1EEEvSK_,comdat
.Lfunc_end331:
	.size	_ZN7rocprim17ROCPRIM_400000_NS6detail17trampoline_kernelINS0_14default_configENS1_22reduce_config_selectorIdEEZNS1_11reduce_implILb1ES3_N6thrust23THRUST_200600_302600_NS6detail15normal_iteratorINS8_10device_ptrIdEEEEPffNS8_4plusIfEEEE10hipError_tPvRmT1_T2_T3_mT4_P12ihipStream_tbEUlT_E1_NS1_11comp_targetILNS1_3genE9ELNS1_11target_archE1100ELNS1_3gpuE3ELNS1_3repE0EEENS1_30default_config_static_selectorELNS0_4arch9wavefront6targetE1EEEvSK_, .Lfunc_end331-_ZN7rocprim17ROCPRIM_400000_NS6detail17trampoline_kernelINS0_14default_configENS1_22reduce_config_selectorIdEEZNS1_11reduce_implILb1ES3_N6thrust23THRUST_200600_302600_NS6detail15normal_iteratorINS8_10device_ptrIdEEEEPffNS8_4plusIfEEEE10hipError_tPvRmT1_T2_T3_mT4_P12ihipStream_tbEUlT_E1_NS1_11comp_targetILNS1_3genE9ELNS1_11target_archE1100ELNS1_3gpuE3ELNS1_3repE0EEENS1_30default_config_static_selectorELNS0_4arch9wavefront6targetE1EEEvSK_
                                        ; -- End function
	.set _ZN7rocprim17ROCPRIM_400000_NS6detail17trampoline_kernelINS0_14default_configENS1_22reduce_config_selectorIdEEZNS1_11reduce_implILb1ES3_N6thrust23THRUST_200600_302600_NS6detail15normal_iteratorINS8_10device_ptrIdEEEEPffNS8_4plusIfEEEE10hipError_tPvRmT1_T2_T3_mT4_P12ihipStream_tbEUlT_E1_NS1_11comp_targetILNS1_3genE9ELNS1_11target_archE1100ELNS1_3gpuE3ELNS1_3repE0EEENS1_30default_config_static_selectorELNS0_4arch9wavefront6targetE1EEEvSK_.num_vgpr, 0
	.set _ZN7rocprim17ROCPRIM_400000_NS6detail17trampoline_kernelINS0_14default_configENS1_22reduce_config_selectorIdEEZNS1_11reduce_implILb1ES3_N6thrust23THRUST_200600_302600_NS6detail15normal_iteratorINS8_10device_ptrIdEEEEPffNS8_4plusIfEEEE10hipError_tPvRmT1_T2_T3_mT4_P12ihipStream_tbEUlT_E1_NS1_11comp_targetILNS1_3genE9ELNS1_11target_archE1100ELNS1_3gpuE3ELNS1_3repE0EEENS1_30default_config_static_selectorELNS0_4arch9wavefront6targetE1EEEvSK_.num_agpr, 0
	.set _ZN7rocprim17ROCPRIM_400000_NS6detail17trampoline_kernelINS0_14default_configENS1_22reduce_config_selectorIdEEZNS1_11reduce_implILb1ES3_N6thrust23THRUST_200600_302600_NS6detail15normal_iteratorINS8_10device_ptrIdEEEEPffNS8_4plusIfEEEE10hipError_tPvRmT1_T2_T3_mT4_P12ihipStream_tbEUlT_E1_NS1_11comp_targetILNS1_3genE9ELNS1_11target_archE1100ELNS1_3gpuE3ELNS1_3repE0EEENS1_30default_config_static_selectorELNS0_4arch9wavefront6targetE1EEEvSK_.numbered_sgpr, 0
	.set _ZN7rocprim17ROCPRIM_400000_NS6detail17trampoline_kernelINS0_14default_configENS1_22reduce_config_selectorIdEEZNS1_11reduce_implILb1ES3_N6thrust23THRUST_200600_302600_NS6detail15normal_iteratorINS8_10device_ptrIdEEEEPffNS8_4plusIfEEEE10hipError_tPvRmT1_T2_T3_mT4_P12ihipStream_tbEUlT_E1_NS1_11comp_targetILNS1_3genE9ELNS1_11target_archE1100ELNS1_3gpuE3ELNS1_3repE0EEENS1_30default_config_static_selectorELNS0_4arch9wavefront6targetE1EEEvSK_.num_named_barrier, 0
	.set _ZN7rocprim17ROCPRIM_400000_NS6detail17trampoline_kernelINS0_14default_configENS1_22reduce_config_selectorIdEEZNS1_11reduce_implILb1ES3_N6thrust23THRUST_200600_302600_NS6detail15normal_iteratorINS8_10device_ptrIdEEEEPffNS8_4plusIfEEEE10hipError_tPvRmT1_T2_T3_mT4_P12ihipStream_tbEUlT_E1_NS1_11comp_targetILNS1_3genE9ELNS1_11target_archE1100ELNS1_3gpuE3ELNS1_3repE0EEENS1_30default_config_static_selectorELNS0_4arch9wavefront6targetE1EEEvSK_.private_seg_size, 0
	.set _ZN7rocprim17ROCPRIM_400000_NS6detail17trampoline_kernelINS0_14default_configENS1_22reduce_config_selectorIdEEZNS1_11reduce_implILb1ES3_N6thrust23THRUST_200600_302600_NS6detail15normal_iteratorINS8_10device_ptrIdEEEEPffNS8_4plusIfEEEE10hipError_tPvRmT1_T2_T3_mT4_P12ihipStream_tbEUlT_E1_NS1_11comp_targetILNS1_3genE9ELNS1_11target_archE1100ELNS1_3gpuE3ELNS1_3repE0EEENS1_30default_config_static_selectorELNS0_4arch9wavefront6targetE1EEEvSK_.uses_vcc, 0
	.set _ZN7rocprim17ROCPRIM_400000_NS6detail17trampoline_kernelINS0_14default_configENS1_22reduce_config_selectorIdEEZNS1_11reduce_implILb1ES3_N6thrust23THRUST_200600_302600_NS6detail15normal_iteratorINS8_10device_ptrIdEEEEPffNS8_4plusIfEEEE10hipError_tPvRmT1_T2_T3_mT4_P12ihipStream_tbEUlT_E1_NS1_11comp_targetILNS1_3genE9ELNS1_11target_archE1100ELNS1_3gpuE3ELNS1_3repE0EEENS1_30default_config_static_selectorELNS0_4arch9wavefront6targetE1EEEvSK_.uses_flat_scratch, 0
	.set _ZN7rocprim17ROCPRIM_400000_NS6detail17trampoline_kernelINS0_14default_configENS1_22reduce_config_selectorIdEEZNS1_11reduce_implILb1ES3_N6thrust23THRUST_200600_302600_NS6detail15normal_iteratorINS8_10device_ptrIdEEEEPffNS8_4plusIfEEEE10hipError_tPvRmT1_T2_T3_mT4_P12ihipStream_tbEUlT_E1_NS1_11comp_targetILNS1_3genE9ELNS1_11target_archE1100ELNS1_3gpuE3ELNS1_3repE0EEENS1_30default_config_static_selectorELNS0_4arch9wavefront6targetE1EEEvSK_.has_dyn_sized_stack, 0
	.set _ZN7rocprim17ROCPRIM_400000_NS6detail17trampoline_kernelINS0_14default_configENS1_22reduce_config_selectorIdEEZNS1_11reduce_implILb1ES3_N6thrust23THRUST_200600_302600_NS6detail15normal_iteratorINS8_10device_ptrIdEEEEPffNS8_4plusIfEEEE10hipError_tPvRmT1_T2_T3_mT4_P12ihipStream_tbEUlT_E1_NS1_11comp_targetILNS1_3genE9ELNS1_11target_archE1100ELNS1_3gpuE3ELNS1_3repE0EEENS1_30default_config_static_selectorELNS0_4arch9wavefront6targetE1EEEvSK_.has_recursion, 0
	.set _ZN7rocprim17ROCPRIM_400000_NS6detail17trampoline_kernelINS0_14default_configENS1_22reduce_config_selectorIdEEZNS1_11reduce_implILb1ES3_N6thrust23THRUST_200600_302600_NS6detail15normal_iteratorINS8_10device_ptrIdEEEEPffNS8_4plusIfEEEE10hipError_tPvRmT1_T2_T3_mT4_P12ihipStream_tbEUlT_E1_NS1_11comp_targetILNS1_3genE9ELNS1_11target_archE1100ELNS1_3gpuE3ELNS1_3repE0EEENS1_30default_config_static_selectorELNS0_4arch9wavefront6targetE1EEEvSK_.has_indirect_call, 0
	.section	.AMDGPU.csdata,"",@progbits
; Kernel info:
; codeLenInByte = 0
; TotalNumSgprs: 6
; NumVgprs: 0
; NumAgprs: 0
; TotalNumVgprs: 0
; ScratchSize: 0
; MemoryBound: 0
; FloatMode: 240
; IeeeMode: 1
; LDSByteSize: 0 bytes/workgroup (compile time only)
; SGPRBlocks: 0
; VGPRBlocks: 0
; NumSGPRsForWavesPerEU: 6
; NumVGPRsForWavesPerEU: 1
; AccumOffset: 4
; Occupancy: 8
; WaveLimiterHint : 0
; COMPUTE_PGM_RSRC2:SCRATCH_EN: 0
; COMPUTE_PGM_RSRC2:USER_SGPR: 2
; COMPUTE_PGM_RSRC2:TRAP_HANDLER: 0
; COMPUTE_PGM_RSRC2:TGID_X_EN: 1
; COMPUTE_PGM_RSRC2:TGID_Y_EN: 0
; COMPUTE_PGM_RSRC2:TGID_Z_EN: 0
; COMPUTE_PGM_RSRC2:TIDIG_COMP_CNT: 0
; COMPUTE_PGM_RSRC3_GFX90A:ACCUM_OFFSET: 0
; COMPUTE_PGM_RSRC3_GFX90A:TG_SPLIT: 0
	.section	.text._ZN7rocprim17ROCPRIM_400000_NS6detail17trampoline_kernelINS0_14default_configENS1_22reduce_config_selectorIdEEZNS1_11reduce_implILb1ES3_N6thrust23THRUST_200600_302600_NS6detail15normal_iteratorINS8_10device_ptrIdEEEEPffNS8_4plusIfEEEE10hipError_tPvRmT1_T2_T3_mT4_P12ihipStream_tbEUlT_E1_NS1_11comp_targetILNS1_3genE8ELNS1_11target_archE1030ELNS1_3gpuE2ELNS1_3repE0EEENS1_30default_config_static_selectorELNS0_4arch9wavefront6targetE1EEEvSK_,"axG",@progbits,_ZN7rocprim17ROCPRIM_400000_NS6detail17trampoline_kernelINS0_14default_configENS1_22reduce_config_selectorIdEEZNS1_11reduce_implILb1ES3_N6thrust23THRUST_200600_302600_NS6detail15normal_iteratorINS8_10device_ptrIdEEEEPffNS8_4plusIfEEEE10hipError_tPvRmT1_T2_T3_mT4_P12ihipStream_tbEUlT_E1_NS1_11comp_targetILNS1_3genE8ELNS1_11target_archE1030ELNS1_3gpuE2ELNS1_3repE0EEENS1_30default_config_static_selectorELNS0_4arch9wavefront6targetE1EEEvSK_,comdat
	.protected	_ZN7rocprim17ROCPRIM_400000_NS6detail17trampoline_kernelINS0_14default_configENS1_22reduce_config_selectorIdEEZNS1_11reduce_implILb1ES3_N6thrust23THRUST_200600_302600_NS6detail15normal_iteratorINS8_10device_ptrIdEEEEPffNS8_4plusIfEEEE10hipError_tPvRmT1_T2_T3_mT4_P12ihipStream_tbEUlT_E1_NS1_11comp_targetILNS1_3genE8ELNS1_11target_archE1030ELNS1_3gpuE2ELNS1_3repE0EEENS1_30default_config_static_selectorELNS0_4arch9wavefront6targetE1EEEvSK_ ; -- Begin function _ZN7rocprim17ROCPRIM_400000_NS6detail17trampoline_kernelINS0_14default_configENS1_22reduce_config_selectorIdEEZNS1_11reduce_implILb1ES3_N6thrust23THRUST_200600_302600_NS6detail15normal_iteratorINS8_10device_ptrIdEEEEPffNS8_4plusIfEEEE10hipError_tPvRmT1_T2_T3_mT4_P12ihipStream_tbEUlT_E1_NS1_11comp_targetILNS1_3genE8ELNS1_11target_archE1030ELNS1_3gpuE2ELNS1_3repE0EEENS1_30default_config_static_selectorELNS0_4arch9wavefront6targetE1EEEvSK_
	.globl	_ZN7rocprim17ROCPRIM_400000_NS6detail17trampoline_kernelINS0_14default_configENS1_22reduce_config_selectorIdEEZNS1_11reduce_implILb1ES3_N6thrust23THRUST_200600_302600_NS6detail15normal_iteratorINS8_10device_ptrIdEEEEPffNS8_4plusIfEEEE10hipError_tPvRmT1_T2_T3_mT4_P12ihipStream_tbEUlT_E1_NS1_11comp_targetILNS1_3genE8ELNS1_11target_archE1030ELNS1_3gpuE2ELNS1_3repE0EEENS1_30default_config_static_selectorELNS0_4arch9wavefront6targetE1EEEvSK_
	.p2align	8
	.type	_ZN7rocprim17ROCPRIM_400000_NS6detail17trampoline_kernelINS0_14default_configENS1_22reduce_config_selectorIdEEZNS1_11reduce_implILb1ES3_N6thrust23THRUST_200600_302600_NS6detail15normal_iteratorINS8_10device_ptrIdEEEEPffNS8_4plusIfEEEE10hipError_tPvRmT1_T2_T3_mT4_P12ihipStream_tbEUlT_E1_NS1_11comp_targetILNS1_3genE8ELNS1_11target_archE1030ELNS1_3gpuE2ELNS1_3repE0EEENS1_30default_config_static_selectorELNS0_4arch9wavefront6targetE1EEEvSK_,@function
_ZN7rocprim17ROCPRIM_400000_NS6detail17trampoline_kernelINS0_14default_configENS1_22reduce_config_selectorIdEEZNS1_11reduce_implILb1ES3_N6thrust23THRUST_200600_302600_NS6detail15normal_iteratorINS8_10device_ptrIdEEEEPffNS8_4plusIfEEEE10hipError_tPvRmT1_T2_T3_mT4_P12ihipStream_tbEUlT_E1_NS1_11comp_targetILNS1_3genE8ELNS1_11target_archE1030ELNS1_3gpuE2ELNS1_3repE0EEENS1_30default_config_static_selectorELNS0_4arch9wavefront6targetE1EEEvSK_: ; @_ZN7rocprim17ROCPRIM_400000_NS6detail17trampoline_kernelINS0_14default_configENS1_22reduce_config_selectorIdEEZNS1_11reduce_implILb1ES3_N6thrust23THRUST_200600_302600_NS6detail15normal_iteratorINS8_10device_ptrIdEEEEPffNS8_4plusIfEEEE10hipError_tPvRmT1_T2_T3_mT4_P12ihipStream_tbEUlT_E1_NS1_11comp_targetILNS1_3genE8ELNS1_11target_archE1030ELNS1_3gpuE2ELNS1_3repE0EEENS1_30default_config_static_selectorELNS0_4arch9wavefront6targetE1EEEvSK_
; %bb.0:
	.section	.rodata,"a",@progbits
	.p2align	6, 0x0
	.amdhsa_kernel _ZN7rocprim17ROCPRIM_400000_NS6detail17trampoline_kernelINS0_14default_configENS1_22reduce_config_selectorIdEEZNS1_11reduce_implILb1ES3_N6thrust23THRUST_200600_302600_NS6detail15normal_iteratorINS8_10device_ptrIdEEEEPffNS8_4plusIfEEEE10hipError_tPvRmT1_T2_T3_mT4_P12ihipStream_tbEUlT_E1_NS1_11comp_targetILNS1_3genE8ELNS1_11target_archE1030ELNS1_3gpuE2ELNS1_3repE0EEENS1_30default_config_static_selectorELNS0_4arch9wavefront6targetE1EEEvSK_
		.amdhsa_group_segment_fixed_size 0
		.amdhsa_private_segment_fixed_size 0
		.amdhsa_kernarg_size 40
		.amdhsa_user_sgpr_count 2
		.amdhsa_user_sgpr_dispatch_ptr 0
		.amdhsa_user_sgpr_queue_ptr 0
		.amdhsa_user_sgpr_kernarg_segment_ptr 1
		.amdhsa_user_sgpr_dispatch_id 0
		.amdhsa_user_sgpr_kernarg_preload_length 0
		.amdhsa_user_sgpr_kernarg_preload_offset 0
		.amdhsa_user_sgpr_private_segment_size 0
		.amdhsa_uses_dynamic_stack 0
		.amdhsa_enable_private_segment 0
		.amdhsa_system_sgpr_workgroup_id_x 1
		.amdhsa_system_sgpr_workgroup_id_y 0
		.amdhsa_system_sgpr_workgroup_id_z 0
		.amdhsa_system_sgpr_workgroup_info 0
		.amdhsa_system_vgpr_workitem_id 0
		.amdhsa_next_free_vgpr 1
		.amdhsa_next_free_sgpr 0
		.amdhsa_accum_offset 4
		.amdhsa_reserve_vcc 0
		.amdhsa_float_round_mode_32 0
		.amdhsa_float_round_mode_16_64 0
		.amdhsa_float_denorm_mode_32 3
		.amdhsa_float_denorm_mode_16_64 3
		.amdhsa_dx10_clamp 1
		.amdhsa_ieee_mode 1
		.amdhsa_fp16_overflow 0
		.amdhsa_tg_split 0
		.amdhsa_exception_fp_ieee_invalid_op 0
		.amdhsa_exception_fp_denorm_src 0
		.amdhsa_exception_fp_ieee_div_zero 0
		.amdhsa_exception_fp_ieee_overflow 0
		.amdhsa_exception_fp_ieee_underflow 0
		.amdhsa_exception_fp_ieee_inexact 0
		.amdhsa_exception_int_div_zero 0
	.end_amdhsa_kernel
	.section	.text._ZN7rocprim17ROCPRIM_400000_NS6detail17trampoline_kernelINS0_14default_configENS1_22reduce_config_selectorIdEEZNS1_11reduce_implILb1ES3_N6thrust23THRUST_200600_302600_NS6detail15normal_iteratorINS8_10device_ptrIdEEEEPffNS8_4plusIfEEEE10hipError_tPvRmT1_T2_T3_mT4_P12ihipStream_tbEUlT_E1_NS1_11comp_targetILNS1_3genE8ELNS1_11target_archE1030ELNS1_3gpuE2ELNS1_3repE0EEENS1_30default_config_static_selectorELNS0_4arch9wavefront6targetE1EEEvSK_,"axG",@progbits,_ZN7rocprim17ROCPRIM_400000_NS6detail17trampoline_kernelINS0_14default_configENS1_22reduce_config_selectorIdEEZNS1_11reduce_implILb1ES3_N6thrust23THRUST_200600_302600_NS6detail15normal_iteratorINS8_10device_ptrIdEEEEPffNS8_4plusIfEEEE10hipError_tPvRmT1_T2_T3_mT4_P12ihipStream_tbEUlT_E1_NS1_11comp_targetILNS1_3genE8ELNS1_11target_archE1030ELNS1_3gpuE2ELNS1_3repE0EEENS1_30default_config_static_selectorELNS0_4arch9wavefront6targetE1EEEvSK_,comdat
.Lfunc_end332:
	.size	_ZN7rocprim17ROCPRIM_400000_NS6detail17trampoline_kernelINS0_14default_configENS1_22reduce_config_selectorIdEEZNS1_11reduce_implILb1ES3_N6thrust23THRUST_200600_302600_NS6detail15normal_iteratorINS8_10device_ptrIdEEEEPffNS8_4plusIfEEEE10hipError_tPvRmT1_T2_T3_mT4_P12ihipStream_tbEUlT_E1_NS1_11comp_targetILNS1_3genE8ELNS1_11target_archE1030ELNS1_3gpuE2ELNS1_3repE0EEENS1_30default_config_static_selectorELNS0_4arch9wavefront6targetE1EEEvSK_, .Lfunc_end332-_ZN7rocprim17ROCPRIM_400000_NS6detail17trampoline_kernelINS0_14default_configENS1_22reduce_config_selectorIdEEZNS1_11reduce_implILb1ES3_N6thrust23THRUST_200600_302600_NS6detail15normal_iteratorINS8_10device_ptrIdEEEEPffNS8_4plusIfEEEE10hipError_tPvRmT1_T2_T3_mT4_P12ihipStream_tbEUlT_E1_NS1_11comp_targetILNS1_3genE8ELNS1_11target_archE1030ELNS1_3gpuE2ELNS1_3repE0EEENS1_30default_config_static_selectorELNS0_4arch9wavefront6targetE1EEEvSK_
                                        ; -- End function
	.set _ZN7rocprim17ROCPRIM_400000_NS6detail17trampoline_kernelINS0_14default_configENS1_22reduce_config_selectorIdEEZNS1_11reduce_implILb1ES3_N6thrust23THRUST_200600_302600_NS6detail15normal_iteratorINS8_10device_ptrIdEEEEPffNS8_4plusIfEEEE10hipError_tPvRmT1_T2_T3_mT4_P12ihipStream_tbEUlT_E1_NS1_11comp_targetILNS1_3genE8ELNS1_11target_archE1030ELNS1_3gpuE2ELNS1_3repE0EEENS1_30default_config_static_selectorELNS0_4arch9wavefront6targetE1EEEvSK_.num_vgpr, 0
	.set _ZN7rocprim17ROCPRIM_400000_NS6detail17trampoline_kernelINS0_14default_configENS1_22reduce_config_selectorIdEEZNS1_11reduce_implILb1ES3_N6thrust23THRUST_200600_302600_NS6detail15normal_iteratorINS8_10device_ptrIdEEEEPffNS8_4plusIfEEEE10hipError_tPvRmT1_T2_T3_mT4_P12ihipStream_tbEUlT_E1_NS1_11comp_targetILNS1_3genE8ELNS1_11target_archE1030ELNS1_3gpuE2ELNS1_3repE0EEENS1_30default_config_static_selectorELNS0_4arch9wavefront6targetE1EEEvSK_.num_agpr, 0
	.set _ZN7rocprim17ROCPRIM_400000_NS6detail17trampoline_kernelINS0_14default_configENS1_22reduce_config_selectorIdEEZNS1_11reduce_implILb1ES3_N6thrust23THRUST_200600_302600_NS6detail15normal_iteratorINS8_10device_ptrIdEEEEPffNS8_4plusIfEEEE10hipError_tPvRmT1_T2_T3_mT4_P12ihipStream_tbEUlT_E1_NS1_11comp_targetILNS1_3genE8ELNS1_11target_archE1030ELNS1_3gpuE2ELNS1_3repE0EEENS1_30default_config_static_selectorELNS0_4arch9wavefront6targetE1EEEvSK_.numbered_sgpr, 0
	.set _ZN7rocprim17ROCPRIM_400000_NS6detail17trampoline_kernelINS0_14default_configENS1_22reduce_config_selectorIdEEZNS1_11reduce_implILb1ES3_N6thrust23THRUST_200600_302600_NS6detail15normal_iteratorINS8_10device_ptrIdEEEEPffNS8_4plusIfEEEE10hipError_tPvRmT1_T2_T3_mT4_P12ihipStream_tbEUlT_E1_NS1_11comp_targetILNS1_3genE8ELNS1_11target_archE1030ELNS1_3gpuE2ELNS1_3repE0EEENS1_30default_config_static_selectorELNS0_4arch9wavefront6targetE1EEEvSK_.num_named_barrier, 0
	.set _ZN7rocprim17ROCPRIM_400000_NS6detail17trampoline_kernelINS0_14default_configENS1_22reduce_config_selectorIdEEZNS1_11reduce_implILb1ES3_N6thrust23THRUST_200600_302600_NS6detail15normal_iteratorINS8_10device_ptrIdEEEEPffNS8_4plusIfEEEE10hipError_tPvRmT1_T2_T3_mT4_P12ihipStream_tbEUlT_E1_NS1_11comp_targetILNS1_3genE8ELNS1_11target_archE1030ELNS1_3gpuE2ELNS1_3repE0EEENS1_30default_config_static_selectorELNS0_4arch9wavefront6targetE1EEEvSK_.private_seg_size, 0
	.set _ZN7rocprim17ROCPRIM_400000_NS6detail17trampoline_kernelINS0_14default_configENS1_22reduce_config_selectorIdEEZNS1_11reduce_implILb1ES3_N6thrust23THRUST_200600_302600_NS6detail15normal_iteratorINS8_10device_ptrIdEEEEPffNS8_4plusIfEEEE10hipError_tPvRmT1_T2_T3_mT4_P12ihipStream_tbEUlT_E1_NS1_11comp_targetILNS1_3genE8ELNS1_11target_archE1030ELNS1_3gpuE2ELNS1_3repE0EEENS1_30default_config_static_selectorELNS0_4arch9wavefront6targetE1EEEvSK_.uses_vcc, 0
	.set _ZN7rocprim17ROCPRIM_400000_NS6detail17trampoline_kernelINS0_14default_configENS1_22reduce_config_selectorIdEEZNS1_11reduce_implILb1ES3_N6thrust23THRUST_200600_302600_NS6detail15normal_iteratorINS8_10device_ptrIdEEEEPffNS8_4plusIfEEEE10hipError_tPvRmT1_T2_T3_mT4_P12ihipStream_tbEUlT_E1_NS1_11comp_targetILNS1_3genE8ELNS1_11target_archE1030ELNS1_3gpuE2ELNS1_3repE0EEENS1_30default_config_static_selectorELNS0_4arch9wavefront6targetE1EEEvSK_.uses_flat_scratch, 0
	.set _ZN7rocprim17ROCPRIM_400000_NS6detail17trampoline_kernelINS0_14default_configENS1_22reduce_config_selectorIdEEZNS1_11reduce_implILb1ES3_N6thrust23THRUST_200600_302600_NS6detail15normal_iteratorINS8_10device_ptrIdEEEEPffNS8_4plusIfEEEE10hipError_tPvRmT1_T2_T3_mT4_P12ihipStream_tbEUlT_E1_NS1_11comp_targetILNS1_3genE8ELNS1_11target_archE1030ELNS1_3gpuE2ELNS1_3repE0EEENS1_30default_config_static_selectorELNS0_4arch9wavefront6targetE1EEEvSK_.has_dyn_sized_stack, 0
	.set _ZN7rocprim17ROCPRIM_400000_NS6detail17trampoline_kernelINS0_14default_configENS1_22reduce_config_selectorIdEEZNS1_11reduce_implILb1ES3_N6thrust23THRUST_200600_302600_NS6detail15normal_iteratorINS8_10device_ptrIdEEEEPffNS8_4plusIfEEEE10hipError_tPvRmT1_T2_T3_mT4_P12ihipStream_tbEUlT_E1_NS1_11comp_targetILNS1_3genE8ELNS1_11target_archE1030ELNS1_3gpuE2ELNS1_3repE0EEENS1_30default_config_static_selectorELNS0_4arch9wavefront6targetE1EEEvSK_.has_recursion, 0
	.set _ZN7rocprim17ROCPRIM_400000_NS6detail17trampoline_kernelINS0_14default_configENS1_22reduce_config_selectorIdEEZNS1_11reduce_implILb1ES3_N6thrust23THRUST_200600_302600_NS6detail15normal_iteratorINS8_10device_ptrIdEEEEPffNS8_4plusIfEEEE10hipError_tPvRmT1_T2_T3_mT4_P12ihipStream_tbEUlT_E1_NS1_11comp_targetILNS1_3genE8ELNS1_11target_archE1030ELNS1_3gpuE2ELNS1_3repE0EEENS1_30default_config_static_selectorELNS0_4arch9wavefront6targetE1EEEvSK_.has_indirect_call, 0
	.section	.AMDGPU.csdata,"",@progbits
; Kernel info:
; codeLenInByte = 0
; TotalNumSgprs: 6
; NumVgprs: 0
; NumAgprs: 0
; TotalNumVgprs: 0
; ScratchSize: 0
; MemoryBound: 0
; FloatMode: 240
; IeeeMode: 1
; LDSByteSize: 0 bytes/workgroup (compile time only)
; SGPRBlocks: 0
; VGPRBlocks: 0
; NumSGPRsForWavesPerEU: 6
; NumVGPRsForWavesPerEU: 1
; AccumOffset: 4
; Occupancy: 8
; WaveLimiterHint : 0
; COMPUTE_PGM_RSRC2:SCRATCH_EN: 0
; COMPUTE_PGM_RSRC2:USER_SGPR: 2
; COMPUTE_PGM_RSRC2:TRAP_HANDLER: 0
; COMPUTE_PGM_RSRC2:TGID_X_EN: 1
; COMPUTE_PGM_RSRC2:TGID_Y_EN: 0
; COMPUTE_PGM_RSRC2:TGID_Z_EN: 0
; COMPUTE_PGM_RSRC2:TIDIG_COMP_CNT: 0
; COMPUTE_PGM_RSRC3_GFX90A:ACCUM_OFFSET: 0
; COMPUTE_PGM_RSRC3_GFX90A:TG_SPLIT: 0
	.section	.text._ZN7rocprim17ROCPRIM_400000_NS6detail17trampoline_kernelINS0_14default_configENS1_22reduce_config_selectorIfEEZNS1_11reduce_implILb1ES3_N6thrust23THRUST_200600_302600_NS6detail15normal_iteratorINS8_10device_ptrIfEEEEPiiNS8_4plusIiEEEE10hipError_tPvRmT1_T2_T3_mT4_P12ihipStream_tbEUlT_E0_NS1_11comp_targetILNS1_3genE0ELNS1_11target_archE4294967295ELNS1_3gpuE0ELNS1_3repE0EEENS1_30default_config_static_selectorELNS0_4arch9wavefront6targetE1EEEvSK_,"axG",@progbits,_ZN7rocprim17ROCPRIM_400000_NS6detail17trampoline_kernelINS0_14default_configENS1_22reduce_config_selectorIfEEZNS1_11reduce_implILb1ES3_N6thrust23THRUST_200600_302600_NS6detail15normal_iteratorINS8_10device_ptrIfEEEEPiiNS8_4plusIiEEEE10hipError_tPvRmT1_T2_T3_mT4_P12ihipStream_tbEUlT_E0_NS1_11comp_targetILNS1_3genE0ELNS1_11target_archE4294967295ELNS1_3gpuE0ELNS1_3repE0EEENS1_30default_config_static_selectorELNS0_4arch9wavefront6targetE1EEEvSK_,comdat
	.protected	_ZN7rocprim17ROCPRIM_400000_NS6detail17trampoline_kernelINS0_14default_configENS1_22reduce_config_selectorIfEEZNS1_11reduce_implILb1ES3_N6thrust23THRUST_200600_302600_NS6detail15normal_iteratorINS8_10device_ptrIfEEEEPiiNS8_4plusIiEEEE10hipError_tPvRmT1_T2_T3_mT4_P12ihipStream_tbEUlT_E0_NS1_11comp_targetILNS1_3genE0ELNS1_11target_archE4294967295ELNS1_3gpuE0ELNS1_3repE0EEENS1_30default_config_static_selectorELNS0_4arch9wavefront6targetE1EEEvSK_ ; -- Begin function _ZN7rocprim17ROCPRIM_400000_NS6detail17trampoline_kernelINS0_14default_configENS1_22reduce_config_selectorIfEEZNS1_11reduce_implILb1ES3_N6thrust23THRUST_200600_302600_NS6detail15normal_iteratorINS8_10device_ptrIfEEEEPiiNS8_4plusIiEEEE10hipError_tPvRmT1_T2_T3_mT4_P12ihipStream_tbEUlT_E0_NS1_11comp_targetILNS1_3genE0ELNS1_11target_archE4294967295ELNS1_3gpuE0ELNS1_3repE0EEENS1_30default_config_static_selectorELNS0_4arch9wavefront6targetE1EEEvSK_
	.globl	_ZN7rocprim17ROCPRIM_400000_NS6detail17trampoline_kernelINS0_14default_configENS1_22reduce_config_selectorIfEEZNS1_11reduce_implILb1ES3_N6thrust23THRUST_200600_302600_NS6detail15normal_iteratorINS8_10device_ptrIfEEEEPiiNS8_4plusIiEEEE10hipError_tPvRmT1_T2_T3_mT4_P12ihipStream_tbEUlT_E0_NS1_11comp_targetILNS1_3genE0ELNS1_11target_archE4294967295ELNS1_3gpuE0ELNS1_3repE0EEENS1_30default_config_static_selectorELNS0_4arch9wavefront6targetE1EEEvSK_
	.p2align	8
	.type	_ZN7rocprim17ROCPRIM_400000_NS6detail17trampoline_kernelINS0_14default_configENS1_22reduce_config_selectorIfEEZNS1_11reduce_implILb1ES3_N6thrust23THRUST_200600_302600_NS6detail15normal_iteratorINS8_10device_ptrIfEEEEPiiNS8_4plusIiEEEE10hipError_tPvRmT1_T2_T3_mT4_P12ihipStream_tbEUlT_E0_NS1_11comp_targetILNS1_3genE0ELNS1_11target_archE4294967295ELNS1_3gpuE0ELNS1_3repE0EEENS1_30default_config_static_selectorELNS0_4arch9wavefront6targetE1EEEvSK_,@function
_ZN7rocprim17ROCPRIM_400000_NS6detail17trampoline_kernelINS0_14default_configENS1_22reduce_config_selectorIfEEZNS1_11reduce_implILb1ES3_N6thrust23THRUST_200600_302600_NS6detail15normal_iteratorINS8_10device_ptrIfEEEEPiiNS8_4plusIiEEEE10hipError_tPvRmT1_T2_T3_mT4_P12ihipStream_tbEUlT_E0_NS1_11comp_targetILNS1_3genE0ELNS1_11target_archE4294967295ELNS1_3gpuE0ELNS1_3repE0EEENS1_30default_config_static_selectorELNS0_4arch9wavefront6targetE1EEEvSK_: ; @_ZN7rocprim17ROCPRIM_400000_NS6detail17trampoline_kernelINS0_14default_configENS1_22reduce_config_selectorIfEEZNS1_11reduce_implILb1ES3_N6thrust23THRUST_200600_302600_NS6detail15normal_iteratorINS8_10device_ptrIfEEEEPiiNS8_4plusIiEEEE10hipError_tPvRmT1_T2_T3_mT4_P12ihipStream_tbEUlT_E0_NS1_11comp_targetILNS1_3genE0ELNS1_11target_archE4294967295ELNS1_3gpuE0ELNS1_3repE0EEENS1_30default_config_static_selectorELNS0_4arch9wavefront6targetE1EEEvSK_
; %bb.0:
	s_load_dwordx8 s[4:11], s[0:1], 0x0
	s_load_dwordx4 s[12:15], s[0:1], 0x20
	v_lshlrev_b32_e32 v6, 2, v0
	v_mbcnt_lo_u32_b32 v1, -1, 0
	s_waitcnt lgkmcnt(0)
	s_lshl_b64 s[6:7], s[6:7], 2
	s_add_u32 s18, s4, s6
	s_addc_u32 s19, s5, s7
	s_lshl_b32 s4, s2, 10
	s_mov_b32 s5, 0
	s_lshr_b64 s[16:17], s[8:9], 10
	s_lshl_b64 s[6:7], s[4:5], 2
	s_add_u32 s6, s18, s6
	s_mov_b32 s3, s5
	s_addc_u32 s7, s19, s7
	s_cmp_lg_u64 s[16:17], s[2:3]
	s_cbranch_scc0 .LBB333_6
; %bb.1:
	v_mov_b32_e32 v7, 0
	v_lshl_add_u64 v[2:3], s[6:7], 0, v[6:7]
	flat_load_dword v4, v[2:3]
	flat_load_dword v5, v[2:3] offset:1024
	flat_load_dword v7, v[2:3] offset:2048
	flat_load_dword v8, v[2:3] offset:3072
	v_mbcnt_hi_u32_b32 v3, -1, v1
	v_cmp_eq_u32_e32 vcc, 0, v3
	s_waitcnt vmcnt(0) lgkmcnt(0)
	v_cvt_i32_f32_e32 v2, v4
	v_cvt_i32_f32_e32 v5, v5
	;; [unrolled: 1-line block ×4, first 2 shown]
	v_lshlrev_b32_e32 v4, 2, v3
	v_add_u32_e32 v2, v5, v2
	v_or_b32_e32 v5, 0xfc, v4
	v_add3_u32 v2, v2, v7, v8
	s_nop 1
	v_add_u32_dpp v2, v2, v2 quad_perm:[1,0,3,2] row_mask:0xf bank_mask:0xf bound_ctrl:1
	s_nop 1
	v_add_u32_dpp v2, v2, v2 quad_perm:[2,3,0,1] row_mask:0xf bank_mask:0xf bound_ctrl:1
	s_nop 1
	v_add_u32_dpp v2, v2, v2 row_ror:4 row_mask:0xf bank_mask:0xf bound_ctrl:1
	s_nop 1
	v_add_u32_dpp v2, v2, v2 row_ror:8 row_mask:0xf bank_mask:0xf bound_ctrl:1
	s_nop 1
	v_add_u32_dpp v2, v2, v2 row_bcast:15 row_mask:0xf bank_mask:0xf bound_ctrl:1
	s_nop 1
	v_add_u32_dpp v2, v2, v2 row_bcast:31 row_mask:0xf bank_mask:0xf bound_ctrl:1
	ds_bpermute_b32 v2, v5, v2
	s_and_saveexec_b64 s[16:17], vcc
	s_cbranch_execz .LBB333_3
; %bb.2:
	v_lshrrev_b32_e32 v5, 4, v0
	v_and_b32_e32 v5, 12, v5
	s_waitcnt lgkmcnt(0)
	ds_write_b32 v5, v2
.LBB333_3:
	s_or_b64 exec, exec, s[16:17]
	v_cmp_gt_u32_e32 vcc, 64, v0
	s_waitcnt lgkmcnt(0)
	s_barrier
	s_and_saveexec_b64 s[16:17], vcc
	s_cbranch_execz .LBB333_5
; %bb.4:
	v_and_b32_e32 v2, 3, v3
	v_lshlrev_b32_e32 v5, 2, v2
	ds_read_b32 v5, v5
	v_cmp_ne_u32_e32 vcc, 3, v2
	s_nop 1
	v_addc_co_u32_e32 v2, vcc, 0, v3, vcc
	v_lshlrev_b32_e32 v2, 2, v2
	s_waitcnt lgkmcnt(0)
	ds_bpermute_b32 v2, v2, v5
	v_or_b32_e32 v3, 8, v4
	s_waitcnt lgkmcnt(0)
	v_add_u32_e32 v2, v2, v5
	ds_bpermute_b32 v3, v3, v2
	s_waitcnt lgkmcnt(0)
	v_add_u32_e32 v2, v3, v2
.LBB333_5:
	s_or_b64 exec, exec, s[16:17]
	s_load_dword s18, s[0:1], 0x30
	s_branch .LBB333_20
.LBB333_6:
                                        ; implicit-def: $vgpr2
	s_load_dword s18, s[0:1], 0x30
	s_cbranch_execz .LBB333_20
; %bb.7:
	s_sub_i32 s19, s8, s4
	v_mov_b32_e32 v2, 0
	v_cmp_gt_u32_e32 vcc, s19, v0
	v_mov_b32_e32 v3, v2
	v_mov_b32_e32 v4, v2
	;; [unrolled: 1-line block ×3, first 2 shown]
	s_and_saveexec_b64 s[0:1], vcc
	s_cbranch_execz .LBB333_9
; %bb.8:
	v_mov_b32_e32 v7, v2
	v_lshl_add_u64 v[4:5], s[6:7], 0, v[6:7]
	flat_load_dword v3, v[4:5]
	v_mov_b32_e32 v9, v2
	v_mov_b32_e32 v10, v2
	;; [unrolled: 1-line block ×3, first 2 shown]
	s_waitcnt vmcnt(0) lgkmcnt(0)
	v_cvt_i32_f32_e32 v8, v3
	v_mov_b64_e32 v[2:3], v[8:9]
	v_mov_b64_e32 v[4:5], v[10:11]
.LBB333_9:
	s_or_b64 exec, exec, s[0:1]
	v_or_b32_e32 v7, 0x100, v0
	v_cmp_gt_u32_e32 vcc, s19, v7
	s_and_saveexec_b64 s[0:1], vcc
	s_cbranch_execz .LBB333_11
; %bb.10:
	v_mov_b32_e32 v7, 0
	v_lshl_add_u64 v[8:9], s[6:7], 0, v[6:7]
	flat_load_dword v3, v[8:9] offset:1024
	s_waitcnt vmcnt(0) lgkmcnt(0)
	v_cvt_i32_f32_e32 v3, v3
.LBB333_11:
	s_or_b64 exec, exec, s[0:1]
	v_or_b32_e32 v7, 0x200, v0
	v_cmp_gt_u32_e64 s[0:1], s19, v7
	s_and_saveexec_b64 s[4:5], s[0:1]
	s_cbranch_execz .LBB333_13
; %bb.12:
	v_mov_b32_e32 v7, 0
	v_lshl_add_u64 v[8:9], s[6:7], 0, v[6:7]
	flat_load_dword v4, v[8:9] offset:2048
	s_waitcnt vmcnt(0) lgkmcnt(0)
	v_cvt_i32_f32_e32 v4, v4
.LBB333_13:
	s_or_b64 exec, exec, s[4:5]
	v_or_b32_e32 v7, 0x300, v0
	v_cmp_gt_u32_e64 s[4:5], s19, v7
	s_and_saveexec_b64 s[16:17], s[4:5]
	s_cbranch_execz .LBB333_15
; %bb.14:
	v_mov_b32_e32 v7, 0
	v_lshl_add_u64 v[6:7], s[6:7], 0, v[6:7]
	flat_load_dword v5, v[6:7] offset:3072
	s_waitcnt vmcnt(0) lgkmcnt(0)
	v_cvt_i32_f32_e32 v5, v5
.LBB333_15:
	s_or_b64 exec, exec, s[16:17]
	v_cndmask_b32_e32 v3, 0, v3, vcc
	v_add_u32_e32 v2, v3, v2
	v_cndmask_b32_e64 v3, 0, v4, s[0:1]
	v_cndmask_b32_e64 v4, 0, v5, s[4:5]
	v_mbcnt_hi_u32_b32 v1, -1, v1
	v_add3_u32 v2, v2, v3, v4
	v_and_b32_e32 v4, 63, v1
	v_cmp_ne_u32_e32 vcc, 63, v4
	s_min_u32 s4, s19, 0x100
	v_and_b32_e32 v5, 0xc0, v0
	v_addc_co_u32_e32 v3, vcc, 0, v1, vcc
	v_lshlrev_b32_e32 v3, 2, v3
	ds_bpermute_b32 v3, v3, v2
	v_sub_u32_e64 v5, s4, v5 clamp
	v_add_u32_e32 v6, 1, v4
	v_cmp_lt_u32_e32 vcc, v6, v5
	v_add_u32_e32 v6, 2, v4
	s_waitcnt lgkmcnt(0)
	v_cndmask_b32_e32 v3, 0, v3, vcc
	v_cmp_gt_u32_e32 vcc, 62, v4
	v_add_u32_e32 v2, v3, v2
	s_nop 0
	v_cndmask_b32_e64 v3, 0, 2, vcc
	v_add_lshl_u32 v3, v3, v1, 2
	ds_bpermute_b32 v3, v3, v2
	v_cmp_lt_u32_e32 vcc, v6, v5
	v_add_u32_e32 v6, 4, v4
	s_waitcnt lgkmcnt(0)
	v_cndmask_b32_e32 v3, 0, v3, vcc
	v_cmp_gt_u32_e32 vcc, 60, v4
	v_add_u32_e32 v2, v2, v3
	s_nop 0
	v_cndmask_b32_e64 v3, 0, 4, vcc
	v_add_lshl_u32 v3, v3, v1, 2
	ds_bpermute_b32 v3, v3, v2
	;; [unrolled: 10-line block ×3, first 2 shown]
	v_cmp_lt_u32_e32 vcc, v6, v5
	v_add_u32_e32 v6, 16, v4
	s_waitcnt lgkmcnt(0)
	v_cndmask_b32_e32 v3, 0, v3, vcc
	v_cmp_gt_u32_e32 vcc, 48, v4
	v_add_u32_e32 v2, v2, v3
	v_add_u32_e32 v4, 32, v4
	v_cndmask_b32_e64 v3, 0, 16, vcc
	v_add_lshl_u32 v3, v3, v1, 2
	ds_bpermute_b32 v3, v3, v2
	v_cmp_lt_u32_e32 vcc, v6, v5
	s_waitcnt lgkmcnt(0)
	s_nop 0
	v_cndmask_b32_e32 v3, 0, v3, vcc
	v_add_u32_e32 v2, v2, v3
	v_lshlrev_b32_e32 v3, 2, v1
	v_or_b32_e32 v6, 0x80, v3
	ds_bpermute_b32 v6, v6, v2
	v_cmp_lt_u32_e32 vcc, v4, v5
	s_waitcnt lgkmcnt(0)
	s_nop 0
	v_cndmask_b32_e32 v4, 0, v6, vcc
	v_add_u32_e32 v2, v2, v4
	v_cmp_eq_u32_e32 vcc, 0, v1
	s_and_saveexec_b64 s[0:1], vcc
; %bb.16:
	v_lshrrev_b32_e32 v4, 4, v0
	v_and_b32_e32 v4, 12, v4
	ds_write_b32 v4, v2 offset:16
; %bb.17:
	s_or_b64 exec, exec, s[0:1]
	v_cmp_gt_u32_e32 vcc, 4, v0
	s_waitcnt lgkmcnt(0)
	s_barrier
	s_and_saveexec_b64 s[0:1], vcc
	s_cbranch_execz .LBB333_19
; %bb.18:
	ds_read_b32 v2, v3 offset:16
	v_and_b32_e32 v4, 3, v1
	v_cmp_ne_u32_e32 vcc, 3, v4
	s_add_i32 s4, s4, 63
	s_lshr_b32 s4, s4, 6
	v_addc_co_u32_e32 v1, vcc, 0, v1, vcc
	v_lshlrev_b32_e32 v1, 2, v1
	s_waitcnt lgkmcnt(0)
	ds_bpermute_b32 v1, v1, v2
	v_add_u32_e32 v5, 1, v4
	v_cmp_gt_u32_e32 vcc, s4, v5
	s_waitcnt lgkmcnt(0)
	s_nop 0
	v_cndmask_b32_e32 v1, 0, v1, vcc
	v_add_u32_e32 v1, v1, v2
	v_or_b32_e32 v2, 8, v3
	ds_bpermute_b32 v2, v2, v1
	v_add_u32_e32 v3, 2, v4
	v_cmp_gt_u32_e32 vcc, s4, v3
	s_waitcnt lgkmcnt(0)
	s_nop 0
	v_cndmask_b32_e32 v2, 0, v2, vcc
	v_add_u32_e32 v2, v1, v2
.LBB333_19:
	s_or_b64 exec, exec, s[0:1]
.LBB333_20:
	v_cmp_eq_u32_e32 vcc, 0, v0
	s_and_saveexec_b64 s[0:1], vcc
	s_cbranch_execnz .LBB333_22
; %bb.21:
	s_endpgm
.LBB333_22:
	s_mul_i32 s0, s14, s13
	s_mul_hi_u32 s1, s14, s12
	s_add_i32 s0, s1, s0
	s_mul_i32 s1, s15, s12
	s_add_i32 s1, s0, s1
	s_mul_i32 s0, s14, s12
	s_lshl_b64 s[0:1], s[0:1], 2
	s_add_u32 s4, s10, s0
	s_addc_u32 s5, s11, s1
	s_cmp_eq_u64 s[8:9], 0
	s_cselect_b64 vcc, -1, 0
	s_lshl_b64 s[0:1], s[2:3], 2
	s_waitcnt lgkmcnt(0)
	v_mov_b32_e32 v0, s18
	s_add_u32 s0, s4, s0
	v_cndmask_b32_e32 v0, v2, v0, vcc
	s_addc_u32 s1, s5, s1
	v_mov_b32_e32 v1, 0
	global_store_dword v1, v0, s[0:1]
	s_endpgm
	.section	.rodata,"a",@progbits
	.p2align	6, 0x0
	.amdhsa_kernel _ZN7rocprim17ROCPRIM_400000_NS6detail17trampoline_kernelINS0_14default_configENS1_22reduce_config_selectorIfEEZNS1_11reduce_implILb1ES3_N6thrust23THRUST_200600_302600_NS6detail15normal_iteratorINS8_10device_ptrIfEEEEPiiNS8_4plusIiEEEE10hipError_tPvRmT1_T2_T3_mT4_P12ihipStream_tbEUlT_E0_NS1_11comp_targetILNS1_3genE0ELNS1_11target_archE4294967295ELNS1_3gpuE0ELNS1_3repE0EEENS1_30default_config_static_selectorELNS0_4arch9wavefront6targetE1EEEvSK_
		.amdhsa_group_segment_fixed_size 32
		.amdhsa_private_segment_fixed_size 0
		.amdhsa_kernarg_size 56
		.amdhsa_user_sgpr_count 2
		.amdhsa_user_sgpr_dispatch_ptr 0
		.amdhsa_user_sgpr_queue_ptr 0
		.amdhsa_user_sgpr_kernarg_segment_ptr 1
		.amdhsa_user_sgpr_dispatch_id 0
		.amdhsa_user_sgpr_kernarg_preload_length 0
		.amdhsa_user_sgpr_kernarg_preload_offset 0
		.amdhsa_user_sgpr_private_segment_size 0
		.amdhsa_uses_dynamic_stack 0
		.amdhsa_enable_private_segment 0
		.amdhsa_system_sgpr_workgroup_id_x 1
		.amdhsa_system_sgpr_workgroup_id_y 0
		.amdhsa_system_sgpr_workgroup_id_z 0
		.amdhsa_system_sgpr_workgroup_info 0
		.amdhsa_system_vgpr_workitem_id 0
		.amdhsa_next_free_vgpr 12
		.amdhsa_next_free_sgpr 20
		.amdhsa_accum_offset 12
		.amdhsa_reserve_vcc 1
		.amdhsa_float_round_mode_32 0
		.amdhsa_float_round_mode_16_64 0
		.amdhsa_float_denorm_mode_32 3
		.amdhsa_float_denorm_mode_16_64 3
		.amdhsa_dx10_clamp 1
		.amdhsa_ieee_mode 1
		.amdhsa_fp16_overflow 0
		.amdhsa_tg_split 0
		.amdhsa_exception_fp_ieee_invalid_op 0
		.amdhsa_exception_fp_denorm_src 0
		.amdhsa_exception_fp_ieee_div_zero 0
		.amdhsa_exception_fp_ieee_overflow 0
		.amdhsa_exception_fp_ieee_underflow 0
		.amdhsa_exception_fp_ieee_inexact 0
		.amdhsa_exception_int_div_zero 0
	.end_amdhsa_kernel
	.section	.text._ZN7rocprim17ROCPRIM_400000_NS6detail17trampoline_kernelINS0_14default_configENS1_22reduce_config_selectorIfEEZNS1_11reduce_implILb1ES3_N6thrust23THRUST_200600_302600_NS6detail15normal_iteratorINS8_10device_ptrIfEEEEPiiNS8_4plusIiEEEE10hipError_tPvRmT1_T2_T3_mT4_P12ihipStream_tbEUlT_E0_NS1_11comp_targetILNS1_3genE0ELNS1_11target_archE4294967295ELNS1_3gpuE0ELNS1_3repE0EEENS1_30default_config_static_selectorELNS0_4arch9wavefront6targetE1EEEvSK_,"axG",@progbits,_ZN7rocprim17ROCPRIM_400000_NS6detail17trampoline_kernelINS0_14default_configENS1_22reduce_config_selectorIfEEZNS1_11reduce_implILb1ES3_N6thrust23THRUST_200600_302600_NS6detail15normal_iteratorINS8_10device_ptrIfEEEEPiiNS8_4plusIiEEEE10hipError_tPvRmT1_T2_T3_mT4_P12ihipStream_tbEUlT_E0_NS1_11comp_targetILNS1_3genE0ELNS1_11target_archE4294967295ELNS1_3gpuE0ELNS1_3repE0EEENS1_30default_config_static_selectorELNS0_4arch9wavefront6targetE1EEEvSK_,comdat
.Lfunc_end333:
	.size	_ZN7rocprim17ROCPRIM_400000_NS6detail17trampoline_kernelINS0_14default_configENS1_22reduce_config_selectorIfEEZNS1_11reduce_implILb1ES3_N6thrust23THRUST_200600_302600_NS6detail15normal_iteratorINS8_10device_ptrIfEEEEPiiNS8_4plusIiEEEE10hipError_tPvRmT1_T2_T3_mT4_P12ihipStream_tbEUlT_E0_NS1_11comp_targetILNS1_3genE0ELNS1_11target_archE4294967295ELNS1_3gpuE0ELNS1_3repE0EEENS1_30default_config_static_selectorELNS0_4arch9wavefront6targetE1EEEvSK_, .Lfunc_end333-_ZN7rocprim17ROCPRIM_400000_NS6detail17trampoline_kernelINS0_14default_configENS1_22reduce_config_selectorIfEEZNS1_11reduce_implILb1ES3_N6thrust23THRUST_200600_302600_NS6detail15normal_iteratorINS8_10device_ptrIfEEEEPiiNS8_4plusIiEEEE10hipError_tPvRmT1_T2_T3_mT4_P12ihipStream_tbEUlT_E0_NS1_11comp_targetILNS1_3genE0ELNS1_11target_archE4294967295ELNS1_3gpuE0ELNS1_3repE0EEENS1_30default_config_static_selectorELNS0_4arch9wavefront6targetE1EEEvSK_
                                        ; -- End function
	.set _ZN7rocprim17ROCPRIM_400000_NS6detail17trampoline_kernelINS0_14default_configENS1_22reduce_config_selectorIfEEZNS1_11reduce_implILb1ES3_N6thrust23THRUST_200600_302600_NS6detail15normal_iteratorINS8_10device_ptrIfEEEEPiiNS8_4plusIiEEEE10hipError_tPvRmT1_T2_T3_mT4_P12ihipStream_tbEUlT_E0_NS1_11comp_targetILNS1_3genE0ELNS1_11target_archE4294967295ELNS1_3gpuE0ELNS1_3repE0EEENS1_30default_config_static_selectorELNS0_4arch9wavefront6targetE1EEEvSK_.num_vgpr, 12
	.set _ZN7rocprim17ROCPRIM_400000_NS6detail17trampoline_kernelINS0_14default_configENS1_22reduce_config_selectorIfEEZNS1_11reduce_implILb1ES3_N6thrust23THRUST_200600_302600_NS6detail15normal_iteratorINS8_10device_ptrIfEEEEPiiNS8_4plusIiEEEE10hipError_tPvRmT1_T2_T3_mT4_P12ihipStream_tbEUlT_E0_NS1_11comp_targetILNS1_3genE0ELNS1_11target_archE4294967295ELNS1_3gpuE0ELNS1_3repE0EEENS1_30default_config_static_selectorELNS0_4arch9wavefront6targetE1EEEvSK_.num_agpr, 0
	.set _ZN7rocprim17ROCPRIM_400000_NS6detail17trampoline_kernelINS0_14default_configENS1_22reduce_config_selectorIfEEZNS1_11reduce_implILb1ES3_N6thrust23THRUST_200600_302600_NS6detail15normal_iteratorINS8_10device_ptrIfEEEEPiiNS8_4plusIiEEEE10hipError_tPvRmT1_T2_T3_mT4_P12ihipStream_tbEUlT_E0_NS1_11comp_targetILNS1_3genE0ELNS1_11target_archE4294967295ELNS1_3gpuE0ELNS1_3repE0EEENS1_30default_config_static_selectorELNS0_4arch9wavefront6targetE1EEEvSK_.numbered_sgpr, 20
	.set _ZN7rocprim17ROCPRIM_400000_NS6detail17trampoline_kernelINS0_14default_configENS1_22reduce_config_selectorIfEEZNS1_11reduce_implILb1ES3_N6thrust23THRUST_200600_302600_NS6detail15normal_iteratorINS8_10device_ptrIfEEEEPiiNS8_4plusIiEEEE10hipError_tPvRmT1_T2_T3_mT4_P12ihipStream_tbEUlT_E0_NS1_11comp_targetILNS1_3genE0ELNS1_11target_archE4294967295ELNS1_3gpuE0ELNS1_3repE0EEENS1_30default_config_static_selectorELNS0_4arch9wavefront6targetE1EEEvSK_.num_named_barrier, 0
	.set _ZN7rocprim17ROCPRIM_400000_NS6detail17trampoline_kernelINS0_14default_configENS1_22reduce_config_selectorIfEEZNS1_11reduce_implILb1ES3_N6thrust23THRUST_200600_302600_NS6detail15normal_iteratorINS8_10device_ptrIfEEEEPiiNS8_4plusIiEEEE10hipError_tPvRmT1_T2_T3_mT4_P12ihipStream_tbEUlT_E0_NS1_11comp_targetILNS1_3genE0ELNS1_11target_archE4294967295ELNS1_3gpuE0ELNS1_3repE0EEENS1_30default_config_static_selectorELNS0_4arch9wavefront6targetE1EEEvSK_.private_seg_size, 0
	.set _ZN7rocprim17ROCPRIM_400000_NS6detail17trampoline_kernelINS0_14default_configENS1_22reduce_config_selectorIfEEZNS1_11reduce_implILb1ES3_N6thrust23THRUST_200600_302600_NS6detail15normal_iteratorINS8_10device_ptrIfEEEEPiiNS8_4plusIiEEEE10hipError_tPvRmT1_T2_T3_mT4_P12ihipStream_tbEUlT_E0_NS1_11comp_targetILNS1_3genE0ELNS1_11target_archE4294967295ELNS1_3gpuE0ELNS1_3repE0EEENS1_30default_config_static_selectorELNS0_4arch9wavefront6targetE1EEEvSK_.uses_vcc, 1
	.set _ZN7rocprim17ROCPRIM_400000_NS6detail17trampoline_kernelINS0_14default_configENS1_22reduce_config_selectorIfEEZNS1_11reduce_implILb1ES3_N6thrust23THRUST_200600_302600_NS6detail15normal_iteratorINS8_10device_ptrIfEEEEPiiNS8_4plusIiEEEE10hipError_tPvRmT1_T2_T3_mT4_P12ihipStream_tbEUlT_E0_NS1_11comp_targetILNS1_3genE0ELNS1_11target_archE4294967295ELNS1_3gpuE0ELNS1_3repE0EEENS1_30default_config_static_selectorELNS0_4arch9wavefront6targetE1EEEvSK_.uses_flat_scratch, 0
	.set _ZN7rocprim17ROCPRIM_400000_NS6detail17trampoline_kernelINS0_14default_configENS1_22reduce_config_selectorIfEEZNS1_11reduce_implILb1ES3_N6thrust23THRUST_200600_302600_NS6detail15normal_iteratorINS8_10device_ptrIfEEEEPiiNS8_4plusIiEEEE10hipError_tPvRmT1_T2_T3_mT4_P12ihipStream_tbEUlT_E0_NS1_11comp_targetILNS1_3genE0ELNS1_11target_archE4294967295ELNS1_3gpuE0ELNS1_3repE0EEENS1_30default_config_static_selectorELNS0_4arch9wavefront6targetE1EEEvSK_.has_dyn_sized_stack, 0
	.set _ZN7rocprim17ROCPRIM_400000_NS6detail17trampoline_kernelINS0_14default_configENS1_22reduce_config_selectorIfEEZNS1_11reduce_implILb1ES3_N6thrust23THRUST_200600_302600_NS6detail15normal_iteratorINS8_10device_ptrIfEEEEPiiNS8_4plusIiEEEE10hipError_tPvRmT1_T2_T3_mT4_P12ihipStream_tbEUlT_E0_NS1_11comp_targetILNS1_3genE0ELNS1_11target_archE4294967295ELNS1_3gpuE0ELNS1_3repE0EEENS1_30default_config_static_selectorELNS0_4arch9wavefront6targetE1EEEvSK_.has_recursion, 0
	.set _ZN7rocprim17ROCPRIM_400000_NS6detail17trampoline_kernelINS0_14default_configENS1_22reduce_config_selectorIfEEZNS1_11reduce_implILb1ES3_N6thrust23THRUST_200600_302600_NS6detail15normal_iteratorINS8_10device_ptrIfEEEEPiiNS8_4plusIiEEEE10hipError_tPvRmT1_T2_T3_mT4_P12ihipStream_tbEUlT_E0_NS1_11comp_targetILNS1_3genE0ELNS1_11target_archE4294967295ELNS1_3gpuE0ELNS1_3repE0EEENS1_30default_config_static_selectorELNS0_4arch9wavefront6targetE1EEEvSK_.has_indirect_call, 0
	.section	.AMDGPU.csdata,"",@progbits
; Kernel info:
; codeLenInByte = 1276
; TotalNumSgprs: 26
; NumVgprs: 12
; NumAgprs: 0
; TotalNumVgprs: 12
; ScratchSize: 0
; MemoryBound: 0
; FloatMode: 240
; IeeeMode: 1
; LDSByteSize: 32 bytes/workgroup (compile time only)
; SGPRBlocks: 3
; VGPRBlocks: 1
; NumSGPRsForWavesPerEU: 26
; NumVGPRsForWavesPerEU: 12
; AccumOffset: 12
; Occupancy: 8
; WaveLimiterHint : 1
; COMPUTE_PGM_RSRC2:SCRATCH_EN: 0
; COMPUTE_PGM_RSRC2:USER_SGPR: 2
; COMPUTE_PGM_RSRC2:TRAP_HANDLER: 0
; COMPUTE_PGM_RSRC2:TGID_X_EN: 1
; COMPUTE_PGM_RSRC2:TGID_Y_EN: 0
; COMPUTE_PGM_RSRC2:TGID_Z_EN: 0
; COMPUTE_PGM_RSRC2:TIDIG_COMP_CNT: 0
; COMPUTE_PGM_RSRC3_GFX90A:ACCUM_OFFSET: 2
; COMPUTE_PGM_RSRC3_GFX90A:TG_SPLIT: 0
	.section	.text._ZN7rocprim17ROCPRIM_400000_NS6detail17trampoline_kernelINS0_14default_configENS1_22reduce_config_selectorIfEEZNS1_11reduce_implILb1ES3_N6thrust23THRUST_200600_302600_NS6detail15normal_iteratorINS8_10device_ptrIfEEEEPiiNS8_4plusIiEEEE10hipError_tPvRmT1_T2_T3_mT4_P12ihipStream_tbEUlT_E0_NS1_11comp_targetILNS1_3genE5ELNS1_11target_archE942ELNS1_3gpuE9ELNS1_3repE0EEENS1_30default_config_static_selectorELNS0_4arch9wavefront6targetE1EEEvSK_,"axG",@progbits,_ZN7rocprim17ROCPRIM_400000_NS6detail17trampoline_kernelINS0_14default_configENS1_22reduce_config_selectorIfEEZNS1_11reduce_implILb1ES3_N6thrust23THRUST_200600_302600_NS6detail15normal_iteratorINS8_10device_ptrIfEEEEPiiNS8_4plusIiEEEE10hipError_tPvRmT1_T2_T3_mT4_P12ihipStream_tbEUlT_E0_NS1_11comp_targetILNS1_3genE5ELNS1_11target_archE942ELNS1_3gpuE9ELNS1_3repE0EEENS1_30default_config_static_selectorELNS0_4arch9wavefront6targetE1EEEvSK_,comdat
	.protected	_ZN7rocprim17ROCPRIM_400000_NS6detail17trampoline_kernelINS0_14default_configENS1_22reduce_config_selectorIfEEZNS1_11reduce_implILb1ES3_N6thrust23THRUST_200600_302600_NS6detail15normal_iteratorINS8_10device_ptrIfEEEEPiiNS8_4plusIiEEEE10hipError_tPvRmT1_T2_T3_mT4_P12ihipStream_tbEUlT_E0_NS1_11comp_targetILNS1_3genE5ELNS1_11target_archE942ELNS1_3gpuE9ELNS1_3repE0EEENS1_30default_config_static_selectorELNS0_4arch9wavefront6targetE1EEEvSK_ ; -- Begin function _ZN7rocprim17ROCPRIM_400000_NS6detail17trampoline_kernelINS0_14default_configENS1_22reduce_config_selectorIfEEZNS1_11reduce_implILb1ES3_N6thrust23THRUST_200600_302600_NS6detail15normal_iteratorINS8_10device_ptrIfEEEEPiiNS8_4plusIiEEEE10hipError_tPvRmT1_T2_T3_mT4_P12ihipStream_tbEUlT_E0_NS1_11comp_targetILNS1_3genE5ELNS1_11target_archE942ELNS1_3gpuE9ELNS1_3repE0EEENS1_30default_config_static_selectorELNS0_4arch9wavefront6targetE1EEEvSK_
	.globl	_ZN7rocprim17ROCPRIM_400000_NS6detail17trampoline_kernelINS0_14default_configENS1_22reduce_config_selectorIfEEZNS1_11reduce_implILb1ES3_N6thrust23THRUST_200600_302600_NS6detail15normal_iteratorINS8_10device_ptrIfEEEEPiiNS8_4plusIiEEEE10hipError_tPvRmT1_T2_T3_mT4_P12ihipStream_tbEUlT_E0_NS1_11comp_targetILNS1_3genE5ELNS1_11target_archE942ELNS1_3gpuE9ELNS1_3repE0EEENS1_30default_config_static_selectorELNS0_4arch9wavefront6targetE1EEEvSK_
	.p2align	8
	.type	_ZN7rocprim17ROCPRIM_400000_NS6detail17trampoline_kernelINS0_14default_configENS1_22reduce_config_selectorIfEEZNS1_11reduce_implILb1ES3_N6thrust23THRUST_200600_302600_NS6detail15normal_iteratorINS8_10device_ptrIfEEEEPiiNS8_4plusIiEEEE10hipError_tPvRmT1_T2_T3_mT4_P12ihipStream_tbEUlT_E0_NS1_11comp_targetILNS1_3genE5ELNS1_11target_archE942ELNS1_3gpuE9ELNS1_3repE0EEENS1_30default_config_static_selectorELNS0_4arch9wavefront6targetE1EEEvSK_,@function
_ZN7rocprim17ROCPRIM_400000_NS6detail17trampoline_kernelINS0_14default_configENS1_22reduce_config_selectorIfEEZNS1_11reduce_implILb1ES3_N6thrust23THRUST_200600_302600_NS6detail15normal_iteratorINS8_10device_ptrIfEEEEPiiNS8_4plusIiEEEE10hipError_tPvRmT1_T2_T3_mT4_P12ihipStream_tbEUlT_E0_NS1_11comp_targetILNS1_3genE5ELNS1_11target_archE942ELNS1_3gpuE9ELNS1_3repE0EEENS1_30default_config_static_selectorELNS0_4arch9wavefront6targetE1EEEvSK_: ; @_ZN7rocprim17ROCPRIM_400000_NS6detail17trampoline_kernelINS0_14default_configENS1_22reduce_config_selectorIfEEZNS1_11reduce_implILb1ES3_N6thrust23THRUST_200600_302600_NS6detail15normal_iteratorINS8_10device_ptrIfEEEEPiiNS8_4plusIiEEEE10hipError_tPvRmT1_T2_T3_mT4_P12ihipStream_tbEUlT_E0_NS1_11comp_targetILNS1_3genE5ELNS1_11target_archE942ELNS1_3gpuE9ELNS1_3repE0EEENS1_30default_config_static_selectorELNS0_4arch9wavefront6targetE1EEEvSK_
; %bb.0:
	.section	.rodata,"a",@progbits
	.p2align	6, 0x0
	.amdhsa_kernel _ZN7rocprim17ROCPRIM_400000_NS6detail17trampoline_kernelINS0_14default_configENS1_22reduce_config_selectorIfEEZNS1_11reduce_implILb1ES3_N6thrust23THRUST_200600_302600_NS6detail15normal_iteratorINS8_10device_ptrIfEEEEPiiNS8_4plusIiEEEE10hipError_tPvRmT1_T2_T3_mT4_P12ihipStream_tbEUlT_E0_NS1_11comp_targetILNS1_3genE5ELNS1_11target_archE942ELNS1_3gpuE9ELNS1_3repE0EEENS1_30default_config_static_selectorELNS0_4arch9wavefront6targetE1EEEvSK_
		.amdhsa_group_segment_fixed_size 0
		.amdhsa_private_segment_fixed_size 0
		.amdhsa_kernarg_size 56
		.amdhsa_user_sgpr_count 2
		.amdhsa_user_sgpr_dispatch_ptr 0
		.amdhsa_user_sgpr_queue_ptr 0
		.amdhsa_user_sgpr_kernarg_segment_ptr 1
		.amdhsa_user_sgpr_dispatch_id 0
		.amdhsa_user_sgpr_kernarg_preload_length 0
		.amdhsa_user_sgpr_kernarg_preload_offset 0
		.amdhsa_user_sgpr_private_segment_size 0
		.amdhsa_uses_dynamic_stack 0
		.amdhsa_enable_private_segment 0
		.amdhsa_system_sgpr_workgroup_id_x 1
		.amdhsa_system_sgpr_workgroup_id_y 0
		.amdhsa_system_sgpr_workgroup_id_z 0
		.amdhsa_system_sgpr_workgroup_info 0
		.amdhsa_system_vgpr_workitem_id 0
		.amdhsa_next_free_vgpr 1
		.amdhsa_next_free_sgpr 0
		.amdhsa_accum_offset 4
		.amdhsa_reserve_vcc 0
		.amdhsa_float_round_mode_32 0
		.amdhsa_float_round_mode_16_64 0
		.amdhsa_float_denorm_mode_32 3
		.amdhsa_float_denorm_mode_16_64 3
		.amdhsa_dx10_clamp 1
		.amdhsa_ieee_mode 1
		.amdhsa_fp16_overflow 0
		.amdhsa_tg_split 0
		.amdhsa_exception_fp_ieee_invalid_op 0
		.amdhsa_exception_fp_denorm_src 0
		.amdhsa_exception_fp_ieee_div_zero 0
		.amdhsa_exception_fp_ieee_overflow 0
		.amdhsa_exception_fp_ieee_underflow 0
		.amdhsa_exception_fp_ieee_inexact 0
		.amdhsa_exception_int_div_zero 0
	.end_amdhsa_kernel
	.section	.text._ZN7rocprim17ROCPRIM_400000_NS6detail17trampoline_kernelINS0_14default_configENS1_22reduce_config_selectorIfEEZNS1_11reduce_implILb1ES3_N6thrust23THRUST_200600_302600_NS6detail15normal_iteratorINS8_10device_ptrIfEEEEPiiNS8_4plusIiEEEE10hipError_tPvRmT1_T2_T3_mT4_P12ihipStream_tbEUlT_E0_NS1_11comp_targetILNS1_3genE5ELNS1_11target_archE942ELNS1_3gpuE9ELNS1_3repE0EEENS1_30default_config_static_selectorELNS0_4arch9wavefront6targetE1EEEvSK_,"axG",@progbits,_ZN7rocprim17ROCPRIM_400000_NS6detail17trampoline_kernelINS0_14default_configENS1_22reduce_config_selectorIfEEZNS1_11reduce_implILb1ES3_N6thrust23THRUST_200600_302600_NS6detail15normal_iteratorINS8_10device_ptrIfEEEEPiiNS8_4plusIiEEEE10hipError_tPvRmT1_T2_T3_mT4_P12ihipStream_tbEUlT_E0_NS1_11comp_targetILNS1_3genE5ELNS1_11target_archE942ELNS1_3gpuE9ELNS1_3repE0EEENS1_30default_config_static_selectorELNS0_4arch9wavefront6targetE1EEEvSK_,comdat
.Lfunc_end334:
	.size	_ZN7rocprim17ROCPRIM_400000_NS6detail17trampoline_kernelINS0_14default_configENS1_22reduce_config_selectorIfEEZNS1_11reduce_implILb1ES3_N6thrust23THRUST_200600_302600_NS6detail15normal_iteratorINS8_10device_ptrIfEEEEPiiNS8_4plusIiEEEE10hipError_tPvRmT1_T2_T3_mT4_P12ihipStream_tbEUlT_E0_NS1_11comp_targetILNS1_3genE5ELNS1_11target_archE942ELNS1_3gpuE9ELNS1_3repE0EEENS1_30default_config_static_selectorELNS0_4arch9wavefront6targetE1EEEvSK_, .Lfunc_end334-_ZN7rocprim17ROCPRIM_400000_NS6detail17trampoline_kernelINS0_14default_configENS1_22reduce_config_selectorIfEEZNS1_11reduce_implILb1ES3_N6thrust23THRUST_200600_302600_NS6detail15normal_iteratorINS8_10device_ptrIfEEEEPiiNS8_4plusIiEEEE10hipError_tPvRmT1_T2_T3_mT4_P12ihipStream_tbEUlT_E0_NS1_11comp_targetILNS1_3genE5ELNS1_11target_archE942ELNS1_3gpuE9ELNS1_3repE0EEENS1_30default_config_static_selectorELNS0_4arch9wavefront6targetE1EEEvSK_
                                        ; -- End function
	.set _ZN7rocprim17ROCPRIM_400000_NS6detail17trampoline_kernelINS0_14default_configENS1_22reduce_config_selectorIfEEZNS1_11reduce_implILb1ES3_N6thrust23THRUST_200600_302600_NS6detail15normal_iteratorINS8_10device_ptrIfEEEEPiiNS8_4plusIiEEEE10hipError_tPvRmT1_T2_T3_mT4_P12ihipStream_tbEUlT_E0_NS1_11comp_targetILNS1_3genE5ELNS1_11target_archE942ELNS1_3gpuE9ELNS1_3repE0EEENS1_30default_config_static_selectorELNS0_4arch9wavefront6targetE1EEEvSK_.num_vgpr, 0
	.set _ZN7rocprim17ROCPRIM_400000_NS6detail17trampoline_kernelINS0_14default_configENS1_22reduce_config_selectorIfEEZNS1_11reduce_implILb1ES3_N6thrust23THRUST_200600_302600_NS6detail15normal_iteratorINS8_10device_ptrIfEEEEPiiNS8_4plusIiEEEE10hipError_tPvRmT1_T2_T3_mT4_P12ihipStream_tbEUlT_E0_NS1_11comp_targetILNS1_3genE5ELNS1_11target_archE942ELNS1_3gpuE9ELNS1_3repE0EEENS1_30default_config_static_selectorELNS0_4arch9wavefront6targetE1EEEvSK_.num_agpr, 0
	.set _ZN7rocprim17ROCPRIM_400000_NS6detail17trampoline_kernelINS0_14default_configENS1_22reduce_config_selectorIfEEZNS1_11reduce_implILb1ES3_N6thrust23THRUST_200600_302600_NS6detail15normal_iteratorINS8_10device_ptrIfEEEEPiiNS8_4plusIiEEEE10hipError_tPvRmT1_T2_T3_mT4_P12ihipStream_tbEUlT_E0_NS1_11comp_targetILNS1_3genE5ELNS1_11target_archE942ELNS1_3gpuE9ELNS1_3repE0EEENS1_30default_config_static_selectorELNS0_4arch9wavefront6targetE1EEEvSK_.numbered_sgpr, 0
	.set _ZN7rocprim17ROCPRIM_400000_NS6detail17trampoline_kernelINS0_14default_configENS1_22reduce_config_selectorIfEEZNS1_11reduce_implILb1ES3_N6thrust23THRUST_200600_302600_NS6detail15normal_iteratorINS8_10device_ptrIfEEEEPiiNS8_4plusIiEEEE10hipError_tPvRmT1_T2_T3_mT4_P12ihipStream_tbEUlT_E0_NS1_11comp_targetILNS1_3genE5ELNS1_11target_archE942ELNS1_3gpuE9ELNS1_3repE0EEENS1_30default_config_static_selectorELNS0_4arch9wavefront6targetE1EEEvSK_.num_named_barrier, 0
	.set _ZN7rocprim17ROCPRIM_400000_NS6detail17trampoline_kernelINS0_14default_configENS1_22reduce_config_selectorIfEEZNS1_11reduce_implILb1ES3_N6thrust23THRUST_200600_302600_NS6detail15normal_iteratorINS8_10device_ptrIfEEEEPiiNS8_4plusIiEEEE10hipError_tPvRmT1_T2_T3_mT4_P12ihipStream_tbEUlT_E0_NS1_11comp_targetILNS1_3genE5ELNS1_11target_archE942ELNS1_3gpuE9ELNS1_3repE0EEENS1_30default_config_static_selectorELNS0_4arch9wavefront6targetE1EEEvSK_.private_seg_size, 0
	.set _ZN7rocprim17ROCPRIM_400000_NS6detail17trampoline_kernelINS0_14default_configENS1_22reduce_config_selectorIfEEZNS1_11reduce_implILb1ES3_N6thrust23THRUST_200600_302600_NS6detail15normal_iteratorINS8_10device_ptrIfEEEEPiiNS8_4plusIiEEEE10hipError_tPvRmT1_T2_T3_mT4_P12ihipStream_tbEUlT_E0_NS1_11comp_targetILNS1_3genE5ELNS1_11target_archE942ELNS1_3gpuE9ELNS1_3repE0EEENS1_30default_config_static_selectorELNS0_4arch9wavefront6targetE1EEEvSK_.uses_vcc, 0
	.set _ZN7rocprim17ROCPRIM_400000_NS6detail17trampoline_kernelINS0_14default_configENS1_22reduce_config_selectorIfEEZNS1_11reduce_implILb1ES3_N6thrust23THRUST_200600_302600_NS6detail15normal_iteratorINS8_10device_ptrIfEEEEPiiNS8_4plusIiEEEE10hipError_tPvRmT1_T2_T3_mT4_P12ihipStream_tbEUlT_E0_NS1_11comp_targetILNS1_3genE5ELNS1_11target_archE942ELNS1_3gpuE9ELNS1_3repE0EEENS1_30default_config_static_selectorELNS0_4arch9wavefront6targetE1EEEvSK_.uses_flat_scratch, 0
	.set _ZN7rocprim17ROCPRIM_400000_NS6detail17trampoline_kernelINS0_14default_configENS1_22reduce_config_selectorIfEEZNS1_11reduce_implILb1ES3_N6thrust23THRUST_200600_302600_NS6detail15normal_iteratorINS8_10device_ptrIfEEEEPiiNS8_4plusIiEEEE10hipError_tPvRmT1_T2_T3_mT4_P12ihipStream_tbEUlT_E0_NS1_11comp_targetILNS1_3genE5ELNS1_11target_archE942ELNS1_3gpuE9ELNS1_3repE0EEENS1_30default_config_static_selectorELNS0_4arch9wavefront6targetE1EEEvSK_.has_dyn_sized_stack, 0
	.set _ZN7rocprim17ROCPRIM_400000_NS6detail17trampoline_kernelINS0_14default_configENS1_22reduce_config_selectorIfEEZNS1_11reduce_implILb1ES3_N6thrust23THRUST_200600_302600_NS6detail15normal_iteratorINS8_10device_ptrIfEEEEPiiNS8_4plusIiEEEE10hipError_tPvRmT1_T2_T3_mT4_P12ihipStream_tbEUlT_E0_NS1_11comp_targetILNS1_3genE5ELNS1_11target_archE942ELNS1_3gpuE9ELNS1_3repE0EEENS1_30default_config_static_selectorELNS0_4arch9wavefront6targetE1EEEvSK_.has_recursion, 0
	.set _ZN7rocprim17ROCPRIM_400000_NS6detail17trampoline_kernelINS0_14default_configENS1_22reduce_config_selectorIfEEZNS1_11reduce_implILb1ES3_N6thrust23THRUST_200600_302600_NS6detail15normal_iteratorINS8_10device_ptrIfEEEEPiiNS8_4plusIiEEEE10hipError_tPvRmT1_T2_T3_mT4_P12ihipStream_tbEUlT_E0_NS1_11comp_targetILNS1_3genE5ELNS1_11target_archE942ELNS1_3gpuE9ELNS1_3repE0EEENS1_30default_config_static_selectorELNS0_4arch9wavefront6targetE1EEEvSK_.has_indirect_call, 0
	.section	.AMDGPU.csdata,"",@progbits
; Kernel info:
; codeLenInByte = 0
; TotalNumSgprs: 6
; NumVgprs: 0
; NumAgprs: 0
; TotalNumVgprs: 0
; ScratchSize: 0
; MemoryBound: 0
; FloatMode: 240
; IeeeMode: 1
; LDSByteSize: 0 bytes/workgroup (compile time only)
; SGPRBlocks: 0
; VGPRBlocks: 0
; NumSGPRsForWavesPerEU: 6
; NumVGPRsForWavesPerEU: 1
; AccumOffset: 4
; Occupancy: 8
; WaveLimiterHint : 0
; COMPUTE_PGM_RSRC2:SCRATCH_EN: 0
; COMPUTE_PGM_RSRC2:USER_SGPR: 2
; COMPUTE_PGM_RSRC2:TRAP_HANDLER: 0
; COMPUTE_PGM_RSRC2:TGID_X_EN: 1
; COMPUTE_PGM_RSRC2:TGID_Y_EN: 0
; COMPUTE_PGM_RSRC2:TGID_Z_EN: 0
; COMPUTE_PGM_RSRC2:TIDIG_COMP_CNT: 0
; COMPUTE_PGM_RSRC3_GFX90A:ACCUM_OFFSET: 0
; COMPUTE_PGM_RSRC3_GFX90A:TG_SPLIT: 0
	.section	.text._ZN7rocprim17ROCPRIM_400000_NS6detail17trampoline_kernelINS0_14default_configENS1_22reduce_config_selectorIfEEZNS1_11reduce_implILb1ES3_N6thrust23THRUST_200600_302600_NS6detail15normal_iteratorINS8_10device_ptrIfEEEEPiiNS8_4plusIiEEEE10hipError_tPvRmT1_T2_T3_mT4_P12ihipStream_tbEUlT_E0_NS1_11comp_targetILNS1_3genE4ELNS1_11target_archE910ELNS1_3gpuE8ELNS1_3repE0EEENS1_30default_config_static_selectorELNS0_4arch9wavefront6targetE1EEEvSK_,"axG",@progbits,_ZN7rocprim17ROCPRIM_400000_NS6detail17trampoline_kernelINS0_14default_configENS1_22reduce_config_selectorIfEEZNS1_11reduce_implILb1ES3_N6thrust23THRUST_200600_302600_NS6detail15normal_iteratorINS8_10device_ptrIfEEEEPiiNS8_4plusIiEEEE10hipError_tPvRmT1_T2_T3_mT4_P12ihipStream_tbEUlT_E0_NS1_11comp_targetILNS1_3genE4ELNS1_11target_archE910ELNS1_3gpuE8ELNS1_3repE0EEENS1_30default_config_static_selectorELNS0_4arch9wavefront6targetE1EEEvSK_,comdat
	.protected	_ZN7rocprim17ROCPRIM_400000_NS6detail17trampoline_kernelINS0_14default_configENS1_22reduce_config_selectorIfEEZNS1_11reduce_implILb1ES3_N6thrust23THRUST_200600_302600_NS6detail15normal_iteratorINS8_10device_ptrIfEEEEPiiNS8_4plusIiEEEE10hipError_tPvRmT1_T2_T3_mT4_P12ihipStream_tbEUlT_E0_NS1_11comp_targetILNS1_3genE4ELNS1_11target_archE910ELNS1_3gpuE8ELNS1_3repE0EEENS1_30default_config_static_selectorELNS0_4arch9wavefront6targetE1EEEvSK_ ; -- Begin function _ZN7rocprim17ROCPRIM_400000_NS6detail17trampoline_kernelINS0_14default_configENS1_22reduce_config_selectorIfEEZNS1_11reduce_implILb1ES3_N6thrust23THRUST_200600_302600_NS6detail15normal_iteratorINS8_10device_ptrIfEEEEPiiNS8_4plusIiEEEE10hipError_tPvRmT1_T2_T3_mT4_P12ihipStream_tbEUlT_E0_NS1_11comp_targetILNS1_3genE4ELNS1_11target_archE910ELNS1_3gpuE8ELNS1_3repE0EEENS1_30default_config_static_selectorELNS0_4arch9wavefront6targetE1EEEvSK_
	.globl	_ZN7rocprim17ROCPRIM_400000_NS6detail17trampoline_kernelINS0_14default_configENS1_22reduce_config_selectorIfEEZNS1_11reduce_implILb1ES3_N6thrust23THRUST_200600_302600_NS6detail15normal_iteratorINS8_10device_ptrIfEEEEPiiNS8_4plusIiEEEE10hipError_tPvRmT1_T2_T3_mT4_P12ihipStream_tbEUlT_E0_NS1_11comp_targetILNS1_3genE4ELNS1_11target_archE910ELNS1_3gpuE8ELNS1_3repE0EEENS1_30default_config_static_selectorELNS0_4arch9wavefront6targetE1EEEvSK_
	.p2align	8
	.type	_ZN7rocprim17ROCPRIM_400000_NS6detail17trampoline_kernelINS0_14default_configENS1_22reduce_config_selectorIfEEZNS1_11reduce_implILb1ES3_N6thrust23THRUST_200600_302600_NS6detail15normal_iteratorINS8_10device_ptrIfEEEEPiiNS8_4plusIiEEEE10hipError_tPvRmT1_T2_T3_mT4_P12ihipStream_tbEUlT_E0_NS1_11comp_targetILNS1_3genE4ELNS1_11target_archE910ELNS1_3gpuE8ELNS1_3repE0EEENS1_30default_config_static_selectorELNS0_4arch9wavefront6targetE1EEEvSK_,@function
_ZN7rocprim17ROCPRIM_400000_NS6detail17trampoline_kernelINS0_14default_configENS1_22reduce_config_selectorIfEEZNS1_11reduce_implILb1ES3_N6thrust23THRUST_200600_302600_NS6detail15normal_iteratorINS8_10device_ptrIfEEEEPiiNS8_4plusIiEEEE10hipError_tPvRmT1_T2_T3_mT4_P12ihipStream_tbEUlT_E0_NS1_11comp_targetILNS1_3genE4ELNS1_11target_archE910ELNS1_3gpuE8ELNS1_3repE0EEENS1_30default_config_static_selectorELNS0_4arch9wavefront6targetE1EEEvSK_: ; @_ZN7rocprim17ROCPRIM_400000_NS6detail17trampoline_kernelINS0_14default_configENS1_22reduce_config_selectorIfEEZNS1_11reduce_implILb1ES3_N6thrust23THRUST_200600_302600_NS6detail15normal_iteratorINS8_10device_ptrIfEEEEPiiNS8_4plusIiEEEE10hipError_tPvRmT1_T2_T3_mT4_P12ihipStream_tbEUlT_E0_NS1_11comp_targetILNS1_3genE4ELNS1_11target_archE910ELNS1_3gpuE8ELNS1_3repE0EEENS1_30default_config_static_selectorELNS0_4arch9wavefront6targetE1EEEvSK_
; %bb.0:
	.section	.rodata,"a",@progbits
	.p2align	6, 0x0
	.amdhsa_kernel _ZN7rocprim17ROCPRIM_400000_NS6detail17trampoline_kernelINS0_14default_configENS1_22reduce_config_selectorIfEEZNS1_11reduce_implILb1ES3_N6thrust23THRUST_200600_302600_NS6detail15normal_iteratorINS8_10device_ptrIfEEEEPiiNS8_4plusIiEEEE10hipError_tPvRmT1_T2_T3_mT4_P12ihipStream_tbEUlT_E0_NS1_11comp_targetILNS1_3genE4ELNS1_11target_archE910ELNS1_3gpuE8ELNS1_3repE0EEENS1_30default_config_static_selectorELNS0_4arch9wavefront6targetE1EEEvSK_
		.amdhsa_group_segment_fixed_size 0
		.amdhsa_private_segment_fixed_size 0
		.amdhsa_kernarg_size 56
		.amdhsa_user_sgpr_count 2
		.amdhsa_user_sgpr_dispatch_ptr 0
		.amdhsa_user_sgpr_queue_ptr 0
		.amdhsa_user_sgpr_kernarg_segment_ptr 1
		.amdhsa_user_sgpr_dispatch_id 0
		.amdhsa_user_sgpr_kernarg_preload_length 0
		.amdhsa_user_sgpr_kernarg_preload_offset 0
		.amdhsa_user_sgpr_private_segment_size 0
		.amdhsa_uses_dynamic_stack 0
		.amdhsa_enable_private_segment 0
		.amdhsa_system_sgpr_workgroup_id_x 1
		.amdhsa_system_sgpr_workgroup_id_y 0
		.amdhsa_system_sgpr_workgroup_id_z 0
		.amdhsa_system_sgpr_workgroup_info 0
		.amdhsa_system_vgpr_workitem_id 0
		.amdhsa_next_free_vgpr 1
		.amdhsa_next_free_sgpr 0
		.amdhsa_accum_offset 4
		.amdhsa_reserve_vcc 0
		.amdhsa_float_round_mode_32 0
		.amdhsa_float_round_mode_16_64 0
		.amdhsa_float_denorm_mode_32 3
		.amdhsa_float_denorm_mode_16_64 3
		.amdhsa_dx10_clamp 1
		.amdhsa_ieee_mode 1
		.amdhsa_fp16_overflow 0
		.amdhsa_tg_split 0
		.amdhsa_exception_fp_ieee_invalid_op 0
		.amdhsa_exception_fp_denorm_src 0
		.amdhsa_exception_fp_ieee_div_zero 0
		.amdhsa_exception_fp_ieee_overflow 0
		.amdhsa_exception_fp_ieee_underflow 0
		.amdhsa_exception_fp_ieee_inexact 0
		.amdhsa_exception_int_div_zero 0
	.end_amdhsa_kernel
	.section	.text._ZN7rocprim17ROCPRIM_400000_NS6detail17trampoline_kernelINS0_14default_configENS1_22reduce_config_selectorIfEEZNS1_11reduce_implILb1ES3_N6thrust23THRUST_200600_302600_NS6detail15normal_iteratorINS8_10device_ptrIfEEEEPiiNS8_4plusIiEEEE10hipError_tPvRmT1_T2_T3_mT4_P12ihipStream_tbEUlT_E0_NS1_11comp_targetILNS1_3genE4ELNS1_11target_archE910ELNS1_3gpuE8ELNS1_3repE0EEENS1_30default_config_static_selectorELNS0_4arch9wavefront6targetE1EEEvSK_,"axG",@progbits,_ZN7rocprim17ROCPRIM_400000_NS6detail17trampoline_kernelINS0_14default_configENS1_22reduce_config_selectorIfEEZNS1_11reduce_implILb1ES3_N6thrust23THRUST_200600_302600_NS6detail15normal_iteratorINS8_10device_ptrIfEEEEPiiNS8_4plusIiEEEE10hipError_tPvRmT1_T2_T3_mT4_P12ihipStream_tbEUlT_E0_NS1_11comp_targetILNS1_3genE4ELNS1_11target_archE910ELNS1_3gpuE8ELNS1_3repE0EEENS1_30default_config_static_selectorELNS0_4arch9wavefront6targetE1EEEvSK_,comdat
.Lfunc_end335:
	.size	_ZN7rocprim17ROCPRIM_400000_NS6detail17trampoline_kernelINS0_14default_configENS1_22reduce_config_selectorIfEEZNS1_11reduce_implILb1ES3_N6thrust23THRUST_200600_302600_NS6detail15normal_iteratorINS8_10device_ptrIfEEEEPiiNS8_4plusIiEEEE10hipError_tPvRmT1_T2_T3_mT4_P12ihipStream_tbEUlT_E0_NS1_11comp_targetILNS1_3genE4ELNS1_11target_archE910ELNS1_3gpuE8ELNS1_3repE0EEENS1_30default_config_static_selectorELNS0_4arch9wavefront6targetE1EEEvSK_, .Lfunc_end335-_ZN7rocprim17ROCPRIM_400000_NS6detail17trampoline_kernelINS0_14default_configENS1_22reduce_config_selectorIfEEZNS1_11reduce_implILb1ES3_N6thrust23THRUST_200600_302600_NS6detail15normal_iteratorINS8_10device_ptrIfEEEEPiiNS8_4plusIiEEEE10hipError_tPvRmT1_T2_T3_mT4_P12ihipStream_tbEUlT_E0_NS1_11comp_targetILNS1_3genE4ELNS1_11target_archE910ELNS1_3gpuE8ELNS1_3repE0EEENS1_30default_config_static_selectorELNS0_4arch9wavefront6targetE1EEEvSK_
                                        ; -- End function
	.set _ZN7rocprim17ROCPRIM_400000_NS6detail17trampoline_kernelINS0_14default_configENS1_22reduce_config_selectorIfEEZNS1_11reduce_implILb1ES3_N6thrust23THRUST_200600_302600_NS6detail15normal_iteratorINS8_10device_ptrIfEEEEPiiNS8_4plusIiEEEE10hipError_tPvRmT1_T2_T3_mT4_P12ihipStream_tbEUlT_E0_NS1_11comp_targetILNS1_3genE4ELNS1_11target_archE910ELNS1_3gpuE8ELNS1_3repE0EEENS1_30default_config_static_selectorELNS0_4arch9wavefront6targetE1EEEvSK_.num_vgpr, 0
	.set _ZN7rocprim17ROCPRIM_400000_NS6detail17trampoline_kernelINS0_14default_configENS1_22reduce_config_selectorIfEEZNS1_11reduce_implILb1ES3_N6thrust23THRUST_200600_302600_NS6detail15normal_iteratorINS8_10device_ptrIfEEEEPiiNS8_4plusIiEEEE10hipError_tPvRmT1_T2_T3_mT4_P12ihipStream_tbEUlT_E0_NS1_11comp_targetILNS1_3genE4ELNS1_11target_archE910ELNS1_3gpuE8ELNS1_3repE0EEENS1_30default_config_static_selectorELNS0_4arch9wavefront6targetE1EEEvSK_.num_agpr, 0
	.set _ZN7rocprim17ROCPRIM_400000_NS6detail17trampoline_kernelINS0_14default_configENS1_22reduce_config_selectorIfEEZNS1_11reduce_implILb1ES3_N6thrust23THRUST_200600_302600_NS6detail15normal_iteratorINS8_10device_ptrIfEEEEPiiNS8_4plusIiEEEE10hipError_tPvRmT1_T2_T3_mT4_P12ihipStream_tbEUlT_E0_NS1_11comp_targetILNS1_3genE4ELNS1_11target_archE910ELNS1_3gpuE8ELNS1_3repE0EEENS1_30default_config_static_selectorELNS0_4arch9wavefront6targetE1EEEvSK_.numbered_sgpr, 0
	.set _ZN7rocprim17ROCPRIM_400000_NS6detail17trampoline_kernelINS0_14default_configENS1_22reduce_config_selectorIfEEZNS1_11reduce_implILb1ES3_N6thrust23THRUST_200600_302600_NS6detail15normal_iteratorINS8_10device_ptrIfEEEEPiiNS8_4plusIiEEEE10hipError_tPvRmT1_T2_T3_mT4_P12ihipStream_tbEUlT_E0_NS1_11comp_targetILNS1_3genE4ELNS1_11target_archE910ELNS1_3gpuE8ELNS1_3repE0EEENS1_30default_config_static_selectorELNS0_4arch9wavefront6targetE1EEEvSK_.num_named_barrier, 0
	.set _ZN7rocprim17ROCPRIM_400000_NS6detail17trampoline_kernelINS0_14default_configENS1_22reduce_config_selectorIfEEZNS1_11reduce_implILb1ES3_N6thrust23THRUST_200600_302600_NS6detail15normal_iteratorINS8_10device_ptrIfEEEEPiiNS8_4plusIiEEEE10hipError_tPvRmT1_T2_T3_mT4_P12ihipStream_tbEUlT_E0_NS1_11comp_targetILNS1_3genE4ELNS1_11target_archE910ELNS1_3gpuE8ELNS1_3repE0EEENS1_30default_config_static_selectorELNS0_4arch9wavefront6targetE1EEEvSK_.private_seg_size, 0
	.set _ZN7rocprim17ROCPRIM_400000_NS6detail17trampoline_kernelINS0_14default_configENS1_22reduce_config_selectorIfEEZNS1_11reduce_implILb1ES3_N6thrust23THRUST_200600_302600_NS6detail15normal_iteratorINS8_10device_ptrIfEEEEPiiNS8_4plusIiEEEE10hipError_tPvRmT1_T2_T3_mT4_P12ihipStream_tbEUlT_E0_NS1_11comp_targetILNS1_3genE4ELNS1_11target_archE910ELNS1_3gpuE8ELNS1_3repE0EEENS1_30default_config_static_selectorELNS0_4arch9wavefront6targetE1EEEvSK_.uses_vcc, 0
	.set _ZN7rocprim17ROCPRIM_400000_NS6detail17trampoline_kernelINS0_14default_configENS1_22reduce_config_selectorIfEEZNS1_11reduce_implILb1ES3_N6thrust23THRUST_200600_302600_NS6detail15normal_iteratorINS8_10device_ptrIfEEEEPiiNS8_4plusIiEEEE10hipError_tPvRmT1_T2_T3_mT4_P12ihipStream_tbEUlT_E0_NS1_11comp_targetILNS1_3genE4ELNS1_11target_archE910ELNS1_3gpuE8ELNS1_3repE0EEENS1_30default_config_static_selectorELNS0_4arch9wavefront6targetE1EEEvSK_.uses_flat_scratch, 0
	.set _ZN7rocprim17ROCPRIM_400000_NS6detail17trampoline_kernelINS0_14default_configENS1_22reduce_config_selectorIfEEZNS1_11reduce_implILb1ES3_N6thrust23THRUST_200600_302600_NS6detail15normal_iteratorINS8_10device_ptrIfEEEEPiiNS8_4plusIiEEEE10hipError_tPvRmT1_T2_T3_mT4_P12ihipStream_tbEUlT_E0_NS1_11comp_targetILNS1_3genE4ELNS1_11target_archE910ELNS1_3gpuE8ELNS1_3repE0EEENS1_30default_config_static_selectorELNS0_4arch9wavefront6targetE1EEEvSK_.has_dyn_sized_stack, 0
	.set _ZN7rocprim17ROCPRIM_400000_NS6detail17trampoline_kernelINS0_14default_configENS1_22reduce_config_selectorIfEEZNS1_11reduce_implILb1ES3_N6thrust23THRUST_200600_302600_NS6detail15normal_iteratorINS8_10device_ptrIfEEEEPiiNS8_4plusIiEEEE10hipError_tPvRmT1_T2_T3_mT4_P12ihipStream_tbEUlT_E0_NS1_11comp_targetILNS1_3genE4ELNS1_11target_archE910ELNS1_3gpuE8ELNS1_3repE0EEENS1_30default_config_static_selectorELNS0_4arch9wavefront6targetE1EEEvSK_.has_recursion, 0
	.set _ZN7rocprim17ROCPRIM_400000_NS6detail17trampoline_kernelINS0_14default_configENS1_22reduce_config_selectorIfEEZNS1_11reduce_implILb1ES3_N6thrust23THRUST_200600_302600_NS6detail15normal_iteratorINS8_10device_ptrIfEEEEPiiNS8_4plusIiEEEE10hipError_tPvRmT1_T2_T3_mT4_P12ihipStream_tbEUlT_E0_NS1_11comp_targetILNS1_3genE4ELNS1_11target_archE910ELNS1_3gpuE8ELNS1_3repE0EEENS1_30default_config_static_selectorELNS0_4arch9wavefront6targetE1EEEvSK_.has_indirect_call, 0
	.section	.AMDGPU.csdata,"",@progbits
; Kernel info:
; codeLenInByte = 0
; TotalNumSgprs: 6
; NumVgprs: 0
; NumAgprs: 0
; TotalNumVgprs: 0
; ScratchSize: 0
; MemoryBound: 0
; FloatMode: 240
; IeeeMode: 1
; LDSByteSize: 0 bytes/workgroup (compile time only)
; SGPRBlocks: 0
; VGPRBlocks: 0
; NumSGPRsForWavesPerEU: 6
; NumVGPRsForWavesPerEU: 1
; AccumOffset: 4
; Occupancy: 8
; WaveLimiterHint : 0
; COMPUTE_PGM_RSRC2:SCRATCH_EN: 0
; COMPUTE_PGM_RSRC2:USER_SGPR: 2
; COMPUTE_PGM_RSRC2:TRAP_HANDLER: 0
; COMPUTE_PGM_RSRC2:TGID_X_EN: 1
; COMPUTE_PGM_RSRC2:TGID_Y_EN: 0
; COMPUTE_PGM_RSRC2:TGID_Z_EN: 0
; COMPUTE_PGM_RSRC2:TIDIG_COMP_CNT: 0
; COMPUTE_PGM_RSRC3_GFX90A:ACCUM_OFFSET: 0
; COMPUTE_PGM_RSRC3_GFX90A:TG_SPLIT: 0
	.section	.text._ZN7rocprim17ROCPRIM_400000_NS6detail17trampoline_kernelINS0_14default_configENS1_22reduce_config_selectorIfEEZNS1_11reduce_implILb1ES3_N6thrust23THRUST_200600_302600_NS6detail15normal_iteratorINS8_10device_ptrIfEEEEPiiNS8_4plusIiEEEE10hipError_tPvRmT1_T2_T3_mT4_P12ihipStream_tbEUlT_E0_NS1_11comp_targetILNS1_3genE3ELNS1_11target_archE908ELNS1_3gpuE7ELNS1_3repE0EEENS1_30default_config_static_selectorELNS0_4arch9wavefront6targetE1EEEvSK_,"axG",@progbits,_ZN7rocprim17ROCPRIM_400000_NS6detail17trampoline_kernelINS0_14default_configENS1_22reduce_config_selectorIfEEZNS1_11reduce_implILb1ES3_N6thrust23THRUST_200600_302600_NS6detail15normal_iteratorINS8_10device_ptrIfEEEEPiiNS8_4plusIiEEEE10hipError_tPvRmT1_T2_T3_mT4_P12ihipStream_tbEUlT_E0_NS1_11comp_targetILNS1_3genE3ELNS1_11target_archE908ELNS1_3gpuE7ELNS1_3repE0EEENS1_30default_config_static_selectorELNS0_4arch9wavefront6targetE1EEEvSK_,comdat
	.protected	_ZN7rocprim17ROCPRIM_400000_NS6detail17trampoline_kernelINS0_14default_configENS1_22reduce_config_selectorIfEEZNS1_11reduce_implILb1ES3_N6thrust23THRUST_200600_302600_NS6detail15normal_iteratorINS8_10device_ptrIfEEEEPiiNS8_4plusIiEEEE10hipError_tPvRmT1_T2_T3_mT4_P12ihipStream_tbEUlT_E0_NS1_11comp_targetILNS1_3genE3ELNS1_11target_archE908ELNS1_3gpuE7ELNS1_3repE0EEENS1_30default_config_static_selectorELNS0_4arch9wavefront6targetE1EEEvSK_ ; -- Begin function _ZN7rocprim17ROCPRIM_400000_NS6detail17trampoline_kernelINS0_14default_configENS1_22reduce_config_selectorIfEEZNS1_11reduce_implILb1ES3_N6thrust23THRUST_200600_302600_NS6detail15normal_iteratorINS8_10device_ptrIfEEEEPiiNS8_4plusIiEEEE10hipError_tPvRmT1_T2_T3_mT4_P12ihipStream_tbEUlT_E0_NS1_11comp_targetILNS1_3genE3ELNS1_11target_archE908ELNS1_3gpuE7ELNS1_3repE0EEENS1_30default_config_static_selectorELNS0_4arch9wavefront6targetE1EEEvSK_
	.globl	_ZN7rocprim17ROCPRIM_400000_NS6detail17trampoline_kernelINS0_14default_configENS1_22reduce_config_selectorIfEEZNS1_11reduce_implILb1ES3_N6thrust23THRUST_200600_302600_NS6detail15normal_iteratorINS8_10device_ptrIfEEEEPiiNS8_4plusIiEEEE10hipError_tPvRmT1_T2_T3_mT4_P12ihipStream_tbEUlT_E0_NS1_11comp_targetILNS1_3genE3ELNS1_11target_archE908ELNS1_3gpuE7ELNS1_3repE0EEENS1_30default_config_static_selectorELNS0_4arch9wavefront6targetE1EEEvSK_
	.p2align	8
	.type	_ZN7rocprim17ROCPRIM_400000_NS6detail17trampoline_kernelINS0_14default_configENS1_22reduce_config_selectorIfEEZNS1_11reduce_implILb1ES3_N6thrust23THRUST_200600_302600_NS6detail15normal_iteratorINS8_10device_ptrIfEEEEPiiNS8_4plusIiEEEE10hipError_tPvRmT1_T2_T3_mT4_P12ihipStream_tbEUlT_E0_NS1_11comp_targetILNS1_3genE3ELNS1_11target_archE908ELNS1_3gpuE7ELNS1_3repE0EEENS1_30default_config_static_selectorELNS0_4arch9wavefront6targetE1EEEvSK_,@function
_ZN7rocprim17ROCPRIM_400000_NS6detail17trampoline_kernelINS0_14default_configENS1_22reduce_config_selectorIfEEZNS1_11reduce_implILb1ES3_N6thrust23THRUST_200600_302600_NS6detail15normal_iteratorINS8_10device_ptrIfEEEEPiiNS8_4plusIiEEEE10hipError_tPvRmT1_T2_T3_mT4_P12ihipStream_tbEUlT_E0_NS1_11comp_targetILNS1_3genE3ELNS1_11target_archE908ELNS1_3gpuE7ELNS1_3repE0EEENS1_30default_config_static_selectorELNS0_4arch9wavefront6targetE1EEEvSK_: ; @_ZN7rocprim17ROCPRIM_400000_NS6detail17trampoline_kernelINS0_14default_configENS1_22reduce_config_selectorIfEEZNS1_11reduce_implILb1ES3_N6thrust23THRUST_200600_302600_NS6detail15normal_iteratorINS8_10device_ptrIfEEEEPiiNS8_4plusIiEEEE10hipError_tPvRmT1_T2_T3_mT4_P12ihipStream_tbEUlT_E0_NS1_11comp_targetILNS1_3genE3ELNS1_11target_archE908ELNS1_3gpuE7ELNS1_3repE0EEENS1_30default_config_static_selectorELNS0_4arch9wavefront6targetE1EEEvSK_
; %bb.0:
	.section	.rodata,"a",@progbits
	.p2align	6, 0x0
	.amdhsa_kernel _ZN7rocprim17ROCPRIM_400000_NS6detail17trampoline_kernelINS0_14default_configENS1_22reduce_config_selectorIfEEZNS1_11reduce_implILb1ES3_N6thrust23THRUST_200600_302600_NS6detail15normal_iteratorINS8_10device_ptrIfEEEEPiiNS8_4plusIiEEEE10hipError_tPvRmT1_T2_T3_mT4_P12ihipStream_tbEUlT_E0_NS1_11comp_targetILNS1_3genE3ELNS1_11target_archE908ELNS1_3gpuE7ELNS1_3repE0EEENS1_30default_config_static_selectorELNS0_4arch9wavefront6targetE1EEEvSK_
		.amdhsa_group_segment_fixed_size 0
		.amdhsa_private_segment_fixed_size 0
		.amdhsa_kernarg_size 56
		.amdhsa_user_sgpr_count 2
		.amdhsa_user_sgpr_dispatch_ptr 0
		.amdhsa_user_sgpr_queue_ptr 0
		.amdhsa_user_sgpr_kernarg_segment_ptr 1
		.amdhsa_user_sgpr_dispatch_id 0
		.amdhsa_user_sgpr_kernarg_preload_length 0
		.amdhsa_user_sgpr_kernarg_preload_offset 0
		.amdhsa_user_sgpr_private_segment_size 0
		.amdhsa_uses_dynamic_stack 0
		.amdhsa_enable_private_segment 0
		.amdhsa_system_sgpr_workgroup_id_x 1
		.amdhsa_system_sgpr_workgroup_id_y 0
		.amdhsa_system_sgpr_workgroup_id_z 0
		.amdhsa_system_sgpr_workgroup_info 0
		.amdhsa_system_vgpr_workitem_id 0
		.amdhsa_next_free_vgpr 1
		.amdhsa_next_free_sgpr 0
		.amdhsa_accum_offset 4
		.amdhsa_reserve_vcc 0
		.amdhsa_float_round_mode_32 0
		.amdhsa_float_round_mode_16_64 0
		.amdhsa_float_denorm_mode_32 3
		.amdhsa_float_denorm_mode_16_64 3
		.amdhsa_dx10_clamp 1
		.amdhsa_ieee_mode 1
		.amdhsa_fp16_overflow 0
		.amdhsa_tg_split 0
		.amdhsa_exception_fp_ieee_invalid_op 0
		.amdhsa_exception_fp_denorm_src 0
		.amdhsa_exception_fp_ieee_div_zero 0
		.amdhsa_exception_fp_ieee_overflow 0
		.amdhsa_exception_fp_ieee_underflow 0
		.amdhsa_exception_fp_ieee_inexact 0
		.amdhsa_exception_int_div_zero 0
	.end_amdhsa_kernel
	.section	.text._ZN7rocprim17ROCPRIM_400000_NS6detail17trampoline_kernelINS0_14default_configENS1_22reduce_config_selectorIfEEZNS1_11reduce_implILb1ES3_N6thrust23THRUST_200600_302600_NS6detail15normal_iteratorINS8_10device_ptrIfEEEEPiiNS8_4plusIiEEEE10hipError_tPvRmT1_T2_T3_mT4_P12ihipStream_tbEUlT_E0_NS1_11comp_targetILNS1_3genE3ELNS1_11target_archE908ELNS1_3gpuE7ELNS1_3repE0EEENS1_30default_config_static_selectorELNS0_4arch9wavefront6targetE1EEEvSK_,"axG",@progbits,_ZN7rocprim17ROCPRIM_400000_NS6detail17trampoline_kernelINS0_14default_configENS1_22reduce_config_selectorIfEEZNS1_11reduce_implILb1ES3_N6thrust23THRUST_200600_302600_NS6detail15normal_iteratorINS8_10device_ptrIfEEEEPiiNS8_4plusIiEEEE10hipError_tPvRmT1_T2_T3_mT4_P12ihipStream_tbEUlT_E0_NS1_11comp_targetILNS1_3genE3ELNS1_11target_archE908ELNS1_3gpuE7ELNS1_3repE0EEENS1_30default_config_static_selectorELNS0_4arch9wavefront6targetE1EEEvSK_,comdat
.Lfunc_end336:
	.size	_ZN7rocprim17ROCPRIM_400000_NS6detail17trampoline_kernelINS0_14default_configENS1_22reduce_config_selectorIfEEZNS1_11reduce_implILb1ES3_N6thrust23THRUST_200600_302600_NS6detail15normal_iteratorINS8_10device_ptrIfEEEEPiiNS8_4plusIiEEEE10hipError_tPvRmT1_T2_T3_mT4_P12ihipStream_tbEUlT_E0_NS1_11comp_targetILNS1_3genE3ELNS1_11target_archE908ELNS1_3gpuE7ELNS1_3repE0EEENS1_30default_config_static_selectorELNS0_4arch9wavefront6targetE1EEEvSK_, .Lfunc_end336-_ZN7rocprim17ROCPRIM_400000_NS6detail17trampoline_kernelINS0_14default_configENS1_22reduce_config_selectorIfEEZNS1_11reduce_implILb1ES3_N6thrust23THRUST_200600_302600_NS6detail15normal_iteratorINS8_10device_ptrIfEEEEPiiNS8_4plusIiEEEE10hipError_tPvRmT1_T2_T3_mT4_P12ihipStream_tbEUlT_E0_NS1_11comp_targetILNS1_3genE3ELNS1_11target_archE908ELNS1_3gpuE7ELNS1_3repE0EEENS1_30default_config_static_selectorELNS0_4arch9wavefront6targetE1EEEvSK_
                                        ; -- End function
	.set _ZN7rocprim17ROCPRIM_400000_NS6detail17trampoline_kernelINS0_14default_configENS1_22reduce_config_selectorIfEEZNS1_11reduce_implILb1ES3_N6thrust23THRUST_200600_302600_NS6detail15normal_iteratorINS8_10device_ptrIfEEEEPiiNS8_4plusIiEEEE10hipError_tPvRmT1_T2_T3_mT4_P12ihipStream_tbEUlT_E0_NS1_11comp_targetILNS1_3genE3ELNS1_11target_archE908ELNS1_3gpuE7ELNS1_3repE0EEENS1_30default_config_static_selectorELNS0_4arch9wavefront6targetE1EEEvSK_.num_vgpr, 0
	.set _ZN7rocprim17ROCPRIM_400000_NS6detail17trampoline_kernelINS0_14default_configENS1_22reduce_config_selectorIfEEZNS1_11reduce_implILb1ES3_N6thrust23THRUST_200600_302600_NS6detail15normal_iteratorINS8_10device_ptrIfEEEEPiiNS8_4plusIiEEEE10hipError_tPvRmT1_T2_T3_mT4_P12ihipStream_tbEUlT_E0_NS1_11comp_targetILNS1_3genE3ELNS1_11target_archE908ELNS1_3gpuE7ELNS1_3repE0EEENS1_30default_config_static_selectorELNS0_4arch9wavefront6targetE1EEEvSK_.num_agpr, 0
	.set _ZN7rocprim17ROCPRIM_400000_NS6detail17trampoline_kernelINS0_14default_configENS1_22reduce_config_selectorIfEEZNS1_11reduce_implILb1ES3_N6thrust23THRUST_200600_302600_NS6detail15normal_iteratorINS8_10device_ptrIfEEEEPiiNS8_4plusIiEEEE10hipError_tPvRmT1_T2_T3_mT4_P12ihipStream_tbEUlT_E0_NS1_11comp_targetILNS1_3genE3ELNS1_11target_archE908ELNS1_3gpuE7ELNS1_3repE0EEENS1_30default_config_static_selectorELNS0_4arch9wavefront6targetE1EEEvSK_.numbered_sgpr, 0
	.set _ZN7rocprim17ROCPRIM_400000_NS6detail17trampoline_kernelINS0_14default_configENS1_22reduce_config_selectorIfEEZNS1_11reduce_implILb1ES3_N6thrust23THRUST_200600_302600_NS6detail15normal_iteratorINS8_10device_ptrIfEEEEPiiNS8_4plusIiEEEE10hipError_tPvRmT1_T2_T3_mT4_P12ihipStream_tbEUlT_E0_NS1_11comp_targetILNS1_3genE3ELNS1_11target_archE908ELNS1_3gpuE7ELNS1_3repE0EEENS1_30default_config_static_selectorELNS0_4arch9wavefront6targetE1EEEvSK_.num_named_barrier, 0
	.set _ZN7rocprim17ROCPRIM_400000_NS6detail17trampoline_kernelINS0_14default_configENS1_22reduce_config_selectorIfEEZNS1_11reduce_implILb1ES3_N6thrust23THRUST_200600_302600_NS6detail15normal_iteratorINS8_10device_ptrIfEEEEPiiNS8_4plusIiEEEE10hipError_tPvRmT1_T2_T3_mT4_P12ihipStream_tbEUlT_E0_NS1_11comp_targetILNS1_3genE3ELNS1_11target_archE908ELNS1_3gpuE7ELNS1_3repE0EEENS1_30default_config_static_selectorELNS0_4arch9wavefront6targetE1EEEvSK_.private_seg_size, 0
	.set _ZN7rocprim17ROCPRIM_400000_NS6detail17trampoline_kernelINS0_14default_configENS1_22reduce_config_selectorIfEEZNS1_11reduce_implILb1ES3_N6thrust23THRUST_200600_302600_NS6detail15normal_iteratorINS8_10device_ptrIfEEEEPiiNS8_4plusIiEEEE10hipError_tPvRmT1_T2_T3_mT4_P12ihipStream_tbEUlT_E0_NS1_11comp_targetILNS1_3genE3ELNS1_11target_archE908ELNS1_3gpuE7ELNS1_3repE0EEENS1_30default_config_static_selectorELNS0_4arch9wavefront6targetE1EEEvSK_.uses_vcc, 0
	.set _ZN7rocprim17ROCPRIM_400000_NS6detail17trampoline_kernelINS0_14default_configENS1_22reduce_config_selectorIfEEZNS1_11reduce_implILb1ES3_N6thrust23THRUST_200600_302600_NS6detail15normal_iteratorINS8_10device_ptrIfEEEEPiiNS8_4plusIiEEEE10hipError_tPvRmT1_T2_T3_mT4_P12ihipStream_tbEUlT_E0_NS1_11comp_targetILNS1_3genE3ELNS1_11target_archE908ELNS1_3gpuE7ELNS1_3repE0EEENS1_30default_config_static_selectorELNS0_4arch9wavefront6targetE1EEEvSK_.uses_flat_scratch, 0
	.set _ZN7rocprim17ROCPRIM_400000_NS6detail17trampoline_kernelINS0_14default_configENS1_22reduce_config_selectorIfEEZNS1_11reduce_implILb1ES3_N6thrust23THRUST_200600_302600_NS6detail15normal_iteratorINS8_10device_ptrIfEEEEPiiNS8_4plusIiEEEE10hipError_tPvRmT1_T2_T3_mT4_P12ihipStream_tbEUlT_E0_NS1_11comp_targetILNS1_3genE3ELNS1_11target_archE908ELNS1_3gpuE7ELNS1_3repE0EEENS1_30default_config_static_selectorELNS0_4arch9wavefront6targetE1EEEvSK_.has_dyn_sized_stack, 0
	.set _ZN7rocprim17ROCPRIM_400000_NS6detail17trampoline_kernelINS0_14default_configENS1_22reduce_config_selectorIfEEZNS1_11reduce_implILb1ES3_N6thrust23THRUST_200600_302600_NS6detail15normal_iteratorINS8_10device_ptrIfEEEEPiiNS8_4plusIiEEEE10hipError_tPvRmT1_T2_T3_mT4_P12ihipStream_tbEUlT_E0_NS1_11comp_targetILNS1_3genE3ELNS1_11target_archE908ELNS1_3gpuE7ELNS1_3repE0EEENS1_30default_config_static_selectorELNS0_4arch9wavefront6targetE1EEEvSK_.has_recursion, 0
	.set _ZN7rocprim17ROCPRIM_400000_NS6detail17trampoline_kernelINS0_14default_configENS1_22reduce_config_selectorIfEEZNS1_11reduce_implILb1ES3_N6thrust23THRUST_200600_302600_NS6detail15normal_iteratorINS8_10device_ptrIfEEEEPiiNS8_4plusIiEEEE10hipError_tPvRmT1_T2_T3_mT4_P12ihipStream_tbEUlT_E0_NS1_11comp_targetILNS1_3genE3ELNS1_11target_archE908ELNS1_3gpuE7ELNS1_3repE0EEENS1_30default_config_static_selectorELNS0_4arch9wavefront6targetE1EEEvSK_.has_indirect_call, 0
	.section	.AMDGPU.csdata,"",@progbits
; Kernel info:
; codeLenInByte = 0
; TotalNumSgprs: 6
; NumVgprs: 0
; NumAgprs: 0
; TotalNumVgprs: 0
; ScratchSize: 0
; MemoryBound: 0
; FloatMode: 240
; IeeeMode: 1
; LDSByteSize: 0 bytes/workgroup (compile time only)
; SGPRBlocks: 0
; VGPRBlocks: 0
; NumSGPRsForWavesPerEU: 6
; NumVGPRsForWavesPerEU: 1
; AccumOffset: 4
; Occupancy: 8
; WaveLimiterHint : 0
; COMPUTE_PGM_RSRC2:SCRATCH_EN: 0
; COMPUTE_PGM_RSRC2:USER_SGPR: 2
; COMPUTE_PGM_RSRC2:TRAP_HANDLER: 0
; COMPUTE_PGM_RSRC2:TGID_X_EN: 1
; COMPUTE_PGM_RSRC2:TGID_Y_EN: 0
; COMPUTE_PGM_RSRC2:TGID_Z_EN: 0
; COMPUTE_PGM_RSRC2:TIDIG_COMP_CNT: 0
; COMPUTE_PGM_RSRC3_GFX90A:ACCUM_OFFSET: 0
; COMPUTE_PGM_RSRC3_GFX90A:TG_SPLIT: 0
	.section	.text._ZN7rocprim17ROCPRIM_400000_NS6detail17trampoline_kernelINS0_14default_configENS1_22reduce_config_selectorIfEEZNS1_11reduce_implILb1ES3_N6thrust23THRUST_200600_302600_NS6detail15normal_iteratorINS8_10device_ptrIfEEEEPiiNS8_4plusIiEEEE10hipError_tPvRmT1_T2_T3_mT4_P12ihipStream_tbEUlT_E0_NS1_11comp_targetILNS1_3genE2ELNS1_11target_archE906ELNS1_3gpuE6ELNS1_3repE0EEENS1_30default_config_static_selectorELNS0_4arch9wavefront6targetE1EEEvSK_,"axG",@progbits,_ZN7rocprim17ROCPRIM_400000_NS6detail17trampoline_kernelINS0_14default_configENS1_22reduce_config_selectorIfEEZNS1_11reduce_implILb1ES3_N6thrust23THRUST_200600_302600_NS6detail15normal_iteratorINS8_10device_ptrIfEEEEPiiNS8_4plusIiEEEE10hipError_tPvRmT1_T2_T3_mT4_P12ihipStream_tbEUlT_E0_NS1_11comp_targetILNS1_3genE2ELNS1_11target_archE906ELNS1_3gpuE6ELNS1_3repE0EEENS1_30default_config_static_selectorELNS0_4arch9wavefront6targetE1EEEvSK_,comdat
	.protected	_ZN7rocprim17ROCPRIM_400000_NS6detail17trampoline_kernelINS0_14default_configENS1_22reduce_config_selectorIfEEZNS1_11reduce_implILb1ES3_N6thrust23THRUST_200600_302600_NS6detail15normal_iteratorINS8_10device_ptrIfEEEEPiiNS8_4plusIiEEEE10hipError_tPvRmT1_T2_T3_mT4_P12ihipStream_tbEUlT_E0_NS1_11comp_targetILNS1_3genE2ELNS1_11target_archE906ELNS1_3gpuE6ELNS1_3repE0EEENS1_30default_config_static_selectorELNS0_4arch9wavefront6targetE1EEEvSK_ ; -- Begin function _ZN7rocprim17ROCPRIM_400000_NS6detail17trampoline_kernelINS0_14default_configENS1_22reduce_config_selectorIfEEZNS1_11reduce_implILb1ES3_N6thrust23THRUST_200600_302600_NS6detail15normal_iteratorINS8_10device_ptrIfEEEEPiiNS8_4plusIiEEEE10hipError_tPvRmT1_T2_T3_mT4_P12ihipStream_tbEUlT_E0_NS1_11comp_targetILNS1_3genE2ELNS1_11target_archE906ELNS1_3gpuE6ELNS1_3repE0EEENS1_30default_config_static_selectorELNS0_4arch9wavefront6targetE1EEEvSK_
	.globl	_ZN7rocprim17ROCPRIM_400000_NS6detail17trampoline_kernelINS0_14default_configENS1_22reduce_config_selectorIfEEZNS1_11reduce_implILb1ES3_N6thrust23THRUST_200600_302600_NS6detail15normal_iteratorINS8_10device_ptrIfEEEEPiiNS8_4plusIiEEEE10hipError_tPvRmT1_T2_T3_mT4_P12ihipStream_tbEUlT_E0_NS1_11comp_targetILNS1_3genE2ELNS1_11target_archE906ELNS1_3gpuE6ELNS1_3repE0EEENS1_30default_config_static_selectorELNS0_4arch9wavefront6targetE1EEEvSK_
	.p2align	8
	.type	_ZN7rocprim17ROCPRIM_400000_NS6detail17trampoline_kernelINS0_14default_configENS1_22reduce_config_selectorIfEEZNS1_11reduce_implILb1ES3_N6thrust23THRUST_200600_302600_NS6detail15normal_iteratorINS8_10device_ptrIfEEEEPiiNS8_4plusIiEEEE10hipError_tPvRmT1_T2_T3_mT4_P12ihipStream_tbEUlT_E0_NS1_11comp_targetILNS1_3genE2ELNS1_11target_archE906ELNS1_3gpuE6ELNS1_3repE0EEENS1_30default_config_static_selectorELNS0_4arch9wavefront6targetE1EEEvSK_,@function
_ZN7rocprim17ROCPRIM_400000_NS6detail17trampoline_kernelINS0_14default_configENS1_22reduce_config_selectorIfEEZNS1_11reduce_implILb1ES3_N6thrust23THRUST_200600_302600_NS6detail15normal_iteratorINS8_10device_ptrIfEEEEPiiNS8_4plusIiEEEE10hipError_tPvRmT1_T2_T3_mT4_P12ihipStream_tbEUlT_E0_NS1_11comp_targetILNS1_3genE2ELNS1_11target_archE906ELNS1_3gpuE6ELNS1_3repE0EEENS1_30default_config_static_selectorELNS0_4arch9wavefront6targetE1EEEvSK_: ; @_ZN7rocprim17ROCPRIM_400000_NS6detail17trampoline_kernelINS0_14default_configENS1_22reduce_config_selectorIfEEZNS1_11reduce_implILb1ES3_N6thrust23THRUST_200600_302600_NS6detail15normal_iteratorINS8_10device_ptrIfEEEEPiiNS8_4plusIiEEEE10hipError_tPvRmT1_T2_T3_mT4_P12ihipStream_tbEUlT_E0_NS1_11comp_targetILNS1_3genE2ELNS1_11target_archE906ELNS1_3gpuE6ELNS1_3repE0EEENS1_30default_config_static_selectorELNS0_4arch9wavefront6targetE1EEEvSK_
; %bb.0:
	.section	.rodata,"a",@progbits
	.p2align	6, 0x0
	.amdhsa_kernel _ZN7rocprim17ROCPRIM_400000_NS6detail17trampoline_kernelINS0_14default_configENS1_22reduce_config_selectorIfEEZNS1_11reduce_implILb1ES3_N6thrust23THRUST_200600_302600_NS6detail15normal_iteratorINS8_10device_ptrIfEEEEPiiNS8_4plusIiEEEE10hipError_tPvRmT1_T2_T3_mT4_P12ihipStream_tbEUlT_E0_NS1_11comp_targetILNS1_3genE2ELNS1_11target_archE906ELNS1_3gpuE6ELNS1_3repE0EEENS1_30default_config_static_selectorELNS0_4arch9wavefront6targetE1EEEvSK_
		.amdhsa_group_segment_fixed_size 0
		.amdhsa_private_segment_fixed_size 0
		.amdhsa_kernarg_size 56
		.amdhsa_user_sgpr_count 2
		.amdhsa_user_sgpr_dispatch_ptr 0
		.amdhsa_user_sgpr_queue_ptr 0
		.amdhsa_user_sgpr_kernarg_segment_ptr 1
		.amdhsa_user_sgpr_dispatch_id 0
		.amdhsa_user_sgpr_kernarg_preload_length 0
		.amdhsa_user_sgpr_kernarg_preload_offset 0
		.amdhsa_user_sgpr_private_segment_size 0
		.amdhsa_uses_dynamic_stack 0
		.amdhsa_enable_private_segment 0
		.amdhsa_system_sgpr_workgroup_id_x 1
		.amdhsa_system_sgpr_workgroup_id_y 0
		.amdhsa_system_sgpr_workgroup_id_z 0
		.amdhsa_system_sgpr_workgroup_info 0
		.amdhsa_system_vgpr_workitem_id 0
		.amdhsa_next_free_vgpr 1
		.amdhsa_next_free_sgpr 0
		.amdhsa_accum_offset 4
		.amdhsa_reserve_vcc 0
		.amdhsa_float_round_mode_32 0
		.amdhsa_float_round_mode_16_64 0
		.amdhsa_float_denorm_mode_32 3
		.amdhsa_float_denorm_mode_16_64 3
		.amdhsa_dx10_clamp 1
		.amdhsa_ieee_mode 1
		.amdhsa_fp16_overflow 0
		.amdhsa_tg_split 0
		.amdhsa_exception_fp_ieee_invalid_op 0
		.amdhsa_exception_fp_denorm_src 0
		.amdhsa_exception_fp_ieee_div_zero 0
		.amdhsa_exception_fp_ieee_overflow 0
		.amdhsa_exception_fp_ieee_underflow 0
		.amdhsa_exception_fp_ieee_inexact 0
		.amdhsa_exception_int_div_zero 0
	.end_amdhsa_kernel
	.section	.text._ZN7rocprim17ROCPRIM_400000_NS6detail17trampoline_kernelINS0_14default_configENS1_22reduce_config_selectorIfEEZNS1_11reduce_implILb1ES3_N6thrust23THRUST_200600_302600_NS6detail15normal_iteratorINS8_10device_ptrIfEEEEPiiNS8_4plusIiEEEE10hipError_tPvRmT1_T2_T3_mT4_P12ihipStream_tbEUlT_E0_NS1_11comp_targetILNS1_3genE2ELNS1_11target_archE906ELNS1_3gpuE6ELNS1_3repE0EEENS1_30default_config_static_selectorELNS0_4arch9wavefront6targetE1EEEvSK_,"axG",@progbits,_ZN7rocprim17ROCPRIM_400000_NS6detail17trampoline_kernelINS0_14default_configENS1_22reduce_config_selectorIfEEZNS1_11reduce_implILb1ES3_N6thrust23THRUST_200600_302600_NS6detail15normal_iteratorINS8_10device_ptrIfEEEEPiiNS8_4plusIiEEEE10hipError_tPvRmT1_T2_T3_mT4_P12ihipStream_tbEUlT_E0_NS1_11comp_targetILNS1_3genE2ELNS1_11target_archE906ELNS1_3gpuE6ELNS1_3repE0EEENS1_30default_config_static_selectorELNS0_4arch9wavefront6targetE1EEEvSK_,comdat
.Lfunc_end337:
	.size	_ZN7rocprim17ROCPRIM_400000_NS6detail17trampoline_kernelINS0_14default_configENS1_22reduce_config_selectorIfEEZNS1_11reduce_implILb1ES3_N6thrust23THRUST_200600_302600_NS6detail15normal_iteratorINS8_10device_ptrIfEEEEPiiNS8_4plusIiEEEE10hipError_tPvRmT1_T2_T3_mT4_P12ihipStream_tbEUlT_E0_NS1_11comp_targetILNS1_3genE2ELNS1_11target_archE906ELNS1_3gpuE6ELNS1_3repE0EEENS1_30default_config_static_selectorELNS0_4arch9wavefront6targetE1EEEvSK_, .Lfunc_end337-_ZN7rocprim17ROCPRIM_400000_NS6detail17trampoline_kernelINS0_14default_configENS1_22reduce_config_selectorIfEEZNS1_11reduce_implILb1ES3_N6thrust23THRUST_200600_302600_NS6detail15normal_iteratorINS8_10device_ptrIfEEEEPiiNS8_4plusIiEEEE10hipError_tPvRmT1_T2_T3_mT4_P12ihipStream_tbEUlT_E0_NS1_11comp_targetILNS1_3genE2ELNS1_11target_archE906ELNS1_3gpuE6ELNS1_3repE0EEENS1_30default_config_static_selectorELNS0_4arch9wavefront6targetE1EEEvSK_
                                        ; -- End function
	.set _ZN7rocprim17ROCPRIM_400000_NS6detail17trampoline_kernelINS0_14default_configENS1_22reduce_config_selectorIfEEZNS1_11reduce_implILb1ES3_N6thrust23THRUST_200600_302600_NS6detail15normal_iteratorINS8_10device_ptrIfEEEEPiiNS8_4plusIiEEEE10hipError_tPvRmT1_T2_T3_mT4_P12ihipStream_tbEUlT_E0_NS1_11comp_targetILNS1_3genE2ELNS1_11target_archE906ELNS1_3gpuE6ELNS1_3repE0EEENS1_30default_config_static_selectorELNS0_4arch9wavefront6targetE1EEEvSK_.num_vgpr, 0
	.set _ZN7rocprim17ROCPRIM_400000_NS6detail17trampoline_kernelINS0_14default_configENS1_22reduce_config_selectorIfEEZNS1_11reduce_implILb1ES3_N6thrust23THRUST_200600_302600_NS6detail15normal_iteratorINS8_10device_ptrIfEEEEPiiNS8_4plusIiEEEE10hipError_tPvRmT1_T2_T3_mT4_P12ihipStream_tbEUlT_E0_NS1_11comp_targetILNS1_3genE2ELNS1_11target_archE906ELNS1_3gpuE6ELNS1_3repE0EEENS1_30default_config_static_selectorELNS0_4arch9wavefront6targetE1EEEvSK_.num_agpr, 0
	.set _ZN7rocprim17ROCPRIM_400000_NS6detail17trampoline_kernelINS0_14default_configENS1_22reduce_config_selectorIfEEZNS1_11reduce_implILb1ES3_N6thrust23THRUST_200600_302600_NS6detail15normal_iteratorINS8_10device_ptrIfEEEEPiiNS8_4plusIiEEEE10hipError_tPvRmT1_T2_T3_mT4_P12ihipStream_tbEUlT_E0_NS1_11comp_targetILNS1_3genE2ELNS1_11target_archE906ELNS1_3gpuE6ELNS1_3repE0EEENS1_30default_config_static_selectorELNS0_4arch9wavefront6targetE1EEEvSK_.numbered_sgpr, 0
	.set _ZN7rocprim17ROCPRIM_400000_NS6detail17trampoline_kernelINS0_14default_configENS1_22reduce_config_selectorIfEEZNS1_11reduce_implILb1ES3_N6thrust23THRUST_200600_302600_NS6detail15normal_iteratorINS8_10device_ptrIfEEEEPiiNS8_4plusIiEEEE10hipError_tPvRmT1_T2_T3_mT4_P12ihipStream_tbEUlT_E0_NS1_11comp_targetILNS1_3genE2ELNS1_11target_archE906ELNS1_3gpuE6ELNS1_3repE0EEENS1_30default_config_static_selectorELNS0_4arch9wavefront6targetE1EEEvSK_.num_named_barrier, 0
	.set _ZN7rocprim17ROCPRIM_400000_NS6detail17trampoline_kernelINS0_14default_configENS1_22reduce_config_selectorIfEEZNS1_11reduce_implILb1ES3_N6thrust23THRUST_200600_302600_NS6detail15normal_iteratorINS8_10device_ptrIfEEEEPiiNS8_4plusIiEEEE10hipError_tPvRmT1_T2_T3_mT4_P12ihipStream_tbEUlT_E0_NS1_11comp_targetILNS1_3genE2ELNS1_11target_archE906ELNS1_3gpuE6ELNS1_3repE0EEENS1_30default_config_static_selectorELNS0_4arch9wavefront6targetE1EEEvSK_.private_seg_size, 0
	.set _ZN7rocprim17ROCPRIM_400000_NS6detail17trampoline_kernelINS0_14default_configENS1_22reduce_config_selectorIfEEZNS1_11reduce_implILb1ES3_N6thrust23THRUST_200600_302600_NS6detail15normal_iteratorINS8_10device_ptrIfEEEEPiiNS8_4plusIiEEEE10hipError_tPvRmT1_T2_T3_mT4_P12ihipStream_tbEUlT_E0_NS1_11comp_targetILNS1_3genE2ELNS1_11target_archE906ELNS1_3gpuE6ELNS1_3repE0EEENS1_30default_config_static_selectorELNS0_4arch9wavefront6targetE1EEEvSK_.uses_vcc, 0
	.set _ZN7rocprim17ROCPRIM_400000_NS6detail17trampoline_kernelINS0_14default_configENS1_22reduce_config_selectorIfEEZNS1_11reduce_implILb1ES3_N6thrust23THRUST_200600_302600_NS6detail15normal_iteratorINS8_10device_ptrIfEEEEPiiNS8_4plusIiEEEE10hipError_tPvRmT1_T2_T3_mT4_P12ihipStream_tbEUlT_E0_NS1_11comp_targetILNS1_3genE2ELNS1_11target_archE906ELNS1_3gpuE6ELNS1_3repE0EEENS1_30default_config_static_selectorELNS0_4arch9wavefront6targetE1EEEvSK_.uses_flat_scratch, 0
	.set _ZN7rocprim17ROCPRIM_400000_NS6detail17trampoline_kernelINS0_14default_configENS1_22reduce_config_selectorIfEEZNS1_11reduce_implILb1ES3_N6thrust23THRUST_200600_302600_NS6detail15normal_iteratorINS8_10device_ptrIfEEEEPiiNS8_4plusIiEEEE10hipError_tPvRmT1_T2_T3_mT4_P12ihipStream_tbEUlT_E0_NS1_11comp_targetILNS1_3genE2ELNS1_11target_archE906ELNS1_3gpuE6ELNS1_3repE0EEENS1_30default_config_static_selectorELNS0_4arch9wavefront6targetE1EEEvSK_.has_dyn_sized_stack, 0
	.set _ZN7rocprim17ROCPRIM_400000_NS6detail17trampoline_kernelINS0_14default_configENS1_22reduce_config_selectorIfEEZNS1_11reduce_implILb1ES3_N6thrust23THRUST_200600_302600_NS6detail15normal_iteratorINS8_10device_ptrIfEEEEPiiNS8_4plusIiEEEE10hipError_tPvRmT1_T2_T3_mT4_P12ihipStream_tbEUlT_E0_NS1_11comp_targetILNS1_3genE2ELNS1_11target_archE906ELNS1_3gpuE6ELNS1_3repE0EEENS1_30default_config_static_selectorELNS0_4arch9wavefront6targetE1EEEvSK_.has_recursion, 0
	.set _ZN7rocprim17ROCPRIM_400000_NS6detail17trampoline_kernelINS0_14default_configENS1_22reduce_config_selectorIfEEZNS1_11reduce_implILb1ES3_N6thrust23THRUST_200600_302600_NS6detail15normal_iteratorINS8_10device_ptrIfEEEEPiiNS8_4plusIiEEEE10hipError_tPvRmT1_T2_T3_mT4_P12ihipStream_tbEUlT_E0_NS1_11comp_targetILNS1_3genE2ELNS1_11target_archE906ELNS1_3gpuE6ELNS1_3repE0EEENS1_30default_config_static_selectorELNS0_4arch9wavefront6targetE1EEEvSK_.has_indirect_call, 0
	.section	.AMDGPU.csdata,"",@progbits
; Kernel info:
; codeLenInByte = 0
; TotalNumSgprs: 6
; NumVgprs: 0
; NumAgprs: 0
; TotalNumVgprs: 0
; ScratchSize: 0
; MemoryBound: 0
; FloatMode: 240
; IeeeMode: 1
; LDSByteSize: 0 bytes/workgroup (compile time only)
; SGPRBlocks: 0
; VGPRBlocks: 0
; NumSGPRsForWavesPerEU: 6
; NumVGPRsForWavesPerEU: 1
; AccumOffset: 4
; Occupancy: 8
; WaveLimiterHint : 0
; COMPUTE_PGM_RSRC2:SCRATCH_EN: 0
; COMPUTE_PGM_RSRC2:USER_SGPR: 2
; COMPUTE_PGM_RSRC2:TRAP_HANDLER: 0
; COMPUTE_PGM_RSRC2:TGID_X_EN: 1
; COMPUTE_PGM_RSRC2:TGID_Y_EN: 0
; COMPUTE_PGM_RSRC2:TGID_Z_EN: 0
; COMPUTE_PGM_RSRC2:TIDIG_COMP_CNT: 0
; COMPUTE_PGM_RSRC3_GFX90A:ACCUM_OFFSET: 0
; COMPUTE_PGM_RSRC3_GFX90A:TG_SPLIT: 0
	.section	.text._ZN7rocprim17ROCPRIM_400000_NS6detail17trampoline_kernelINS0_14default_configENS1_22reduce_config_selectorIfEEZNS1_11reduce_implILb1ES3_N6thrust23THRUST_200600_302600_NS6detail15normal_iteratorINS8_10device_ptrIfEEEEPiiNS8_4plusIiEEEE10hipError_tPvRmT1_T2_T3_mT4_P12ihipStream_tbEUlT_E0_NS1_11comp_targetILNS1_3genE10ELNS1_11target_archE1201ELNS1_3gpuE5ELNS1_3repE0EEENS1_30default_config_static_selectorELNS0_4arch9wavefront6targetE1EEEvSK_,"axG",@progbits,_ZN7rocprim17ROCPRIM_400000_NS6detail17trampoline_kernelINS0_14default_configENS1_22reduce_config_selectorIfEEZNS1_11reduce_implILb1ES3_N6thrust23THRUST_200600_302600_NS6detail15normal_iteratorINS8_10device_ptrIfEEEEPiiNS8_4plusIiEEEE10hipError_tPvRmT1_T2_T3_mT4_P12ihipStream_tbEUlT_E0_NS1_11comp_targetILNS1_3genE10ELNS1_11target_archE1201ELNS1_3gpuE5ELNS1_3repE0EEENS1_30default_config_static_selectorELNS0_4arch9wavefront6targetE1EEEvSK_,comdat
	.protected	_ZN7rocprim17ROCPRIM_400000_NS6detail17trampoline_kernelINS0_14default_configENS1_22reduce_config_selectorIfEEZNS1_11reduce_implILb1ES3_N6thrust23THRUST_200600_302600_NS6detail15normal_iteratorINS8_10device_ptrIfEEEEPiiNS8_4plusIiEEEE10hipError_tPvRmT1_T2_T3_mT4_P12ihipStream_tbEUlT_E0_NS1_11comp_targetILNS1_3genE10ELNS1_11target_archE1201ELNS1_3gpuE5ELNS1_3repE0EEENS1_30default_config_static_selectorELNS0_4arch9wavefront6targetE1EEEvSK_ ; -- Begin function _ZN7rocprim17ROCPRIM_400000_NS6detail17trampoline_kernelINS0_14default_configENS1_22reduce_config_selectorIfEEZNS1_11reduce_implILb1ES3_N6thrust23THRUST_200600_302600_NS6detail15normal_iteratorINS8_10device_ptrIfEEEEPiiNS8_4plusIiEEEE10hipError_tPvRmT1_T2_T3_mT4_P12ihipStream_tbEUlT_E0_NS1_11comp_targetILNS1_3genE10ELNS1_11target_archE1201ELNS1_3gpuE5ELNS1_3repE0EEENS1_30default_config_static_selectorELNS0_4arch9wavefront6targetE1EEEvSK_
	.globl	_ZN7rocprim17ROCPRIM_400000_NS6detail17trampoline_kernelINS0_14default_configENS1_22reduce_config_selectorIfEEZNS1_11reduce_implILb1ES3_N6thrust23THRUST_200600_302600_NS6detail15normal_iteratorINS8_10device_ptrIfEEEEPiiNS8_4plusIiEEEE10hipError_tPvRmT1_T2_T3_mT4_P12ihipStream_tbEUlT_E0_NS1_11comp_targetILNS1_3genE10ELNS1_11target_archE1201ELNS1_3gpuE5ELNS1_3repE0EEENS1_30default_config_static_selectorELNS0_4arch9wavefront6targetE1EEEvSK_
	.p2align	8
	.type	_ZN7rocprim17ROCPRIM_400000_NS6detail17trampoline_kernelINS0_14default_configENS1_22reduce_config_selectorIfEEZNS1_11reduce_implILb1ES3_N6thrust23THRUST_200600_302600_NS6detail15normal_iteratorINS8_10device_ptrIfEEEEPiiNS8_4plusIiEEEE10hipError_tPvRmT1_T2_T3_mT4_P12ihipStream_tbEUlT_E0_NS1_11comp_targetILNS1_3genE10ELNS1_11target_archE1201ELNS1_3gpuE5ELNS1_3repE0EEENS1_30default_config_static_selectorELNS0_4arch9wavefront6targetE1EEEvSK_,@function
_ZN7rocprim17ROCPRIM_400000_NS6detail17trampoline_kernelINS0_14default_configENS1_22reduce_config_selectorIfEEZNS1_11reduce_implILb1ES3_N6thrust23THRUST_200600_302600_NS6detail15normal_iteratorINS8_10device_ptrIfEEEEPiiNS8_4plusIiEEEE10hipError_tPvRmT1_T2_T3_mT4_P12ihipStream_tbEUlT_E0_NS1_11comp_targetILNS1_3genE10ELNS1_11target_archE1201ELNS1_3gpuE5ELNS1_3repE0EEENS1_30default_config_static_selectorELNS0_4arch9wavefront6targetE1EEEvSK_: ; @_ZN7rocprim17ROCPRIM_400000_NS6detail17trampoline_kernelINS0_14default_configENS1_22reduce_config_selectorIfEEZNS1_11reduce_implILb1ES3_N6thrust23THRUST_200600_302600_NS6detail15normal_iteratorINS8_10device_ptrIfEEEEPiiNS8_4plusIiEEEE10hipError_tPvRmT1_T2_T3_mT4_P12ihipStream_tbEUlT_E0_NS1_11comp_targetILNS1_3genE10ELNS1_11target_archE1201ELNS1_3gpuE5ELNS1_3repE0EEENS1_30default_config_static_selectorELNS0_4arch9wavefront6targetE1EEEvSK_
; %bb.0:
	.section	.rodata,"a",@progbits
	.p2align	6, 0x0
	.amdhsa_kernel _ZN7rocprim17ROCPRIM_400000_NS6detail17trampoline_kernelINS0_14default_configENS1_22reduce_config_selectorIfEEZNS1_11reduce_implILb1ES3_N6thrust23THRUST_200600_302600_NS6detail15normal_iteratorINS8_10device_ptrIfEEEEPiiNS8_4plusIiEEEE10hipError_tPvRmT1_T2_T3_mT4_P12ihipStream_tbEUlT_E0_NS1_11comp_targetILNS1_3genE10ELNS1_11target_archE1201ELNS1_3gpuE5ELNS1_3repE0EEENS1_30default_config_static_selectorELNS0_4arch9wavefront6targetE1EEEvSK_
		.amdhsa_group_segment_fixed_size 0
		.amdhsa_private_segment_fixed_size 0
		.amdhsa_kernarg_size 56
		.amdhsa_user_sgpr_count 2
		.amdhsa_user_sgpr_dispatch_ptr 0
		.amdhsa_user_sgpr_queue_ptr 0
		.amdhsa_user_sgpr_kernarg_segment_ptr 1
		.amdhsa_user_sgpr_dispatch_id 0
		.amdhsa_user_sgpr_kernarg_preload_length 0
		.amdhsa_user_sgpr_kernarg_preload_offset 0
		.amdhsa_user_sgpr_private_segment_size 0
		.amdhsa_uses_dynamic_stack 0
		.amdhsa_enable_private_segment 0
		.amdhsa_system_sgpr_workgroup_id_x 1
		.amdhsa_system_sgpr_workgroup_id_y 0
		.amdhsa_system_sgpr_workgroup_id_z 0
		.amdhsa_system_sgpr_workgroup_info 0
		.amdhsa_system_vgpr_workitem_id 0
		.amdhsa_next_free_vgpr 1
		.amdhsa_next_free_sgpr 0
		.amdhsa_accum_offset 4
		.amdhsa_reserve_vcc 0
		.amdhsa_float_round_mode_32 0
		.amdhsa_float_round_mode_16_64 0
		.amdhsa_float_denorm_mode_32 3
		.amdhsa_float_denorm_mode_16_64 3
		.amdhsa_dx10_clamp 1
		.amdhsa_ieee_mode 1
		.amdhsa_fp16_overflow 0
		.amdhsa_tg_split 0
		.amdhsa_exception_fp_ieee_invalid_op 0
		.amdhsa_exception_fp_denorm_src 0
		.amdhsa_exception_fp_ieee_div_zero 0
		.amdhsa_exception_fp_ieee_overflow 0
		.amdhsa_exception_fp_ieee_underflow 0
		.amdhsa_exception_fp_ieee_inexact 0
		.amdhsa_exception_int_div_zero 0
	.end_amdhsa_kernel
	.section	.text._ZN7rocprim17ROCPRIM_400000_NS6detail17trampoline_kernelINS0_14default_configENS1_22reduce_config_selectorIfEEZNS1_11reduce_implILb1ES3_N6thrust23THRUST_200600_302600_NS6detail15normal_iteratorINS8_10device_ptrIfEEEEPiiNS8_4plusIiEEEE10hipError_tPvRmT1_T2_T3_mT4_P12ihipStream_tbEUlT_E0_NS1_11comp_targetILNS1_3genE10ELNS1_11target_archE1201ELNS1_3gpuE5ELNS1_3repE0EEENS1_30default_config_static_selectorELNS0_4arch9wavefront6targetE1EEEvSK_,"axG",@progbits,_ZN7rocprim17ROCPRIM_400000_NS6detail17trampoline_kernelINS0_14default_configENS1_22reduce_config_selectorIfEEZNS1_11reduce_implILb1ES3_N6thrust23THRUST_200600_302600_NS6detail15normal_iteratorINS8_10device_ptrIfEEEEPiiNS8_4plusIiEEEE10hipError_tPvRmT1_T2_T3_mT4_P12ihipStream_tbEUlT_E0_NS1_11comp_targetILNS1_3genE10ELNS1_11target_archE1201ELNS1_3gpuE5ELNS1_3repE0EEENS1_30default_config_static_selectorELNS0_4arch9wavefront6targetE1EEEvSK_,comdat
.Lfunc_end338:
	.size	_ZN7rocprim17ROCPRIM_400000_NS6detail17trampoline_kernelINS0_14default_configENS1_22reduce_config_selectorIfEEZNS1_11reduce_implILb1ES3_N6thrust23THRUST_200600_302600_NS6detail15normal_iteratorINS8_10device_ptrIfEEEEPiiNS8_4plusIiEEEE10hipError_tPvRmT1_T2_T3_mT4_P12ihipStream_tbEUlT_E0_NS1_11comp_targetILNS1_3genE10ELNS1_11target_archE1201ELNS1_3gpuE5ELNS1_3repE0EEENS1_30default_config_static_selectorELNS0_4arch9wavefront6targetE1EEEvSK_, .Lfunc_end338-_ZN7rocprim17ROCPRIM_400000_NS6detail17trampoline_kernelINS0_14default_configENS1_22reduce_config_selectorIfEEZNS1_11reduce_implILb1ES3_N6thrust23THRUST_200600_302600_NS6detail15normal_iteratorINS8_10device_ptrIfEEEEPiiNS8_4plusIiEEEE10hipError_tPvRmT1_T2_T3_mT4_P12ihipStream_tbEUlT_E0_NS1_11comp_targetILNS1_3genE10ELNS1_11target_archE1201ELNS1_3gpuE5ELNS1_3repE0EEENS1_30default_config_static_selectorELNS0_4arch9wavefront6targetE1EEEvSK_
                                        ; -- End function
	.set _ZN7rocprim17ROCPRIM_400000_NS6detail17trampoline_kernelINS0_14default_configENS1_22reduce_config_selectorIfEEZNS1_11reduce_implILb1ES3_N6thrust23THRUST_200600_302600_NS6detail15normal_iteratorINS8_10device_ptrIfEEEEPiiNS8_4plusIiEEEE10hipError_tPvRmT1_T2_T3_mT4_P12ihipStream_tbEUlT_E0_NS1_11comp_targetILNS1_3genE10ELNS1_11target_archE1201ELNS1_3gpuE5ELNS1_3repE0EEENS1_30default_config_static_selectorELNS0_4arch9wavefront6targetE1EEEvSK_.num_vgpr, 0
	.set _ZN7rocprim17ROCPRIM_400000_NS6detail17trampoline_kernelINS0_14default_configENS1_22reduce_config_selectorIfEEZNS1_11reduce_implILb1ES3_N6thrust23THRUST_200600_302600_NS6detail15normal_iteratorINS8_10device_ptrIfEEEEPiiNS8_4plusIiEEEE10hipError_tPvRmT1_T2_T3_mT4_P12ihipStream_tbEUlT_E0_NS1_11comp_targetILNS1_3genE10ELNS1_11target_archE1201ELNS1_3gpuE5ELNS1_3repE0EEENS1_30default_config_static_selectorELNS0_4arch9wavefront6targetE1EEEvSK_.num_agpr, 0
	.set _ZN7rocprim17ROCPRIM_400000_NS6detail17trampoline_kernelINS0_14default_configENS1_22reduce_config_selectorIfEEZNS1_11reduce_implILb1ES3_N6thrust23THRUST_200600_302600_NS6detail15normal_iteratorINS8_10device_ptrIfEEEEPiiNS8_4plusIiEEEE10hipError_tPvRmT1_T2_T3_mT4_P12ihipStream_tbEUlT_E0_NS1_11comp_targetILNS1_3genE10ELNS1_11target_archE1201ELNS1_3gpuE5ELNS1_3repE0EEENS1_30default_config_static_selectorELNS0_4arch9wavefront6targetE1EEEvSK_.numbered_sgpr, 0
	.set _ZN7rocprim17ROCPRIM_400000_NS6detail17trampoline_kernelINS0_14default_configENS1_22reduce_config_selectorIfEEZNS1_11reduce_implILb1ES3_N6thrust23THRUST_200600_302600_NS6detail15normal_iteratorINS8_10device_ptrIfEEEEPiiNS8_4plusIiEEEE10hipError_tPvRmT1_T2_T3_mT4_P12ihipStream_tbEUlT_E0_NS1_11comp_targetILNS1_3genE10ELNS1_11target_archE1201ELNS1_3gpuE5ELNS1_3repE0EEENS1_30default_config_static_selectorELNS0_4arch9wavefront6targetE1EEEvSK_.num_named_barrier, 0
	.set _ZN7rocprim17ROCPRIM_400000_NS6detail17trampoline_kernelINS0_14default_configENS1_22reduce_config_selectorIfEEZNS1_11reduce_implILb1ES3_N6thrust23THRUST_200600_302600_NS6detail15normal_iteratorINS8_10device_ptrIfEEEEPiiNS8_4plusIiEEEE10hipError_tPvRmT1_T2_T3_mT4_P12ihipStream_tbEUlT_E0_NS1_11comp_targetILNS1_3genE10ELNS1_11target_archE1201ELNS1_3gpuE5ELNS1_3repE0EEENS1_30default_config_static_selectorELNS0_4arch9wavefront6targetE1EEEvSK_.private_seg_size, 0
	.set _ZN7rocprim17ROCPRIM_400000_NS6detail17trampoline_kernelINS0_14default_configENS1_22reduce_config_selectorIfEEZNS1_11reduce_implILb1ES3_N6thrust23THRUST_200600_302600_NS6detail15normal_iteratorINS8_10device_ptrIfEEEEPiiNS8_4plusIiEEEE10hipError_tPvRmT1_T2_T3_mT4_P12ihipStream_tbEUlT_E0_NS1_11comp_targetILNS1_3genE10ELNS1_11target_archE1201ELNS1_3gpuE5ELNS1_3repE0EEENS1_30default_config_static_selectorELNS0_4arch9wavefront6targetE1EEEvSK_.uses_vcc, 0
	.set _ZN7rocprim17ROCPRIM_400000_NS6detail17trampoline_kernelINS0_14default_configENS1_22reduce_config_selectorIfEEZNS1_11reduce_implILb1ES3_N6thrust23THRUST_200600_302600_NS6detail15normal_iteratorINS8_10device_ptrIfEEEEPiiNS8_4plusIiEEEE10hipError_tPvRmT1_T2_T3_mT4_P12ihipStream_tbEUlT_E0_NS1_11comp_targetILNS1_3genE10ELNS1_11target_archE1201ELNS1_3gpuE5ELNS1_3repE0EEENS1_30default_config_static_selectorELNS0_4arch9wavefront6targetE1EEEvSK_.uses_flat_scratch, 0
	.set _ZN7rocprim17ROCPRIM_400000_NS6detail17trampoline_kernelINS0_14default_configENS1_22reduce_config_selectorIfEEZNS1_11reduce_implILb1ES3_N6thrust23THRUST_200600_302600_NS6detail15normal_iteratorINS8_10device_ptrIfEEEEPiiNS8_4plusIiEEEE10hipError_tPvRmT1_T2_T3_mT4_P12ihipStream_tbEUlT_E0_NS1_11comp_targetILNS1_3genE10ELNS1_11target_archE1201ELNS1_3gpuE5ELNS1_3repE0EEENS1_30default_config_static_selectorELNS0_4arch9wavefront6targetE1EEEvSK_.has_dyn_sized_stack, 0
	.set _ZN7rocprim17ROCPRIM_400000_NS6detail17trampoline_kernelINS0_14default_configENS1_22reduce_config_selectorIfEEZNS1_11reduce_implILb1ES3_N6thrust23THRUST_200600_302600_NS6detail15normal_iteratorINS8_10device_ptrIfEEEEPiiNS8_4plusIiEEEE10hipError_tPvRmT1_T2_T3_mT4_P12ihipStream_tbEUlT_E0_NS1_11comp_targetILNS1_3genE10ELNS1_11target_archE1201ELNS1_3gpuE5ELNS1_3repE0EEENS1_30default_config_static_selectorELNS0_4arch9wavefront6targetE1EEEvSK_.has_recursion, 0
	.set _ZN7rocprim17ROCPRIM_400000_NS6detail17trampoline_kernelINS0_14default_configENS1_22reduce_config_selectorIfEEZNS1_11reduce_implILb1ES3_N6thrust23THRUST_200600_302600_NS6detail15normal_iteratorINS8_10device_ptrIfEEEEPiiNS8_4plusIiEEEE10hipError_tPvRmT1_T2_T3_mT4_P12ihipStream_tbEUlT_E0_NS1_11comp_targetILNS1_3genE10ELNS1_11target_archE1201ELNS1_3gpuE5ELNS1_3repE0EEENS1_30default_config_static_selectorELNS0_4arch9wavefront6targetE1EEEvSK_.has_indirect_call, 0
	.section	.AMDGPU.csdata,"",@progbits
; Kernel info:
; codeLenInByte = 0
; TotalNumSgprs: 6
; NumVgprs: 0
; NumAgprs: 0
; TotalNumVgprs: 0
; ScratchSize: 0
; MemoryBound: 0
; FloatMode: 240
; IeeeMode: 1
; LDSByteSize: 0 bytes/workgroup (compile time only)
; SGPRBlocks: 0
; VGPRBlocks: 0
; NumSGPRsForWavesPerEU: 6
; NumVGPRsForWavesPerEU: 1
; AccumOffset: 4
; Occupancy: 8
; WaveLimiterHint : 0
; COMPUTE_PGM_RSRC2:SCRATCH_EN: 0
; COMPUTE_PGM_RSRC2:USER_SGPR: 2
; COMPUTE_PGM_RSRC2:TRAP_HANDLER: 0
; COMPUTE_PGM_RSRC2:TGID_X_EN: 1
; COMPUTE_PGM_RSRC2:TGID_Y_EN: 0
; COMPUTE_PGM_RSRC2:TGID_Z_EN: 0
; COMPUTE_PGM_RSRC2:TIDIG_COMP_CNT: 0
; COMPUTE_PGM_RSRC3_GFX90A:ACCUM_OFFSET: 0
; COMPUTE_PGM_RSRC3_GFX90A:TG_SPLIT: 0
	.section	.text._ZN7rocprim17ROCPRIM_400000_NS6detail17trampoline_kernelINS0_14default_configENS1_22reduce_config_selectorIfEEZNS1_11reduce_implILb1ES3_N6thrust23THRUST_200600_302600_NS6detail15normal_iteratorINS8_10device_ptrIfEEEEPiiNS8_4plusIiEEEE10hipError_tPvRmT1_T2_T3_mT4_P12ihipStream_tbEUlT_E0_NS1_11comp_targetILNS1_3genE10ELNS1_11target_archE1200ELNS1_3gpuE4ELNS1_3repE0EEENS1_30default_config_static_selectorELNS0_4arch9wavefront6targetE1EEEvSK_,"axG",@progbits,_ZN7rocprim17ROCPRIM_400000_NS6detail17trampoline_kernelINS0_14default_configENS1_22reduce_config_selectorIfEEZNS1_11reduce_implILb1ES3_N6thrust23THRUST_200600_302600_NS6detail15normal_iteratorINS8_10device_ptrIfEEEEPiiNS8_4plusIiEEEE10hipError_tPvRmT1_T2_T3_mT4_P12ihipStream_tbEUlT_E0_NS1_11comp_targetILNS1_3genE10ELNS1_11target_archE1200ELNS1_3gpuE4ELNS1_3repE0EEENS1_30default_config_static_selectorELNS0_4arch9wavefront6targetE1EEEvSK_,comdat
	.protected	_ZN7rocprim17ROCPRIM_400000_NS6detail17trampoline_kernelINS0_14default_configENS1_22reduce_config_selectorIfEEZNS1_11reduce_implILb1ES3_N6thrust23THRUST_200600_302600_NS6detail15normal_iteratorINS8_10device_ptrIfEEEEPiiNS8_4plusIiEEEE10hipError_tPvRmT1_T2_T3_mT4_P12ihipStream_tbEUlT_E0_NS1_11comp_targetILNS1_3genE10ELNS1_11target_archE1200ELNS1_3gpuE4ELNS1_3repE0EEENS1_30default_config_static_selectorELNS0_4arch9wavefront6targetE1EEEvSK_ ; -- Begin function _ZN7rocprim17ROCPRIM_400000_NS6detail17trampoline_kernelINS0_14default_configENS1_22reduce_config_selectorIfEEZNS1_11reduce_implILb1ES3_N6thrust23THRUST_200600_302600_NS6detail15normal_iteratorINS8_10device_ptrIfEEEEPiiNS8_4plusIiEEEE10hipError_tPvRmT1_T2_T3_mT4_P12ihipStream_tbEUlT_E0_NS1_11comp_targetILNS1_3genE10ELNS1_11target_archE1200ELNS1_3gpuE4ELNS1_3repE0EEENS1_30default_config_static_selectorELNS0_4arch9wavefront6targetE1EEEvSK_
	.globl	_ZN7rocprim17ROCPRIM_400000_NS6detail17trampoline_kernelINS0_14default_configENS1_22reduce_config_selectorIfEEZNS1_11reduce_implILb1ES3_N6thrust23THRUST_200600_302600_NS6detail15normal_iteratorINS8_10device_ptrIfEEEEPiiNS8_4plusIiEEEE10hipError_tPvRmT1_T2_T3_mT4_P12ihipStream_tbEUlT_E0_NS1_11comp_targetILNS1_3genE10ELNS1_11target_archE1200ELNS1_3gpuE4ELNS1_3repE0EEENS1_30default_config_static_selectorELNS0_4arch9wavefront6targetE1EEEvSK_
	.p2align	8
	.type	_ZN7rocprim17ROCPRIM_400000_NS6detail17trampoline_kernelINS0_14default_configENS1_22reduce_config_selectorIfEEZNS1_11reduce_implILb1ES3_N6thrust23THRUST_200600_302600_NS6detail15normal_iteratorINS8_10device_ptrIfEEEEPiiNS8_4plusIiEEEE10hipError_tPvRmT1_T2_T3_mT4_P12ihipStream_tbEUlT_E0_NS1_11comp_targetILNS1_3genE10ELNS1_11target_archE1200ELNS1_3gpuE4ELNS1_3repE0EEENS1_30default_config_static_selectorELNS0_4arch9wavefront6targetE1EEEvSK_,@function
_ZN7rocprim17ROCPRIM_400000_NS6detail17trampoline_kernelINS0_14default_configENS1_22reduce_config_selectorIfEEZNS1_11reduce_implILb1ES3_N6thrust23THRUST_200600_302600_NS6detail15normal_iteratorINS8_10device_ptrIfEEEEPiiNS8_4plusIiEEEE10hipError_tPvRmT1_T2_T3_mT4_P12ihipStream_tbEUlT_E0_NS1_11comp_targetILNS1_3genE10ELNS1_11target_archE1200ELNS1_3gpuE4ELNS1_3repE0EEENS1_30default_config_static_selectorELNS0_4arch9wavefront6targetE1EEEvSK_: ; @_ZN7rocprim17ROCPRIM_400000_NS6detail17trampoline_kernelINS0_14default_configENS1_22reduce_config_selectorIfEEZNS1_11reduce_implILb1ES3_N6thrust23THRUST_200600_302600_NS6detail15normal_iteratorINS8_10device_ptrIfEEEEPiiNS8_4plusIiEEEE10hipError_tPvRmT1_T2_T3_mT4_P12ihipStream_tbEUlT_E0_NS1_11comp_targetILNS1_3genE10ELNS1_11target_archE1200ELNS1_3gpuE4ELNS1_3repE0EEENS1_30default_config_static_selectorELNS0_4arch9wavefront6targetE1EEEvSK_
; %bb.0:
	.section	.rodata,"a",@progbits
	.p2align	6, 0x0
	.amdhsa_kernel _ZN7rocprim17ROCPRIM_400000_NS6detail17trampoline_kernelINS0_14default_configENS1_22reduce_config_selectorIfEEZNS1_11reduce_implILb1ES3_N6thrust23THRUST_200600_302600_NS6detail15normal_iteratorINS8_10device_ptrIfEEEEPiiNS8_4plusIiEEEE10hipError_tPvRmT1_T2_T3_mT4_P12ihipStream_tbEUlT_E0_NS1_11comp_targetILNS1_3genE10ELNS1_11target_archE1200ELNS1_3gpuE4ELNS1_3repE0EEENS1_30default_config_static_selectorELNS0_4arch9wavefront6targetE1EEEvSK_
		.amdhsa_group_segment_fixed_size 0
		.amdhsa_private_segment_fixed_size 0
		.amdhsa_kernarg_size 56
		.amdhsa_user_sgpr_count 2
		.amdhsa_user_sgpr_dispatch_ptr 0
		.amdhsa_user_sgpr_queue_ptr 0
		.amdhsa_user_sgpr_kernarg_segment_ptr 1
		.amdhsa_user_sgpr_dispatch_id 0
		.amdhsa_user_sgpr_kernarg_preload_length 0
		.amdhsa_user_sgpr_kernarg_preload_offset 0
		.amdhsa_user_sgpr_private_segment_size 0
		.amdhsa_uses_dynamic_stack 0
		.amdhsa_enable_private_segment 0
		.amdhsa_system_sgpr_workgroup_id_x 1
		.amdhsa_system_sgpr_workgroup_id_y 0
		.amdhsa_system_sgpr_workgroup_id_z 0
		.amdhsa_system_sgpr_workgroup_info 0
		.amdhsa_system_vgpr_workitem_id 0
		.amdhsa_next_free_vgpr 1
		.amdhsa_next_free_sgpr 0
		.amdhsa_accum_offset 4
		.amdhsa_reserve_vcc 0
		.amdhsa_float_round_mode_32 0
		.amdhsa_float_round_mode_16_64 0
		.amdhsa_float_denorm_mode_32 3
		.amdhsa_float_denorm_mode_16_64 3
		.amdhsa_dx10_clamp 1
		.amdhsa_ieee_mode 1
		.amdhsa_fp16_overflow 0
		.amdhsa_tg_split 0
		.amdhsa_exception_fp_ieee_invalid_op 0
		.amdhsa_exception_fp_denorm_src 0
		.amdhsa_exception_fp_ieee_div_zero 0
		.amdhsa_exception_fp_ieee_overflow 0
		.amdhsa_exception_fp_ieee_underflow 0
		.amdhsa_exception_fp_ieee_inexact 0
		.amdhsa_exception_int_div_zero 0
	.end_amdhsa_kernel
	.section	.text._ZN7rocprim17ROCPRIM_400000_NS6detail17trampoline_kernelINS0_14default_configENS1_22reduce_config_selectorIfEEZNS1_11reduce_implILb1ES3_N6thrust23THRUST_200600_302600_NS6detail15normal_iteratorINS8_10device_ptrIfEEEEPiiNS8_4plusIiEEEE10hipError_tPvRmT1_T2_T3_mT4_P12ihipStream_tbEUlT_E0_NS1_11comp_targetILNS1_3genE10ELNS1_11target_archE1200ELNS1_3gpuE4ELNS1_3repE0EEENS1_30default_config_static_selectorELNS0_4arch9wavefront6targetE1EEEvSK_,"axG",@progbits,_ZN7rocprim17ROCPRIM_400000_NS6detail17trampoline_kernelINS0_14default_configENS1_22reduce_config_selectorIfEEZNS1_11reduce_implILb1ES3_N6thrust23THRUST_200600_302600_NS6detail15normal_iteratorINS8_10device_ptrIfEEEEPiiNS8_4plusIiEEEE10hipError_tPvRmT1_T2_T3_mT4_P12ihipStream_tbEUlT_E0_NS1_11comp_targetILNS1_3genE10ELNS1_11target_archE1200ELNS1_3gpuE4ELNS1_3repE0EEENS1_30default_config_static_selectorELNS0_4arch9wavefront6targetE1EEEvSK_,comdat
.Lfunc_end339:
	.size	_ZN7rocprim17ROCPRIM_400000_NS6detail17trampoline_kernelINS0_14default_configENS1_22reduce_config_selectorIfEEZNS1_11reduce_implILb1ES3_N6thrust23THRUST_200600_302600_NS6detail15normal_iteratorINS8_10device_ptrIfEEEEPiiNS8_4plusIiEEEE10hipError_tPvRmT1_T2_T3_mT4_P12ihipStream_tbEUlT_E0_NS1_11comp_targetILNS1_3genE10ELNS1_11target_archE1200ELNS1_3gpuE4ELNS1_3repE0EEENS1_30default_config_static_selectorELNS0_4arch9wavefront6targetE1EEEvSK_, .Lfunc_end339-_ZN7rocprim17ROCPRIM_400000_NS6detail17trampoline_kernelINS0_14default_configENS1_22reduce_config_selectorIfEEZNS1_11reduce_implILb1ES3_N6thrust23THRUST_200600_302600_NS6detail15normal_iteratorINS8_10device_ptrIfEEEEPiiNS8_4plusIiEEEE10hipError_tPvRmT1_T2_T3_mT4_P12ihipStream_tbEUlT_E0_NS1_11comp_targetILNS1_3genE10ELNS1_11target_archE1200ELNS1_3gpuE4ELNS1_3repE0EEENS1_30default_config_static_selectorELNS0_4arch9wavefront6targetE1EEEvSK_
                                        ; -- End function
	.set _ZN7rocprim17ROCPRIM_400000_NS6detail17trampoline_kernelINS0_14default_configENS1_22reduce_config_selectorIfEEZNS1_11reduce_implILb1ES3_N6thrust23THRUST_200600_302600_NS6detail15normal_iteratorINS8_10device_ptrIfEEEEPiiNS8_4plusIiEEEE10hipError_tPvRmT1_T2_T3_mT4_P12ihipStream_tbEUlT_E0_NS1_11comp_targetILNS1_3genE10ELNS1_11target_archE1200ELNS1_3gpuE4ELNS1_3repE0EEENS1_30default_config_static_selectorELNS0_4arch9wavefront6targetE1EEEvSK_.num_vgpr, 0
	.set _ZN7rocprim17ROCPRIM_400000_NS6detail17trampoline_kernelINS0_14default_configENS1_22reduce_config_selectorIfEEZNS1_11reduce_implILb1ES3_N6thrust23THRUST_200600_302600_NS6detail15normal_iteratorINS8_10device_ptrIfEEEEPiiNS8_4plusIiEEEE10hipError_tPvRmT1_T2_T3_mT4_P12ihipStream_tbEUlT_E0_NS1_11comp_targetILNS1_3genE10ELNS1_11target_archE1200ELNS1_3gpuE4ELNS1_3repE0EEENS1_30default_config_static_selectorELNS0_4arch9wavefront6targetE1EEEvSK_.num_agpr, 0
	.set _ZN7rocprim17ROCPRIM_400000_NS6detail17trampoline_kernelINS0_14default_configENS1_22reduce_config_selectorIfEEZNS1_11reduce_implILb1ES3_N6thrust23THRUST_200600_302600_NS6detail15normal_iteratorINS8_10device_ptrIfEEEEPiiNS8_4plusIiEEEE10hipError_tPvRmT1_T2_T3_mT4_P12ihipStream_tbEUlT_E0_NS1_11comp_targetILNS1_3genE10ELNS1_11target_archE1200ELNS1_3gpuE4ELNS1_3repE0EEENS1_30default_config_static_selectorELNS0_4arch9wavefront6targetE1EEEvSK_.numbered_sgpr, 0
	.set _ZN7rocprim17ROCPRIM_400000_NS6detail17trampoline_kernelINS0_14default_configENS1_22reduce_config_selectorIfEEZNS1_11reduce_implILb1ES3_N6thrust23THRUST_200600_302600_NS6detail15normal_iteratorINS8_10device_ptrIfEEEEPiiNS8_4plusIiEEEE10hipError_tPvRmT1_T2_T3_mT4_P12ihipStream_tbEUlT_E0_NS1_11comp_targetILNS1_3genE10ELNS1_11target_archE1200ELNS1_3gpuE4ELNS1_3repE0EEENS1_30default_config_static_selectorELNS0_4arch9wavefront6targetE1EEEvSK_.num_named_barrier, 0
	.set _ZN7rocprim17ROCPRIM_400000_NS6detail17trampoline_kernelINS0_14default_configENS1_22reduce_config_selectorIfEEZNS1_11reduce_implILb1ES3_N6thrust23THRUST_200600_302600_NS6detail15normal_iteratorINS8_10device_ptrIfEEEEPiiNS8_4plusIiEEEE10hipError_tPvRmT1_T2_T3_mT4_P12ihipStream_tbEUlT_E0_NS1_11comp_targetILNS1_3genE10ELNS1_11target_archE1200ELNS1_3gpuE4ELNS1_3repE0EEENS1_30default_config_static_selectorELNS0_4arch9wavefront6targetE1EEEvSK_.private_seg_size, 0
	.set _ZN7rocprim17ROCPRIM_400000_NS6detail17trampoline_kernelINS0_14default_configENS1_22reduce_config_selectorIfEEZNS1_11reduce_implILb1ES3_N6thrust23THRUST_200600_302600_NS6detail15normal_iteratorINS8_10device_ptrIfEEEEPiiNS8_4plusIiEEEE10hipError_tPvRmT1_T2_T3_mT4_P12ihipStream_tbEUlT_E0_NS1_11comp_targetILNS1_3genE10ELNS1_11target_archE1200ELNS1_3gpuE4ELNS1_3repE0EEENS1_30default_config_static_selectorELNS0_4arch9wavefront6targetE1EEEvSK_.uses_vcc, 0
	.set _ZN7rocprim17ROCPRIM_400000_NS6detail17trampoline_kernelINS0_14default_configENS1_22reduce_config_selectorIfEEZNS1_11reduce_implILb1ES3_N6thrust23THRUST_200600_302600_NS6detail15normal_iteratorINS8_10device_ptrIfEEEEPiiNS8_4plusIiEEEE10hipError_tPvRmT1_T2_T3_mT4_P12ihipStream_tbEUlT_E0_NS1_11comp_targetILNS1_3genE10ELNS1_11target_archE1200ELNS1_3gpuE4ELNS1_3repE0EEENS1_30default_config_static_selectorELNS0_4arch9wavefront6targetE1EEEvSK_.uses_flat_scratch, 0
	.set _ZN7rocprim17ROCPRIM_400000_NS6detail17trampoline_kernelINS0_14default_configENS1_22reduce_config_selectorIfEEZNS1_11reduce_implILb1ES3_N6thrust23THRUST_200600_302600_NS6detail15normal_iteratorINS8_10device_ptrIfEEEEPiiNS8_4plusIiEEEE10hipError_tPvRmT1_T2_T3_mT4_P12ihipStream_tbEUlT_E0_NS1_11comp_targetILNS1_3genE10ELNS1_11target_archE1200ELNS1_3gpuE4ELNS1_3repE0EEENS1_30default_config_static_selectorELNS0_4arch9wavefront6targetE1EEEvSK_.has_dyn_sized_stack, 0
	.set _ZN7rocprim17ROCPRIM_400000_NS6detail17trampoline_kernelINS0_14default_configENS1_22reduce_config_selectorIfEEZNS1_11reduce_implILb1ES3_N6thrust23THRUST_200600_302600_NS6detail15normal_iteratorINS8_10device_ptrIfEEEEPiiNS8_4plusIiEEEE10hipError_tPvRmT1_T2_T3_mT4_P12ihipStream_tbEUlT_E0_NS1_11comp_targetILNS1_3genE10ELNS1_11target_archE1200ELNS1_3gpuE4ELNS1_3repE0EEENS1_30default_config_static_selectorELNS0_4arch9wavefront6targetE1EEEvSK_.has_recursion, 0
	.set _ZN7rocprim17ROCPRIM_400000_NS6detail17trampoline_kernelINS0_14default_configENS1_22reduce_config_selectorIfEEZNS1_11reduce_implILb1ES3_N6thrust23THRUST_200600_302600_NS6detail15normal_iteratorINS8_10device_ptrIfEEEEPiiNS8_4plusIiEEEE10hipError_tPvRmT1_T2_T3_mT4_P12ihipStream_tbEUlT_E0_NS1_11comp_targetILNS1_3genE10ELNS1_11target_archE1200ELNS1_3gpuE4ELNS1_3repE0EEENS1_30default_config_static_selectorELNS0_4arch9wavefront6targetE1EEEvSK_.has_indirect_call, 0
	.section	.AMDGPU.csdata,"",@progbits
; Kernel info:
; codeLenInByte = 0
; TotalNumSgprs: 6
; NumVgprs: 0
; NumAgprs: 0
; TotalNumVgprs: 0
; ScratchSize: 0
; MemoryBound: 0
; FloatMode: 240
; IeeeMode: 1
; LDSByteSize: 0 bytes/workgroup (compile time only)
; SGPRBlocks: 0
; VGPRBlocks: 0
; NumSGPRsForWavesPerEU: 6
; NumVGPRsForWavesPerEU: 1
; AccumOffset: 4
; Occupancy: 8
; WaveLimiterHint : 0
; COMPUTE_PGM_RSRC2:SCRATCH_EN: 0
; COMPUTE_PGM_RSRC2:USER_SGPR: 2
; COMPUTE_PGM_RSRC2:TRAP_HANDLER: 0
; COMPUTE_PGM_RSRC2:TGID_X_EN: 1
; COMPUTE_PGM_RSRC2:TGID_Y_EN: 0
; COMPUTE_PGM_RSRC2:TGID_Z_EN: 0
; COMPUTE_PGM_RSRC2:TIDIG_COMP_CNT: 0
; COMPUTE_PGM_RSRC3_GFX90A:ACCUM_OFFSET: 0
; COMPUTE_PGM_RSRC3_GFX90A:TG_SPLIT: 0
	.section	.text._ZN7rocprim17ROCPRIM_400000_NS6detail17trampoline_kernelINS0_14default_configENS1_22reduce_config_selectorIfEEZNS1_11reduce_implILb1ES3_N6thrust23THRUST_200600_302600_NS6detail15normal_iteratorINS8_10device_ptrIfEEEEPiiNS8_4plusIiEEEE10hipError_tPvRmT1_T2_T3_mT4_P12ihipStream_tbEUlT_E0_NS1_11comp_targetILNS1_3genE9ELNS1_11target_archE1100ELNS1_3gpuE3ELNS1_3repE0EEENS1_30default_config_static_selectorELNS0_4arch9wavefront6targetE1EEEvSK_,"axG",@progbits,_ZN7rocprim17ROCPRIM_400000_NS6detail17trampoline_kernelINS0_14default_configENS1_22reduce_config_selectorIfEEZNS1_11reduce_implILb1ES3_N6thrust23THRUST_200600_302600_NS6detail15normal_iteratorINS8_10device_ptrIfEEEEPiiNS8_4plusIiEEEE10hipError_tPvRmT1_T2_T3_mT4_P12ihipStream_tbEUlT_E0_NS1_11comp_targetILNS1_3genE9ELNS1_11target_archE1100ELNS1_3gpuE3ELNS1_3repE0EEENS1_30default_config_static_selectorELNS0_4arch9wavefront6targetE1EEEvSK_,comdat
	.protected	_ZN7rocprim17ROCPRIM_400000_NS6detail17trampoline_kernelINS0_14default_configENS1_22reduce_config_selectorIfEEZNS1_11reduce_implILb1ES3_N6thrust23THRUST_200600_302600_NS6detail15normal_iteratorINS8_10device_ptrIfEEEEPiiNS8_4plusIiEEEE10hipError_tPvRmT1_T2_T3_mT4_P12ihipStream_tbEUlT_E0_NS1_11comp_targetILNS1_3genE9ELNS1_11target_archE1100ELNS1_3gpuE3ELNS1_3repE0EEENS1_30default_config_static_selectorELNS0_4arch9wavefront6targetE1EEEvSK_ ; -- Begin function _ZN7rocprim17ROCPRIM_400000_NS6detail17trampoline_kernelINS0_14default_configENS1_22reduce_config_selectorIfEEZNS1_11reduce_implILb1ES3_N6thrust23THRUST_200600_302600_NS6detail15normal_iteratorINS8_10device_ptrIfEEEEPiiNS8_4plusIiEEEE10hipError_tPvRmT1_T2_T3_mT4_P12ihipStream_tbEUlT_E0_NS1_11comp_targetILNS1_3genE9ELNS1_11target_archE1100ELNS1_3gpuE3ELNS1_3repE0EEENS1_30default_config_static_selectorELNS0_4arch9wavefront6targetE1EEEvSK_
	.globl	_ZN7rocprim17ROCPRIM_400000_NS6detail17trampoline_kernelINS0_14default_configENS1_22reduce_config_selectorIfEEZNS1_11reduce_implILb1ES3_N6thrust23THRUST_200600_302600_NS6detail15normal_iteratorINS8_10device_ptrIfEEEEPiiNS8_4plusIiEEEE10hipError_tPvRmT1_T2_T3_mT4_P12ihipStream_tbEUlT_E0_NS1_11comp_targetILNS1_3genE9ELNS1_11target_archE1100ELNS1_3gpuE3ELNS1_3repE0EEENS1_30default_config_static_selectorELNS0_4arch9wavefront6targetE1EEEvSK_
	.p2align	8
	.type	_ZN7rocprim17ROCPRIM_400000_NS6detail17trampoline_kernelINS0_14default_configENS1_22reduce_config_selectorIfEEZNS1_11reduce_implILb1ES3_N6thrust23THRUST_200600_302600_NS6detail15normal_iteratorINS8_10device_ptrIfEEEEPiiNS8_4plusIiEEEE10hipError_tPvRmT1_T2_T3_mT4_P12ihipStream_tbEUlT_E0_NS1_11comp_targetILNS1_3genE9ELNS1_11target_archE1100ELNS1_3gpuE3ELNS1_3repE0EEENS1_30default_config_static_selectorELNS0_4arch9wavefront6targetE1EEEvSK_,@function
_ZN7rocprim17ROCPRIM_400000_NS6detail17trampoline_kernelINS0_14default_configENS1_22reduce_config_selectorIfEEZNS1_11reduce_implILb1ES3_N6thrust23THRUST_200600_302600_NS6detail15normal_iteratorINS8_10device_ptrIfEEEEPiiNS8_4plusIiEEEE10hipError_tPvRmT1_T2_T3_mT4_P12ihipStream_tbEUlT_E0_NS1_11comp_targetILNS1_3genE9ELNS1_11target_archE1100ELNS1_3gpuE3ELNS1_3repE0EEENS1_30default_config_static_selectorELNS0_4arch9wavefront6targetE1EEEvSK_: ; @_ZN7rocprim17ROCPRIM_400000_NS6detail17trampoline_kernelINS0_14default_configENS1_22reduce_config_selectorIfEEZNS1_11reduce_implILb1ES3_N6thrust23THRUST_200600_302600_NS6detail15normal_iteratorINS8_10device_ptrIfEEEEPiiNS8_4plusIiEEEE10hipError_tPvRmT1_T2_T3_mT4_P12ihipStream_tbEUlT_E0_NS1_11comp_targetILNS1_3genE9ELNS1_11target_archE1100ELNS1_3gpuE3ELNS1_3repE0EEENS1_30default_config_static_selectorELNS0_4arch9wavefront6targetE1EEEvSK_
; %bb.0:
	.section	.rodata,"a",@progbits
	.p2align	6, 0x0
	.amdhsa_kernel _ZN7rocprim17ROCPRIM_400000_NS6detail17trampoline_kernelINS0_14default_configENS1_22reduce_config_selectorIfEEZNS1_11reduce_implILb1ES3_N6thrust23THRUST_200600_302600_NS6detail15normal_iteratorINS8_10device_ptrIfEEEEPiiNS8_4plusIiEEEE10hipError_tPvRmT1_T2_T3_mT4_P12ihipStream_tbEUlT_E0_NS1_11comp_targetILNS1_3genE9ELNS1_11target_archE1100ELNS1_3gpuE3ELNS1_3repE0EEENS1_30default_config_static_selectorELNS0_4arch9wavefront6targetE1EEEvSK_
		.amdhsa_group_segment_fixed_size 0
		.amdhsa_private_segment_fixed_size 0
		.amdhsa_kernarg_size 56
		.amdhsa_user_sgpr_count 2
		.amdhsa_user_sgpr_dispatch_ptr 0
		.amdhsa_user_sgpr_queue_ptr 0
		.amdhsa_user_sgpr_kernarg_segment_ptr 1
		.amdhsa_user_sgpr_dispatch_id 0
		.amdhsa_user_sgpr_kernarg_preload_length 0
		.amdhsa_user_sgpr_kernarg_preload_offset 0
		.amdhsa_user_sgpr_private_segment_size 0
		.amdhsa_uses_dynamic_stack 0
		.amdhsa_enable_private_segment 0
		.amdhsa_system_sgpr_workgroup_id_x 1
		.amdhsa_system_sgpr_workgroup_id_y 0
		.amdhsa_system_sgpr_workgroup_id_z 0
		.amdhsa_system_sgpr_workgroup_info 0
		.amdhsa_system_vgpr_workitem_id 0
		.amdhsa_next_free_vgpr 1
		.amdhsa_next_free_sgpr 0
		.amdhsa_accum_offset 4
		.amdhsa_reserve_vcc 0
		.amdhsa_float_round_mode_32 0
		.amdhsa_float_round_mode_16_64 0
		.amdhsa_float_denorm_mode_32 3
		.amdhsa_float_denorm_mode_16_64 3
		.amdhsa_dx10_clamp 1
		.amdhsa_ieee_mode 1
		.amdhsa_fp16_overflow 0
		.amdhsa_tg_split 0
		.amdhsa_exception_fp_ieee_invalid_op 0
		.amdhsa_exception_fp_denorm_src 0
		.amdhsa_exception_fp_ieee_div_zero 0
		.amdhsa_exception_fp_ieee_overflow 0
		.amdhsa_exception_fp_ieee_underflow 0
		.amdhsa_exception_fp_ieee_inexact 0
		.amdhsa_exception_int_div_zero 0
	.end_amdhsa_kernel
	.section	.text._ZN7rocprim17ROCPRIM_400000_NS6detail17trampoline_kernelINS0_14default_configENS1_22reduce_config_selectorIfEEZNS1_11reduce_implILb1ES3_N6thrust23THRUST_200600_302600_NS6detail15normal_iteratorINS8_10device_ptrIfEEEEPiiNS8_4plusIiEEEE10hipError_tPvRmT1_T2_T3_mT4_P12ihipStream_tbEUlT_E0_NS1_11comp_targetILNS1_3genE9ELNS1_11target_archE1100ELNS1_3gpuE3ELNS1_3repE0EEENS1_30default_config_static_selectorELNS0_4arch9wavefront6targetE1EEEvSK_,"axG",@progbits,_ZN7rocprim17ROCPRIM_400000_NS6detail17trampoline_kernelINS0_14default_configENS1_22reduce_config_selectorIfEEZNS1_11reduce_implILb1ES3_N6thrust23THRUST_200600_302600_NS6detail15normal_iteratorINS8_10device_ptrIfEEEEPiiNS8_4plusIiEEEE10hipError_tPvRmT1_T2_T3_mT4_P12ihipStream_tbEUlT_E0_NS1_11comp_targetILNS1_3genE9ELNS1_11target_archE1100ELNS1_3gpuE3ELNS1_3repE0EEENS1_30default_config_static_selectorELNS0_4arch9wavefront6targetE1EEEvSK_,comdat
.Lfunc_end340:
	.size	_ZN7rocprim17ROCPRIM_400000_NS6detail17trampoline_kernelINS0_14default_configENS1_22reduce_config_selectorIfEEZNS1_11reduce_implILb1ES3_N6thrust23THRUST_200600_302600_NS6detail15normal_iteratorINS8_10device_ptrIfEEEEPiiNS8_4plusIiEEEE10hipError_tPvRmT1_T2_T3_mT4_P12ihipStream_tbEUlT_E0_NS1_11comp_targetILNS1_3genE9ELNS1_11target_archE1100ELNS1_3gpuE3ELNS1_3repE0EEENS1_30default_config_static_selectorELNS0_4arch9wavefront6targetE1EEEvSK_, .Lfunc_end340-_ZN7rocprim17ROCPRIM_400000_NS6detail17trampoline_kernelINS0_14default_configENS1_22reduce_config_selectorIfEEZNS1_11reduce_implILb1ES3_N6thrust23THRUST_200600_302600_NS6detail15normal_iteratorINS8_10device_ptrIfEEEEPiiNS8_4plusIiEEEE10hipError_tPvRmT1_T2_T3_mT4_P12ihipStream_tbEUlT_E0_NS1_11comp_targetILNS1_3genE9ELNS1_11target_archE1100ELNS1_3gpuE3ELNS1_3repE0EEENS1_30default_config_static_selectorELNS0_4arch9wavefront6targetE1EEEvSK_
                                        ; -- End function
	.set _ZN7rocprim17ROCPRIM_400000_NS6detail17trampoline_kernelINS0_14default_configENS1_22reduce_config_selectorIfEEZNS1_11reduce_implILb1ES3_N6thrust23THRUST_200600_302600_NS6detail15normal_iteratorINS8_10device_ptrIfEEEEPiiNS8_4plusIiEEEE10hipError_tPvRmT1_T2_T3_mT4_P12ihipStream_tbEUlT_E0_NS1_11comp_targetILNS1_3genE9ELNS1_11target_archE1100ELNS1_3gpuE3ELNS1_3repE0EEENS1_30default_config_static_selectorELNS0_4arch9wavefront6targetE1EEEvSK_.num_vgpr, 0
	.set _ZN7rocprim17ROCPRIM_400000_NS6detail17trampoline_kernelINS0_14default_configENS1_22reduce_config_selectorIfEEZNS1_11reduce_implILb1ES3_N6thrust23THRUST_200600_302600_NS6detail15normal_iteratorINS8_10device_ptrIfEEEEPiiNS8_4plusIiEEEE10hipError_tPvRmT1_T2_T3_mT4_P12ihipStream_tbEUlT_E0_NS1_11comp_targetILNS1_3genE9ELNS1_11target_archE1100ELNS1_3gpuE3ELNS1_3repE0EEENS1_30default_config_static_selectorELNS0_4arch9wavefront6targetE1EEEvSK_.num_agpr, 0
	.set _ZN7rocprim17ROCPRIM_400000_NS6detail17trampoline_kernelINS0_14default_configENS1_22reduce_config_selectorIfEEZNS1_11reduce_implILb1ES3_N6thrust23THRUST_200600_302600_NS6detail15normal_iteratorINS8_10device_ptrIfEEEEPiiNS8_4plusIiEEEE10hipError_tPvRmT1_T2_T3_mT4_P12ihipStream_tbEUlT_E0_NS1_11comp_targetILNS1_3genE9ELNS1_11target_archE1100ELNS1_3gpuE3ELNS1_3repE0EEENS1_30default_config_static_selectorELNS0_4arch9wavefront6targetE1EEEvSK_.numbered_sgpr, 0
	.set _ZN7rocprim17ROCPRIM_400000_NS6detail17trampoline_kernelINS0_14default_configENS1_22reduce_config_selectorIfEEZNS1_11reduce_implILb1ES3_N6thrust23THRUST_200600_302600_NS6detail15normal_iteratorINS8_10device_ptrIfEEEEPiiNS8_4plusIiEEEE10hipError_tPvRmT1_T2_T3_mT4_P12ihipStream_tbEUlT_E0_NS1_11comp_targetILNS1_3genE9ELNS1_11target_archE1100ELNS1_3gpuE3ELNS1_3repE0EEENS1_30default_config_static_selectorELNS0_4arch9wavefront6targetE1EEEvSK_.num_named_barrier, 0
	.set _ZN7rocprim17ROCPRIM_400000_NS6detail17trampoline_kernelINS0_14default_configENS1_22reduce_config_selectorIfEEZNS1_11reduce_implILb1ES3_N6thrust23THRUST_200600_302600_NS6detail15normal_iteratorINS8_10device_ptrIfEEEEPiiNS8_4plusIiEEEE10hipError_tPvRmT1_T2_T3_mT4_P12ihipStream_tbEUlT_E0_NS1_11comp_targetILNS1_3genE9ELNS1_11target_archE1100ELNS1_3gpuE3ELNS1_3repE0EEENS1_30default_config_static_selectorELNS0_4arch9wavefront6targetE1EEEvSK_.private_seg_size, 0
	.set _ZN7rocprim17ROCPRIM_400000_NS6detail17trampoline_kernelINS0_14default_configENS1_22reduce_config_selectorIfEEZNS1_11reduce_implILb1ES3_N6thrust23THRUST_200600_302600_NS6detail15normal_iteratorINS8_10device_ptrIfEEEEPiiNS8_4plusIiEEEE10hipError_tPvRmT1_T2_T3_mT4_P12ihipStream_tbEUlT_E0_NS1_11comp_targetILNS1_3genE9ELNS1_11target_archE1100ELNS1_3gpuE3ELNS1_3repE0EEENS1_30default_config_static_selectorELNS0_4arch9wavefront6targetE1EEEvSK_.uses_vcc, 0
	.set _ZN7rocprim17ROCPRIM_400000_NS6detail17trampoline_kernelINS0_14default_configENS1_22reduce_config_selectorIfEEZNS1_11reduce_implILb1ES3_N6thrust23THRUST_200600_302600_NS6detail15normal_iteratorINS8_10device_ptrIfEEEEPiiNS8_4plusIiEEEE10hipError_tPvRmT1_T2_T3_mT4_P12ihipStream_tbEUlT_E0_NS1_11comp_targetILNS1_3genE9ELNS1_11target_archE1100ELNS1_3gpuE3ELNS1_3repE0EEENS1_30default_config_static_selectorELNS0_4arch9wavefront6targetE1EEEvSK_.uses_flat_scratch, 0
	.set _ZN7rocprim17ROCPRIM_400000_NS6detail17trampoline_kernelINS0_14default_configENS1_22reduce_config_selectorIfEEZNS1_11reduce_implILb1ES3_N6thrust23THRUST_200600_302600_NS6detail15normal_iteratorINS8_10device_ptrIfEEEEPiiNS8_4plusIiEEEE10hipError_tPvRmT1_T2_T3_mT4_P12ihipStream_tbEUlT_E0_NS1_11comp_targetILNS1_3genE9ELNS1_11target_archE1100ELNS1_3gpuE3ELNS1_3repE0EEENS1_30default_config_static_selectorELNS0_4arch9wavefront6targetE1EEEvSK_.has_dyn_sized_stack, 0
	.set _ZN7rocprim17ROCPRIM_400000_NS6detail17trampoline_kernelINS0_14default_configENS1_22reduce_config_selectorIfEEZNS1_11reduce_implILb1ES3_N6thrust23THRUST_200600_302600_NS6detail15normal_iteratorINS8_10device_ptrIfEEEEPiiNS8_4plusIiEEEE10hipError_tPvRmT1_T2_T3_mT4_P12ihipStream_tbEUlT_E0_NS1_11comp_targetILNS1_3genE9ELNS1_11target_archE1100ELNS1_3gpuE3ELNS1_3repE0EEENS1_30default_config_static_selectorELNS0_4arch9wavefront6targetE1EEEvSK_.has_recursion, 0
	.set _ZN7rocprim17ROCPRIM_400000_NS6detail17trampoline_kernelINS0_14default_configENS1_22reduce_config_selectorIfEEZNS1_11reduce_implILb1ES3_N6thrust23THRUST_200600_302600_NS6detail15normal_iteratorINS8_10device_ptrIfEEEEPiiNS8_4plusIiEEEE10hipError_tPvRmT1_T2_T3_mT4_P12ihipStream_tbEUlT_E0_NS1_11comp_targetILNS1_3genE9ELNS1_11target_archE1100ELNS1_3gpuE3ELNS1_3repE0EEENS1_30default_config_static_selectorELNS0_4arch9wavefront6targetE1EEEvSK_.has_indirect_call, 0
	.section	.AMDGPU.csdata,"",@progbits
; Kernel info:
; codeLenInByte = 0
; TotalNumSgprs: 6
; NumVgprs: 0
; NumAgprs: 0
; TotalNumVgprs: 0
; ScratchSize: 0
; MemoryBound: 0
; FloatMode: 240
; IeeeMode: 1
; LDSByteSize: 0 bytes/workgroup (compile time only)
; SGPRBlocks: 0
; VGPRBlocks: 0
; NumSGPRsForWavesPerEU: 6
; NumVGPRsForWavesPerEU: 1
; AccumOffset: 4
; Occupancy: 8
; WaveLimiterHint : 0
; COMPUTE_PGM_RSRC2:SCRATCH_EN: 0
; COMPUTE_PGM_RSRC2:USER_SGPR: 2
; COMPUTE_PGM_RSRC2:TRAP_HANDLER: 0
; COMPUTE_PGM_RSRC2:TGID_X_EN: 1
; COMPUTE_PGM_RSRC2:TGID_Y_EN: 0
; COMPUTE_PGM_RSRC2:TGID_Z_EN: 0
; COMPUTE_PGM_RSRC2:TIDIG_COMP_CNT: 0
; COMPUTE_PGM_RSRC3_GFX90A:ACCUM_OFFSET: 0
; COMPUTE_PGM_RSRC3_GFX90A:TG_SPLIT: 0
	.section	.text._ZN7rocprim17ROCPRIM_400000_NS6detail17trampoline_kernelINS0_14default_configENS1_22reduce_config_selectorIfEEZNS1_11reduce_implILb1ES3_N6thrust23THRUST_200600_302600_NS6detail15normal_iteratorINS8_10device_ptrIfEEEEPiiNS8_4plusIiEEEE10hipError_tPvRmT1_T2_T3_mT4_P12ihipStream_tbEUlT_E0_NS1_11comp_targetILNS1_3genE8ELNS1_11target_archE1030ELNS1_3gpuE2ELNS1_3repE0EEENS1_30default_config_static_selectorELNS0_4arch9wavefront6targetE1EEEvSK_,"axG",@progbits,_ZN7rocprim17ROCPRIM_400000_NS6detail17trampoline_kernelINS0_14default_configENS1_22reduce_config_selectorIfEEZNS1_11reduce_implILb1ES3_N6thrust23THRUST_200600_302600_NS6detail15normal_iteratorINS8_10device_ptrIfEEEEPiiNS8_4plusIiEEEE10hipError_tPvRmT1_T2_T3_mT4_P12ihipStream_tbEUlT_E0_NS1_11comp_targetILNS1_3genE8ELNS1_11target_archE1030ELNS1_3gpuE2ELNS1_3repE0EEENS1_30default_config_static_selectorELNS0_4arch9wavefront6targetE1EEEvSK_,comdat
	.protected	_ZN7rocprim17ROCPRIM_400000_NS6detail17trampoline_kernelINS0_14default_configENS1_22reduce_config_selectorIfEEZNS1_11reduce_implILb1ES3_N6thrust23THRUST_200600_302600_NS6detail15normal_iteratorINS8_10device_ptrIfEEEEPiiNS8_4plusIiEEEE10hipError_tPvRmT1_T2_T3_mT4_P12ihipStream_tbEUlT_E0_NS1_11comp_targetILNS1_3genE8ELNS1_11target_archE1030ELNS1_3gpuE2ELNS1_3repE0EEENS1_30default_config_static_selectorELNS0_4arch9wavefront6targetE1EEEvSK_ ; -- Begin function _ZN7rocprim17ROCPRIM_400000_NS6detail17trampoline_kernelINS0_14default_configENS1_22reduce_config_selectorIfEEZNS1_11reduce_implILb1ES3_N6thrust23THRUST_200600_302600_NS6detail15normal_iteratorINS8_10device_ptrIfEEEEPiiNS8_4plusIiEEEE10hipError_tPvRmT1_T2_T3_mT4_P12ihipStream_tbEUlT_E0_NS1_11comp_targetILNS1_3genE8ELNS1_11target_archE1030ELNS1_3gpuE2ELNS1_3repE0EEENS1_30default_config_static_selectorELNS0_4arch9wavefront6targetE1EEEvSK_
	.globl	_ZN7rocprim17ROCPRIM_400000_NS6detail17trampoline_kernelINS0_14default_configENS1_22reduce_config_selectorIfEEZNS1_11reduce_implILb1ES3_N6thrust23THRUST_200600_302600_NS6detail15normal_iteratorINS8_10device_ptrIfEEEEPiiNS8_4plusIiEEEE10hipError_tPvRmT1_T2_T3_mT4_P12ihipStream_tbEUlT_E0_NS1_11comp_targetILNS1_3genE8ELNS1_11target_archE1030ELNS1_3gpuE2ELNS1_3repE0EEENS1_30default_config_static_selectorELNS0_4arch9wavefront6targetE1EEEvSK_
	.p2align	8
	.type	_ZN7rocprim17ROCPRIM_400000_NS6detail17trampoline_kernelINS0_14default_configENS1_22reduce_config_selectorIfEEZNS1_11reduce_implILb1ES3_N6thrust23THRUST_200600_302600_NS6detail15normal_iteratorINS8_10device_ptrIfEEEEPiiNS8_4plusIiEEEE10hipError_tPvRmT1_T2_T3_mT4_P12ihipStream_tbEUlT_E0_NS1_11comp_targetILNS1_3genE8ELNS1_11target_archE1030ELNS1_3gpuE2ELNS1_3repE0EEENS1_30default_config_static_selectorELNS0_4arch9wavefront6targetE1EEEvSK_,@function
_ZN7rocprim17ROCPRIM_400000_NS6detail17trampoline_kernelINS0_14default_configENS1_22reduce_config_selectorIfEEZNS1_11reduce_implILb1ES3_N6thrust23THRUST_200600_302600_NS6detail15normal_iteratorINS8_10device_ptrIfEEEEPiiNS8_4plusIiEEEE10hipError_tPvRmT1_T2_T3_mT4_P12ihipStream_tbEUlT_E0_NS1_11comp_targetILNS1_3genE8ELNS1_11target_archE1030ELNS1_3gpuE2ELNS1_3repE0EEENS1_30default_config_static_selectorELNS0_4arch9wavefront6targetE1EEEvSK_: ; @_ZN7rocprim17ROCPRIM_400000_NS6detail17trampoline_kernelINS0_14default_configENS1_22reduce_config_selectorIfEEZNS1_11reduce_implILb1ES3_N6thrust23THRUST_200600_302600_NS6detail15normal_iteratorINS8_10device_ptrIfEEEEPiiNS8_4plusIiEEEE10hipError_tPvRmT1_T2_T3_mT4_P12ihipStream_tbEUlT_E0_NS1_11comp_targetILNS1_3genE8ELNS1_11target_archE1030ELNS1_3gpuE2ELNS1_3repE0EEENS1_30default_config_static_selectorELNS0_4arch9wavefront6targetE1EEEvSK_
; %bb.0:
	.section	.rodata,"a",@progbits
	.p2align	6, 0x0
	.amdhsa_kernel _ZN7rocprim17ROCPRIM_400000_NS6detail17trampoline_kernelINS0_14default_configENS1_22reduce_config_selectorIfEEZNS1_11reduce_implILb1ES3_N6thrust23THRUST_200600_302600_NS6detail15normal_iteratorINS8_10device_ptrIfEEEEPiiNS8_4plusIiEEEE10hipError_tPvRmT1_T2_T3_mT4_P12ihipStream_tbEUlT_E0_NS1_11comp_targetILNS1_3genE8ELNS1_11target_archE1030ELNS1_3gpuE2ELNS1_3repE0EEENS1_30default_config_static_selectorELNS0_4arch9wavefront6targetE1EEEvSK_
		.amdhsa_group_segment_fixed_size 0
		.amdhsa_private_segment_fixed_size 0
		.amdhsa_kernarg_size 56
		.amdhsa_user_sgpr_count 2
		.amdhsa_user_sgpr_dispatch_ptr 0
		.amdhsa_user_sgpr_queue_ptr 0
		.amdhsa_user_sgpr_kernarg_segment_ptr 1
		.amdhsa_user_sgpr_dispatch_id 0
		.amdhsa_user_sgpr_kernarg_preload_length 0
		.amdhsa_user_sgpr_kernarg_preload_offset 0
		.amdhsa_user_sgpr_private_segment_size 0
		.amdhsa_uses_dynamic_stack 0
		.amdhsa_enable_private_segment 0
		.amdhsa_system_sgpr_workgroup_id_x 1
		.amdhsa_system_sgpr_workgroup_id_y 0
		.amdhsa_system_sgpr_workgroup_id_z 0
		.amdhsa_system_sgpr_workgroup_info 0
		.amdhsa_system_vgpr_workitem_id 0
		.amdhsa_next_free_vgpr 1
		.amdhsa_next_free_sgpr 0
		.amdhsa_accum_offset 4
		.amdhsa_reserve_vcc 0
		.amdhsa_float_round_mode_32 0
		.amdhsa_float_round_mode_16_64 0
		.amdhsa_float_denorm_mode_32 3
		.amdhsa_float_denorm_mode_16_64 3
		.amdhsa_dx10_clamp 1
		.amdhsa_ieee_mode 1
		.amdhsa_fp16_overflow 0
		.amdhsa_tg_split 0
		.amdhsa_exception_fp_ieee_invalid_op 0
		.amdhsa_exception_fp_denorm_src 0
		.amdhsa_exception_fp_ieee_div_zero 0
		.amdhsa_exception_fp_ieee_overflow 0
		.amdhsa_exception_fp_ieee_underflow 0
		.amdhsa_exception_fp_ieee_inexact 0
		.amdhsa_exception_int_div_zero 0
	.end_amdhsa_kernel
	.section	.text._ZN7rocprim17ROCPRIM_400000_NS6detail17trampoline_kernelINS0_14default_configENS1_22reduce_config_selectorIfEEZNS1_11reduce_implILb1ES3_N6thrust23THRUST_200600_302600_NS6detail15normal_iteratorINS8_10device_ptrIfEEEEPiiNS8_4plusIiEEEE10hipError_tPvRmT1_T2_T3_mT4_P12ihipStream_tbEUlT_E0_NS1_11comp_targetILNS1_3genE8ELNS1_11target_archE1030ELNS1_3gpuE2ELNS1_3repE0EEENS1_30default_config_static_selectorELNS0_4arch9wavefront6targetE1EEEvSK_,"axG",@progbits,_ZN7rocprim17ROCPRIM_400000_NS6detail17trampoline_kernelINS0_14default_configENS1_22reduce_config_selectorIfEEZNS1_11reduce_implILb1ES3_N6thrust23THRUST_200600_302600_NS6detail15normal_iteratorINS8_10device_ptrIfEEEEPiiNS8_4plusIiEEEE10hipError_tPvRmT1_T2_T3_mT4_P12ihipStream_tbEUlT_E0_NS1_11comp_targetILNS1_3genE8ELNS1_11target_archE1030ELNS1_3gpuE2ELNS1_3repE0EEENS1_30default_config_static_selectorELNS0_4arch9wavefront6targetE1EEEvSK_,comdat
.Lfunc_end341:
	.size	_ZN7rocprim17ROCPRIM_400000_NS6detail17trampoline_kernelINS0_14default_configENS1_22reduce_config_selectorIfEEZNS1_11reduce_implILb1ES3_N6thrust23THRUST_200600_302600_NS6detail15normal_iteratorINS8_10device_ptrIfEEEEPiiNS8_4plusIiEEEE10hipError_tPvRmT1_T2_T3_mT4_P12ihipStream_tbEUlT_E0_NS1_11comp_targetILNS1_3genE8ELNS1_11target_archE1030ELNS1_3gpuE2ELNS1_3repE0EEENS1_30default_config_static_selectorELNS0_4arch9wavefront6targetE1EEEvSK_, .Lfunc_end341-_ZN7rocprim17ROCPRIM_400000_NS6detail17trampoline_kernelINS0_14default_configENS1_22reduce_config_selectorIfEEZNS1_11reduce_implILb1ES3_N6thrust23THRUST_200600_302600_NS6detail15normal_iteratorINS8_10device_ptrIfEEEEPiiNS8_4plusIiEEEE10hipError_tPvRmT1_T2_T3_mT4_P12ihipStream_tbEUlT_E0_NS1_11comp_targetILNS1_3genE8ELNS1_11target_archE1030ELNS1_3gpuE2ELNS1_3repE0EEENS1_30default_config_static_selectorELNS0_4arch9wavefront6targetE1EEEvSK_
                                        ; -- End function
	.set _ZN7rocprim17ROCPRIM_400000_NS6detail17trampoline_kernelINS0_14default_configENS1_22reduce_config_selectorIfEEZNS1_11reduce_implILb1ES3_N6thrust23THRUST_200600_302600_NS6detail15normal_iteratorINS8_10device_ptrIfEEEEPiiNS8_4plusIiEEEE10hipError_tPvRmT1_T2_T3_mT4_P12ihipStream_tbEUlT_E0_NS1_11comp_targetILNS1_3genE8ELNS1_11target_archE1030ELNS1_3gpuE2ELNS1_3repE0EEENS1_30default_config_static_selectorELNS0_4arch9wavefront6targetE1EEEvSK_.num_vgpr, 0
	.set _ZN7rocprim17ROCPRIM_400000_NS6detail17trampoline_kernelINS0_14default_configENS1_22reduce_config_selectorIfEEZNS1_11reduce_implILb1ES3_N6thrust23THRUST_200600_302600_NS6detail15normal_iteratorINS8_10device_ptrIfEEEEPiiNS8_4plusIiEEEE10hipError_tPvRmT1_T2_T3_mT4_P12ihipStream_tbEUlT_E0_NS1_11comp_targetILNS1_3genE8ELNS1_11target_archE1030ELNS1_3gpuE2ELNS1_3repE0EEENS1_30default_config_static_selectorELNS0_4arch9wavefront6targetE1EEEvSK_.num_agpr, 0
	.set _ZN7rocprim17ROCPRIM_400000_NS6detail17trampoline_kernelINS0_14default_configENS1_22reduce_config_selectorIfEEZNS1_11reduce_implILb1ES3_N6thrust23THRUST_200600_302600_NS6detail15normal_iteratorINS8_10device_ptrIfEEEEPiiNS8_4plusIiEEEE10hipError_tPvRmT1_T2_T3_mT4_P12ihipStream_tbEUlT_E0_NS1_11comp_targetILNS1_3genE8ELNS1_11target_archE1030ELNS1_3gpuE2ELNS1_3repE0EEENS1_30default_config_static_selectorELNS0_4arch9wavefront6targetE1EEEvSK_.numbered_sgpr, 0
	.set _ZN7rocprim17ROCPRIM_400000_NS6detail17trampoline_kernelINS0_14default_configENS1_22reduce_config_selectorIfEEZNS1_11reduce_implILb1ES3_N6thrust23THRUST_200600_302600_NS6detail15normal_iteratorINS8_10device_ptrIfEEEEPiiNS8_4plusIiEEEE10hipError_tPvRmT1_T2_T3_mT4_P12ihipStream_tbEUlT_E0_NS1_11comp_targetILNS1_3genE8ELNS1_11target_archE1030ELNS1_3gpuE2ELNS1_3repE0EEENS1_30default_config_static_selectorELNS0_4arch9wavefront6targetE1EEEvSK_.num_named_barrier, 0
	.set _ZN7rocprim17ROCPRIM_400000_NS6detail17trampoline_kernelINS0_14default_configENS1_22reduce_config_selectorIfEEZNS1_11reduce_implILb1ES3_N6thrust23THRUST_200600_302600_NS6detail15normal_iteratorINS8_10device_ptrIfEEEEPiiNS8_4plusIiEEEE10hipError_tPvRmT1_T2_T3_mT4_P12ihipStream_tbEUlT_E0_NS1_11comp_targetILNS1_3genE8ELNS1_11target_archE1030ELNS1_3gpuE2ELNS1_3repE0EEENS1_30default_config_static_selectorELNS0_4arch9wavefront6targetE1EEEvSK_.private_seg_size, 0
	.set _ZN7rocprim17ROCPRIM_400000_NS6detail17trampoline_kernelINS0_14default_configENS1_22reduce_config_selectorIfEEZNS1_11reduce_implILb1ES3_N6thrust23THRUST_200600_302600_NS6detail15normal_iteratorINS8_10device_ptrIfEEEEPiiNS8_4plusIiEEEE10hipError_tPvRmT1_T2_T3_mT4_P12ihipStream_tbEUlT_E0_NS1_11comp_targetILNS1_3genE8ELNS1_11target_archE1030ELNS1_3gpuE2ELNS1_3repE0EEENS1_30default_config_static_selectorELNS0_4arch9wavefront6targetE1EEEvSK_.uses_vcc, 0
	.set _ZN7rocprim17ROCPRIM_400000_NS6detail17trampoline_kernelINS0_14default_configENS1_22reduce_config_selectorIfEEZNS1_11reduce_implILb1ES3_N6thrust23THRUST_200600_302600_NS6detail15normal_iteratorINS8_10device_ptrIfEEEEPiiNS8_4plusIiEEEE10hipError_tPvRmT1_T2_T3_mT4_P12ihipStream_tbEUlT_E0_NS1_11comp_targetILNS1_3genE8ELNS1_11target_archE1030ELNS1_3gpuE2ELNS1_3repE0EEENS1_30default_config_static_selectorELNS0_4arch9wavefront6targetE1EEEvSK_.uses_flat_scratch, 0
	.set _ZN7rocprim17ROCPRIM_400000_NS6detail17trampoline_kernelINS0_14default_configENS1_22reduce_config_selectorIfEEZNS1_11reduce_implILb1ES3_N6thrust23THRUST_200600_302600_NS6detail15normal_iteratorINS8_10device_ptrIfEEEEPiiNS8_4plusIiEEEE10hipError_tPvRmT1_T2_T3_mT4_P12ihipStream_tbEUlT_E0_NS1_11comp_targetILNS1_3genE8ELNS1_11target_archE1030ELNS1_3gpuE2ELNS1_3repE0EEENS1_30default_config_static_selectorELNS0_4arch9wavefront6targetE1EEEvSK_.has_dyn_sized_stack, 0
	.set _ZN7rocprim17ROCPRIM_400000_NS6detail17trampoline_kernelINS0_14default_configENS1_22reduce_config_selectorIfEEZNS1_11reduce_implILb1ES3_N6thrust23THRUST_200600_302600_NS6detail15normal_iteratorINS8_10device_ptrIfEEEEPiiNS8_4plusIiEEEE10hipError_tPvRmT1_T2_T3_mT4_P12ihipStream_tbEUlT_E0_NS1_11comp_targetILNS1_3genE8ELNS1_11target_archE1030ELNS1_3gpuE2ELNS1_3repE0EEENS1_30default_config_static_selectorELNS0_4arch9wavefront6targetE1EEEvSK_.has_recursion, 0
	.set _ZN7rocprim17ROCPRIM_400000_NS6detail17trampoline_kernelINS0_14default_configENS1_22reduce_config_selectorIfEEZNS1_11reduce_implILb1ES3_N6thrust23THRUST_200600_302600_NS6detail15normal_iteratorINS8_10device_ptrIfEEEEPiiNS8_4plusIiEEEE10hipError_tPvRmT1_T2_T3_mT4_P12ihipStream_tbEUlT_E0_NS1_11comp_targetILNS1_3genE8ELNS1_11target_archE1030ELNS1_3gpuE2ELNS1_3repE0EEENS1_30default_config_static_selectorELNS0_4arch9wavefront6targetE1EEEvSK_.has_indirect_call, 0
	.section	.AMDGPU.csdata,"",@progbits
; Kernel info:
; codeLenInByte = 0
; TotalNumSgprs: 6
; NumVgprs: 0
; NumAgprs: 0
; TotalNumVgprs: 0
; ScratchSize: 0
; MemoryBound: 0
; FloatMode: 240
; IeeeMode: 1
; LDSByteSize: 0 bytes/workgroup (compile time only)
; SGPRBlocks: 0
; VGPRBlocks: 0
; NumSGPRsForWavesPerEU: 6
; NumVGPRsForWavesPerEU: 1
; AccumOffset: 4
; Occupancy: 8
; WaveLimiterHint : 0
; COMPUTE_PGM_RSRC2:SCRATCH_EN: 0
; COMPUTE_PGM_RSRC2:USER_SGPR: 2
; COMPUTE_PGM_RSRC2:TRAP_HANDLER: 0
; COMPUTE_PGM_RSRC2:TGID_X_EN: 1
; COMPUTE_PGM_RSRC2:TGID_Y_EN: 0
; COMPUTE_PGM_RSRC2:TGID_Z_EN: 0
; COMPUTE_PGM_RSRC2:TIDIG_COMP_CNT: 0
; COMPUTE_PGM_RSRC3_GFX90A:ACCUM_OFFSET: 0
; COMPUTE_PGM_RSRC3_GFX90A:TG_SPLIT: 0
	.section	.text._ZN7rocprim17ROCPRIM_400000_NS6detail17trampoline_kernelINS0_14default_configENS1_22reduce_config_selectorIfEEZNS1_11reduce_implILb1ES3_N6thrust23THRUST_200600_302600_NS6detail15normal_iteratorINS8_10device_ptrIfEEEEPiiNS8_4plusIiEEEE10hipError_tPvRmT1_T2_T3_mT4_P12ihipStream_tbEUlT_E1_NS1_11comp_targetILNS1_3genE0ELNS1_11target_archE4294967295ELNS1_3gpuE0ELNS1_3repE0EEENS1_30default_config_static_selectorELNS0_4arch9wavefront6targetE1EEEvSK_,"axG",@progbits,_ZN7rocprim17ROCPRIM_400000_NS6detail17trampoline_kernelINS0_14default_configENS1_22reduce_config_selectorIfEEZNS1_11reduce_implILb1ES3_N6thrust23THRUST_200600_302600_NS6detail15normal_iteratorINS8_10device_ptrIfEEEEPiiNS8_4plusIiEEEE10hipError_tPvRmT1_T2_T3_mT4_P12ihipStream_tbEUlT_E1_NS1_11comp_targetILNS1_3genE0ELNS1_11target_archE4294967295ELNS1_3gpuE0ELNS1_3repE0EEENS1_30default_config_static_selectorELNS0_4arch9wavefront6targetE1EEEvSK_,comdat
	.protected	_ZN7rocprim17ROCPRIM_400000_NS6detail17trampoline_kernelINS0_14default_configENS1_22reduce_config_selectorIfEEZNS1_11reduce_implILb1ES3_N6thrust23THRUST_200600_302600_NS6detail15normal_iteratorINS8_10device_ptrIfEEEEPiiNS8_4plusIiEEEE10hipError_tPvRmT1_T2_T3_mT4_P12ihipStream_tbEUlT_E1_NS1_11comp_targetILNS1_3genE0ELNS1_11target_archE4294967295ELNS1_3gpuE0ELNS1_3repE0EEENS1_30default_config_static_selectorELNS0_4arch9wavefront6targetE1EEEvSK_ ; -- Begin function _ZN7rocprim17ROCPRIM_400000_NS6detail17trampoline_kernelINS0_14default_configENS1_22reduce_config_selectorIfEEZNS1_11reduce_implILb1ES3_N6thrust23THRUST_200600_302600_NS6detail15normal_iteratorINS8_10device_ptrIfEEEEPiiNS8_4plusIiEEEE10hipError_tPvRmT1_T2_T3_mT4_P12ihipStream_tbEUlT_E1_NS1_11comp_targetILNS1_3genE0ELNS1_11target_archE4294967295ELNS1_3gpuE0ELNS1_3repE0EEENS1_30default_config_static_selectorELNS0_4arch9wavefront6targetE1EEEvSK_
	.globl	_ZN7rocprim17ROCPRIM_400000_NS6detail17trampoline_kernelINS0_14default_configENS1_22reduce_config_selectorIfEEZNS1_11reduce_implILb1ES3_N6thrust23THRUST_200600_302600_NS6detail15normal_iteratorINS8_10device_ptrIfEEEEPiiNS8_4plusIiEEEE10hipError_tPvRmT1_T2_T3_mT4_P12ihipStream_tbEUlT_E1_NS1_11comp_targetILNS1_3genE0ELNS1_11target_archE4294967295ELNS1_3gpuE0ELNS1_3repE0EEENS1_30default_config_static_selectorELNS0_4arch9wavefront6targetE1EEEvSK_
	.p2align	8
	.type	_ZN7rocprim17ROCPRIM_400000_NS6detail17trampoline_kernelINS0_14default_configENS1_22reduce_config_selectorIfEEZNS1_11reduce_implILb1ES3_N6thrust23THRUST_200600_302600_NS6detail15normal_iteratorINS8_10device_ptrIfEEEEPiiNS8_4plusIiEEEE10hipError_tPvRmT1_T2_T3_mT4_P12ihipStream_tbEUlT_E1_NS1_11comp_targetILNS1_3genE0ELNS1_11target_archE4294967295ELNS1_3gpuE0ELNS1_3repE0EEENS1_30default_config_static_selectorELNS0_4arch9wavefront6targetE1EEEvSK_,@function
_ZN7rocprim17ROCPRIM_400000_NS6detail17trampoline_kernelINS0_14default_configENS1_22reduce_config_selectorIfEEZNS1_11reduce_implILb1ES3_N6thrust23THRUST_200600_302600_NS6detail15normal_iteratorINS8_10device_ptrIfEEEEPiiNS8_4plusIiEEEE10hipError_tPvRmT1_T2_T3_mT4_P12ihipStream_tbEUlT_E1_NS1_11comp_targetILNS1_3genE0ELNS1_11target_archE4294967295ELNS1_3gpuE0ELNS1_3repE0EEENS1_30default_config_static_selectorELNS0_4arch9wavefront6targetE1EEEvSK_: ; @_ZN7rocprim17ROCPRIM_400000_NS6detail17trampoline_kernelINS0_14default_configENS1_22reduce_config_selectorIfEEZNS1_11reduce_implILb1ES3_N6thrust23THRUST_200600_302600_NS6detail15normal_iteratorINS8_10device_ptrIfEEEEPiiNS8_4plusIiEEEE10hipError_tPvRmT1_T2_T3_mT4_P12ihipStream_tbEUlT_E1_NS1_11comp_targetILNS1_3genE0ELNS1_11target_archE4294967295ELNS1_3gpuE0ELNS1_3repE0EEENS1_30default_config_static_selectorELNS0_4arch9wavefront6targetE1EEEvSK_
; %bb.0:
	s_load_dword s33, s[0:1], 0x4
	s_load_dwordx4 s[68:71], s[0:1], 0x8
	s_waitcnt lgkmcnt(0)
	s_cmp_lt_i32 s33, 8
	s_cbranch_scc1 .LBB342_11
; %bb.1:
	s_cmp_gt_i32 s33, 15
	s_cbranch_scc0 .LBB342_12
; %bb.2:
	s_cmp_gt_i32 s33, 31
	s_cbranch_scc0 .LBB342_13
; %bb.3:
	s_cmp_eq_u32 s33, 32
	s_mov_b64 s[66:67], 0
	s_cbranch_scc0 .LBB342_14
; %bb.4:
	s_mov_b32 s3, 0
	s_lshl_b32 s4, s2, 13
	s_mov_b32 s5, s3
	s_lshr_b64 s[6:7], s[70:71], 13
	s_lshl_b64 s[8:9], s[4:5], 2
	s_add_u32 s72, s68, s8
	s_addc_u32 s73, s69, s9
	s_cmp_lg_u64 s[6:7], s[2:3]
	s_cbranch_scc0 .LBB342_23
; %bb.5:
	v_lshlrev_b32_e32 v2, 2, v0
	v_mov_b32_e32 v3, 0
	v_lshl_add_u64 v[4:5], s[72:73], 0, v[2:3]
	global_load_dword v1, v2, s[72:73]
	global_load_dword v8, v2, s[72:73] offset:1024
	global_load_dword v9, v2, s[72:73] offset:2048
	;; [unrolled: 1-line block ×3, first 2 shown]
	v_add_co_u32_e32 v2, vcc, 0x1000, v4
	s_waitcnt vmcnt(3)
	v_cvt_i32_f32_e32 v1, v1
	v_addc_co_u32_e32 v3, vcc, 0, v5, vcc
	v_add_co_u32_e32 v6, vcc, 0x2000, v4
	s_nop 1
	v_addc_co_u32_e32 v7, vcc, 0, v5, vcc
	global_load_dword v11, v[2:3], off
	global_load_dword v12, v[2:3], off offset:1024
	global_load_dword v13, v[2:3], off offset:2048
	global_load_dword v14, v[2:3], off offset:3072
	global_load_dword v15, v[6:7], off
	global_load_dword v16, v[6:7], off offset:1024
	global_load_dword v17, v[6:7], off offset:2048
	global_load_dword v18, v[6:7], off offset:3072
	v_add_co_u32_e32 v2, vcc, 0x3000, v4
	s_nop 1
	v_addc_co_u32_e32 v3, vcc, 0, v5, vcc
	v_add_co_u32_e32 v6, vcc, 0x4000, v4
	s_nop 1
	v_addc_co_u32_e32 v7, vcc, 0, v5, vcc
	global_load_dword v19, v[2:3], off
	global_load_dword v20, v[2:3], off offset:1024
	global_load_dword v21, v[2:3], off offset:2048
	global_load_dword v22, v[2:3], off offset:3072
	global_load_dword v23, v[6:7], off
	global_load_dword v24, v[6:7], off offset:1024
	global_load_dword v25, v[6:7], off offset:2048
	global_load_dword v26, v[6:7], off offset:3072
	v_add_co_u32_e32 v2, vcc, 0x5000, v4
	s_nop 1
	;; [unrolled: 14-line block ×3, first 2 shown]
	v_addc_co_u32_e32 v3, vcc, 0, v5, vcc
	global_load_dword v4, v[2:3], off
	global_load_dword v5, v[2:3], off offset:1024
	global_load_dword v6, v[2:3], off offset:2048
	;; [unrolled: 1-line block ×3, first 2 shown]
	s_waitcnt vmcnt(30)
	v_cvt_i32_f32_e32 v2, v8
	s_waitcnt vmcnt(29)
	v_cvt_i32_f32_e32 v3, v9
	;; [unrolled: 2-line block ×3, first 2 shown]
	v_add_u32_e32 v1, v2, v1
	v_mbcnt_lo_u32_b32 v2, -1, 0
	v_add3_u32 v1, v1, v3, v8
	v_mbcnt_hi_u32_b32 v2, -1, v2
	v_lshlrev_b32_e32 v3, 2, v2
	v_cmp_eq_u32_e32 vcc, 0, v2
	s_waitcnt vmcnt(27)
	v_cvt_i32_f32_e32 v9, v11
	s_waitcnt vmcnt(26)
	v_cvt_i32_f32_e32 v10, v12
	;; [unrolled: 2-line block ×8, first 2 shown]
	v_add3_u32 v1, v1, v9, v10
	v_add3_u32 v1, v1, v11, v12
	;; [unrolled: 1-line block ×3, first 2 shown]
	s_waitcnt vmcnt(19)
	v_cvt_i32_f32_e32 v17, v19
	s_waitcnt vmcnt(18)
	v_cvt_i32_f32_e32 v18, v20
	;; [unrolled: 2-line block ×8, first 2 shown]
	v_add3_u32 v1, v1, v15, v16
	v_add3_u32 v1, v1, v17, v18
	;; [unrolled: 1-line block ×3, first 2 shown]
	s_waitcnt vmcnt(11)
	v_cvt_i32_f32_e32 v25, v27
	s_waitcnt vmcnt(10)
	v_cvt_i32_f32_e32 v26, v28
	;; [unrolled: 2-line block ×6, first 2 shown]
	v_add3_u32 v1, v1, v21, v22
	s_waitcnt vmcnt(5)
	v_cvt_i32_f32_e32 v31, v33
	s_waitcnt vmcnt(4)
	v_cvt_i32_f32_e32 v32, v34
	v_add3_u32 v1, v1, v23, v24
	s_waitcnt vmcnt(3)
	v_cvt_i32_f32_e32 v4, v4
	s_waitcnt vmcnt(2)
	v_cvt_i32_f32_e32 v5, v5
	;; [unrolled: 5-line block ×3, first 2 shown]
	v_add3_u32 v1, v1, v27, v28
	v_add3_u32 v1, v1, v29, v30
	;; [unrolled: 1-line block ×5, first 2 shown]
	v_or_b32_e32 v4, 0xfc, v3
	s_nop 0
	v_add_u32_dpp v1, v1, v1 quad_perm:[1,0,3,2] row_mask:0xf bank_mask:0xf bound_ctrl:1
	s_nop 1
	v_add_u32_dpp v1, v1, v1 quad_perm:[2,3,0,1] row_mask:0xf bank_mask:0xf bound_ctrl:1
	s_nop 1
	v_add_u32_dpp v1, v1, v1 row_ror:4 row_mask:0xf bank_mask:0xf bound_ctrl:1
	s_nop 1
	v_add_u32_dpp v1, v1, v1 row_ror:8 row_mask:0xf bank_mask:0xf bound_ctrl:1
	s_nop 1
	v_add_u32_dpp v1, v1, v1 row_bcast:15 row_mask:0xf bank_mask:0xf bound_ctrl:1
	s_nop 1
	v_add_u32_dpp v1, v1, v1 row_bcast:31 row_mask:0xf bank_mask:0xf bound_ctrl:1
	ds_bpermute_b32 v1, v4, v1
	s_and_saveexec_b64 s[6:7], vcc
	s_cbranch_execz .LBB342_7
; %bb.6:
	v_lshrrev_b32_e32 v4, 4, v0
	v_and_b32_e32 v4, 12, v4
	s_waitcnt lgkmcnt(0)
	ds_write_b32 v4, v1 offset:48
.LBB342_7:
	s_or_b64 exec, exec, s[6:7]
	v_cmp_gt_u32_e32 vcc, 64, v0
	s_waitcnt lgkmcnt(0)
	s_barrier
	s_and_saveexec_b64 s[6:7], vcc
	s_cbranch_execz .LBB342_9
; %bb.8:
	v_and_b32_e32 v1, 3, v2
	v_lshlrev_b32_e32 v4, 2, v1
	ds_read_b32 v4, v4 offset:48
	v_cmp_ne_u32_e32 vcc, 3, v1
	s_nop 1
	v_addc_co_u32_e32 v1, vcc, 0, v2, vcc
	v_lshlrev_b32_e32 v1, 2, v1
	s_waitcnt lgkmcnt(0)
	ds_bpermute_b32 v1, v1, v4
	v_or_b32_e32 v2, 8, v3
	s_waitcnt lgkmcnt(0)
	v_add_u32_e32 v1, v1, v4
	ds_bpermute_b32 v2, v2, v1
	s_waitcnt lgkmcnt(0)
	v_add_u32_e32 v1, v2, v1
.LBB342_9:
	s_or_b64 exec, exec, s[6:7]
.LBB342_10:
	v_cmp_eq_u32_e64 s[4:5], 0, v0
	s_and_b64 vcc, exec, s[66:67]
	s_cbranch_vccnz .LBB342_15
	s_branch .LBB342_93
.LBB342_11:
	s_mov_b64 s[4:5], 0
                                        ; implicit-def: $vgpr1
	s_cbranch_execnz .LBB342_166
	s_branch .LBB342_224
.LBB342_12:
	s_mov_b64 s[4:5], 0
                                        ; implicit-def: $vgpr1
	s_cbranch_execnz .LBB342_134
	s_branch .LBB342_142
.LBB342_13:
	s_mov_b64 s[66:67], -1
.LBB342_14:
	s_mov_b64 s[4:5], 0
                                        ; implicit-def: $vgpr1
	s_and_b64 vcc, exec, s[66:67]
	s_cbranch_vccz .LBB342_93
.LBB342_15:
	s_cmp_eq_u32 s33, 16
	s_cbranch_scc0 .LBB342_22
; %bb.16:
	s_mov_b32 s3, 0
	s_lshl_b32 s4, s2, 12
	s_mov_b32 s5, s3
	s_lshr_b64 s[6:7], s[70:71], 12
	s_lshl_b64 s[8:9], s[4:5], 2
	s_add_u32 s34, s68, s8
	s_addc_u32 s35, s69, s9
	s_cmp_lg_u64 s[6:7], s[2:3]
	s_cbranch_scc0 .LBB342_94
; %bb.17:
	v_lshlrev_b32_e32 v2, 2, v0
	v_mov_b32_e32 v3, 0
	v_lshl_add_u64 v[4:5], s[34:35], 0, v[2:3]
	global_load_dword v1, v2, s[34:35]
	global_load_dword v8, v2, s[34:35] offset:1024
	global_load_dword v9, v2, s[34:35] offset:2048
	;; [unrolled: 1-line block ×3, first 2 shown]
	v_add_co_u32_e32 v2, vcc, 0x1000, v4
	s_waitcnt vmcnt(3)
	v_cvt_i32_f32_e32 v1, v1
	v_addc_co_u32_e32 v3, vcc, 0, v5, vcc
	v_add_co_u32_e32 v6, vcc, 0x2000, v4
	s_waitcnt vmcnt(2)
	v_cvt_i32_f32_e32 v8, v8
	v_addc_co_u32_e32 v7, vcc, 0, v5, vcc
	global_load_dword v11, v[2:3], off
	global_load_dword v12, v[2:3], off offset:1024
	global_load_dword v13, v[2:3], off offset:2048
	;; [unrolled: 1-line block ×3, first 2 shown]
	global_load_dword v15, v[6:7], off
	global_load_dword v16, v[6:7], off offset:1024
	global_load_dword v17, v[6:7], off offset:2048
	;; [unrolled: 1-line block ×3, first 2 shown]
	v_add_co_u32_e32 v2, vcc, 0x3000, v4
	s_waitcnt vmcnt(9)
	v_cvt_i32_f32_e32 v9, v9
	v_addc_co_u32_e32 v3, vcc, 0, v5, vcc
	global_load_dword v4, v[2:3], off
	global_load_dword v5, v[2:3], off offset:1024
	global_load_dword v6, v[2:3], off offset:2048
	;; [unrolled: 1-line block ×3, first 2 shown]
	s_waitcnt vmcnt(12)
	v_cvt_i32_f32_e32 v10, v10
	v_add_u32_e32 v1, v8, v1
	v_mbcnt_lo_u32_b32 v2, -1, 0
	v_mbcnt_hi_u32_b32 v2, -1, v2
	v_add3_u32 v1, v1, v9, v10
	v_lshlrev_b32_e32 v3, 2, v2
	v_cmp_eq_u32_e32 vcc, 0, v2
	s_waitcnt vmcnt(11)
	v_cvt_i32_f32_e32 v11, v11
	s_waitcnt vmcnt(10)
	v_cvt_i32_f32_e32 v12, v12
	;; [unrolled: 2-line block ×8, first 2 shown]
	v_add3_u32 v1, v1, v11, v12
	v_add3_u32 v1, v1, v13, v14
	s_waitcnt vmcnt(3)
	v_cvt_i32_f32_e32 v4, v4
	s_waitcnt vmcnt(2)
	v_cvt_i32_f32_e32 v5, v5
	;; [unrolled: 2-line block ×4, first 2 shown]
	v_add3_u32 v1, v1, v15, v16
	v_add3_u32 v1, v1, v17, v18
	;; [unrolled: 1-line block ×4, first 2 shown]
	v_or_b32_e32 v4, 0xfc, v3
	s_nop 0
	v_add_u32_dpp v1, v1, v1 quad_perm:[1,0,3,2] row_mask:0xf bank_mask:0xf bound_ctrl:1
	s_nop 1
	v_add_u32_dpp v1, v1, v1 quad_perm:[2,3,0,1] row_mask:0xf bank_mask:0xf bound_ctrl:1
	s_nop 1
	v_add_u32_dpp v1, v1, v1 row_ror:4 row_mask:0xf bank_mask:0xf bound_ctrl:1
	s_nop 1
	v_add_u32_dpp v1, v1, v1 row_ror:8 row_mask:0xf bank_mask:0xf bound_ctrl:1
	s_nop 1
	v_add_u32_dpp v1, v1, v1 row_bcast:15 row_mask:0xf bank_mask:0xf bound_ctrl:1
	s_nop 1
	v_add_u32_dpp v1, v1, v1 row_bcast:31 row_mask:0xf bank_mask:0xf bound_ctrl:1
	ds_bpermute_b32 v1, v4, v1
	s_and_saveexec_b64 s[6:7], vcc
	s_cbranch_execz .LBB342_19
; %bb.18:
	v_lshrrev_b32_e32 v4, 4, v0
	v_and_b32_e32 v4, 12, v4
	s_waitcnt lgkmcnt(0)
	ds_write_b32 v4, v1
.LBB342_19:
	s_or_b64 exec, exec, s[6:7]
	v_cmp_gt_u32_e32 vcc, 64, v0
	s_waitcnt lgkmcnt(0)
	s_barrier
	s_and_saveexec_b64 s[6:7], vcc
	s_cbranch_execz .LBB342_21
; %bb.20:
	v_and_b32_e32 v1, 3, v2
	v_lshlrev_b32_e32 v4, 2, v1
	ds_read_b32 v4, v4
	v_cmp_ne_u32_e32 vcc, 3, v1
	s_nop 1
	v_addc_co_u32_e32 v1, vcc, 0, v2, vcc
	v_lshlrev_b32_e32 v1, 2, v1
	s_waitcnt lgkmcnt(0)
	ds_bpermute_b32 v1, v1, v4
	v_or_b32_e32 v2, 8, v3
	s_waitcnt lgkmcnt(0)
	v_add_u32_e32 v1, v1, v4
	ds_bpermute_b32 v2, v2, v1
	s_waitcnt lgkmcnt(0)
	v_add_u32_e32 v1, v2, v1
.LBB342_21:
	s_or_b64 exec, exec, s[6:7]
	s_mov_b64 s[6:7], 0
	s_branch .LBB342_95
.LBB342_22:
                                        ; implicit-def: $vgpr1
	s_branch .LBB342_142
.LBB342_23:
                                        ; implicit-def: $vgpr1
	s_cbranch_execz .LBB342_10
; %bb.24:
	s_sub_i32 s76, s70, s4
	v_mov_b32_e32 v2, 0
	v_cmp_gt_u32_e32 vcc, s76, v0
	v_mov_b32_e32 v3, v2
	v_mov_b32_e32 v4, v2
	;; [unrolled: 1-line block ×31, first 2 shown]
	s_and_saveexec_b64 s[4:5], vcc
	s_cbranch_execz .LBB342_26
; %bb.25:
	v_lshlrev_b32_e32 v1, 2, v0
	global_load_dword v1, v1, s[72:73]
	v_mov_b32_e32 v5, v2
	v_mov_b32_e32 v6, v2
	v_mov_b32_e32 v7, v2
	v_mov_b32_e32 v8, v2
	v_mov_b32_e32 v9, v2
	v_mov_b32_e32 v10, v2
	v_mov_b32_e32 v11, v2
	v_mov_b32_e32 v12, v2
	v_mov_b32_e32 v13, v2
	v_mov_b32_e32 v14, v2
	v_mov_b32_e32 v15, v2
	v_mov_b32_e32 v16, v2
	v_mov_b32_e32 v17, v2
	v_mov_b32_e32 v18, v2
	v_mov_b32_e32 v19, v2
	v_mov_b32_e32 v20, v2
	v_mov_b32_e32 v21, v2
	v_mov_b32_e32 v22, v2
	v_mov_b32_e32 v23, v2
	v_mov_b32_e32 v24, v2
	v_mov_b32_e32 v25, v2
	v_mov_b32_e32 v26, v2
	v_mov_b32_e32 v27, v2
	v_mov_b32_e32 v28, v2
	v_mov_b32_e32 v29, v2
	v_mov_b32_e32 v30, v2
	v_mov_b32_e32 v31, v2
	v_mov_b32_e32 v32, v2
	v_mov_b32_e32 v33, v2
	v_mov_b32_e32 v34, v2
	v_mov_b32_e32 v35, v2
	s_waitcnt vmcnt(0)
	v_cvt_i32_f32_e32 v4, v1
	v_mov_b64_e32 v[2:3], v[4:5]
	v_mov_b64_e32 v[4:5], v[6:7]
	;; [unrolled: 1-line block ×16, first 2 shown]
.LBB342_26:
	s_or_b64 exec, exec, s[4:5]
	v_or_b32_e32 v1, 0x100, v0
	v_cmp_gt_u32_e32 vcc, s76, v1
	s_and_saveexec_b64 s[4:5], vcc
	s_cbranch_execz .LBB342_28
; %bb.27:
	v_lshlrev_b32_e32 v1, 2, v0
	global_load_dword v1, v1, s[72:73] offset:1024
	s_waitcnt vmcnt(0)
	v_cvt_i32_f32_e32 v3, v1
.LBB342_28:
	s_or_b64 exec, exec, s[4:5]
	v_or_b32_e32 v1, 0x200, v0
	v_cmp_gt_u32_e64 s[4:5], s76, v1
	s_and_saveexec_b64 s[6:7], s[4:5]
	s_cbranch_execz .LBB342_30
; %bb.29:
	v_lshlrev_b32_e32 v1, 2, v0
	global_load_dword v1, v1, s[72:73] offset:2048
	s_waitcnt vmcnt(0)
	v_cvt_i32_f32_e32 v4, v1
.LBB342_30:
	s_or_b64 exec, exec, s[6:7]
	v_or_b32_e32 v1, 0x300, v0
	v_cmp_gt_u32_e64 s[6:7], s76, v1
	s_and_saveexec_b64 s[8:9], s[6:7]
	s_cbranch_execz .LBB342_32
; %bb.31:
	v_lshlrev_b32_e32 v1, 2, v0
	global_load_dword v1, v1, s[72:73] offset:3072
	s_waitcnt vmcnt(0)
	v_cvt_i32_f32_e32 v5, v1
.LBB342_32:
	s_or_b64 exec, exec, s[8:9]
	v_or_b32_e32 v1, 0x400, v0
	v_cmp_gt_u32_e64 s[8:9], s76, v1
	s_and_saveexec_b64 s[10:11], s[8:9]
	s_cbranch_execz .LBB342_34
; %bb.33:
	v_lshlrev_b32_e32 v1, 2, v1
	global_load_dword v1, v1, s[72:73]
	s_waitcnt vmcnt(0)
	v_cvt_i32_f32_e32 v6, v1
.LBB342_34:
	s_or_b64 exec, exec, s[10:11]
	v_or_b32_e32 v1, 0x500, v0
	v_cmp_gt_u32_e64 s[10:11], s76, v1
	s_and_saveexec_b64 s[12:13], s[10:11]
	s_cbranch_execz .LBB342_36
; %bb.35:
	v_lshlrev_b32_e32 v1, 2, v1
	global_load_dword v1, v1, s[72:73]
	s_waitcnt vmcnt(0)
	v_cvt_i32_f32_e32 v7, v1
.LBB342_36:
	s_or_b64 exec, exec, s[12:13]
	v_or_b32_e32 v1, 0x600, v0
	v_cmp_gt_u32_e64 s[12:13], s76, v1
	s_and_saveexec_b64 s[14:15], s[12:13]
	;; [unrolled: 11-line block ×27, first 2 shown]
	s_cbranch_execz .LBB342_88
; %bb.87:
	v_lshlrev_b32_e32 v1, 2, v1
	global_load_dword v1, v1, s[72:73]
	s_waitcnt vmcnt(0)
	v_cvt_i32_f32_e32 v33, v1
.LBB342_88:
	s_or_b64 exec, exec, s[74:75]
	v_cndmask_b32_e32 v1, 0, v3, vcc
	v_add_u32_e32 v1, v1, v2
	v_cndmask_b32_e64 v2, 0, v4, s[4:5]
	v_cndmask_b32_e64 v3, 0, v5, s[6:7]
	v_add3_u32 v1, v1, v2, v3
	v_cndmask_b32_e64 v2, 0, v6, s[8:9]
	v_cndmask_b32_e64 v3, 0, v7, s[10:11]
	v_add3_u32 v1, v1, v2, v3
	;; [unrolled: 3-line block ×15, first 2 shown]
	v_mbcnt_lo_u32_b32 v2, -1, 0
	v_mbcnt_hi_u32_b32 v2, -1, v2
	v_and_b32_e32 v4, 63, v2
	v_cmp_ne_u32_e32 vcc, 63, v4
	s_min_u32 s6, s76, 0x100
	v_and_b32_e32 v5, 0xc0, v0
	v_addc_co_u32_e32 v3, vcc, 0, v2, vcc
	v_lshlrev_b32_e32 v3, 2, v3
	ds_bpermute_b32 v3, v3, v1
	v_sub_u32_e64 v5, s6, v5 clamp
	v_add_u32_e32 v6, 1, v4
	v_cmp_lt_u32_e32 vcc, v6, v5
	v_add_u32_e32 v6, 2, v4
	s_waitcnt lgkmcnt(0)
	v_cndmask_b32_e32 v3, 0, v3, vcc
	v_cmp_gt_u32_e32 vcc, 62, v4
	v_add_u32_e32 v1, v1, v3
	s_nop 0
	v_cndmask_b32_e64 v3, 0, 2, vcc
	v_add_lshl_u32 v3, v3, v2, 2
	ds_bpermute_b32 v3, v3, v1
	v_cmp_lt_u32_e32 vcc, v6, v5
	v_add_u32_e32 v6, 4, v4
	s_waitcnt lgkmcnt(0)
	v_cndmask_b32_e32 v3, 0, v3, vcc
	v_cmp_gt_u32_e32 vcc, 60, v4
	v_add_u32_e32 v1, v1, v3
	s_nop 0
	v_cndmask_b32_e64 v3, 0, 4, vcc
	v_add_lshl_u32 v3, v3, v2, 2
	ds_bpermute_b32 v3, v3, v1
	;; [unrolled: 10-line block ×3, first 2 shown]
	v_cmp_lt_u32_e32 vcc, v6, v5
	v_add_u32_e32 v6, 16, v4
	s_waitcnt lgkmcnt(0)
	v_cndmask_b32_e32 v3, 0, v3, vcc
	v_cmp_gt_u32_e32 vcc, 48, v4
	v_add_u32_e32 v1, v1, v3
	v_add_u32_e32 v4, 32, v4
	v_cndmask_b32_e64 v3, 0, 16, vcc
	v_add_lshl_u32 v3, v3, v2, 2
	ds_bpermute_b32 v3, v3, v1
	v_cmp_lt_u32_e32 vcc, v6, v5
	s_waitcnt lgkmcnt(0)
	s_nop 0
	v_cndmask_b32_e32 v3, 0, v3, vcc
	v_add_u32_e32 v1, v1, v3
	v_lshlrev_b32_e32 v3, 2, v2
	v_or_b32_e32 v6, 0x80, v3
	ds_bpermute_b32 v6, v6, v1
	v_cmp_lt_u32_e32 vcc, v4, v5
	s_waitcnt lgkmcnt(0)
	s_nop 0
	v_cndmask_b32_e32 v4, 0, v6, vcc
	v_add_u32_e32 v1, v1, v4
	v_cmp_eq_u32_e32 vcc, 0, v2
	s_and_saveexec_b64 s[4:5], vcc
; %bb.89:
	v_lshrrev_b32_e32 v4, 4, v0
	v_and_b32_e32 v4, 12, v4
	ds_write_b32 v4, v1 offset:96
; %bb.90:
	s_or_b64 exec, exec, s[4:5]
	v_cmp_gt_u32_e32 vcc, 4, v0
	s_waitcnt lgkmcnt(0)
	s_barrier
	s_and_saveexec_b64 s[4:5], vcc
	s_cbranch_execz .LBB342_92
; %bb.91:
	ds_read_b32 v1, v3 offset:96
	v_and_b32_e32 v4, 3, v2
	v_cmp_ne_u32_e32 vcc, 3, v4
	s_add_i32 s6, s6, 63
	s_lshr_b32 s6, s6, 6
	v_addc_co_u32_e32 v2, vcc, 0, v2, vcc
	v_lshlrev_b32_e32 v2, 2, v2
	s_waitcnt lgkmcnt(0)
	ds_bpermute_b32 v2, v2, v1
	v_add_u32_e32 v5, 1, v4
	v_cmp_gt_u32_e32 vcc, s6, v5
	s_waitcnt lgkmcnt(0)
	s_nop 0
	v_cndmask_b32_e32 v2, 0, v2, vcc
	v_add_u32_e32 v1, v2, v1
	v_or_b32_e32 v2, 8, v3
	ds_bpermute_b32 v2, v2, v1
	v_add_u32_e32 v3, 2, v4
	v_cmp_gt_u32_e32 vcc, s6, v3
	s_waitcnt lgkmcnt(0)
	s_nop 0
	v_cndmask_b32_e32 v2, 0, v2, vcc
	v_add_u32_e32 v1, v1, v2
.LBB342_92:
	s_or_b64 exec, exec, s[4:5]
	v_cmp_eq_u32_e64 s[4:5], 0, v0
	s_and_b64 vcc, exec, s[66:67]
	s_cbranch_vccnz .LBB342_15
.LBB342_93:
	s_branch .LBB342_142
.LBB342_94:
	s_mov_b64 s[6:7], -1
                                        ; implicit-def: $vgpr1
.LBB342_95:
	s_and_b64 vcc, exec, s[6:7]
	s_cbranch_vccz .LBB342_133
; %bb.96:
	s_sub_i32 s38, s70, s4
	v_mov_b32_e32 v2, 0
	v_cmp_gt_u32_e32 vcc, s38, v0
	v_mov_b32_e32 v3, v2
	v_mov_b32_e32 v4, v2
	;; [unrolled: 1-line block ×15, first 2 shown]
	s_and_saveexec_b64 s[4:5], vcc
	s_cbranch_execz .LBB342_98
; %bb.97:
	v_lshlrev_b32_e32 v1, 2, v0
	global_load_dword v1, v1, s[34:35]
	v_mov_b32_e32 v5, v2
	v_mov_b32_e32 v6, v2
	;; [unrolled: 1-line block ×15, first 2 shown]
	s_waitcnt vmcnt(0)
	v_cvt_i32_f32_e32 v4, v1
	v_mov_b64_e32 v[2:3], v[4:5]
	v_mov_b64_e32 v[4:5], v[6:7]
	;; [unrolled: 1-line block ×8, first 2 shown]
.LBB342_98:
	s_or_b64 exec, exec, s[4:5]
	v_or_b32_e32 v1, 0x100, v0
	v_cmp_gt_u32_e32 vcc, s38, v1
	s_and_saveexec_b64 s[4:5], vcc
	s_cbranch_execz .LBB342_100
; %bb.99:
	v_lshlrev_b32_e32 v1, 2, v0
	global_load_dword v1, v1, s[34:35] offset:1024
	s_waitcnt vmcnt(0)
	v_cvt_i32_f32_e32 v3, v1
.LBB342_100:
	s_or_b64 exec, exec, s[4:5]
	v_or_b32_e32 v1, 0x200, v0
	v_cmp_gt_u32_e64 s[4:5], s38, v1
	s_and_saveexec_b64 s[6:7], s[4:5]
	s_cbranch_execz .LBB342_102
; %bb.101:
	v_lshlrev_b32_e32 v1, 2, v0
	global_load_dword v1, v1, s[34:35] offset:2048
	s_waitcnt vmcnt(0)
	v_cvt_i32_f32_e32 v4, v1
.LBB342_102:
	s_or_b64 exec, exec, s[6:7]
	v_or_b32_e32 v1, 0x300, v0
	v_cmp_gt_u32_e64 s[6:7], s38, v1
	s_and_saveexec_b64 s[8:9], s[6:7]
	;; [unrolled: 11-line block ×3, first 2 shown]
	s_cbranch_execz .LBB342_106
; %bb.105:
	v_lshlrev_b32_e32 v1, 2, v1
	global_load_dword v1, v1, s[34:35]
	s_waitcnt vmcnt(0)
	v_cvt_i32_f32_e32 v6, v1
.LBB342_106:
	s_or_b64 exec, exec, s[10:11]
	v_or_b32_e32 v1, 0x500, v0
	v_cmp_gt_u32_e64 s[10:11], s38, v1
	s_and_saveexec_b64 s[12:13], s[10:11]
	s_cbranch_execz .LBB342_108
; %bb.107:
	v_lshlrev_b32_e32 v1, 2, v1
	global_load_dword v1, v1, s[34:35]
	s_waitcnt vmcnt(0)
	v_cvt_i32_f32_e32 v7, v1
.LBB342_108:
	s_or_b64 exec, exec, s[12:13]
	v_or_b32_e32 v1, 0x600, v0
	v_cmp_gt_u32_e64 s[12:13], s38, v1
	s_and_saveexec_b64 s[14:15], s[12:13]
	;; [unrolled: 11-line block ×11, first 2 shown]
	s_cbranch_execz .LBB342_128
; %bb.127:
	v_lshlrev_b32_e32 v1, 2, v1
	global_load_dword v1, v1, s[34:35]
	s_waitcnt vmcnt(0)
	v_cvt_i32_f32_e32 v17, v1
.LBB342_128:
	s_or_b64 exec, exec, s[36:37]
	v_cndmask_b32_e32 v1, 0, v3, vcc
	v_add_u32_e32 v1, v1, v2
	v_cndmask_b32_e64 v2, 0, v4, s[4:5]
	v_cndmask_b32_e64 v3, 0, v5, s[6:7]
	v_add3_u32 v1, v1, v2, v3
	v_cndmask_b32_e64 v2, 0, v6, s[8:9]
	v_cndmask_b32_e64 v3, 0, v7, s[10:11]
	v_add3_u32 v1, v1, v2, v3
	;; [unrolled: 3-line block ×7, first 2 shown]
	v_mbcnt_lo_u32_b32 v2, -1, 0
	v_mbcnt_hi_u32_b32 v2, -1, v2
	v_and_b32_e32 v4, 63, v2
	v_cmp_ne_u32_e32 vcc, 63, v4
	s_min_u32 s6, s38, 0x100
	v_and_b32_e32 v5, 0xc0, v0
	v_addc_co_u32_e32 v3, vcc, 0, v2, vcc
	v_lshlrev_b32_e32 v3, 2, v3
	ds_bpermute_b32 v3, v3, v1
	v_sub_u32_e64 v5, s6, v5 clamp
	v_add_u32_e32 v6, 1, v4
	v_cmp_lt_u32_e32 vcc, v6, v5
	v_add_u32_e32 v6, 2, v4
	s_waitcnt lgkmcnt(0)
	v_cndmask_b32_e32 v3, 0, v3, vcc
	v_cmp_gt_u32_e32 vcc, 62, v4
	v_add_u32_e32 v1, v1, v3
	s_nop 0
	v_cndmask_b32_e64 v3, 0, 2, vcc
	v_add_lshl_u32 v3, v3, v2, 2
	ds_bpermute_b32 v3, v3, v1
	v_cmp_lt_u32_e32 vcc, v6, v5
	v_add_u32_e32 v6, 4, v4
	s_waitcnt lgkmcnt(0)
	v_cndmask_b32_e32 v3, 0, v3, vcc
	v_cmp_gt_u32_e32 vcc, 60, v4
	v_add_u32_e32 v1, v1, v3
	s_nop 0
	v_cndmask_b32_e64 v3, 0, 4, vcc
	v_add_lshl_u32 v3, v3, v2, 2
	ds_bpermute_b32 v3, v3, v1
	;; [unrolled: 10-line block ×3, first 2 shown]
	v_cmp_lt_u32_e32 vcc, v6, v5
	v_add_u32_e32 v6, 16, v4
	s_waitcnt lgkmcnt(0)
	v_cndmask_b32_e32 v3, 0, v3, vcc
	v_cmp_gt_u32_e32 vcc, 48, v4
	v_add_u32_e32 v1, v1, v3
	v_add_u32_e32 v4, 32, v4
	v_cndmask_b32_e64 v3, 0, 16, vcc
	v_add_lshl_u32 v3, v3, v2, 2
	ds_bpermute_b32 v3, v3, v1
	v_cmp_lt_u32_e32 vcc, v6, v5
	s_waitcnt lgkmcnt(0)
	s_nop 0
	v_cndmask_b32_e32 v3, 0, v3, vcc
	v_add_u32_e32 v1, v1, v3
	v_lshlrev_b32_e32 v3, 2, v2
	v_or_b32_e32 v6, 0x80, v3
	ds_bpermute_b32 v6, v6, v1
	v_cmp_lt_u32_e32 vcc, v4, v5
	s_waitcnt lgkmcnt(0)
	s_nop 0
	v_cndmask_b32_e32 v4, 0, v6, vcc
	v_add_u32_e32 v1, v1, v4
	v_cmp_eq_u32_e32 vcc, 0, v2
	s_and_saveexec_b64 s[4:5], vcc
; %bb.129:
	v_lshrrev_b32_e32 v4, 4, v0
	v_and_b32_e32 v4, 12, v4
	ds_write_b32 v4, v1 offset:96
; %bb.130:
	s_or_b64 exec, exec, s[4:5]
	v_cmp_gt_u32_e32 vcc, 4, v0
	s_waitcnt lgkmcnt(0)
	s_barrier
	s_and_saveexec_b64 s[4:5], vcc
	s_cbranch_execz .LBB342_132
; %bb.131:
	ds_read_b32 v1, v3 offset:96
	v_and_b32_e32 v4, 3, v2
	v_cmp_ne_u32_e32 vcc, 3, v4
	s_add_i32 s6, s6, 63
	s_lshr_b32 s6, s6, 6
	v_addc_co_u32_e32 v2, vcc, 0, v2, vcc
	v_lshlrev_b32_e32 v2, 2, v2
	s_waitcnt lgkmcnt(0)
	ds_bpermute_b32 v2, v2, v1
	v_add_u32_e32 v5, 1, v4
	v_cmp_gt_u32_e32 vcc, s6, v5
	s_waitcnt lgkmcnt(0)
	s_nop 0
	v_cndmask_b32_e32 v2, 0, v2, vcc
	v_add_u32_e32 v1, v2, v1
	v_or_b32_e32 v2, 8, v3
	ds_bpermute_b32 v2, v2, v1
	v_add_u32_e32 v3, 2, v4
	v_cmp_gt_u32_e32 vcc, s6, v3
	s_waitcnt lgkmcnt(0)
	s_nop 0
	v_cndmask_b32_e32 v2, 0, v2, vcc
	v_add_u32_e32 v1, v1, v2
.LBB342_132:
	s_or_b64 exec, exec, s[4:5]
.LBB342_133:
	v_cmp_eq_u32_e64 s[4:5], 0, v0
	s_branch .LBB342_142
.LBB342_134:
	s_cmp_eq_u32 s33, 8
	s_cbranch_scc0 .LBB342_141
; %bb.135:
	s_mov_b32 s3, 0
	s_lshl_b32 s4, s2, 11
	s_mov_b32 s5, s3
	s_lshr_b64 s[6:7], s[70:71], 11
	s_lshl_b64 s[8:9], s[4:5], 2
	s_add_u32 s16, s68, s8
	s_addc_u32 s17, s69, s9
	s_cmp_lg_u64 s[6:7], s[2:3]
	s_cbranch_scc0 .LBB342_143
; %bb.136:
	v_lshlrev_b32_e32 v2, 2, v0
	v_mov_b32_e32 v3, 0
	v_lshl_add_u64 v[4:5], s[16:17], 0, v[2:3]
	v_add_co_u32_e32 v4, vcc, 0x1000, v4
	s_nop 1
	v_addc_co_u32_e32 v5, vcc, 0, v5, vcc
	global_load_dword v1, v2, s[16:17]
	global_load_dword v6, v2, s[16:17] offset:1024
	global_load_dword v7, v2, s[16:17] offset:2048
	;; [unrolled: 1-line block ×3, first 2 shown]
	global_load_dword v9, v[4:5], off
	global_load_dword v10, v[4:5], off offset:1024
	global_load_dword v11, v[4:5], off offset:2048
	;; [unrolled: 1-line block ×3, first 2 shown]
	v_mbcnt_lo_u32_b32 v2, -1, 0
	v_mbcnt_hi_u32_b32 v2, -1, v2
	v_lshlrev_b32_e32 v3, 2, v2
	v_cmp_eq_u32_e32 vcc, 0, v2
	s_waitcnt vmcnt(7)
	v_cvt_i32_f32_e32 v1, v1
	s_waitcnt vmcnt(6)
	v_cvt_i32_f32_e32 v4, v6
	;; [unrolled: 2-line block ×8, first 2 shown]
	v_add_u32_e32 v1, v4, v1
	v_add3_u32 v1, v1, v5, v6
	v_add3_u32 v1, v1, v7, v8
	v_add3_u32 v1, v1, v9, v10
	v_or_b32_e32 v4, 0xfc, v3
	s_nop 0
	v_add_u32_dpp v1, v1, v1 quad_perm:[1,0,3,2] row_mask:0xf bank_mask:0xf bound_ctrl:1
	s_nop 1
	v_add_u32_dpp v1, v1, v1 quad_perm:[2,3,0,1] row_mask:0xf bank_mask:0xf bound_ctrl:1
	s_nop 1
	v_add_u32_dpp v1, v1, v1 row_ror:4 row_mask:0xf bank_mask:0xf bound_ctrl:1
	s_nop 1
	v_add_u32_dpp v1, v1, v1 row_ror:8 row_mask:0xf bank_mask:0xf bound_ctrl:1
	s_nop 1
	v_add_u32_dpp v1, v1, v1 row_bcast:15 row_mask:0xf bank_mask:0xf bound_ctrl:1
	s_nop 1
	v_add_u32_dpp v1, v1, v1 row_bcast:31 row_mask:0xf bank_mask:0xf bound_ctrl:1
	ds_bpermute_b32 v1, v4, v1
	s_and_saveexec_b64 s[6:7], vcc
	s_cbranch_execz .LBB342_138
; %bb.137:
	v_lshrrev_b32_e32 v4, 4, v0
	v_and_b32_e32 v4, 12, v4
	s_waitcnt lgkmcnt(0)
	ds_write_b32 v4, v1 offset:80
.LBB342_138:
	s_or_b64 exec, exec, s[6:7]
	v_cmp_gt_u32_e32 vcc, 64, v0
	s_waitcnt lgkmcnt(0)
	s_barrier
	s_and_saveexec_b64 s[6:7], vcc
	s_cbranch_execz .LBB342_140
; %bb.139:
	v_and_b32_e32 v1, 3, v2
	v_lshlrev_b32_e32 v4, 2, v1
	ds_read_b32 v4, v4 offset:80
	v_cmp_ne_u32_e32 vcc, 3, v1
	s_nop 1
	v_addc_co_u32_e32 v1, vcc, 0, v2, vcc
	v_lshlrev_b32_e32 v1, 2, v1
	s_waitcnt lgkmcnt(0)
	ds_bpermute_b32 v1, v1, v4
	v_or_b32_e32 v2, 8, v3
	s_waitcnt lgkmcnt(0)
	v_add_u32_e32 v1, v1, v4
	ds_bpermute_b32 v2, v2, v1
	s_waitcnt lgkmcnt(0)
	v_add_u32_e32 v1, v2, v1
.LBB342_140:
	s_or_b64 exec, exec, s[6:7]
	s_branch .LBB342_165
.LBB342_141:
                                        ; implicit-def: $vgpr1
.LBB342_142:
	s_branch .LBB342_224
.LBB342_143:
                                        ; implicit-def: $vgpr1
	s_cbranch_execz .LBB342_165
; %bb.144:
	s_sub_i32 s20, s70, s4
	v_mov_b32_e32 v2, 0
	v_cmp_gt_u32_e32 vcc, s20, v0
	v_mov_b32_e32 v3, v2
	v_mov_b32_e32 v4, v2
	v_mov_b32_e32 v5, v2
	v_mov_b32_e32 v6, v2
	v_mov_b32_e32 v7, v2
	v_mov_b32_e32 v8, v2
	v_mov_b32_e32 v9, v2
	s_and_saveexec_b64 s[4:5], vcc
	s_cbranch_execz .LBB342_146
; %bb.145:
	v_lshlrev_b32_e32 v1, 2, v0
	global_load_dword v1, v1, s[16:17]
	v_mov_b32_e32 v5, v2
	v_mov_b32_e32 v6, v2
	;; [unrolled: 1-line block ×7, first 2 shown]
	s_waitcnt vmcnt(0)
	v_cvt_i32_f32_e32 v4, v1
	v_mov_b64_e32 v[2:3], v[4:5]
	v_mov_b64_e32 v[4:5], v[6:7]
	;; [unrolled: 1-line block ×4, first 2 shown]
.LBB342_146:
	s_or_b64 exec, exec, s[4:5]
	v_or_b32_e32 v1, 0x100, v0
	v_cmp_gt_u32_e32 vcc, s20, v1
	s_and_saveexec_b64 s[4:5], vcc
	s_cbranch_execz .LBB342_148
; %bb.147:
	v_lshlrev_b32_e32 v1, 2, v0
	global_load_dword v1, v1, s[16:17] offset:1024
	s_waitcnt vmcnt(0)
	v_cvt_i32_f32_e32 v3, v1
.LBB342_148:
	s_or_b64 exec, exec, s[4:5]
	v_or_b32_e32 v1, 0x200, v0
	v_cmp_gt_u32_e64 s[4:5], s20, v1
	s_and_saveexec_b64 s[6:7], s[4:5]
	s_cbranch_execz .LBB342_150
; %bb.149:
	v_lshlrev_b32_e32 v1, 2, v0
	global_load_dword v1, v1, s[16:17] offset:2048
	s_waitcnt vmcnt(0)
	v_cvt_i32_f32_e32 v4, v1
.LBB342_150:
	s_or_b64 exec, exec, s[6:7]
	v_or_b32_e32 v1, 0x300, v0
	v_cmp_gt_u32_e64 s[6:7], s20, v1
	s_and_saveexec_b64 s[8:9], s[6:7]
	;; [unrolled: 11-line block ×3, first 2 shown]
	s_cbranch_execz .LBB342_154
; %bb.153:
	v_lshlrev_b32_e32 v1, 2, v1
	global_load_dword v1, v1, s[16:17]
	s_waitcnt vmcnt(0)
	v_cvt_i32_f32_e32 v6, v1
.LBB342_154:
	s_or_b64 exec, exec, s[10:11]
	v_or_b32_e32 v1, 0x500, v0
	v_cmp_gt_u32_e64 s[10:11], s20, v1
	s_and_saveexec_b64 s[12:13], s[10:11]
	s_cbranch_execz .LBB342_156
; %bb.155:
	v_lshlrev_b32_e32 v1, 2, v1
	global_load_dword v1, v1, s[16:17]
	s_waitcnt vmcnt(0)
	v_cvt_i32_f32_e32 v7, v1
.LBB342_156:
	s_or_b64 exec, exec, s[12:13]
	v_or_b32_e32 v1, 0x600, v0
	v_cmp_gt_u32_e64 s[12:13], s20, v1
	s_and_saveexec_b64 s[14:15], s[12:13]
	;; [unrolled: 11-line block ×3, first 2 shown]
	s_cbranch_execz .LBB342_160
; %bb.159:
	v_lshlrev_b32_e32 v1, 2, v1
	global_load_dword v1, v1, s[16:17]
	s_waitcnt vmcnt(0)
	v_cvt_i32_f32_e32 v9, v1
.LBB342_160:
	s_or_b64 exec, exec, s[18:19]
	v_cndmask_b32_e32 v1, 0, v3, vcc
	v_add_u32_e32 v1, v1, v2
	v_cndmask_b32_e64 v2, 0, v4, s[4:5]
	v_cndmask_b32_e64 v3, 0, v5, s[6:7]
	v_add3_u32 v1, v1, v2, v3
	v_cndmask_b32_e64 v2, 0, v6, s[8:9]
	v_cndmask_b32_e64 v3, 0, v7, s[10:11]
	v_add3_u32 v1, v1, v2, v3
	;; [unrolled: 3-line block ×3, first 2 shown]
	v_mbcnt_lo_u32_b32 v2, -1, 0
	v_mbcnt_hi_u32_b32 v2, -1, v2
	v_and_b32_e32 v4, 63, v2
	v_cmp_ne_u32_e32 vcc, 63, v4
	s_min_u32 s6, s20, 0x100
	v_and_b32_e32 v5, 0xc0, v0
	v_addc_co_u32_e32 v3, vcc, 0, v2, vcc
	v_lshlrev_b32_e32 v3, 2, v3
	ds_bpermute_b32 v3, v3, v1
	v_sub_u32_e64 v5, s6, v5 clamp
	v_add_u32_e32 v6, 1, v4
	v_cmp_lt_u32_e32 vcc, v6, v5
	v_add_u32_e32 v6, 2, v4
	s_waitcnt lgkmcnt(0)
	v_cndmask_b32_e32 v3, 0, v3, vcc
	v_cmp_gt_u32_e32 vcc, 62, v4
	v_add_u32_e32 v1, v1, v3
	s_nop 0
	v_cndmask_b32_e64 v3, 0, 2, vcc
	v_add_lshl_u32 v3, v3, v2, 2
	ds_bpermute_b32 v3, v3, v1
	v_cmp_lt_u32_e32 vcc, v6, v5
	v_add_u32_e32 v6, 4, v4
	s_waitcnt lgkmcnt(0)
	v_cndmask_b32_e32 v3, 0, v3, vcc
	v_cmp_gt_u32_e32 vcc, 60, v4
	v_add_u32_e32 v1, v1, v3
	s_nop 0
	v_cndmask_b32_e64 v3, 0, 4, vcc
	v_add_lshl_u32 v3, v3, v2, 2
	ds_bpermute_b32 v3, v3, v1
	;; [unrolled: 10-line block ×3, first 2 shown]
	v_cmp_lt_u32_e32 vcc, v6, v5
	v_add_u32_e32 v6, 16, v4
	s_waitcnt lgkmcnt(0)
	v_cndmask_b32_e32 v3, 0, v3, vcc
	v_cmp_gt_u32_e32 vcc, 48, v4
	v_add_u32_e32 v1, v1, v3
	v_add_u32_e32 v4, 32, v4
	v_cndmask_b32_e64 v3, 0, 16, vcc
	v_add_lshl_u32 v3, v3, v2, 2
	ds_bpermute_b32 v3, v3, v1
	v_cmp_lt_u32_e32 vcc, v6, v5
	s_waitcnt lgkmcnt(0)
	s_nop 0
	v_cndmask_b32_e32 v3, 0, v3, vcc
	v_add_u32_e32 v1, v1, v3
	v_lshlrev_b32_e32 v3, 2, v2
	v_or_b32_e32 v6, 0x80, v3
	ds_bpermute_b32 v6, v6, v1
	v_cmp_lt_u32_e32 vcc, v4, v5
	s_waitcnt lgkmcnt(0)
	s_nop 0
	v_cndmask_b32_e32 v4, 0, v6, vcc
	v_add_u32_e32 v1, v1, v4
	v_cmp_eq_u32_e32 vcc, 0, v2
	s_and_saveexec_b64 s[4:5], vcc
; %bb.161:
	v_lshrrev_b32_e32 v4, 4, v0
	v_and_b32_e32 v4, 12, v4
	ds_write_b32 v4, v1 offset:96
; %bb.162:
	s_or_b64 exec, exec, s[4:5]
	v_cmp_gt_u32_e32 vcc, 4, v0
	s_waitcnt lgkmcnt(0)
	s_barrier
	s_and_saveexec_b64 s[4:5], vcc
	s_cbranch_execz .LBB342_164
; %bb.163:
	ds_read_b32 v1, v3 offset:96
	v_and_b32_e32 v4, 3, v2
	v_cmp_ne_u32_e32 vcc, 3, v4
	s_add_i32 s6, s6, 63
	s_lshr_b32 s6, s6, 6
	v_addc_co_u32_e32 v2, vcc, 0, v2, vcc
	v_lshlrev_b32_e32 v2, 2, v2
	s_waitcnt lgkmcnt(0)
	ds_bpermute_b32 v2, v2, v1
	v_add_u32_e32 v5, 1, v4
	v_cmp_gt_u32_e32 vcc, s6, v5
	s_waitcnt lgkmcnt(0)
	s_nop 0
	v_cndmask_b32_e32 v2, 0, v2, vcc
	v_add_u32_e32 v1, v2, v1
	v_or_b32_e32 v2, 8, v3
	ds_bpermute_b32 v2, v2, v1
	v_add_u32_e32 v3, 2, v4
	v_cmp_gt_u32_e32 vcc, s6, v3
	s_waitcnt lgkmcnt(0)
	s_nop 0
	v_cndmask_b32_e32 v2, 0, v2, vcc
	v_add_u32_e32 v1, v1, v2
.LBB342_164:
	s_or_b64 exec, exec, s[4:5]
.LBB342_165:
	v_cmp_eq_u32_e64 s[4:5], 0, v0
	s_branch .LBB342_224
.LBB342_166:
	s_cmp_gt_i32 s33, 1
	s_cbranch_scc0 .LBB342_175
; %bb.167:
	s_cmp_gt_i32 s33, 3
	s_cbranch_scc0 .LBB342_176
; %bb.168:
	s_cmp_eq_u32 s33, 4
	s_cbranch_scc0 .LBB342_177
; %bb.169:
	s_mov_b32 s3, 0
	s_lshl_b32 s4, s2, 10
	s_mov_b32 s5, s3
	s_lshr_b64 s[6:7], s[70:71], 10
	s_lshl_b64 s[8:9], s[4:5], 2
	s_add_u32 s8, s68, s8
	s_addc_u32 s9, s69, s9
	s_cmp_lg_u64 s[6:7], s[2:3]
	s_cbranch_scc0 .LBB342_179
; %bb.170:
	v_lshlrev_b32_e32 v1, 2, v0
	global_load_dword v2, v1, s[8:9]
	global_load_dword v3, v1, s[8:9] offset:1024
	global_load_dword v4, v1, s[8:9] offset:2048
	;; [unrolled: 1-line block ×3, first 2 shown]
	v_mbcnt_lo_u32_b32 v1, -1, 0
	s_waitcnt vmcnt(3)
	v_cvt_i32_f32_e32 v6, v2
	s_waitcnt vmcnt(2)
	v_cvt_i32_f32_e32 v7, v3
	;; [unrolled: 2-line block ×4, first 2 shown]
	v_mbcnt_hi_u32_b32 v2, -1, v1
	v_add_u32_e32 v1, v7, v6
	v_lshlrev_b32_e32 v3, 2, v2
	v_add3_u32 v1, v1, v4, v5
	v_or_b32_e32 v4, 0xfc, v3
	v_cmp_eq_u32_e32 vcc, 0, v2
	v_add_u32_dpp v1, v1, v1 quad_perm:[1,0,3,2] row_mask:0xf bank_mask:0xf bound_ctrl:1
	s_nop 1
	v_add_u32_dpp v1, v1, v1 quad_perm:[2,3,0,1] row_mask:0xf bank_mask:0xf bound_ctrl:1
	s_nop 1
	v_add_u32_dpp v1, v1, v1 row_ror:4 row_mask:0xf bank_mask:0xf bound_ctrl:1
	s_nop 1
	v_add_u32_dpp v1, v1, v1 row_ror:8 row_mask:0xf bank_mask:0xf bound_ctrl:1
	s_nop 1
	v_add_u32_dpp v1, v1, v1 row_bcast:15 row_mask:0xf bank_mask:0xf bound_ctrl:1
	s_nop 1
	v_add_u32_dpp v1, v1, v1 row_bcast:31 row_mask:0xf bank_mask:0xf bound_ctrl:1
	ds_bpermute_b32 v1, v4, v1
	s_and_saveexec_b64 s[6:7], vcc
	s_cbranch_execz .LBB342_172
; %bb.171:
	v_lshrrev_b32_e32 v4, 4, v0
	v_and_b32_e32 v4, 12, v4
	s_waitcnt lgkmcnt(0)
	ds_write_b32 v4, v1 offset:64
.LBB342_172:
	s_or_b64 exec, exec, s[6:7]
	v_cmp_gt_u32_e32 vcc, 64, v0
	s_waitcnt lgkmcnt(0)
	s_barrier
	s_and_saveexec_b64 s[6:7], vcc
	s_cbranch_execz .LBB342_174
; %bb.173:
	v_and_b32_e32 v1, 3, v2
	v_lshlrev_b32_e32 v4, 2, v1
	ds_read_b32 v4, v4 offset:64
	v_cmp_ne_u32_e32 vcc, 3, v1
	s_nop 1
	v_addc_co_u32_e32 v1, vcc, 0, v2, vcc
	v_lshlrev_b32_e32 v1, 2, v1
	s_waitcnt lgkmcnt(0)
	ds_bpermute_b32 v1, v1, v4
	v_or_b32_e32 v2, 8, v3
	s_waitcnt lgkmcnt(0)
	v_add_u32_e32 v1, v1, v4
	ds_bpermute_b32 v2, v2, v1
	s_waitcnt lgkmcnt(0)
	v_add_u32_e32 v1, v2, v1
.LBB342_174:
	s_or_b64 exec, exec, s[6:7]
	s_mov_b64 s[6:7], 0
	s_branch .LBB342_180
.LBB342_175:
                                        ; implicit-def: $vgpr1
	s_cbranch_execnz .LBB342_215
	s_branch .LBB342_224
.LBB342_176:
                                        ; implicit-def: $vgpr1
	s_cbranch_execz .LBB342_178
	s_branch .LBB342_195
.LBB342_177:
                                        ; implicit-def: $vgpr1
.LBB342_178:
	s_branch .LBB342_224
.LBB342_179:
	s_mov_b64 s[6:7], -1
                                        ; implicit-def: $vgpr1
.LBB342_180:
	s_and_b64 vcc, exec, s[6:7]
	s_cbranch_vccz .LBB342_194
; %bb.181:
	s_sub_i32 s12, s70, s4
	v_mov_b32_e32 v2, 0
	v_cmp_gt_u32_e32 vcc, s12, v0
	v_mov_b32_e32 v3, v2
	v_mov_b32_e32 v4, v2
	;; [unrolled: 1-line block ×3, first 2 shown]
	s_and_saveexec_b64 s[4:5], vcc
	s_cbranch_execz .LBB342_183
; %bb.182:
	v_lshlrev_b32_e32 v1, 2, v0
	global_load_dword v1, v1, s[8:9]
	v_mov_b32_e32 v5, v2
	v_mov_b32_e32 v6, v2
	;; [unrolled: 1-line block ×3, first 2 shown]
	s_waitcnt vmcnt(0)
	v_cvt_i32_f32_e32 v4, v1
	v_mov_b64_e32 v[2:3], v[4:5]
	v_mov_b64_e32 v[4:5], v[6:7]
.LBB342_183:
	s_or_b64 exec, exec, s[4:5]
	v_or_b32_e32 v1, 0x100, v0
	v_cmp_gt_u32_e32 vcc, s12, v1
	s_and_saveexec_b64 s[4:5], vcc
	s_cbranch_execz .LBB342_185
; %bb.184:
	v_lshlrev_b32_e32 v1, 2, v0
	global_load_dword v1, v1, s[8:9] offset:1024
	s_waitcnt vmcnt(0)
	v_cvt_i32_f32_e32 v3, v1
.LBB342_185:
	s_or_b64 exec, exec, s[4:5]
	v_or_b32_e32 v1, 0x200, v0
	v_cmp_gt_u32_e64 s[4:5], s12, v1
	s_and_saveexec_b64 s[6:7], s[4:5]
	s_cbranch_execz .LBB342_187
; %bb.186:
	v_lshlrev_b32_e32 v1, 2, v0
	global_load_dword v1, v1, s[8:9] offset:2048
	s_waitcnt vmcnt(0)
	v_cvt_i32_f32_e32 v4, v1
.LBB342_187:
	s_or_b64 exec, exec, s[6:7]
	v_or_b32_e32 v1, 0x300, v0
	v_cmp_gt_u32_e64 s[6:7], s12, v1
	s_and_saveexec_b64 s[10:11], s[6:7]
	s_cbranch_execz .LBB342_189
; %bb.188:
	v_lshlrev_b32_e32 v1, 2, v0
	global_load_dword v1, v1, s[8:9] offset:3072
	s_waitcnt vmcnt(0)
	v_cvt_i32_f32_e32 v5, v1
.LBB342_189:
	s_or_b64 exec, exec, s[10:11]
	v_cndmask_b32_e32 v1, 0, v3, vcc
	v_add_u32_e32 v1, v1, v2
	v_cndmask_b32_e64 v2, 0, v4, s[4:5]
	v_cndmask_b32_e64 v3, 0, v5, s[6:7]
	v_add3_u32 v1, v1, v2, v3
	v_mbcnt_lo_u32_b32 v2, -1, 0
	v_mbcnt_hi_u32_b32 v2, -1, v2
	v_and_b32_e32 v4, 63, v2
	v_cmp_ne_u32_e32 vcc, 63, v4
	s_min_u32 s6, s12, 0x100
	v_and_b32_e32 v5, 0xc0, v0
	v_addc_co_u32_e32 v3, vcc, 0, v2, vcc
	v_lshlrev_b32_e32 v3, 2, v3
	ds_bpermute_b32 v3, v3, v1
	v_sub_u32_e64 v5, s6, v5 clamp
	v_add_u32_e32 v6, 1, v4
	v_cmp_lt_u32_e32 vcc, v6, v5
	v_add_u32_e32 v6, 2, v4
	s_waitcnt lgkmcnt(0)
	v_cndmask_b32_e32 v3, 0, v3, vcc
	v_cmp_gt_u32_e32 vcc, 62, v4
	v_add_u32_e32 v1, v3, v1
	s_nop 0
	v_cndmask_b32_e64 v3, 0, 2, vcc
	v_add_lshl_u32 v3, v3, v2, 2
	ds_bpermute_b32 v3, v3, v1
	v_cmp_lt_u32_e32 vcc, v6, v5
	v_add_u32_e32 v6, 4, v4
	s_waitcnt lgkmcnt(0)
	v_cndmask_b32_e32 v3, 0, v3, vcc
	v_cmp_gt_u32_e32 vcc, 60, v4
	v_add_u32_e32 v1, v1, v3
	s_nop 0
	v_cndmask_b32_e64 v3, 0, 4, vcc
	v_add_lshl_u32 v3, v3, v2, 2
	ds_bpermute_b32 v3, v3, v1
	;; [unrolled: 10-line block ×3, first 2 shown]
	v_cmp_lt_u32_e32 vcc, v6, v5
	v_add_u32_e32 v6, 16, v4
	s_waitcnt lgkmcnt(0)
	v_cndmask_b32_e32 v3, 0, v3, vcc
	v_cmp_gt_u32_e32 vcc, 48, v4
	v_add_u32_e32 v1, v1, v3
	v_add_u32_e32 v4, 32, v4
	v_cndmask_b32_e64 v3, 0, 16, vcc
	v_add_lshl_u32 v3, v3, v2, 2
	ds_bpermute_b32 v3, v3, v1
	v_cmp_lt_u32_e32 vcc, v6, v5
	s_waitcnt lgkmcnt(0)
	s_nop 0
	v_cndmask_b32_e32 v3, 0, v3, vcc
	v_add_u32_e32 v1, v1, v3
	v_lshlrev_b32_e32 v3, 2, v2
	v_or_b32_e32 v6, 0x80, v3
	ds_bpermute_b32 v6, v6, v1
	v_cmp_lt_u32_e32 vcc, v4, v5
	s_waitcnt lgkmcnt(0)
	s_nop 0
	v_cndmask_b32_e32 v4, 0, v6, vcc
	v_add_u32_e32 v1, v1, v4
	v_cmp_eq_u32_e32 vcc, 0, v2
	s_and_saveexec_b64 s[4:5], vcc
; %bb.190:
	v_lshrrev_b32_e32 v4, 4, v0
	v_and_b32_e32 v4, 12, v4
	ds_write_b32 v4, v1 offset:96
; %bb.191:
	s_or_b64 exec, exec, s[4:5]
	v_cmp_gt_u32_e32 vcc, 4, v0
	s_waitcnt lgkmcnt(0)
	s_barrier
	s_and_saveexec_b64 s[4:5], vcc
	s_cbranch_execz .LBB342_193
; %bb.192:
	ds_read_b32 v1, v3 offset:96
	v_and_b32_e32 v4, 3, v2
	v_cmp_ne_u32_e32 vcc, 3, v4
	s_add_i32 s6, s6, 63
	s_lshr_b32 s6, s6, 6
	v_addc_co_u32_e32 v2, vcc, 0, v2, vcc
	v_lshlrev_b32_e32 v2, 2, v2
	s_waitcnt lgkmcnt(0)
	ds_bpermute_b32 v2, v2, v1
	v_add_u32_e32 v5, 1, v4
	v_cmp_gt_u32_e32 vcc, s6, v5
	s_waitcnt lgkmcnt(0)
	s_nop 0
	v_cndmask_b32_e32 v2, 0, v2, vcc
	v_add_u32_e32 v1, v2, v1
	v_or_b32_e32 v2, 8, v3
	ds_bpermute_b32 v2, v2, v1
	v_add_u32_e32 v3, 2, v4
	v_cmp_gt_u32_e32 vcc, s6, v3
	s_waitcnt lgkmcnt(0)
	s_nop 0
	v_cndmask_b32_e32 v2, 0, v2, vcc
	v_add_u32_e32 v1, v1, v2
.LBB342_193:
	s_or_b64 exec, exec, s[4:5]
.LBB342_194:
	v_cmp_eq_u32_e64 s[4:5], 0, v0
	s_branch .LBB342_178
.LBB342_195:
	s_cmp_eq_u32 s33, 2
	s_cbranch_scc0 .LBB342_202
; %bb.196:
	s_mov_b32 s3, 0
	s_lshl_b32 s6, s2, 9
	s_mov_b32 s7, s3
	s_lshr_b64 s[8:9], s[70:71], 9
	s_lshl_b64 s[4:5], s[6:7], 2
	s_add_u32 s4, s68, s4
	s_addc_u32 s5, s69, s5
	s_cmp_lg_u64 s[8:9], s[2:3]
	s_cbranch_scc0 .LBB342_203
; %bb.197:
	v_lshlrev_b32_e32 v1, 2, v0
	global_load_dword v2, v1, s[4:5]
	global_load_dword v3, v1, s[4:5] offset:1024
	s_waitcnt vmcnt(1)
	v_cvt_i32_f32_e32 v1, v2
	s_waitcnt vmcnt(0)
	v_cvt_i32_f32_e32 v4, v3
	v_mbcnt_lo_u32_b32 v2, -1, 0
	v_mbcnt_hi_u32_b32 v2, -1, v2
	v_lshlrev_b32_e32 v3, 2, v2
	v_add_u32_e32 v1, v4, v1
	v_or_b32_e32 v4, 0xfc, v3
	v_cmp_eq_u32_e32 vcc, 0, v2
	v_add_u32_dpp v1, v1, v1 quad_perm:[1,0,3,2] row_mask:0xf bank_mask:0xf bound_ctrl:1
	s_nop 1
	v_add_u32_dpp v1, v1, v1 quad_perm:[2,3,0,1] row_mask:0xf bank_mask:0xf bound_ctrl:1
	s_nop 1
	v_add_u32_dpp v1, v1, v1 row_ror:4 row_mask:0xf bank_mask:0xf bound_ctrl:1
	s_nop 1
	v_add_u32_dpp v1, v1, v1 row_ror:8 row_mask:0xf bank_mask:0xf bound_ctrl:1
	s_nop 1
	v_add_u32_dpp v1, v1, v1 row_bcast:15 row_mask:0xf bank_mask:0xf bound_ctrl:1
	s_nop 1
	v_add_u32_dpp v1, v1, v1 row_bcast:31 row_mask:0xf bank_mask:0xf bound_ctrl:1
	ds_bpermute_b32 v1, v4, v1
	s_and_saveexec_b64 s[8:9], vcc
	s_cbranch_execz .LBB342_199
; %bb.198:
	v_lshrrev_b32_e32 v4, 4, v0
	v_and_b32_e32 v4, 12, v4
	s_waitcnt lgkmcnt(0)
	ds_write_b32 v4, v1 offset:32
.LBB342_199:
	s_or_b64 exec, exec, s[8:9]
	v_cmp_gt_u32_e32 vcc, 64, v0
	s_waitcnt lgkmcnt(0)
	s_barrier
	s_and_saveexec_b64 s[8:9], vcc
	s_cbranch_execz .LBB342_201
; %bb.200:
	v_and_b32_e32 v1, 3, v2
	v_lshlrev_b32_e32 v4, 2, v1
	ds_read_b32 v4, v4 offset:32
	v_cmp_ne_u32_e32 vcc, 3, v1
	s_nop 1
	v_addc_co_u32_e32 v1, vcc, 0, v2, vcc
	v_lshlrev_b32_e32 v1, 2, v1
	s_waitcnt lgkmcnt(0)
	ds_bpermute_b32 v1, v1, v4
	v_or_b32_e32 v2, 8, v3
	s_waitcnt lgkmcnt(0)
	v_add_u32_e32 v1, v1, v4
	ds_bpermute_b32 v2, v2, v1
	s_waitcnt lgkmcnt(0)
	v_add_u32_e32 v1, v2, v1
.LBB342_201:
	s_or_b64 exec, exec, s[8:9]
	s_mov_b64 s[8:9], 0
	s_branch .LBB342_204
.LBB342_202:
                                        ; implicit-def: $vgpr1
	s_branch .LBB342_224
.LBB342_203:
	s_mov_b64 s[8:9], -1
                                        ; implicit-def: $vgpr1
.LBB342_204:
	s_and_b64 vcc, exec, s[8:9]
	s_cbranch_vccz .LBB342_214
; %bb.205:
	s_sub_i32 s8, s70, s6
	v_mov_b32_e32 v2, 0
	v_cmp_gt_u32_e32 vcc, s8, v0
	v_mov_b32_e32 v3, v2
	s_and_saveexec_b64 s[6:7], vcc
	s_cbranch_execz .LBB342_207
; %bb.206:
	v_lshlrev_b32_e32 v1, 2, v0
	global_load_dword v1, v1, s[4:5]
	v_mov_b32_e32 v5, v2
	s_waitcnt vmcnt(0)
	v_cvt_i32_f32_e32 v4, v1
	v_mov_b64_e32 v[2:3], v[4:5]
.LBB342_207:
	s_or_b64 exec, exec, s[6:7]
	v_or_b32_e32 v1, 0x100, v0
	v_cmp_gt_u32_e32 vcc, s8, v1
	s_and_saveexec_b64 s[6:7], vcc
	s_cbranch_execz .LBB342_209
; %bb.208:
	v_lshlrev_b32_e32 v1, 2, v0
	global_load_dword v1, v1, s[4:5] offset:1024
	s_waitcnt vmcnt(0)
	v_cvt_i32_f32_e32 v3, v1
.LBB342_209:
	s_or_b64 exec, exec, s[6:7]
	v_cndmask_b32_e32 v1, 0, v3, vcc
	v_add_u32_e32 v1, v1, v2
	v_mbcnt_lo_u32_b32 v2, -1, 0
	v_mbcnt_hi_u32_b32 v2, -1, v2
	v_and_b32_e32 v4, 63, v2
	v_cmp_ne_u32_e32 vcc, 63, v4
	s_min_u32 s6, s8, 0x100
	v_and_b32_e32 v5, 0xc0, v0
	v_addc_co_u32_e32 v3, vcc, 0, v2, vcc
	v_lshlrev_b32_e32 v3, 2, v3
	ds_bpermute_b32 v3, v3, v1
	v_sub_u32_e64 v5, s6, v5 clamp
	v_add_u32_e32 v6, 1, v4
	v_cmp_lt_u32_e32 vcc, v6, v5
	v_add_u32_e32 v6, 2, v4
	s_waitcnt lgkmcnt(0)
	v_cndmask_b32_e32 v3, 0, v3, vcc
	v_cmp_gt_u32_e32 vcc, 62, v4
	v_add_u32_e32 v1, v3, v1
	s_nop 0
	v_cndmask_b32_e64 v3, 0, 2, vcc
	v_add_lshl_u32 v3, v3, v2, 2
	ds_bpermute_b32 v3, v3, v1
	v_cmp_lt_u32_e32 vcc, v6, v5
	v_add_u32_e32 v6, 4, v4
	s_waitcnt lgkmcnt(0)
	v_cndmask_b32_e32 v3, 0, v3, vcc
	v_cmp_gt_u32_e32 vcc, 60, v4
	v_add_u32_e32 v1, v1, v3
	s_nop 0
	v_cndmask_b32_e64 v3, 0, 4, vcc
	v_add_lshl_u32 v3, v3, v2, 2
	ds_bpermute_b32 v3, v3, v1
	;; [unrolled: 10-line block ×3, first 2 shown]
	v_cmp_lt_u32_e32 vcc, v6, v5
	v_add_u32_e32 v6, 16, v4
	s_waitcnt lgkmcnt(0)
	v_cndmask_b32_e32 v3, 0, v3, vcc
	v_cmp_gt_u32_e32 vcc, 48, v4
	v_add_u32_e32 v1, v1, v3
	v_add_u32_e32 v4, 32, v4
	v_cndmask_b32_e64 v3, 0, 16, vcc
	v_add_lshl_u32 v3, v3, v2, 2
	ds_bpermute_b32 v3, v3, v1
	v_cmp_lt_u32_e32 vcc, v6, v5
	s_waitcnt lgkmcnt(0)
	s_nop 0
	v_cndmask_b32_e32 v3, 0, v3, vcc
	v_add_u32_e32 v1, v1, v3
	v_lshlrev_b32_e32 v3, 2, v2
	v_or_b32_e32 v6, 0x80, v3
	ds_bpermute_b32 v6, v6, v1
	v_cmp_lt_u32_e32 vcc, v4, v5
	s_waitcnt lgkmcnt(0)
	s_nop 0
	v_cndmask_b32_e32 v4, 0, v6, vcc
	v_add_u32_e32 v1, v1, v4
	v_cmp_eq_u32_e32 vcc, 0, v2
	s_and_saveexec_b64 s[4:5], vcc
; %bb.210:
	v_lshrrev_b32_e32 v4, 4, v0
	v_and_b32_e32 v4, 12, v4
	ds_write_b32 v4, v1 offset:96
; %bb.211:
	s_or_b64 exec, exec, s[4:5]
	v_cmp_gt_u32_e32 vcc, 4, v0
	s_waitcnt lgkmcnt(0)
	s_barrier
	s_and_saveexec_b64 s[4:5], vcc
	s_cbranch_execz .LBB342_213
; %bb.212:
	ds_read_b32 v1, v3 offset:96
	v_and_b32_e32 v4, 3, v2
	v_cmp_ne_u32_e32 vcc, 3, v4
	s_add_i32 s6, s6, 63
	s_lshr_b32 s6, s6, 6
	v_addc_co_u32_e32 v2, vcc, 0, v2, vcc
	v_lshlrev_b32_e32 v2, 2, v2
	s_waitcnt lgkmcnt(0)
	ds_bpermute_b32 v2, v2, v1
	v_add_u32_e32 v5, 1, v4
	v_cmp_gt_u32_e32 vcc, s6, v5
	s_waitcnt lgkmcnt(0)
	s_nop 0
	v_cndmask_b32_e32 v2, 0, v2, vcc
	v_add_u32_e32 v1, v2, v1
	v_or_b32_e32 v2, 8, v3
	ds_bpermute_b32 v2, v2, v1
	v_add_u32_e32 v3, 2, v4
	v_cmp_gt_u32_e32 vcc, s6, v3
	s_waitcnt lgkmcnt(0)
	s_nop 0
	v_cndmask_b32_e32 v2, 0, v2, vcc
	v_add_u32_e32 v1, v1, v2
.LBB342_213:
	s_or_b64 exec, exec, s[4:5]
.LBB342_214:
	v_cmp_eq_u32_e64 s[4:5], 0, v0
	s_branch .LBB342_224
.LBB342_215:
	s_cmp_eq_u32 s33, 1
	s_cbranch_scc0 .LBB342_223
; %bb.216:
	s_mov_b32 s5, 0
	s_lshl_b32 s4, s2, 8
	s_mov_b32 s3, s5
	s_lshr_b64 s[6:7], s[70:71], 8
	s_cmp_lg_u64 s[6:7], s[2:3]
	v_mbcnt_lo_u32_b32 v2, -1, 0
	s_cbranch_scc0 .LBB342_227
; %bb.217:
	s_lshl_b64 s[6:7], s[4:5], 2
	s_add_u32 s6, s68, s6
	s_addc_u32 s7, s69, s7
	v_lshlrev_b32_e32 v1, 2, v0
	global_load_dword v1, v1, s[6:7]
	v_mbcnt_hi_u32_b32 v3, -1, v2
	v_lshlrev_b32_e32 v4, 2, v3
	v_or_b32_e32 v5, 0xfc, v4
	v_cmp_eq_u32_e32 vcc, 0, v3
	s_waitcnt vmcnt(0)
	v_cvt_i32_f32_e32 v1, v1
	s_nop 1
	v_add_u32_dpp v1, v1, v1 quad_perm:[1,0,3,2] row_mask:0xf bank_mask:0xf bound_ctrl:1
	s_nop 1
	v_add_u32_dpp v1, v1, v1 quad_perm:[2,3,0,1] row_mask:0xf bank_mask:0xf bound_ctrl:1
	s_nop 1
	v_add_u32_dpp v1, v1, v1 row_ror:4 row_mask:0xf bank_mask:0xf bound_ctrl:1
	s_nop 1
	v_add_u32_dpp v1, v1, v1 row_ror:8 row_mask:0xf bank_mask:0xf bound_ctrl:1
	s_nop 1
	v_add_u32_dpp v1, v1, v1 row_bcast:15 row_mask:0xf bank_mask:0xf bound_ctrl:1
	s_nop 1
	v_add_u32_dpp v1, v1, v1 row_bcast:31 row_mask:0xf bank_mask:0xf bound_ctrl:1
	ds_bpermute_b32 v1, v5, v1
	s_and_saveexec_b64 s[6:7], vcc
	s_cbranch_execz .LBB342_219
; %bb.218:
	v_lshrrev_b32_e32 v5, 4, v0
	v_and_b32_e32 v5, 12, v5
	s_waitcnt lgkmcnt(0)
	ds_write_b32 v5, v1 offset:16
.LBB342_219:
	s_or_b64 exec, exec, s[6:7]
	v_cmp_gt_u32_e32 vcc, 64, v0
	s_waitcnt lgkmcnt(0)
	s_barrier
	s_and_saveexec_b64 s[6:7], vcc
	s_cbranch_execz .LBB342_221
; %bb.220:
	v_and_b32_e32 v1, 3, v3
	v_lshlrev_b32_e32 v5, 2, v1
	ds_read_b32 v5, v5 offset:16
	v_cmp_ne_u32_e32 vcc, 3, v1
	s_nop 1
	v_addc_co_u32_e32 v1, vcc, 0, v3, vcc
	v_lshlrev_b32_e32 v1, 2, v1
	s_waitcnt lgkmcnt(0)
	ds_bpermute_b32 v1, v1, v5
	v_or_b32_e32 v3, 8, v4
	s_waitcnt lgkmcnt(0)
	v_add_u32_e32 v1, v1, v5
	ds_bpermute_b32 v3, v3, v1
	s_waitcnt lgkmcnt(0)
	v_add_u32_e32 v1, v3, v1
.LBB342_221:
	s_or_b64 exec, exec, s[6:7]
.LBB342_222:
	v_cmp_eq_u32_e64 s[4:5], 0, v0
	s_and_saveexec_b64 s[6:7], s[4:5]
	s_cbranch_execnz .LBB342_225
	s_branch .LBB342_226
.LBB342_223:
                                        ; implicit-def: $vgpr1
                                        ; implicit-def: $sgpr2_sgpr3
.LBB342_224:
	s_and_saveexec_b64 s[6:7], s[4:5]
	s_cbranch_execz .LBB342_226
.LBB342_225:
	s_load_dwordx2 s[4:5], s[0:1], 0x18
	s_load_dword s6, s[0:1], 0x20
	s_lshl_b64 s[0:1], s[2:3], 2
	v_mov_b32_e32 v0, 0
	s_waitcnt lgkmcnt(0)
	s_add_u32 s0, s4, s0
	s_addc_u32 s1, s5, s1
	s_cmp_lg_u64 s[70:71], 0
	s_cselect_b64 vcc, -1, 0
	v_cndmask_b32_e32 v1, 0, v1, vcc
	v_add_u32_e32 v1, s6, v1
	global_store_dword v0, v1, s[0:1]
.LBB342_226:
	s_endpgm
.LBB342_227:
                                        ; implicit-def: $vgpr1
	s_cbranch_execz .LBB342_222
; %bb.228:
	s_sub_i32 s8, s70, s4
	v_cmp_gt_u32_e32 vcc, s8, v0
                                        ; implicit-def: $vgpr1
	s_and_saveexec_b64 s[6:7], vcc
	s_cbranch_execz .LBB342_230
; %bb.229:
	s_lshl_b64 s[4:5], s[4:5], 2
	s_add_u32 s4, s68, s4
	s_addc_u32 s5, s69, s5
	v_lshlrev_b32_e32 v1, 2, v0
	global_load_dword v1, v1, s[4:5]
	s_waitcnt vmcnt(0)
	v_cvt_i32_f32_e32 v1, v1
.LBB342_230:
	s_or_b64 exec, exec, s[6:7]
	v_mbcnt_hi_u32_b32 v2, -1, v2
	v_and_b32_e32 v4, 63, v2
	v_cmp_ne_u32_e32 vcc, 63, v4
	s_min_u32 s6, s8, 0x100
	v_and_b32_e32 v5, 0xc0, v0
	v_addc_co_u32_e32 v3, vcc, 0, v2, vcc
	v_lshlrev_b32_e32 v3, 2, v3
	ds_bpermute_b32 v3, v3, v1
	v_sub_u32_e64 v5, s6, v5 clamp
	v_add_u32_e32 v6, 1, v4
	v_cmp_lt_u32_e32 vcc, v6, v5
	v_add_u32_e32 v6, 2, v4
	s_waitcnt lgkmcnt(0)
	v_cndmask_b32_e32 v3, 0, v3, vcc
	v_cmp_gt_u32_e32 vcc, 62, v4
	v_add_u32_e32 v1, v3, v1
	s_nop 0
	v_cndmask_b32_e64 v3, 0, 2, vcc
	v_add_lshl_u32 v3, v3, v2, 2
	ds_bpermute_b32 v3, v3, v1
	v_cmp_lt_u32_e32 vcc, v6, v5
	v_add_u32_e32 v6, 4, v4
	s_waitcnt lgkmcnt(0)
	v_cndmask_b32_e32 v3, 0, v3, vcc
	v_cmp_gt_u32_e32 vcc, 60, v4
	v_add_u32_e32 v1, v1, v3
	s_nop 0
	v_cndmask_b32_e64 v3, 0, 4, vcc
	v_add_lshl_u32 v3, v3, v2, 2
	ds_bpermute_b32 v3, v3, v1
	;; [unrolled: 10-line block ×3, first 2 shown]
	v_cmp_lt_u32_e32 vcc, v6, v5
	v_add_u32_e32 v6, 16, v4
	s_waitcnt lgkmcnt(0)
	v_cndmask_b32_e32 v3, 0, v3, vcc
	v_cmp_gt_u32_e32 vcc, 48, v4
	v_add_u32_e32 v1, v1, v3
	v_add_u32_e32 v4, 32, v4
	v_cndmask_b32_e64 v3, 0, 16, vcc
	v_add_lshl_u32 v3, v3, v2, 2
	ds_bpermute_b32 v3, v3, v1
	v_cmp_lt_u32_e32 vcc, v6, v5
	s_waitcnt lgkmcnt(0)
	s_nop 0
	v_cndmask_b32_e32 v3, 0, v3, vcc
	v_add_u32_e32 v1, v1, v3
	v_lshlrev_b32_e32 v3, 2, v2
	v_or_b32_e32 v6, 0x80, v3
	ds_bpermute_b32 v6, v6, v1
	v_cmp_lt_u32_e32 vcc, v4, v5
	s_waitcnt lgkmcnt(0)
	s_nop 0
	v_cndmask_b32_e32 v4, 0, v6, vcc
	v_add_u32_e32 v1, v1, v4
	v_cmp_eq_u32_e32 vcc, 0, v2
	s_and_saveexec_b64 s[4:5], vcc
; %bb.231:
	v_lshrrev_b32_e32 v4, 4, v0
	v_and_b32_e32 v4, 12, v4
	ds_write_b32 v4, v1 offset:96
; %bb.232:
	s_or_b64 exec, exec, s[4:5]
	v_cmp_gt_u32_e32 vcc, 4, v0
	s_waitcnt lgkmcnt(0)
	s_barrier
	s_and_saveexec_b64 s[4:5], vcc
	s_cbranch_execz .LBB342_234
; %bb.233:
	ds_read_b32 v1, v3 offset:96
	v_and_b32_e32 v4, 3, v2
	v_cmp_ne_u32_e32 vcc, 3, v4
	s_add_i32 s6, s6, 63
	s_lshr_b32 s6, s6, 6
	v_addc_co_u32_e32 v2, vcc, 0, v2, vcc
	v_lshlrev_b32_e32 v2, 2, v2
	s_waitcnt lgkmcnt(0)
	ds_bpermute_b32 v2, v2, v1
	v_add_u32_e32 v5, 1, v4
	v_cmp_gt_u32_e32 vcc, s6, v5
	s_waitcnt lgkmcnt(0)
	s_nop 0
	v_cndmask_b32_e32 v2, 0, v2, vcc
	v_add_u32_e32 v1, v2, v1
	v_or_b32_e32 v2, 8, v3
	ds_bpermute_b32 v2, v2, v1
	v_add_u32_e32 v3, 2, v4
	v_cmp_gt_u32_e32 vcc, s6, v3
	s_waitcnt lgkmcnt(0)
	s_nop 0
	v_cndmask_b32_e32 v2, 0, v2, vcc
	v_add_u32_e32 v1, v1, v2
.LBB342_234:
	s_or_b64 exec, exec, s[4:5]
	v_cmp_eq_u32_e64 s[4:5], 0, v0
	s_and_saveexec_b64 s[6:7], s[4:5]
	s_cbranch_execnz .LBB342_225
	s_branch .LBB342_226
	.section	.rodata,"a",@progbits
	.p2align	6, 0x0
	.amdhsa_kernel _ZN7rocprim17ROCPRIM_400000_NS6detail17trampoline_kernelINS0_14default_configENS1_22reduce_config_selectorIfEEZNS1_11reduce_implILb1ES3_N6thrust23THRUST_200600_302600_NS6detail15normal_iteratorINS8_10device_ptrIfEEEEPiiNS8_4plusIiEEEE10hipError_tPvRmT1_T2_T3_mT4_P12ihipStream_tbEUlT_E1_NS1_11comp_targetILNS1_3genE0ELNS1_11target_archE4294967295ELNS1_3gpuE0ELNS1_3repE0EEENS1_30default_config_static_selectorELNS0_4arch9wavefront6targetE1EEEvSK_
		.amdhsa_group_segment_fixed_size 112
		.amdhsa_private_segment_fixed_size 0
		.amdhsa_kernarg_size 40
		.amdhsa_user_sgpr_count 2
		.amdhsa_user_sgpr_dispatch_ptr 0
		.amdhsa_user_sgpr_queue_ptr 0
		.amdhsa_user_sgpr_kernarg_segment_ptr 1
		.amdhsa_user_sgpr_dispatch_id 0
		.amdhsa_user_sgpr_kernarg_preload_length 0
		.amdhsa_user_sgpr_kernarg_preload_offset 0
		.amdhsa_user_sgpr_private_segment_size 0
		.amdhsa_uses_dynamic_stack 0
		.amdhsa_enable_private_segment 0
		.amdhsa_system_sgpr_workgroup_id_x 1
		.amdhsa_system_sgpr_workgroup_id_y 0
		.amdhsa_system_sgpr_workgroup_id_z 0
		.amdhsa_system_sgpr_workgroup_info 0
		.amdhsa_system_vgpr_workitem_id 0
		.amdhsa_next_free_vgpr 36
		.amdhsa_next_free_sgpr 77
		.amdhsa_accum_offset 36
		.amdhsa_reserve_vcc 1
		.amdhsa_float_round_mode_32 0
		.amdhsa_float_round_mode_16_64 0
		.amdhsa_float_denorm_mode_32 3
		.amdhsa_float_denorm_mode_16_64 3
		.amdhsa_dx10_clamp 1
		.amdhsa_ieee_mode 1
		.amdhsa_fp16_overflow 0
		.amdhsa_tg_split 0
		.amdhsa_exception_fp_ieee_invalid_op 0
		.amdhsa_exception_fp_denorm_src 0
		.amdhsa_exception_fp_ieee_div_zero 0
		.amdhsa_exception_fp_ieee_overflow 0
		.amdhsa_exception_fp_ieee_underflow 0
		.amdhsa_exception_fp_ieee_inexact 0
		.amdhsa_exception_int_div_zero 0
	.end_amdhsa_kernel
	.section	.text._ZN7rocprim17ROCPRIM_400000_NS6detail17trampoline_kernelINS0_14default_configENS1_22reduce_config_selectorIfEEZNS1_11reduce_implILb1ES3_N6thrust23THRUST_200600_302600_NS6detail15normal_iteratorINS8_10device_ptrIfEEEEPiiNS8_4plusIiEEEE10hipError_tPvRmT1_T2_T3_mT4_P12ihipStream_tbEUlT_E1_NS1_11comp_targetILNS1_3genE0ELNS1_11target_archE4294967295ELNS1_3gpuE0ELNS1_3repE0EEENS1_30default_config_static_selectorELNS0_4arch9wavefront6targetE1EEEvSK_,"axG",@progbits,_ZN7rocprim17ROCPRIM_400000_NS6detail17trampoline_kernelINS0_14default_configENS1_22reduce_config_selectorIfEEZNS1_11reduce_implILb1ES3_N6thrust23THRUST_200600_302600_NS6detail15normal_iteratorINS8_10device_ptrIfEEEEPiiNS8_4plusIiEEEE10hipError_tPvRmT1_T2_T3_mT4_P12ihipStream_tbEUlT_E1_NS1_11comp_targetILNS1_3genE0ELNS1_11target_archE4294967295ELNS1_3gpuE0ELNS1_3repE0EEENS1_30default_config_static_selectorELNS0_4arch9wavefront6targetE1EEEvSK_,comdat
.Lfunc_end342:
	.size	_ZN7rocprim17ROCPRIM_400000_NS6detail17trampoline_kernelINS0_14default_configENS1_22reduce_config_selectorIfEEZNS1_11reduce_implILb1ES3_N6thrust23THRUST_200600_302600_NS6detail15normal_iteratorINS8_10device_ptrIfEEEEPiiNS8_4plusIiEEEE10hipError_tPvRmT1_T2_T3_mT4_P12ihipStream_tbEUlT_E1_NS1_11comp_targetILNS1_3genE0ELNS1_11target_archE4294967295ELNS1_3gpuE0ELNS1_3repE0EEENS1_30default_config_static_selectorELNS0_4arch9wavefront6targetE1EEEvSK_, .Lfunc_end342-_ZN7rocprim17ROCPRIM_400000_NS6detail17trampoline_kernelINS0_14default_configENS1_22reduce_config_selectorIfEEZNS1_11reduce_implILb1ES3_N6thrust23THRUST_200600_302600_NS6detail15normal_iteratorINS8_10device_ptrIfEEEEPiiNS8_4plusIiEEEE10hipError_tPvRmT1_T2_T3_mT4_P12ihipStream_tbEUlT_E1_NS1_11comp_targetILNS1_3genE0ELNS1_11target_archE4294967295ELNS1_3gpuE0ELNS1_3repE0EEENS1_30default_config_static_selectorELNS0_4arch9wavefront6targetE1EEEvSK_
                                        ; -- End function
	.set _ZN7rocprim17ROCPRIM_400000_NS6detail17trampoline_kernelINS0_14default_configENS1_22reduce_config_selectorIfEEZNS1_11reduce_implILb1ES3_N6thrust23THRUST_200600_302600_NS6detail15normal_iteratorINS8_10device_ptrIfEEEEPiiNS8_4plusIiEEEE10hipError_tPvRmT1_T2_T3_mT4_P12ihipStream_tbEUlT_E1_NS1_11comp_targetILNS1_3genE0ELNS1_11target_archE4294967295ELNS1_3gpuE0ELNS1_3repE0EEENS1_30default_config_static_selectorELNS0_4arch9wavefront6targetE1EEEvSK_.num_vgpr, 36
	.set _ZN7rocprim17ROCPRIM_400000_NS6detail17trampoline_kernelINS0_14default_configENS1_22reduce_config_selectorIfEEZNS1_11reduce_implILb1ES3_N6thrust23THRUST_200600_302600_NS6detail15normal_iteratorINS8_10device_ptrIfEEEEPiiNS8_4plusIiEEEE10hipError_tPvRmT1_T2_T3_mT4_P12ihipStream_tbEUlT_E1_NS1_11comp_targetILNS1_3genE0ELNS1_11target_archE4294967295ELNS1_3gpuE0ELNS1_3repE0EEENS1_30default_config_static_selectorELNS0_4arch9wavefront6targetE1EEEvSK_.num_agpr, 0
	.set _ZN7rocprim17ROCPRIM_400000_NS6detail17trampoline_kernelINS0_14default_configENS1_22reduce_config_selectorIfEEZNS1_11reduce_implILb1ES3_N6thrust23THRUST_200600_302600_NS6detail15normal_iteratorINS8_10device_ptrIfEEEEPiiNS8_4plusIiEEEE10hipError_tPvRmT1_T2_T3_mT4_P12ihipStream_tbEUlT_E1_NS1_11comp_targetILNS1_3genE0ELNS1_11target_archE4294967295ELNS1_3gpuE0ELNS1_3repE0EEENS1_30default_config_static_selectorELNS0_4arch9wavefront6targetE1EEEvSK_.numbered_sgpr, 77
	.set _ZN7rocprim17ROCPRIM_400000_NS6detail17trampoline_kernelINS0_14default_configENS1_22reduce_config_selectorIfEEZNS1_11reduce_implILb1ES3_N6thrust23THRUST_200600_302600_NS6detail15normal_iteratorINS8_10device_ptrIfEEEEPiiNS8_4plusIiEEEE10hipError_tPvRmT1_T2_T3_mT4_P12ihipStream_tbEUlT_E1_NS1_11comp_targetILNS1_3genE0ELNS1_11target_archE4294967295ELNS1_3gpuE0ELNS1_3repE0EEENS1_30default_config_static_selectorELNS0_4arch9wavefront6targetE1EEEvSK_.num_named_barrier, 0
	.set _ZN7rocprim17ROCPRIM_400000_NS6detail17trampoline_kernelINS0_14default_configENS1_22reduce_config_selectorIfEEZNS1_11reduce_implILb1ES3_N6thrust23THRUST_200600_302600_NS6detail15normal_iteratorINS8_10device_ptrIfEEEEPiiNS8_4plusIiEEEE10hipError_tPvRmT1_T2_T3_mT4_P12ihipStream_tbEUlT_E1_NS1_11comp_targetILNS1_3genE0ELNS1_11target_archE4294967295ELNS1_3gpuE0ELNS1_3repE0EEENS1_30default_config_static_selectorELNS0_4arch9wavefront6targetE1EEEvSK_.private_seg_size, 0
	.set _ZN7rocprim17ROCPRIM_400000_NS6detail17trampoline_kernelINS0_14default_configENS1_22reduce_config_selectorIfEEZNS1_11reduce_implILb1ES3_N6thrust23THRUST_200600_302600_NS6detail15normal_iteratorINS8_10device_ptrIfEEEEPiiNS8_4plusIiEEEE10hipError_tPvRmT1_T2_T3_mT4_P12ihipStream_tbEUlT_E1_NS1_11comp_targetILNS1_3genE0ELNS1_11target_archE4294967295ELNS1_3gpuE0ELNS1_3repE0EEENS1_30default_config_static_selectorELNS0_4arch9wavefront6targetE1EEEvSK_.uses_vcc, 1
	.set _ZN7rocprim17ROCPRIM_400000_NS6detail17trampoline_kernelINS0_14default_configENS1_22reduce_config_selectorIfEEZNS1_11reduce_implILb1ES3_N6thrust23THRUST_200600_302600_NS6detail15normal_iteratorINS8_10device_ptrIfEEEEPiiNS8_4plusIiEEEE10hipError_tPvRmT1_T2_T3_mT4_P12ihipStream_tbEUlT_E1_NS1_11comp_targetILNS1_3genE0ELNS1_11target_archE4294967295ELNS1_3gpuE0ELNS1_3repE0EEENS1_30default_config_static_selectorELNS0_4arch9wavefront6targetE1EEEvSK_.uses_flat_scratch, 0
	.set _ZN7rocprim17ROCPRIM_400000_NS6detail17trampoline_kernelINS0_14default_configENS1_22reduce_config_selectorIfEEZNS1_11reduce_implILb1ES3_N6thrust23THRUST_200600_302600_NS6detail15normal_iteratorINS8_10device_ptrIfEEEEPiiNS8_4plusIiEEEE10hipError_tPvRmT1_T2_T3_mT4_P12ihipStream_tbEUlT_E1_NS1_11comp_targetILNS1_3genE0ELNS1_11target_archE4294967295ELNS1_3gpuE0ELNS1_3repE0EEENS1_30default_config_static_selectorELNS0_4arch9wavefront6targetE1EEEvSK_.has_dyn_sized_stack, 0
	.set _ZN7rocprim17ROCPRIM_400000_NS6detail17trampoline_kernelINS0_14default_configENS1_22reduce_config_selectorIfEEZNS1_11reduce_implILb1ES3_N6thrust23THRUST_200600_302600_NS6detail15normal_iteratorINS8_10device_ptrIfEEEEPiiNS8_4plusIiEEEE10hipError_tPvRmT1_T2_T3_mT4_P12ihipStream_tbEUlT_E1_NS1_11comp_targetILNS1_3genE0ELNS1_11target_archE4294967295ELNS1_3gpuE0ELNS1_3repE0EEENS1_30default_config_static_selectorELNS0_4arch9wavefront6targetE1EEEvSK_.has_recursion, 0
	.set _ZN7rocprim17ROCPRIM_400000_NS6detail17trampoline_kernelINS0_14default_configENS1_22reduce_config_selectorIfEEZNS1_11reduce_implILb1ES3_N6thrust23THRUST_200600_302600_NS6detail15normal_iteratorINS8_10device_ptrIfEEEEPiiNS8_4plusIiEEEE10hipError_tPvRmT1_T2_T3_mT4_P12ihipStream_tbEUlT_E1_NS1_11comp_targetILNS1_3genE0ELNS1_11target_archE4294967295ELNS1_3gpuE0ELNS1_3repE0EEENS1_30default_config_static_selectorELNS0_4arch9wavefront6targetE1EEEvSK_.has_indirect_call, 0
	.section	.AMDGPU.csdata,"",@progbits
; Kernel info:
; codeLenInByte = 10740
; TotalNumSgprs: 83
; NumVgprs: 36
; NumAgprs: 0
; TotalNumVgprs: 36
; ScratchSize: 0
; MemoryBound: 0
; FloatMode: 240
; IeeeMode: 1
; LDSByteSize: 112 bytes/workgroup (compile time only)
; SGPRBlocks: 10
; VGPRBlocks: 4
; NumSGPRsForWavesPerEU: 83
; NumVGPRsForWavesPerEU: 36
; AccumOffset: 36
; Occupancy: 8
; WaveLimiterHint : 1
; COMPUTE_PGM_RSRC2:SCRATCH_EN: 0
; COMPUTE_PGM_RSRC2:USER_SGPR: 2
; COMPUTE_PGM_RSRC2:TRAP_HANDLER: 0
; COMPUTE_PGM_RSRC2:TGID_X_EN: 1
; COMPUTE_PGM_RSRC2:TGID_Y_EN: 0
; COMPUTE_PGM_RSRC2:TGID_Z_EN: 0
; COMPUTE_PGM_RSRC2:TIDIG_COMP_CNT: 0
; COMPUTE_PGM_RSRC3_GFX90A:ACCUM_OFFSET: 8
; COMPUTE_PGM_RSRC3_GFX90A:TG_SPLIT: 0
	.section	.text._ZN7rocprim17ROCPRIM_400000_NS6detail17trampoline_kernelINS0_14default_configENS1_22reduce_config_selectorIfEEZNS1_11reduce_implILb1ES3_N6thrust23THRUST_200600_302600_NS6detail15normal_iteratorINS8_10device_ptrIfEEEEPiiNS8_4plusIiEEEE10hipError_tPvRmT1_T2_T3_mT4_P12ihipStream_tbEUlT_E1_NS1_11comp_targetILNS1_3genE5ELNS1_11target_archE942ELNS1_3gpuE9ELNS1_3repE0EEENS1_30default_config_static_selectorELNS0_4arch9wavefront6targetE1EEEvSK_,"axG",@progbits,_ZN7rocprim17ROCPRIM_400000_NS6detail17trampoline_kernelINS0_14default_configENS1_22reduce_config_selectorIfEEZNS1_11reduce_implILb1ES3_N6thrust23THRUST_200600_302600_NS6detail15normal_iteratorINS8_10device_ptrIfEEEEPiiNS8_4plusIiEEEE10hipError_tPvRmT1_T2_T3_mT4_P12ihipStream_tbEUlT_E1_NS1_11comp_targetILNS1_3genE5ELNS1_11target_archE942ELNS1_3gpuE9ELNS1_3repE0EEENS1_30default_config_static_selectorELNS0_4arch9wavefront6targetE1EEEvSK_,comdat
	.protected	_ZN7rocprim17ROCPRIM_400000_NS6detail17trampoline_kernelINS0_14default_configENS1_22reduce_config_selectorIfEEZNS1_11reduce_implILb1ES3_N6thrust23THRUST_200600_302600_NS6detail15normal_iteratorINS8_10device_ptrIfEEEEPiiNS8_4plusIiEEEE10hipError_tPvRmT1_T2_T3_mT4_P12ihipStream_tbEUlT_E1_NS1_11comp_targetILNS1_3genE5ELNS1_11target_archE942ELNS1_3gpuE9ELNS1_3repE0EEENS1_30default_config_static_selectorELNS0_4arch9wavefront6targetE1EEEvSK_ ; -- Begin function _ZN7rocprim17ROCPRIM_400000_NS6detail17trampoline_kernelINS0_14default_configENS1_22reduce_config_selectorIfEEZNS1_11reduce_implILb1ES3_N6thrust23THRUST_200600_302600_NS6detail15normal_iteratorINS8_10device_ptrIfEEEEPiiNS8_4plusIiEEEE10hipError_tPvRmT1_T2_T3_mT4_P12ihipStream_tbEUlT_E1_NS1_11comp_targetILNS1_3genE5ELNS1_11target_archE942ELNS1_3gpuE9ELNS1_3repE0EEENS1_30default_config_static_selectorELNS0_4arch9wavefront6targetE1EEEvSK_
	.globl	_ZN7rocprim17ROCPRIM_400000_NS6detail17trampoline_kernelINS0_14default_configENS1_22reduce_config_selectorIfEEZNS1_11reduce_implILb1ES3_N6thrust23THRUST_200600_302600_NS6detail15normal_iteratorINS8_10device_ptrIfEEEEPiiNS8_4plusIiEEEE10hipError_tPvRmT1_T2_T3_mT4_P12ihipStream_tbEUlT_E1_NS1_11comp_targetILNS1_3genE5ELNS1_11target_archE942ELNS1_3gpuE9ELNS1_3repE0EEENS1_30default_config_static_selectorELNS0_4arch9wavefront6targetE1EEEvSK_
	.p2align	8
	.type	_ZN7rocprim17ROCPRIM_400000_NS6detail17trampoline_kernelINS0_14default_configENS1_22reduce_config_selectorIfEEZNS1_11reduce_implILb1ES3_N6thrust23THRUST_200600_302600_NS6detail15normal_iteratorINS8_10device_ptrIfEEEEPiiNS8_4plusIiEEEE10hipError_tPvRmT1_T2_T3_mT4_P12ihipStream_tbEUlT_E1_NS1_11comp_targetILNS1_3genE5ELNS1_11target_archE942ELNS1_3gpuE9ELNS1_3repE0EEENS1_30default_config_static_selectorELNS0_4arch9wavefront6targetE1EEEvSK_,@function
_ZN7rocprim17ROCPRIM_400000_NS6detail17trampoline_kernelINS0_14default_configENS1_22reduce_config_selectorIfEEZNS1_11reduce_implILb1ES3_N6thrust23THRUST_200600_302600_NS6detail15normal_iteratorINS8_10device_ptrIfEEEEPiiNS8_4plusIiEEEE10hipError_tPvRmT1_T2_T3_mT4_P12ihipStream_tbEUlT_E1_NS1_11comp_targetILNS1_3genE5ELNS1_11target_archE942ELNS1_3gpuE9ELNS1_3repE0EEENS1_30default_config_static_selectorELNS0_4arch9wavefront6targetE1EEEvSK_: ; @_ZN7rocprim17ROCPRIM_400000_NS6detail17trampoline_kernelINS0_14default_configENS1_22reduce_config_selectorIfEEZNS1_11reduce_implILb1ES3_N6thrust23THRUST_200600_302600_NS6detail15normal_iteratorINS8_10device_ptrIfEEEEPiiNS8_4plusIiEEEE10hipError_tPvRmT1_T2_T3_mT4_P12ihipStream_tbEUlT_E1_NS1_11comp_targetILNS1_3genE5ELNS1_11target_archE942ELNS1_3gpuE9ELNS1_3repE0EEENS1_30default_config_static_selectorELNS0_4arch9wavefront6targetE1EEEvSK_
; %bb.0:
	.section	.rodata,"a",@progbits
	.p2align	6, 0x0
	.amdhsa_kernel _ZN7rocprim17ROCPRIM_400000_NS6detail17trampoline_kernelINS0_14default_configENS1_22reduce_config_selectorIfEEZNS1_11reduce_implILb1ES3_N6thrust23THRUST_200600_302600_NS6detail15normal_iteratorINS8_10device_ptrIfEEEEPiiNS8_4plusIiEEEE10hipError_tPvRmT1_T2_T3_mT4_P12ihipStream_tbEUlT_E1_NS1_11comp_targetILNS1_3genE5ELNS1_11target_archE942ELNS1_3gpuE9ELNS1_3repE0EEENS1_30default_config_static_selectorELNS0_4arch9wavefront6targetE1EEEvSK_
		.amdhsa_group_segment_fixed_size 0
		.amdhsa_private_segment_fixed_size 0
		.amdhsa_kernarg_size 40
		.amdhsa_user_sgpr_count 2
		.amdhsa_user_sgpr_dispatch_ptr 0
		.amdhsa_user_sgpr_queue_ptr 0
		.amdhsa_user_sgpr_kernarg_segment_ptr 1
		.amdhsa_user_sgpr_dispatch_id 0
		.amdhsa_user_sgpr_kernarg_preload_length 0
		.amdhsa_user_sgpr_kernarg_preload_offset 0
		.amdhsa_user_sgpr_private_segment_size 0
		.amdhsa_uses_dynamic_stack 0
		.amdhsa_enable_private_segment 0
		.amdhsa_system_sgpr_workgroup_id_x 1
		.amdhsa_system_sgpr_workgroup_id_y 0
		.amdhsa_system_sgpr_workgroup_id_z 0
		.amdhsa_system_sgpr_workgroup_info 0
		.amdhsa_system_vgpr_workitem_id 0
		.amdhsa_next_free_vgpr 1
		.amdhsa_next_free_sgpr 0
		.amdhsa_accum_offset 4
		.amdhsa_reserve_vcc 0
		.amdhsa_float_round_mode_32 0
		.amdhsa_float_round_mode_16_64 0
		.amdhsa_float_denorm_mode_32 3
		.amdhsa_float_denorm_mode_16_64 3
		.amdhsa_dx10_clamp 1
		.amdhsa_ieee_mode 1
		.amdhsa_fp16_overflow 0
		.amdhsa_tg_split 0
		.amdhsa_exception_fp_ieee_invalid_op 0
		.amdhsa_exception_fp_denorm_src 0
		.amdhsa_exception_fp_ieee_div_zero 0
		.amdhsa_exception_fp_ieee_overflow 0
		.amdhsa_exception_fp_ieee_underflow 0
		.amdhsa_exception_fp_ieee_inexact 0
		.amdhsa_exception_int_div_zero 0
	.end_amdhsa_kernel
	.section	.text._ZN7rocprim17ROCPRIM_400000_NS6detail17trampoline_kernelINS0_14default_configENS1_22reduce_config_selectorIfEEZNS1_11reduce_implILb1ES3_N6thrust23THRUST_200600_302600_NS6detail15normal_iteratorINS8_10device_ptrIfEEEEPiiNS8_4plusIiEEEE10hipError_tPvRmT1_T2_T3_mT4_P12ihipStream_tbEUlT_E1_NS1_11comp_targetILNS1_3genE5ELNS1_11target_archE942ELNS1_3gpuE9ELNS1_3repE0EEENS1_30default_config_static_selectorELNS0_4arch9wavefront6targetE1EEEvSK_,"axG",@progbits,_ZN7rocprim17ROCPRIM_400000_NS6detail17trampoline_kernelINS0_14default_configENS1_22reduce_config_selectorIfEEZNS1_11reduce_implILb1ES3_N6thrust23THRUST_200600_302600_NS6detail15normal_iteratorINS8_10device_ptrIfEEEEPiiNS8_4plusIiEEEE10hipError_tPvRmT1_T2_T3_mT4_P12ihipStream_tbEUlT_E1_NS1_11comp_targetILNS1_3genE5ELNS1_11target_archE942ELNS1_3gpuE9ELNS1_3repE0EEENS1_30default_config_static_selectorELNS0_4arch9wavefront6targetE1EEEvSK_,comdat
.Lfunc_end343:
	.size	_ZN7rocprim17ROCPRIM_400000_NS6detail17trampoline_kernelINS0_14default_configENS1_22reduce_config_selectorIfEEZNS1_11reduce_implILb1ES3_N6thrust23THRUST_200600_302600_NS6detail15normal_iteratorINS8_10device_ptrIfEEEEPiiNS8_4plusIiEEEE10hipError_tPvRmT1_T2_T3_mT4_P12ihipStream_tbEUlT_E1_NS1_11comp_targetILNS1_3genE5ELNS1_11target_archE942ELNS1_3gpuE9ELNS1_3repE0EEENS1_30default_config_static_selectorELNS0_4arch9wavefront6targetE1EEEvSK_, .Lfunc_end343-_ZN7rocprim17ROCPRIM_400000_NS6detail17trampoline_kernelINS0_14default_configENS1_22reduce_config_selectorIfEEZNS1_11reduce_implILb1ES3_N6thrust23THRUST_200600_302600_NS6detail15normal_iteratorINS8_10device_ptrIfEEEEPiiNS8_4plusIiEEEE10hipError_tPvRmT1_T2_T3_mT4_P12ihipStream_tbEUlT_E1_NS1_11comp_targetILNS1_3genE5ELNS1_11target_archE942ELNS1_3gpuE9ELNS1_3repE0EEENS1_30default_config_static_selectorELNS0_4arch9wavefront6targetE1EEEvSK_
                                        ; -- End function
	.set _ZN7rocprim17ROCPRIM_400000_NS6detail17trampoline_kernelINS0_14default_configENS1_22reduce_config_selectorIfEEZNS1_11reduce_implILb1ES3_N6thrust23THRUST_200600_302600_NS6detail15normal_iteratorINS8_10device_ptrIfEEEEPiiNS8_4plusIiEEEE10hipError_tPvRmT1_T2_T3_mT4_P12ihipStream_tbEUlT_E1_NS1_11comp_targetILNS1_3genE5ELNS1_11target_archE942ELNS1_3gpuE9ELNS1_3repE0EEENS1_30default_config_static_selectorELNS0_4arch9wavefront6targetE1EEEvSK_.num_vgpr, 0
	.set _ZN7rocprim17ROCPRIM_400000_NS6detail17trampoline_kernelINS0_14default_configENS1_22reduce_config_selectorIfEEZNS1_11reduce_implILb1ES3_N6thrust23THRUST_200600_302600_NS6detail15normal_iteratorINS8_10device_ptrIfEEEEPiiNS8_4plusIiEEEE10hipError_tPvRmT1_T2_T3_mT4_P12ihipStream_tbEUlT_E1_NS1_11comp_targetILNS1_3genE5ELNS1_11target_archE942ELNS1_3gpuE9ELNS1_3repE0EEENS1_30default_config_static_selectorELNS0_4arch9wavefront6targetE1EEEvSK_.num_agpr, 0
	.set _ZN7rocprim17ROCPRIM_400000_NS6detail17trampoline_kernelINS0_14default_configENS1_22reduce_config_selectorIfEEZNS1_11reduce_implILb1ES3_N6thrust23THRUST_200600_302600_NS6detail15normal_iteratorINS8_10device_ptrIfEEEEPiiNS8_4plusIiEEEE10hipError_tPvRmT1_T2_T3_mT4_P12ihipStream_tbEUlT_E1_NS1_11comp_targetILNS1_3genE5ELNS1_11target_archE942ELNS1_3gpuE9ELNS1_3repE0EEENS1_30default_config_static_selectorELNS0_4arch9wavefront6targetE1EEEvSK_.numbered_sgpr, 0
	.set _ZN7rocprim17ROCPRIM_400000_NS6detail17trampoline_kernelINS0_14default_configENS1_22reduce_config_selectorIfEEZNS1_11reduce_implILb1ES3_N6thrust23THRUST_200600_302600_NS6detail15normal_iteratorINS8_10device_ptrIfEEEEPiiNS8_4plusIiEEEE10hipError_tPvRmT1_T2_T3_mT4_P12ihipStream_tbEUlT_E1_NS1_11comp_targetILNS1_3genE5ELNS1_11target_archE942ELNS1_3gpuE9ELNS1_3repE0EEENS1_30default_config_static_selectorELNS0_4arch9wavefront6targetE1EEEvSK_.num_named_barrier, 0
	.set _ZN7rocprim17ROCPRIM_400000_NS6detail17trampoline_kernelINS0_14default_configENS1_22reduce_config_selectorIfEEZNS1_11reduce_implILb1ES3_N6thrust23THRUST_200600_302600_NS6detail15normal_iteratorINS8_10device_ptrIfEEEEPiiNS8_4plusIiEEEE10hipError_tPvRmT1_T2_T3_mT4_P12ihipStream_tbEUlT_E1_NS1_11comp_targetILNS1_3genE5ELNS1_11target_archE942ELNS1_3gpuE9ELNS1_3repE0EEENS1_30default_config_static_selectorELNS0_4arch9wavefront6targetE1EEEvSK_.private_seg_size, 0
	.set _ZN7rocprim17ROCPRIM_400000_NS6detail17trampoline_kernelINS0_14default_configENS1_22reduce_config_selectorIfEEZNS1_11reduce_implILb1ES3_N6thrust23THRUST_200600_302600_NS6detail15normal_iteratorINS8_10device_ptrIfEEEEPiiNS8_4plusIiEEEE10hipError_tPvRmT1_T2_T3_mT4_P12ihipStream_tbEUlT_E1_NS1_11comp_targetILNS1_3genE5ELNS1_11target_archE942ELNS1_3gpuE9ELNS1_3repE0EEENS1_30default_config_static_selectorELNS0_4arch9wavefront6targetE1EEEvSK_.uses_vcc, 0
	.set _ZN7rocprim17ROCPRIM_400000_NS6detail17trampoline_kernelINS0_14default_configENS1_22reduce_config_selectorIfEEZNS1_11reduce_implILb1ES3_N6thrust23THRUST_200600_302600_NS6detail15normal_iteratorINS8_10device_ptrIfEEEEPiiNS8_4plusIiEEEE10hipError_tPvRmT1_T2_T3_mT4_P12ihipStream_tbEUlT_E1_NS1_11comp_targetILNS1_3genE5ELNS1_11target_archE942ELNS1_3gpuE9ELNS1_3repE0EEENS1_30default_config_static_selectorELNS0_4arch9wavefront6targetE1EEEvSK_.uses_flat_scratch, 0
	.set _ZN7rocprim17ROCPRIM_400000_NS6detail17trampoline_kernelINS0_14default_configENS1_22reduce_config_selectorIfEEZNS1_11reduce_implILb1ES3_N6thrust23THRUST_200600_302600_NS6detail15normal_iteratorINS8_10device_ptrIfEEEEPiiNS8_4plusIiEEEE10hipError_tPvRmT1_T2_T3_mT4_P12ihipStream_tbEUlT_E1_NS1_11comp_targetILNS1_3genE5ELNS1_11target_archE942ELNS1_3gpuE9ELNS1_3repE0EEENS1_30default_config_static_selectorELNS0_4arch9wavefront6targetE1EEEvSK_.has_dyn_sized_stack, 0
	.set _ZN7rocprim17ROCPRIM_400000_NS6detail17trampoline_kernelINS0_14default_configENS1_22reduce_config_selectorIfEEZNS1_11reduce_implILb1ES3_N6thrust23THRUST_200600_302600_NS6detail15normal_iteratorINS8_10device_ptrIfEEEEPiiNS8_4plusIiEEEE10hipError_tPvRmT1_T2_T3_mT4_P12ihipStream_tbEUlT_E1_NS1_11comp_targetILNS1_3genE5ELNS1_11target_archE942ELNS1_3gpuE9ELNS1_3repE0EEENS1_30default_config_static_selectorELNS0_4arch9wavefront6targetE1EEEvSK_.has_recursion, 0
	.set _ZN7rocprim17ROCPRIM_400000_NS6detail17trampoline_kernelINS0_14default_configENS1_22reduce_config_selectorIfEEZNS1_11reduce_implILb1ES3_N6thrust23THRUST_200600_302600_NS6detail15normal_iteratorINS8_10device_ptrIfEEEEPiiNS8_4plusIiEEEE10hipError_tPvRmT1_T2_T3_mT4_P12ihipStream_tbEUlT_E1_NS1_11comp_targetILNS1_3genE5ELNS1_11target_archE942ELNS1_3gpuE9ELNS1_3repE0EEENS1_30default_config_static_selectorELNS0_4arch9wavefront6targetE1EEEvSK_.has_indirect_call, 0
	.section	.AMDGPU.csdata,"",@progbits
; Kernel info:
; codeLenInByte = 0
; TotalNumSgprs: 6
; NumVgprs: 0
; NumAgprs: 0
; TotalNumVgprs: 0
; ScratchSize: 0
; MemoryBound: 0
; FloatMode: 240
; IeeeMode: 1
; LDSByteSize: 0 bytes/workgroup (compile time only)
; SGPRBlocks: 0
; VGPRBlocks: 0
; NumSGPRsForWavesPerEU: 6
; NumVGPRsForWavesPerEU: 1
; AccumOffset: 4
; Occupancy: 8
; WaveLimiterHint : 0
; COMPUTE_PGM_RSRC2:SCRATCH_EN: 0
; COMPUTE_PGM_RSRC2:USER_SGPR: 2
; COMPUTE_PGM_RSRC2:TRAP_HANDLER: 0
; COMPUTE_PGM_RSRC2:TGID_X_EN: 1
; COMPUTE_PGM_RSRC2:TGID_Y_EN: 0
; COMPUTE_PGM_RSRC2:TGID_Z_EN: 0
; COMPUTE_PGM_RSRC2:TIDIG_COMP_CNT: 0
; COMPUTE_PGM_RSRC3_GFX90A:ACCUM_OFFSET: 0
; COMPUTE_PGM_RSRC3_GFX90A:TG_SPLIT: 0
	.section	.text._ZN7rocprim17ROCPRIM_400000_NS6detail17trampoline_kernelINS0_14default_configENS1_22reduce_config_selectorIfEEZNS1_11reduce_implILb1ES3_N6thrust23THRUST_200600_302600_NS6detail15normal_iteratorINS8_10device_ptrIfEEEEPiiNS8_4plusIiEEEE10hipError_tPvRmT1_T2_T3_mT4_P12ihipStream_tbEUlT_E1_NS1_11comp_targetILNS1_3genE4ELNS1_11target_archE910ELNS1_3gpuE8ELNS1_3repE0EEENS1_30default_config_static_selectorELNS0_4arch9wavefront6targetE1EEEvSK_,"axG",@progbits,_ZN7rocprim17ROCPRIM_400000_NS6detail17trampoline_kernelINS0_14default_configENS1_22reduce_config_selectorIfEEZNS1_11reduce_implILb1ES3_N6thrust23THRUST_200600_302600_NS6detail15normal_iteratorINS8_10device_ptrIfEEEEPiiNS8_4plusIiEEEE10hipError_tPvRmT1_T2_T3_mT4_P12ihipStream_tbEUlT_E1_NS1_11comp_targetILNS1_3genE4ELNS1_11target_archE910ELNS1_3gpuE8ELNS1_3repE0EEENS1_30default_config_static_selectorELNS0_4arch9wavefront6targetE1EEEvSK_,comdat
	.protected	_ZN7rocprim17ROCPRIM_400000_NS6detail17trampoline_kernelINS0_14default_configENS1_22reduce_config_selectorIfEEZNS1_11reduce_implILb1ES3_N6thrust23THRUST_200600_302600_NS6detail15normal_iteratorINS8_10device_ptrIfEEEEPiiNS8_4plusIiEEEE10hipError_tPvRmT1_T2_T3_mT4_P12ihipStream_tbEUlT_E1_NS1_11comp_targetILNS1_3genE4ELNS1_11target_archE910ELNS1_3gpuE8ELNS1_3repE0EEENS1_30default_config_static_selectorELNS0_4arch9wavefront6targetE1EEEvSK_ ; -- Begin function _ZN7rocprim17ROCPRIM_400000_NS6detail17trampoline_kernelINS0_14default_configENS1_22reduce_config_selectorIfEEZNS1_11reduce_implILb1ES3_N6thrust23THRUST_200600_302600_NS6detail15normal_iteratorINS8_10device_ptrIfEEEEPiiNS8_4plusIiEEEE10hipError_tPvRmT1_T2_T3_mT4_P12ihipStream_tbEUlT_E1_NS1_11comp_targetILNS1_3genE4ELNS1_11target_archE910ELNS1_3gpuE8ELNS1_3repE0EEENS1_30default_config_static_selectorELNS0_4arch9wavefront6targetE1EEEvSK_
	.globl	_ZN7rocprim17ROCPRIM_400000_NS6detail17trampoline_kernelINS0_14default_configENS1_22reduce_config_selectorIfEEZNS1_11reduce_implILb1ES3_N6thrust23THRUST_200600_302600_NS6detail15normal_iteratorINS8_10device_ptrIfEEEEPiiNS8_4plusIiEEEE10hipError_tPvRmT1_T2_T3_mT4_P12ihipStream_tbEUlT_E1_NS1_11comp_targetILNS1_3genE4ELNS1_11target_archE910ELNS1_3gpuE8ELNS1_3repE0EEENS1_30default_config_static_selectorELNS0_4arch9wavefront6targetE1EEEvSK_
	.p2align	8
	.type	_ZN7rocprim17ROCPRIM_400000_NS6detail17trampoline_kernelINS0_14default_configENS1_22reduce_config_selectorIfEEZNS1_11reduce_implILb1ES3_N6thrust23THRUST_200600_302600_NS6detail15normal_iteratorINS8_10device_ptrIfEEEEPiiNS8_4plusIiEEEE10hipError_tPvRmT1_T2_T3_mT4_P12ihipStream_tbEUlT_E1_NS1_11comp_targetILNS1_3genE4ELNS1_11target_archE910ELNS1_3gpuE8ELNS1_3repE0EEENS1_30default_config_static_selectorELNS0_4arch9wavefront6targetE1EEEvSK_,@function
_ZN7rocprim17ROCPRIM_400000_NS6detail17trampoline_kernelINS0_14default_configENS1_22reduce_config_selectorIfEEZNS1_11reduce_implILb1ES3_N6thrust23THRUST_200600_302600_NS6detail15normal_iteratorINS8_10device_ptrIfEEEEPiiNS8_4plusIiEEEE10hipError_tPvRmT1_T2_T3_mT4_P12ihipStream_tbEUlT_E1_NS1_11comp_targetILNS1_3genE4ELNS1_11target_archE910ELNS1_3gpuE8ELNS1_3repE0EEENS1_30default_config_static_selectorELNS0_4arch9wavefront6targetE1EEEvSK_: ; @_ZN7rocprim17ROCPRIM_400000_NS6detail17trampoline_kernelINS0_14default_configENS1_22reduce_config_selectorIfEEZNS1_11reduce_implILb1ES3_N6thrust23THRUST_200600_302600_NS6detail15normal_iteratorINS8_10device_ptrIfEEEEPiiNS8_4plusIiEEEE10hipError_tPvRmT1_T2_T3_mT4_P12ihipStream_tbEUlT_E1_NS1_11comp_targetILNS1_3genE4ELNS1_11target_archE910ELNS1_3gpuE8ELNS1_3repE0EEENS1_30default_config_static_selectorELNS0_4arch9wavefront6targetE1EEEvSK_
; %bb.0:
	.section	.rodata,"a",@progbits
	.p2align	6, 0x0
	.amdhsa_kernel _ZN7rocprim17ROCPRIM_400000_NS6detail17trampoline_kernelINS0_14default_configENS1_22reduce_config_selectorIfEEZNS1_11reduce_implILb1ES3_N6thrust23THRUST_200600_302600_NS6detail15normal_iteratorINS8_10device_ptrIfEEEEPiiNS8_4plusIiEEEE10hipError_tPvRmT1_T2_T3_mT4_P12ihipStream_tbEUlT_E1_NS1_11comp_targetILNS1_3genE4ELNS1_11target_archE910ELNS1_3gpuE8ELNS1_3repE0EEENS1_30default_config_static_selectorELNS0_4arch9wavefront6targetE1EEEvSK_
		.amdhsa_group_segment_fixed_size 0
		.amdhsa_private_segment_fixed_size 0
		.amdhsa_kernarg_size 40
		.amdhsa_user_sgpr_count 2
		.amdhsa_user_sgpr_dispatch_ptr 0
		.amdhsa_user_sgpr_queue_ptr 0
		.amdhsa_user_sgpr_kernarg_segment_ptr 1
		.amdhsa_user_sgpr_dispatch_id 0
		.amdhsa_user_sgpr_kernarg_preload_length 0
		.amdhsa_user_sgpr_kernarg_preload_offset 0
		.amdhsa_user_sgpr_private_segment_size 0
		.amdhsa_uses_dynamic_stack 0
		.amdhsa_enable_private_segment 0
		.amdhsa_system_sgpr_workgroup_id_x 1
		.amdhsa_system_sgpr_workgroup_id_y 0
		.amdhsa_system_sgpr_workgroup_id_z 0
		.amdhsa_system_sgpr_workgroup_info 0
		.amdhsa_system_vgpr_workitem_id 0
		.amdhsa_next_free_vgpr 1
		.amdhsa_next_free_sgpr 0
		.amdhsa_accum_offset 4
		.amdhsa_reserve_vcc 0
		.amdhsa_float_round_mode_32 0
		.amdhsa_float_round_mode_16_64 0
		.amdhsa_float_denorm_mode_32 3
		.amdhsa_float_denorm_mode_16_64 3
		.amdhsa_dx10_clamp 1
		.amdhsa_ieee_mode 1
		.amdhsa_fp16_overflow 0
		.amdhsa_tg_split 0
		.amdhsa_exception_fp_ieee_invalid_op 0
		.amdhsa_exception_fp_denorm_src 0
		.amdhsa_exception_fp_ieee_div_zero 0
		.amdhsa_exception_fp_ieee_overflow 0
		.amdhsa_exception_fp_ieee_underflow 0
		.amdhsa_exception_fp_ieee_inexact 0
		.amdhsa_exception_int_div_zero 0
	.end_amdhsa_kernel
	.section	.text._ZN7rocprim17ROCPRIM_400000_NS6detail17trampoline_kernelINS0_14default_configENS1_22reduce_config_selectorIfEEZNS1_11reduce_implILb1ES3_N6thrust23THRUST_200600_302600_NS6detail15normal_iteratorINS8_10device_ptrIfEEEEPiiNS8_4plusIiEEEE10hipError_tPvRmT1_T2_T3_mT4_P12ihipStream_tbEUlT_E1_NS1_11comp_targetILNS1_3genE4ELNS1_11target_archE910ELNS1_3gpuE8ELNS1_3repE0EEENS1_30default_config_static_selectorELNS0_4arch9wavefront6targetE1EEEvSK_,"axG",@progbits,_ZN7rocprim17ROCPRIM_400000_NS6detail17trampoline_kernelINS0_14default_configENS1_22reduce_config_selectorIfEEZNS1_11reduce_implILb1ES3_N6thrust23THRUST_200600_302600_NS6detail15normal_iteratorINS8_10device_ptrIfEEEEPiiNS8_4plusIiEEEE10hipError_tPvRmT1_T2_T3_mT4_P12ihipStream_tbEUlT_E1_NS1_11comp_targetILNS1_3genE4ELNS1_11target_archE910ELNS1_3gpuE8ELNS1_3repE0EEENS1_30default_config_static_selectorELNS0_4arch9wavefront6targetE1EEEvSK_,comdat
.Lfunc_end344:
	.size	_ZN7rocprim17ROCPRIM_400000_NS6detail17trampoline_kernelINS0_14default_configENS1_22reduce_config_selectorIfEEZNS1_11reduce_implILb1ES3_N6thrust23THRUST_200600_302600_NS6detail15normal_iteratorINS8_10device_ptrIfEEEEPiiNS8_4plusIiEEEE10hipError_tPvRmT1_T2_T3_mT4_P12ihipStream_tbEUlT_E1_NS1_11comp_targetILNS1_3genE4ELNS1_11target_archE910ELNS1_3gpuE8ELNS1_3repE0EEENS1_30default_config_static_selectorELNS0_4arch9wavefront6targetE1EEEvSK_, .Lfunc_end344-_ZN7rocprim17ROCPRIM_400000_NS6detail17trampoline_kernelINS0_14default_configENS1_22reduce_config_selectorIfEEZNS1_11reduce_implILb1ES3_N6thrust23THRUST_200600_302600_NS6detail15normal_iteratorINS8_10device_ptrIfEEEEPiiNS8_4plusIiEEEE10hipError_tPvRmT1_T2_T3_mT4_P12ihipStream_tbEUlT_E1_NS1_11comp_targetILNS1_3genE4ELNS1_11target_archE910ELNS1_3gpuE8ELNS1_3repE0EEENS1_30default_config_static_selectorELNS0_4arch9wavefront6targetE1EEEvSK_
                                        ; -- End function
	.set _ZN7rocprim17ROCPRIM_400000_NS6detail17trampoline_kernelINS0_14default_configENS1_22reduce_config_selectorIfEEZNS1_11reduce_implILb1ES3_N6thrust23THRUST_200600_302600_NS6detail15normal_iteratorINS8_10device_ptrIfEEEEPiiNS8_4plusIiEEEE10hipError_tPvRmT1_T2_T3_mT4_P12ihipStream_tbEUlT_E1_NS1_11comp_targetILNS1_3genE4ELNS1_11target_archE910ELNS1_3gpuE8ELNS1_3repE0EEENS1_30default_config_static_selectorELNS0_4arch9wavefront6targetE1EEEvSK_.num_vgpr, 0
	.set _ZN7rocprim17ROCPRIM_400000_NS6detail17trampoline_kernelINS0_14default_configENS1_22reduce_config_selectorIfEEZNS1_11reduce_implILb1ES3_N6thrust23THRUST_200600_302600_NS6detail15normal_iteratorINS8_10device_ptrIfEEEEPiiNS8_4plusIiEEEE10hipError_tPvRmT1_T2_T3_mT4_P12ihipStream_tbEUlT_E1_NS1_11comp_targetILNS1_3genE4ELNS1_11target_archE910ELNS1_3gpuE8ELNS1_3repE0EEENS1_30default_config_static_selectorELNS0_4arch9wavefront6targetE1EEEvSK_.num_agpr, 0
	.set _ZN7rocprim17ROCPRIM_400000_NS6detail17trampoline_kernelINS0_14default_configENS1_22reduce_config_selectorIfEEZNS1_11reduce_implILb1ES3_N6thrust23THRUST_200600_302600_NS6detail15normal_iteratorINS8_10device_ptrIfEEEEPiiNS8_4plusIiEEEE10hipError_tPvRmT1_T2_T3_mT4_P12ihipStream_tbEUlT_E1_NS1_11comp_targetILNS1_3genE4ELNS1_11target_archE910ELNS1_3gpuE8ELNS1_3repE0EEENS1_30default_config_static_selectorELNS0_4arch9wavefront6targetE1EEEvSK_.numbered_sgpr, 0
	.set _ZN7rocprim17ROCPRIM_400000_NS6detail17trampoline_kernelINS0_14default_configENS1_22reduce_config_selectorIfEEZNS1_11reduce_implILb1ES3_N6thrust23THRUST_200600_302600_NS6detail15normal_iteratorINS8_10device_ptrIfEEEEPiiNS8_4plusIiEEEE10hipError_tPvRmT1_T2_T3_mT4_P12ihipStream_tbEUlT_E1_NS1_11comp_targetILNS1_3genE4ELNS1_11target_archE910ELNS1_3gpuE8ELNS1_3repE0EEENS1_30default_config_static_selectorELNS0_4arch9wavefront6targetE1EEEvSK_.num_named_barrier, 0
	.set _ZN7rocprim17ROCPRIM_400000_NS6detail17trampoline_kernelINS0_14default_configENS1_22reduce_config_selectorIfEEZNS1_11reduce_implILb1ES3_N6thrust23THRUST_200600_302600_NS6detail15normal_iteratorINS8_10device_ptrIfEEEEPiiNS8_4plusIiEEEE10hipError_tPvRmT1_T2_T3_mT4_P12ihipStream_tbEUlT_E1_NS1_11comp_targetILNS1_3genE4ELNS1_11target_archE910ELNS1_3gpuE8ELNS1_3repE0EEENS1_30default_config_static_selectorELNS0_4arch9wavefront6targetE1EEEvSK_.private_seg_size, 0
	.set _ZN7rocprim17ROCPRIM_400000_NS6detail17trampoline_kernelINS0_14default_configENS1_22reduce_config_selectorIfEEZNS1_11reduce_implILb1ES3_N6thrust23THRUST_200600_302600_NS6detail15normal_iteratorINS8_10device_ptrIfEEEEPiiNS8_4plusIiEEEE10hipError_tPvRmT1_T2_T3_mT4_P12ihipStream_tbEUlT_E1_NS1_11comp_targetILNS1_3genE4ELNS1_11target_archE910ELNS1_3gpuE8ELNS1_3repE0EEENS1_30default_config_static_selectorELNS0_4arch9wavefront6targetE1EEEvSK_.uses_vcc, 0
	.set _ZN7rocprim17ROCPRIM_400000_NS6detail17trampoline_kernelINS0_14default_configENS1_22reduce_config_selectorIfEEZNS1_11reduce_implILb1ES3_N6thrust23THRUST_200600_302600_NS6detail15normal_iteratorINS8_10device_ptrIfEEEEPiiNS8_4plusIiEEEE10hipError_tPvRmT1_T2_T3_mT4_P12ihipStream_tbEUlT_E1_NS1_11comp_targetILNS1_3genE4ELNS1_11target_archE910ELNS1_3gpuE8ELNS1_3repE0EEENS1_30default_config_static_selectorELNS0_4arch9wavefront6targetE1EEEvSK_.uses_flat_scratch, 0
	.set _ZN7rocprim17ROCPRIM_400000_NS6detail17trampoline_kernelINS0_14default_configENS1_22reduce_config_selectorIfEEZNS1_11reduce_implILb1ES3_N6thrust23THRUST_200600_302600_NS6detail15normal_iteratorINS8_10device_ptrIfEEEEPiiNS8_4plusIiEEEE10hipError_tPvRmT1_T2_T3_mT4_P12ihipStream_tbEUlT_E1_NS1_11comp_targetILNS1_3genE4ELNS1_11target_archE910ELNS1_3gpuE8ELNS1_3repE0EEENS1_30default_config_static_selectorELNS0_4arch9wavefront6targetE1EEEvSK_.has_dyn_sized_stack, 0
	.set _ZN7rocprim17ROCPRIM_400000_NS6detail17trampoline_kernelINS0_14default_configENS1_22reduce_config_selectorIfEEZNS1_11reduce_implILb1ES3_N6thrust23THRUST_200600_302600_NS6detail15normal_iteratorINS8_10device_ptrIfEEEEPiiNS8_4plusIiEEEE10hipError_tPvRmT1_T2_T3_mT4_P12ihipStream_tbEUlT_E1_NS1_11comp_targetILNS1_3genE4ELNS1_11target_archE910ELNS1_3gpuE8ELNS1_3repE0EEENS1_30default_config_static_selectorELNS0_4arch9wavefront6targetE1EEEvSK_.has_recursion, 0
	.set _ZN7rocprim17ROCPRIM_400000_NS6detail17trampoline_kernelINS0_14default_configENS1_22reduce_config_selectorIfEEZNS1_11reduce_implILb1ES3_N6thrust23THRUST_200600_302600_NS6detail15normal_iteratorINS8_10device_ptrIfEEEEPiiNS8_4plusIiEEEE10hipError_tPvRmT1_T2_T3_mT4_P12ihipStream_tbEUlT_E1_NS1_11comp_targetILNS1_3genE4ELNS1_11target_archE910ELNS1_3gpuE8ELNS1_3repE0EEENS1_30default_config_static_selectorELNS0_4arch9wavefront6targetE1EEEvSK_.has_indirect_call, 0
	.section	.AMDGPU.csdata,"",@progbits
; Kernel info:
; codeLenInByte = 0
; TotalNumSgprs: 6
; NumVgprs: 0
; NumAgprs: 0
; TotalNumVgprs: 0
; ScratchSize: 0
; MemoryBound: 0
; FloatMode: 240
; IeeeMode: 1
; LDSByteSize: 0 bytes/workgroup (compile time only)
; SGPRBlocks: 0
; VGPRBlocks: 0
; NumSGPRsForWavesPerEU: 6
; NumVGPRsForWavesPerEU: 1
; AccumOffset: 4
; Occupancy: 8
; WaveLimiterHint : 0
; COMPUTE_PGM_RSRC2:SCRATCH_EN: 0
; COMPUTE_PGM_RSRC2:USER_SGPR: 2
; COMPUTE_PGM_RSRC2:TRAP_HANDLER: 0
; COMPUTE_PGM_RSRC2:TGID_X_EN: 1
; COMPUTE_PGM_RSRC2:TGID_Y_EN: 0
; COMPUTE_PGM_RSRC2:TGID_Z_EN: 0
; COMPUTE_PGM_RSRC2:TIDIG_COMP_CNT: 0
; COMPUTE_PGM_RSRC3_GFX90A:ACCUM_OFFSET: 0
; COMPUTE_PGM_RSRC3_GFX90A:TG_SPLIT: 0
	.section	.text._ZN7rocprim17ROCPRIM_400000_NS6detail17trampoline_kernelINS0_14default_configENS1_22reduce_config_selectorIfEEZNS1_11reduce_implILb1ES3_N6thrust23THRUST_200600_302600_NS6detail15normal_iteratorINS8_10device_ptrIfEEEEPiiNS8_4plusIiEEEE10hipError_tPvRmT1_T2_T3_mT4_P12ihipStream_tbEUlT_E1_NS1_11comp_targetILNS1_3genE3ELNS1_11target_archE908ELNS1_3gpuE7ELNS1_3repE0EEENS1_30default_config_static_selectorELNS0_4arch9wavefront6targetE1EEEvSK_,"axG",@progbits,_ZN7rocprim17ROCPRIM_400000_NS6detail17trampoline_kernelINS0_14default_configENS1_22reduce_config_selectorIfEEZNS1_11reduce_implILb1ES3_N6thrust23THRUST_200600_302600_NS6detail15normal_iteratorINS8_10device_ptrIfEEEEPiiNS8_4plusIiEEEE10hipError_tPvRmT1_T2_T3_mT4_P12ihipStream_tbEUlT_E1_NS1_11comp_targetILNS1_3genE3ELNS1_11target_archE908ELNS1_3gpuE7ELNS1_3repE0EEENS1_30default_config_static_selectorELNS0_4arch9wavefront6targetE1EEEvSK_,comdat
	.protected	_ZN7rocprim17ROCPRIM_400000_NS6detail17trampoline_kernelINS0_14default_configENS1_22reduce_config_selectorIfEEZNS1_11reduce_implILb1ES3_N6thrust23THRUST_200600_302600_NS6detail15normal_iteratorINS8_10device_ptrIfEEEEPiiNS8_4plusIiEEEE10hipError_tPvRmT1_T2_T3_mT4_P12ihipStream_tbEUlT_E1_NS1_11comp_targetILNS1_3genE3ELNS1_11target_archE908ELNS1_3gpuE7ELNS1_3repE0EEENS1_30default_config_static_selectorELNS0_4arch9wavefront6targetE1EEEvSK_ ; -- Begin function _ZN7rocprim17ROCPRIM_400000_NS6detail17trampoline_kernelINS0_14default_configENS1_22reduce_config_selectorIfEEZNS1_11reduce_implILb1ES3_N6thrust23THRUST_200600_302600_NS6detail15normal_iteratorINS8_10device_ptrIfEEEEPiiNS8_4plusIiEEEE10hipError_tPvRmT1_T2_T3_mT4_P12ihipStream_tbEUlT_E1_NS1_11comp_targetILNS1_3genE3ELNS1_11target_archE908ELNS1_3gpuE7ELNS1_3repE0EEENS1_30default_config_static_selectorELNS0_4arch9wavefront6targetE1EEEvSK_
	.globl	_ZN7rocprim17ROCPRIM_400000_NS6detail17trampoline_kernelINS0_14default_configENS1_22reduce_config_selectorIfEEZNS1_11reduce_implILb1ES3_N6thrust23THRUST_200600_302600_NS6detail15normal_iteratorINS8_10device_ptrIfEEEEPiiNS8_4plusIiEEEE10hipError_tPvRmT1_T2_T3_mT4_P12ihipStream_tbEUlT_E1_NS1_11comp_targetILNS1_3genE3ELNS1_11target_archE908ELNS1_3gpuE7ELNS1_3repE0EEENS1_30default_config_static_selectorELNS0_4arch9wavefront6targetE1EEEvSK_
	.p2align	8
	.type	_ZN7rocprim17ROCPRIM_400000_NS6detail17trampoline_kernelINS0_14default_configENS1_22reduce_config_selectorIfEEZNS1_11reduce_implILb1ES3_N6thrust23THRUST_200600_302600_NS6detail15normal_iteratorINS8_10device_ptrIfEEEEPiiNS8_4plusIiEEEE10hipError_tPvRmT1_T2_T3_mT4_P12ihipStream_tbEUlT_E1_NS1_11comp_targetILNS1_3genE3ELNS1_11target_archE908ELNS1_3gpuE7ELNS1_3repE0EEENS1_30default_config_static_selectorELNS0_4arch9wavefront6targetE1EEEvSK_,@function
_ZN7rocprim17ROCPRIM_400000_NS6detail17trampoline_kernelINS0_14default_configENS1_22reduce_config_selectorIfEEZNS1_11reduce_implILb1ES3_N6thrust23THRUST_200600_302600_NS6detail15normal_iteratorINS8_10device_ptrIfEEEEPiiNS8_4plusIiEEEE10hipError_tPvRmT1_T2_T3_mT4_P12ihipStream_tbEUlT_E1_NS1_11comp_targetILNS1_3genE3ELNS1_11target_archE908ELNS1_3gpuE7ELNS1_3repE0EEENS1_30default_config_static_selectorELNS0_4arch9wavefront6targetE1EEEvSK_: ; @_ZN7rocprim17ROCPRIM_400000_NS6detail17trampoline_kernelINS0_14default_configENS1_22reduce_config_selectorIfEEZNS1_11reduce_implILb1ES3_N6thrust23THRUST_200600_302600_NS6detail15normal_iteratorINS8_10device_ptrIfEEEEPiiNS8_4plusIiEEEE10hipError_tPvRmT1_T2_T3_mT4_P12ihipStream_tbEUlT_E1_NS1_11comp_targetILNS1_3genE3ELNS1_11target_archE908ELNS1_3gpuE7ELNS1_3repE0EEENS1_30default_config_static_selectorELNS0_4arch9wavefront6targetE1EEEvSK_
; %bb.0:
	.section	.rodata,"a",@progbits
	.p2align	6, 0x0
	.amdhsa_kernel _ZN7rocprim17ROCPRIM_400000_NS6detail17trampoline_kernelINS0_14default_configENS1_22reduce_config_selectorIfEEZNS1_11reduce_implILb1ES3_N6thrust23THRUST_200600_302600_NS6detail15normal_iteratorINS8_10device_ptrIfEEEEPiiNS8_4plusIiEEEE10hipError_tPvRmT1_T2_T3_mT4_P12ihipStream_tbEUlT_E1_NS1_11comp_targetILNS1_3genE3ELNS1_11target_archE908ELNS1_3gpuE7ELNS1_3repE0EEENS1_30default_config_static_selectorELNS0_4arch9wavefront6targetE1EEEvSK_
		.amdhsa_group_segment_fixed_size 0
		.amdhsa_private_segment_fixed_size 0
		.amdhsa_kernarg_size 40
		.amdhsa_user_sgpr_count 2
		.amdhsa_user_sgpr_dispatch_ptr 0
		.amdhsa_user_sgpr_queue_ptr 0
		.amdhsa_user_sgpr_kernarg_segment_ptr 1
		.amdhsa_user_sgpr_dispatch_id 0
		.amdhsa_user_sgpr_kernarg_preload_length 0
		.amdhsa_user_sgpr_kernarg_preload_offset 0
		.amdhsa_user_sgpr_private_segment_size 0
		.amdhsa_uses_dynamic_stack 0
		.amdhsa_enable_private_segment 0
		.amdhsa_system_sgpr_workgroup_id_x 1
		.amdhsa_system_sgpr_workgroup_id_y 0
		.amdhsa_system_sgpr_workgroup_id_z 0
		.amdhsa_system_sgpr_workgroup_info 0
		.amdhsa_system_vgpr_workitem_id 0
		.amdhsa_next_free_vgpr 1
		.amdhsa_next_free_sgpr 0
		.amdhsa_accum_offset 4
		.amdhsa_reserve_vcc 0
		.amdhsa_float_round_mode_32 0
		.amdhsa_float_round_mode_16_64 0
		.amdhsa_float_denorm_mode_32 3
		.amdhsa_float_denorm_mode_16_64 3
		.amdhsa_dx10_clamp 1
		.amdhsa_ieee_mode 1
		.amdhsa_fp16_overflow 0
		.amdhsa_tg_split 0
		.amdhsa_exception_fp_ieee_invalid_op 0
		.amdhsa_exception_fp_denorm_src 0
		.amdhsa_exception_fp_ieee_div_zero 0
		.amdhsa_exception_fp_ieee_overflow 0
		.amdhsa_exception_fp_ieee_underflow 0
		.amdhsa_exception_fp_ieee_inexact 0
		.amdhsa_exception_int_div_zero 0
	.end_amdhsa_kernel
	.section	.text._ZN7rocprim17ROCPRIM_400000_NS6detail17trampoline_kernelINS0_14default_configENS1_22reduce_config_selectorIfEEZNS1_11reduce_implILb1ES3_N6thrust23THRUST_200600_302600_NS6detail15normal_iteratorINS8_10device_ptrIfEEEEPiiNS8_4plusIiEEEE10hipError_tPvRmT1_T2_T3_mT4_P12ihipStream_tbEUlT_E1_NS1_11comp_targetILNS1_3genE3ELNS1_11target_archE908ELNS1_3gpuE7ELNS1_3repE0EEENS1_30default_config_static_selectorELNS0_4arch9wavefront6targetE1EEEvSK_,"axG",@progbits,_ZN7rocprim17ROCPRIM_400000_NS6detail17trampoline_kernelINS0_14default_configENS1_22reduce_config_selectorIfEEZNS1_11reduce_implILb1ES3_N6thrust23THRUST_200600_302600_NS6detail15normal_iteratorINS8_10device_ptrIfEEEEPiiNS8_4plusIiEEEE10hipError_tPvRmT1_T2_T3_mT4_P12ihipStream_tbEUlT_E1_NS1_11comp_targetILNS1_3genE3ELNS1_11target_archE908ELNS1_3gpuE7ELNS1_3repE0EEENS1_30default_config_static_selectorELNS0_4arch9wavefront6targetE1EEEvSK_,comdat
.Lfunc_end345:
	.size	_ZN7rocprim17ROCPRIM_400000_NS6detail17trampoline_kernelINS0_14default_configENS1_22reduce_config_selectorIfEEZNS1_11reduce_implILb1ES3_N6thrust23THRUST_200600_302600_NS6detail15normal_iteratorINS8_10device_ptrIfEEEEPiiNS8_4plusIiEEEE10hipError_tPvRmT1_T2_T3_mT4_P12ihipStream_tbEUlT_E1_NS1_11comp_targetILNS1_3genE3ELNS1_11target_archE908ELNS1_3gpuE7ELNS1_3repE0EEENS1_30default_config_static_selectorELNS0_4arch9wavefront6targetE1EEEvSK_, .Lfunc_end345-_ZN7rocprim17ROCPRIM_400000_NS6detail17trampoline_kernelINS0_14default_configENS1_22reduce_config_selectorIfEEZNS1_11reduce_implILb1ES3_N6thrust23THRUST_200600_302600_NS6detail15normal_iteratorINS8_10device_ptrIfEEEEPiiNS8_4plusIiEEEE10hipError_tPvRmT1_T2_T3_mT4_P12ihipStream_tbEUlT_E1_NS1_11comp_targetILNS1_3genE3ELNS1_11target_archE908ELNS1_3gpuE7ELNS1_3repE0EEENS1_30default_config_static_selectorELNS0_4arch9wavefront6targetE1EEEvSK_
                                        ; -- End function
	.set _ZN7rocprim17ROCPRIM_400000_NS6detail17trampoline_kernelINS0_14default_configENS1_22reduce_config_selectorIfEEZNS1_11reduce_implILb1ES3_N6thrust23THRUST_200600_302600_NS6detail15normal_iteratorINS8_10device_ptrIfEEEEPiiNS8_4plusIiEEEE10hipError_tPvRmT1_T2_T3_mT4_P12ihipStream_tbEUlT_E1_NS1_11comp_targetILNS1_3genE3ELNS1_11target_archE908ELNS1_3gpuE7ELNS1_3repE0EEENS1_30default_config_static_selectorELNS0_4arch9wavefront6targetE1EEEvSK_.num_vgpr, 0
	.set _ZN7rocprim17ROCPRIM_400000_NS6detail17trampoline_kernelINS0_14default_configENS1_22reduce_config_selectorIfEEZNS1_11reduce_implILb1ES3_N6thrust23THRUST_200600_302600_NS6detail15normal_iteratorINS8_10device_ptrIfEEEEPiiNS8_4plusIiEEEE10hipError_tPvRmT1_T2_T3_mT4_P12ihipStream_tbEUlT_E1_NS1_11comp_targetILNS1_3genE3ELNS1_11target_archE908ELNS1_3gpuE7ELNS1_3repE0EEENS1_30default_config_static_selectorELNS0_4arch9wavefront6targetE1EEEvSK_.num_agpr, 0
	.set _ZN7rocprim17ROCPRIM_400000_NS6detail17trampoline_kernelINS0_14default_configENS1_22reduce_config_selectorIfEEZNS1_11reduce_implILb1ES3_N6thrust23THRUST_200600_302600_NS6detail15normal_iteratorINS8_10device_ptrIfEEEEPiiNS8_4plusIiEEEE10hipError_tPvRmT1_T2_T3_mT4_P12ihipStream_tbEUlT_E1_NS1_11comp_targetILNS1_3genE3ELNS1_11target_archE908ELNS1_3gpuE7ELNS1_3repE0EEENS1_30default_config_static_selectorELNS0_4arch9wavefront6targetE1EEEvSK_.numbered_sgpr, 0
	.set _ZN7rocprim17ROCPRIM_400000_NS6detail17trampoline_kernelINS0_14default_configENS1_22reduce_config_selectorIfEEZNS1_11reduce_implILb1ES3_N6thrust23THRUST_200600_302600_NS6detail15normal_iteratorINS8_10device_ptrIfEEEEPiiNS8_4plusIiEEEE10hipError_tPvRmT1_T2_T3_mT4_P12ihipStream_tbEUlT_E1_NS1_11comp_targetILNS1_3genE3ELNS1_11target_archE908ELNS1_3gpuE7ELNS1_3repE0EEENS1_30default_config_static_selectorELNS0_4arch9wavefront6targetE1EEEvSK_.num_named_barrier, 0
	.set _ZN7rocprim17ROCPRIM_400000_NS6detail17trampoline_kernelINS0_14default_configENS1_22reduce_config_selectorIfEEZNS1_11reduce_implILb1ES3_N6thrust23THRUST_200600_302600_NS6detail15normal_iteratorINS8_10device_ptrIfEEEEPiiNS8_4plusIiEEEE10hipError_tPvRmT1_T2_T3_mT4_P12ihipStream_tbEUlT_E1_NS1_11comp_targetILNS1_3genE3ELNS1_11target_archE908ELNS1_3gpuE7ELNS1_3repE0EEENS1_30default_config_static_selectorELNS0_4arch9wavefront6targetE1EEEvSK_.private_seg_size, 0
	.set _ZN7rocprim17ROCPRIM_400000_NS6detail17trampoline_kernelINS0_14default_configENS1_22reduce_config_selectorIfEEZNS1_11reduce_implILb1ES3_N6thrust23THRUST_200600_302600_NS6detail15normal_iteratorINS8_10device_ptrIfEEEEPiiNS8_4plusIiEEEE10hipError_tPvRmT1_T2_T3_mT4_P12ihipStream_tbEUlT_E1_NS1_11comp_targetILNS1_3genE3ELNS1_11target_archE908ELNS1_3gpuE7ELNS1_3repE0EEENS1_30default_config_static_selectorELNS0_4arch9wavefront6targetE1EEEvSK_.uses_vcc, 0
	.set _ZN7rocprim17ROCPRIM_400000_NS6detail17trampoline_kernelINS0_14default_configENS1_22reduce_config_selectorIfEEZNS1_11reduce_implILb1ES3_N6thrust23THRUST_200600_302600_NS6detail15normal_iteratorINS8_10device_ptrIfEEEEPiiNS8_4plusIiEEEE10hipError_tPvRmT1_T2_T3_mT4_P12ihipStream_tbEUlT_E1_NS1_11comp_targetILNS1_3genE3ELNS1_11target_archE908ELNS1_3gpuE7ELNS1_3repE0EEENS1_30default_config_static_selectorELNS0_4arch9wavefront6targetE1EEEvSK_.uses_flat_scratch, 0
	.set _ZN7rocprim17ROCPRIM_400000_NS6detail17trampoline_kernelINS0_14default_configENS1_22reduce_config_selectorIfEEZNS1_11reduce_implILb1ES3_N6thrust23THRUST_200600_302600_NS6detail15normal_iteratorINS8_10device_ptrIfEEEEPiiNS8_4plusIiEEEE10hipError_tPvRmT1_T2_T3_mT4_P12ihipStream_tbEUlT_E1_NS1_11comp_targetILNS1_3genE3ELNS1_11target_archE908ELNS1_3gpuE7ELNS1_3repE0EEENS1_30default_config_static_selectorELNS0_4arch9wavefront6targetE1EEEvSK_.has_dyn_sized_stack, 0
	.set _ZN7rocprim17ROCPRIM_400000_NS6detail17trampoline_kernelINS0_14default_configENS1_22reduce_config_selectorIfEEZNS1_11reduce_implILb1ES3_N6thrust23THRUST_200600_302600_NS6detail15normal_iteratorINS8_10device_ptrIfEEEEPiiNS8_4plusIiEEEE10hipError_tPvRmT1_T2_T3_mT4_P12ihipStream_tbEUlT_E1_NS1_11comp_targetILNS1_3genE3ELNS1_11target_archE908ELNS1_3gpuE7ELNS1_3repE0EEENS1_30default_config_static_selectorELNS0_4arch9wavefront6targetE1EEEvSK_.has_recursion, 0
	.set _ZN7rocprim17ROCPRIM_400000_NS6detail17trampoline_kernelINS0_14default_configENS1_22reduce_config_selectorIfEEZNS1_11reduce_implILb1ES3_N6thrust23THRUST_200600_302600_NS6detail15normal_iteratorINS8_10device_ptrIfEEEEPiiNS8_4plusIiEEEE10hipError_tPvRmT1_T2_T3_mT4_P12ihipStream_tbEUlT_E1_NS1_11comp_targetILNS1_3genE3ELNS1_11target_archE908ELNS1_3gpuE7ELNS1_3repE0EEENS1_30default_config_static_selectorELNS0_4arch9wavefront6targetE1EEEvSK_.has_indirect_call, 0
	.section	.AMDGPU.csdata,"",@progbits
; Kernel info:
; codeLenInByte = 0
; TotalNumSgprs: 6
; NumVgprs: 0
; NumAgprs: 0
; TotalNumVgprs: 0
; ScratchSize: 0
; MemoryBound: 0
; FloatMode: 240
; IeeeMode: 1
; LDSByteSize: 0 bytes/workgroup (compile time only)
; SGPRBlocks: 0
; VGPRBlocks: 0
; NumSGPRsForWavesPerEU: 6
; NumVGPRsForWavesPerEU: 1
; AccumOffset: 4
; Occupancy: 8
; WaveLimiterHint : 0
; COMPUTE_PGM_RSRC2:SCRATCH_EN: 0
; COMPUTE_PGM_RSRC2:USER_SGPR: 2
; COMPUTE_PGM_RSRC2:TRAP_HANDLER: 0
; COMPUTE_PGM_RSRC2:TGID_X_EN: 1
; COMPUTE_PGM_RSRC2:TGID_Y_EN: 0
; COMPUTE_PGM_RSRC2:TGID_Z_EN: 0
; COMPUTE_PGM_RSRC2:TIDIG_COMP_CNT: 0
; COMPUTE_PGM_RSRC3_GFX90A:ACCUM_OFFSET: 0
; COMPUTE_PGM_RSRC3_GFX90A:TG_SPLIT: 0
	.section	.text._ZN7rocprim17ROCPRIM_400000_NS6detail17trampoline_kernelINS0_14default_configENS1_22reduce_config_selectorIfEEZNS1_11reduce_implILb1ES3_N6thrust23THRUST_200600_302600_NS6detail15normal_iteratorINS8_10device_ptrIfEEEEPiiNS8_4plusIiEEEE10hipError_tPvRmT1_T2_T3_mT4_P12ihipStream_tbEUlT_E1_NS1_11comp_targetILNS1_3genE2ELNS1_11target_archE906ELNS1_3gpuE6ELNS1_3repE0EEENS1_30default_config_static_selectorELNS0_4arch9wavefront6targetE1EEEvSK_,"axG",@progbits,_ZN7rocprim17ROCPRIM_400000_NS6detail17trampoline_kernelINS0_14default_configENS1_22reduce_config_selectorIfEEZNS1_11reduce_implILb1ES3_N6thrust23THRUST_200600_302600_NS6detail15normal_iteratorINS8_10device_ptrIfEEEEPiiNS8_4plusIiEEEE10hipError_tPvRmT1_T2_T3_mT4_P12ihipStream_tbEUlT_E1_NS1_11comp_targetILNS1_3genE2ELNS1_11target_archE906ELNS1_3gpuE6ELNS1_3repE0EEENS1_30default_config_static_selectorELNS0_4arch9wavefront6targetE1EEEvSK_,comdat
	.protected	_ZN7rocprim17ROCPRIM_400000_NS6detail17trampoline_kernelINS0_14default_configENS1_22reduce_config_selectorIfEEZNS1_11reduce_implILb1ES3_N6thrust23THRUST_200600_302600_NS6detail15normal_iteratorINS8_10device_ptrIfEEEEPiiNS8_4plusIiEEEE10hipError_tPvRmT1_T2_T3_mT4_P12ihipStream_tbEUlT_E1_NS1_11comp_targetILNS1_3genE2ELNS1_11target_archE906ELNS1_3gpuE6ELNS1_3repE0EEENS1_30default_config_static_selectorELNS0_4arch9wavefront6targetE1EEEvSK_ ; -- Begin function _ZN7rocprim17ROCPRIM_400000_NS6detail17trampoline_kernelINS0_14default_configENS1_22reduce_config_selectorIfEEZNS1_11reduce_implILb1ES3_N6thrust23THRUST_200600_302600_NS6detail15normal_iteratorINS8_10device_ptrIfEEEEPiiNS8_4plusIiEEEE10hipError_tPvRmT1_T2_T3_mT4_P12ihipStream_tbEUlT_E1_NS1_11comp_targetILNS1_3genE2ELNS1_11target_archE906ELNS1_3gpuE6ELNS1_3repE0EEENS1_30default_config_static_selectorELNS0_4arch9wavefront6targetE1EEEvSK_
	.globl	_ZN7rocprim17ROCPRIM_400000_NS6detail17trampoline_kernelINS0_14default_configENS1_22reduce_config_selectorIfEEZNS1_11reduce_implILb1ES3_N6thrust23THRUST_200600_302600_NS6detail15normal_iteratorINS8_10device_ptrIfEEEEPiiNS8_4plusIiEEEE10hipError_tPvRmT1_T2_T3_mT4_P12ihipStream_tbEUlT_E1_NS1_11comp_targetILNS1_3genE2ELNS1_11target_archE906ELNS1_3gpuE6ELNS1_3repE0EEENS1_30default_config_static_selectorELNS0_4arch9wavefront6targetE1EEEvSK_
	.p2align	8
	.type	_ZN7rocprim17ROCPRIM_400000_NS6detail17trampoline_kernelINS0_14default_configENS1_22reduce_config_selectorIfEEZNS1_11reduce_implILb1ES3_N6thrust23THRUST_200600_302600_NS6detail15normal_iteratorINS8_10device_ptrIfEEEEPiiNS8_4plusIiEEEE10hipError_tPvRmT1_T2_T3_mT4_P12ihipStream_tbEUlT_E1_NS1_11comp_targetILNS1_3genE2ELNS1_11target_archE906ELNS1_3gpuE6ELNS1_3repE0EEENS1_30default_config_static_selectorELNS0_4arch9wavefront6targetE1EEEvSK_,@function
_ZN7rocprim17ROCPRIM_400000_NS6detail17trampoline_kernelINS0_14default_configENS1_22reduce_config_selectorIfEEZNS1_11reduce_implILb1ES3_N6thrust23THRUST_200600_302600_NS6detail15normal_iteratorINS8_10device_ptrIfEEEEPiiNS8_4plusIiEEEE10hipError_tPvRmT1_T2_T3_mT4_P12ihipStream_tbEUlT_E1_NS1_11comp_targetILNS1_3genE2ELNS1_11target_archE906ELNS1_3gpuE6ELNS1_3repE0EEENS1_30default_config_static_selectorELNS0_4arch9wavefront6targetE1EEEvSK_: ; @_ZN7rocprim17ROCPRIM_400000_NS6detail17trampoline_kernelINS0_14default_configENS1_22reduce_config_selectorIfEEZNS1_11reduce_implILb1ES3_N6thrust23THRUST_200600_302600_NS6detail15normal_iteratorINS8_10device_ptrIfEEEEPiiNS8_4plusIiEEEE10hipError_tPvRmT1_T2_T3_mT4_P12ihipStream_tbEUlT_E1_NS1_11comp_targetILNS1_3genE2ELNS1_11target_archE906ELNS1_3gpuE6ELNS1_3repE0EEENS1_30default_config_static_selectorELNS0_4arch9wavefront6targetE1EEEvSK_
; %bb.0:
	.section	.rodata,"a",@progbits
	.p2align	6, 0x0
	.amdhsa_kernel _ZN7rocprim17ROCPRIM_400000_NS6detail17trampoline_kernelINS0_14default_configENS1_22reduce_config_selectorIfEEZNS1_11reduce_implILb1ES3_N6thrust23THRUST_200600_302600_NS6detail15normal_iteratorINS8_10device_ptrIfEEEEPiiNS8_4plusIiEEEE10hipError_tPvRmT1_T2_T3_mT4_P12ihipStream_tbEUlT_E1_NS1_11comp_targetILNS1_3genE2ELNS1_11target_archE906ELNS1_3gpuE6ELNS1_3repE0EEENS1_30default_config_static_selectorELNS0_4arch9wavefront6targetE1EEEvSK_
		.amdhsa_group_segment_fixed_size 0
		.amdhsa_private_segment_fixed_size 0
		.amdhsa_kernarg_size 40
		.amdhsa_user_sgpr_count 2
		.amdhsa_user_sgpr_dispatch_ptr 0
		.amdhsa_user_sgpr_queue_ptr 0
		.amdhsa_user_sgpr_kernarg_segment_ptr 1
		.amdhsa_user_sgpr_dispatch_id 0
		.amdhsa_user_sgpr_kernarg_preload_length 0
		.amdhsa_user_sgpr_kernarg_preload_offset 0
		.amdhsa_user_sgpr_private_segment_size 0
		.amdhsa_uses_dynamic_stack 0
		.amdhsa_enable_private_segment 0
		.amdhsa_system_sgpr_workgroup_id_x 1
		.amdhsa_system_sgpr_workgroup_id_y 0
		.amdhsa_system_sgpr_workgroup_id_z 0
		.amdhsa_system_sgpr_workgroup_info 0
		.amdhsa_system_vgpr_workitem_id 0
		.amdhsa_next_free_vgpr 1
		.amdhsa_next_free_sgpr 0
		.amdhsa_accum_offset 4
		.amdhsa_reserve_vcc 0
		.amdhsa_float_round_mode_32 0
		.amdhsa_float_round_mode_16_64 0
		.amdhsa_float_denorm_mode_32 3
		.amdhsa_float_denorm_mode_16_64 3
		.amdhsa_dx10_clamp 1
		.amdhsa_ieee_mode 1
		.amdhsa_fp16_overflow 0
		.amdhsa_tg_split 0
		.amdhsa_exception_fp_ieee_invalid_op 0
		.amdhsa_exception_fp_denorm_src 0
		.amdhsa_exception_fp_ieee_div_zero 0
		.amdhsa_exception_fp_ieee_overflow 0
		.amdhsa_exception_fp_ieee_underflow 0
		.amdhsa_exception_fp_ieee_inexact 0
		.amdhsa_exception_int_div_zero 0
	.end_amdhsa_kernel
	.section	.text._ZN7rocprim17ROCPRIM_400000_NS6detail17trampoline_kernelINS0_14default_configENS1_22reduce_config_selectorIfEEZNS1_11reduce_implILb1ES3_N6thrust23THRUST_200600_302600_NS6detail15normal_iteratorINS8_10device_ptrIfEEEEPiiNS8_4plusIiEEEE10hipError_tPvRmT1_T2_T3_mT4_P12ihipStream_tbEUlT_E1_NS1_11comp_targetILNS1_3genE2ELNS1_11target_archE906ELNS1_3gpuE6ELNS1_3repE0EEENS1_30default_config_static_selectorELNS0_4arch9wavefront6targetE1EEEvSK_,"axG",@progbits,_ZN7rocprim17ROCPRIM_400000_NS6detail17trampoline_kernelINS0_14default_configENS1_22reduce_config_selectorIfEEZNS1_11reduce_implILb1ES3_N6thrust23THRUST_200600_302600_NS6detail15normal_iteratorINS8_10device_ptrIfEEEEPiiNS8_4plusIiEEEE10hipError_tPvRmT1_T2_T3_mT4_P12ihipStream_tbEUlT_E1_NS1_11comp_targetILNS1_3genE2ELNS1_11target_archE906ELNS1_3gpuE6ELNS1_3repE0EEENS1_30default_config_static_selectorELNS0_4arch9wavefront6targetE1EEEvSK_,comdat
.Lfunc_end346:
	.size	_ZN7rocprim17ROCPRIM_400000_NS6detail17trampoline_kernelINS0_14default_configENS1_22reduce_config_selectorIfEEZNS1_11reduce_implILb1ES3_N6thrust23THRUST_200600_302600_NS6detail15normal_iteratorINS8_10device_ptrIfEEEEPiiNS8_4plusIiEEEE10hipError_tPvRmT1_T2_T3_mT4_P12ihipStream_tbEUlT_E1_NS1_11comp_targetILNS1_3genE2ELNS1_11target_archE906ELNS1_3gpuE6ELNS1_3repE0EEENS1_30default_config_static_selectorELNS0_4arch9wavefront6targetE1EEEvSK_, .Lfunc_end346-_ZN7rocprim17ROCPRIM_400000_NS6detail17trampoline_kernelINS0_14default_configENS1_22reduce_config_selectorIfEEZNS1_11reduce_implILb1ES3_N6thrust23THRUST_200600_302600_NS6detail15normal_iteratorINS8_10device_ptrIfEEEEPiiNS8_4plusIiEEEE10hipError_tPvRmT1_T2_T3_mT4_P12ihipStream_tbEUlT_E1_NS1_11comp_targetILNS1_3genE2ELNS1_11target_archE906ELNS1_3gpuE6ELNS1_3repE0EEENS1_30default_config_static_selectorELNS0_4arch9wavefront6targetE1EEEvSK_
                                        ; -- End function
	.set _ZN7rocprim17ROCPRIM_400000_NS6detail17trampoline_kernelINS0_14default_configENS1_22reduce_config_selectorIfEEZNS1_11reduce_implILb1ES3_N6thrust23THRUST_200600_302600_NS6detail15normal_iteratorINS8_10device_ptrIfEEEEPiiNS8_4plusIiEEEE10hipError_tPvRmT1_T2_T3_mT4_P12ihipStream_tbEUlT_E1_NS1_11comp_targetILNS1_3genE2ELNS1_11target_archE906ELNS1_3gpuE6ELNS1_3repE0EEENS1_30default_config_static_selectorELNS0_4arch9wavefront6targetE1EEEvSK_.num_vgpr, 0
	.set _ZN7rocprim17ROCPRIM_400000_NS6detail17trampoline_kernelINS0_14default_configENS1_22reduce_config_selectorIfEEZNS1_11reduce_implILb1ES3_N6thrust23THRUST_200600_302600_NS6detail15normal_iteratorINS8_10device_ptrIfEEEEPiiNS8_4plusIiEEEE10hipError_tPvRmT1_T2_T3_mT4_P12ihipStream_tbEUlT_E1_NS1_11comp_targetILNS1_3genE2ELNS1_11target_archE906ELNS1_3gpuE6ELNS1_3repE0EEENS1_30default_config_static_selectorELNS0_4arch9wavefront6targetE1EEEvSK_.num_agpr, 0
	.set _ZN7rocprim17ROCPRIM_400000_NS6detail17trampoline_kernelINS0_14default_configENS1_22reduce_config_selectorIfEEZNS1_11reduce_implILb1ES3_N6thrust23THRUST_200600_302600_NS6detail15normal_iteratorINS8_10device_ptrIfEEEEPiiNS8_4plusIiEEEE10hipError_tPvRmT1_T2_T3_mT4_P12ihipStream_tbEUlT_E1_NS1_11comp_targetILNS1_3genE2ELNS1_11target_archE906ELNS1_3gpuE6ELNS1_3repE0EEENS1_30default_config_static_selectorELNS0_4arch9wavefront6targetE1EEEvSK_.numbered_sgpr, 0
	.set _ZN7rocprim17ROCPRIM_400000_NS6detail17trampoline_kernelINS0_14default_configENS1_22reduce_config_selectorIfEEZNS1_11reduce_implILb1ES3_N6thrust23THRUST_200600_302600_NS6detail15normal_iteratorINS8_10device_ptrIfEEEEPiiNS8_4plusIiEEEE10hipError_tPvRmT1_T2_T3_mT4_P12ihipStream_tbEUlT_E1_NS1_11comp_targetILNS1_3genE2ELNS1_11target_archE906ELNS1_3gpuE6ELNS1_3repE0EEENS1_30default_config_static_selectorELNS0_4arch9wavefront6targetE1EEEvSK_.num_named_barrier, 0
	.set _ZN7rocprim17ROCPRIM_400000_NS6detail17trampoline_kernelINS0_14default_configENS1_22reduce_config_selectorIfEEZNS1_11reduce_implILb1ES3_N6thrust23THRUST_200600_302600_NS6detail15normal_iteratorINS8_10device_ptrIfEEEEPiiNS8_4plusIiEEEE10hipError_tPvRmT1_T2_T3_mT4_P12ihipStream_tbEUlT_E1_NS1_11comp_targetILNS1_3genE2ELNS1_11target_archE906ELNS1_3gpuE6ELNS1_3repE0EEENS1_30default_config_static_selectorELNS0_4arch9wavefront6targetE1EEEvSK_.private_seg_size, 0
	.set _ZN7rocprim17ROCPRIM_400000_NS6detail17trampoline_kernelINS0_14default_configENS1_22reduce_config_selectorIfEEZNS1_11reduce_implILb1ES3_N6thrust23THRUST_200600_302600_NS6detail15normal_iteratorINS8_10device_ptrIfEEEEPiiNS8_4plusIiEEEE10hipError_tPvRmT1_T2_T3_mT4_P12ihipStream_tbEUlT_E1_NS1_11comp_targetILNS1_3genE2ELNS1_11target_archE906ELNS1_3gpuE6ELNS1_3repE0EEENS1_30default_config_static_selectorELNS0_4arch9wavefront6targetE1EEEvSK_.uses_vcc, 0
	.set _ZN7rocprim17ROCPRIM_400000_NS6detail17trampoline_kernelINS0_14default_configENS1_22reduce_config_selectorIfEEZNS1_11reduce_implILb1ES3_N6thrust23THRUST_200600_302600_NS6detail15normal_iteratorINS8_10device_ptrIfEEEEPiiNS8_4plusIiEEEE10hipError_tPvRmT1_T2_T3_mT4_P12ihipStream_tbEUlT_E1_NS1_11comp_targetILNS1_3genE2ELNS1_11target_archE906ELNS1_3gpuE6ELNS1_3repE0EEENS1_30default_config_static_selectorELNS0_4arch9wavefront6targetE1EEEvSK_.uses_flat_scratch, 0
	.set _ZN7rocprim17ROCPRIM_400000_NS6detail17trampoline_kernelINS0_14default_configENS1_22reduce_config_selectorIfEEZNS1_11reduce_implILb1ES3_N6thrust23THRUST_200600_302600_NS6detail15normal_iteratorINS8_10device_ptrIfEEEEPiiNS8_4plusIiEEEE10hipError_tPvRmT1_T2_T3_mT4_P12ihipStream_tbEUlT_E1_NS1_11comp_targetILNS1_3genE2ELNS1_11target_archE906ELNS1_3gpuE6ELNS1_3repE0EEENS1_30default_config_static_selectorELNS0_4arch9wavefront6targetE1EEEvSK_.has_dyn_sized_stack, 0
	.set _ZN7rocprim17ROCPRIM_400000_NS6detail17trampoline_kernelINS0_14default_configENS1_22reduce_config_selectorIfEEZNS1_11reduce_implILb1ES3_N6thrust23THRUST_200600_302600_NS6detail15normal_iteratorINS8_10device_ptrIfEEEEPiiNS8_4plusIiEEEE10hipError_tPvRmT1_T2_T3_mT4_P12ihipStream_tbEUlT_E1_NS1_11comp_targetILNS1_3genE2ELNS1_11target_archE906ELNS1_3gpuE6ELNS1_3repE0EEENS1_30default_config_static_selectorELNS0_4arch9wavefront6targetE1EEEvSK_.has_recursion, 0
	.set _ZN7rocprim17ROCPRIM_400000_NS6detail17trampoline_kernelINS0_14default_configENS1_22reduce_config_selectorIfEEZNS1_11reduce_implILb1ES3_N6thrust23THRUST_200600_302600_NS6detail15normal_iteratorINS8_10device_ptrIfEEEEPiiNS8_4plusIiEEEE10hipError_tPvRmT1_T2_T3_mT4_P12ihipStream_tbEUlT_E1_NS1_11comp_targetILNS1_3genE2ELNS1_11target_archE906ELNS1_3gpuE6ELNS1_3repE0EEENS1_30default_config_static_selectorELNS0_4arch9wavefront6targetE1EEEvSK_.has_indirect_call, 0
	.section	.AMDGPU.csdata,"",@progbits
; Kernel info:
; codeLenInByte = 0
; TotalNumSgprs: 6
; NumVgprs: 0
; NumAgprs: 0
; TotalNumVgprs: 0
; ScratchSize: 0
; MemoryBound: 0
; FloatMode: 240
; IeeeMode: 1
; LDSByteSize: 0 bytes/workgroup (compile time only)
; SGPRBlocks: 0
; VGPRBlocks: 0
; NumSGPRsForWavesPerEU: 6
; NumVGPRsForWavesPerEU: 1
; AccumOffset: 4
; Occupancy: 8
; WaveLimiterHint : 0
; COMPUTE_PGM_RSRC2:SCRATCH_EN: 0
; COMPUTE_PGM_RSRC2:USER_SGPR: 2
; COMPUTE_PGM_RSRC2:TRAP_HANDLER: 0
; COMPUTE_PGM_RSRC2:TGID_X_EN: 1
; COMPUTE_PGM_RSRC2:TGID_Y_EN: 0
; COMPUTE_PGM_RSRC2:TGID_Z_EN: 0
; COMPUTE_PGM_RSRC2:TIDIG_COMP_CNT: 0
; COMPUTE_PGM_RSRC3_GFX90A:ACCUM_OFFSET: 0
; COMPUTE_PGM_RSRC3_GFX90A:TG_SPLIT: 0
	.section	.text._ZN7rocprim17ROCPRIM_400000_NS6detail17trampoline_kernelINS0_14default_configENS1_22reduce_config_selectorIfEEZNS1_11reduce_implILb1ES3_N6thrust23THRUST_200600_302600_NS6detail15normal_iteratorINS8_10device_ptrIfEEEEPiiNS8_4plusIiEEEE10hipError_tPvRmT1_T2_T3_mT4_P12ihipStream_tbEUlT_E1_NS1_11comp_targetILNS1_3genE10ELNS1_11target_archE1201ELNS1_3gpuE5ELNS1_3repE0EEENS1_30default_config_static_selectorELNS0_4arch9wavefront6targetE1EEEvSK_,"axG",@progbits,_ZN7rocprim17ROCPRIM_400000_NS6detail17trampoline_kernelINS0_14default_configENS1_22reduce_config_selectorIfEEZNS1_11reduce_implILb1ES3_N6thrust23THRUST_200600_302600_NS6detail15normal_iteratorINS8_10device_ptrIfEEEEPiiNS8_4plusIiEEEE10hipError_tPvRmT1_T2_T3_mT4_P12ihipStream_tbEUlT_E1_NS1_11comp_targetILNS1_3genE10ELNS1_11target_archE1201ELNS1_3gpuE5ELNS1_3repE0EEENS1_30default_config_static_selectorELNS0_4arch9wavefront6targetE1EEEvSK_,comdat
	.protected	_ZN7rocprim17ROCPRIM_400000_NS6detail17trampoline_kernelINS0_14default_configENS1_22reduce_config_selectorIfEEZNS1_11reduce_implILb1ES3_N6thrust23THRUST_200600_302600_NS6detail15normal_iteratorINS8_10device_ptrIfEEEEPiiNS8_4plusIiEEEE10hipError_tPvRmT1_T2_T3_mT4_P12ihipStream_tbEUlT_E1_NS1_11comp_targetILNS1_3genE10ELNS1_11target_archE1201ELNS1_3gpuE5ELNS1_3repE0EEENS1_30default_config_static_selectorELNS0_4arch9wavefront6targetE1EEEvSK_ ; -- Begin function _ZN7rocprim17ROCPRIM_400000_NS6detail17trampoline_kernelINS0_14default_configENS1_22reduce_config_selectorIfEEZNS1_11reduce_implILb1ES3_N6thrust23THRUST_200600_302600_NS6detail15normal_iteratorINS8_10device_ptrIfEEEEPiiNS8_4plusIiEEEE10hipError_tPvRmT1_T2_T3_mT4_P12ihipStream_tbEUlT_E1_NS1_11comp_targetILNS1_3genE10ELNS1_11target_archE1201ELNS1_3gpuE5ELNS1_3repE0EEENS1_30default_config_static_selectorELNS0_4arch9wavefront6targetE1EEEvSK_
	.globl	_ZN7rocprim17ROCPRIM_400000_NS6detail17trampoline_kernelINS0_14default_configENS1_22reduce_config_selectorIfEEZNS1_11reduce_implILb1ES3_N6thrust23THRUST_200600_302600_NS6detail15normal_iteratorINS8_10device_ptrIfEEEEPiiNS8_4plusIiEEEE10hipError_tPvRmT1_T2_T3_mT4_P12ihipStream_tbEUlT_E1_NS1_11comp_targetILNS1_3genE10ELNS1_11target_archE1201ELNS1_3gpuE5ELNS1_3repE0EEENS1_30default_config_static_selectorELNS0_4arch9wavefront6targetE1EEEvSK_
	.p2align	8
	.type	_ZN7rocprim17ROCPRIM_400000_NS6detail17trampoline_kernelINS0_14default_configENS1_22reduce_config_selectorIfEEZNS1_11reduce_implILb1ES3_N6thrust23THRUST_200600_302600_NS6detail15normal_iteratorINS8_10device_ptrIfEEEEPiiNS8_4plusIiEEEE10hipError_tPvRmT1_T2_T3_mT4_P12ihipStream_tbEUlT_E1_NS1_11comp_targetILNS1_3genE10ELNS1_11target_archE1201ELNS1_3gpuE5ELNS1_3repE0EEENS1_30default_config_static_selectorELNS0_4arch9wavefront6targetE1EEEvSK_,@function
_ZN7rocprim17ROCPRIM_400000_NS6detail17trampoline_kernelINS0_14default_configENS1_22reduce_config_selectorIfEEZNS1_11reduce_implILb1ES3_N6thrust23THRUST_200600_302600_NS6detail15normal_iteratorINS8_10device_ptrIfEEEEPiiNS8_4plusIiEEEE10hipError_tPvRmT1_T2_T3_mT4_P12ihipStream_tbEUlT_E1_NS1_11comp_targetILNS1_3genE10ELNS1_11target_archE1201ELNS1_3gpuE5ELNS1_3repE0EEENS1_30default_config_static_selectorELNS0_4arch9wavefront6targetE1EEEvSK_: ; @_ZN7rocprim17ROCPRIM_400000_NS6detail17trampoline_kernelINS0_14default_configENS1_22reduce_config_selectorIfEEZNS1_11reduce_implILb1ES3_N6thrust23THRUST_200600_302600_NS6detail15normal_iteratorINS8_10device_ptrIfEEEEPiiNS8_4plusIiEEEE10hipError_tPvRmT1_T2_T3_mT4_P12ihipStream_tbEUlT_E1_NS1_11comp_targetILNS1_3genE10ELNS1_11target_archE1201ELNS1_3gpuE5ELNS1_3repE0EEENS1_30default_config_static_selectorELNS0_4arch9wavefront6targetE1EEEvSK_
; %bb.0:
	.section	.rodata,"a",@progbits
	.p2align	6, 0x0
	.amdhsa_kernel _ZN7rocprim17ROCPRIM_400000_NS6detail17trampoline_kernelINS0_14default_configENS1_22reduce_config_selectorIfEEZNS1_11reduce_implILb1ES3_N6thrust23THRUST_200600_302600_NS6detail15normal_iteratorINS8_10device_ptrIfEEEEPiiNS8_4plusIiEEEE10hipError_tPvRmT1_T2_T3_mT4_P12ihipStream_tbEUlT_E1_NS1_11comp_targetILNS1_3genE10ELNS1_11target_archE1201ELNS1_3gpuE5ELNS1_3repE0EEENS1_30default_config_static_selectorELNS0_4arch9wavefront6targetE1EEEvSK_
		.amdhsa_group_segment_fixed_size 0
		.amdhsa_private_segment_fixed_size 0
		.amdhsa_kernarg_size 40
		.amdhsa_user_sgpr_count 2
		.amdhsa_user_sgpr_dispatch_ptr 0
		.amdhsa_user_sgpr_queue_ptr 0
		.amdhsa_user_sgpr_kernarg_segment_ptr 1
		.amdhsa_user_sgpr_dispatch_id 0
		.amdhsa_user_sgpr_kernarg_preload_length 0
		.amdhsa_user_sgpr_kernarg_preload_offset 0
		.amdhsa_user_sgpr_private_segment_size 0
		.amdhsa_uses_dynamic_stack 0
		.amdhsa_enable_private_segment 0
		.amdhsa_system_sgpr_workgroup_id_x 1
		.amdhsa_system_sgpr_workgroup_id_y 0
		.amdhsa_system_sgpr_workgroup_id_z 0
		.amdhsa_system_sgpr_workgroup_info 0
		.amdhsa_system_vgpr_workitem_id 0
		.amdhsa_next_free_vgpr 1
		.amdhsa_next_free_sgpr 0
		.amdhsa_accum_offset 4
		.amdhsa_reserve_vcc 0
		.amdhsa_float_round_mode_32 0
		.amdhsa_float_round_mode_16_64 0
		.amdhsa_float_denorm_mode_32 3
		.amdhsa_float_denorm_mode_16_64 3
		.amdhsa_dx10_clamp 1
		.amdhsa_ieee_mode 1
		.amdhsa_fp16_overflow 0
		.amdhsa_tg_split 0
		.amdhsa_exception_fp_ieee_invalid_op 0
		.amdhsa_exception_fp_denorm_src 0
		.amdhsa_exception_fp_ieee_div_zero 0
		.amdhsa_exception_fp_ieee_overflow 0
		.amdhsa_exception_fp_ieee_underflow 0
		.amdhsa_exception_fp_ieee_inexact 0
		.amdhsa_exception_int_div_zero 0
	.end_amdhsa_kernel
	.section	.text._ZN7rocprim17ROCPRIM_400000_NS6detail17trampoline_kernelINS0_14default_configENS1_22reduce_config_selectorIfEEZNS1_11reduce_implILb1ES3_N6thrust23THRUST_200600_302600_NS6detail15normal_iteratorINS8_10device_ptrIfEEEEPiiNS8_4plusIiEEEE10hipError_tPvRmT1_T2_T3_mT4_P12ihipStream_tbEUlT_E1_NS1_11comp_targetILNS1_3genE10ELNS1_11target_archE1201ELNS1_3gpuE5ELNS1_3repE0EEENS1_30default_config_static_selectorELNS0_4arch9wavefront6targetE1EEEvSK_,"axG",@progbits,_ZN7rocprim17ROCPRIM_400000_NS6detail17trampoline_kernelINS0_14default_configENS1_22reduce_config_selectorIfEEZNS1_11reduce_implILb1ES3_N6thrust23THRUST_200600_302600_NS6detail15normal_iteratorINS8_10device_ptrIfEEEEPiiNS8_4plusIiEEEE10hipError_tPvRmT1_T2_T3_mT4_P12ihipStream_tbEUlT_E1_NS1_11comp_targetILNS1_3genE10ELNS1_11target_archE1201ELNS1_3gpuE5ELNS1_3repE0EEENS1_30default_config_static_selectorELNS0_4arch9wavefront6targetE1EEEvSK_,comdat
.Lfunc_end347:
	.size	_ZN7rocprim17ROCPRIM_400000_NS6detail17trampoline_kernelINS0_14default_configENS1_22reduce_config_selectorIfEEZNS1_11reduce_implILb1ES3_N6thrust23THRUST_200600_302600_NS6detail15normal_iteratorINS8_10device_ptrIfEEEEPiiNS8_4plusIiEEEE10hipError_tPvRmT1_T2_T3_mT4_P12ihipStream_tbEUlT_E1_NS1_11comp_targetILNS1_3genE10ELNS1_11target_archE1201ELNS1_3gpuE5ELNS1_3repE0EEENS1_30default_config_static_selectorELNS0_4arch9wavefront6targetE1EEEvSK_, .Lfunc_end347-_ZN7rocprim17ROCPRIM_400000_NS6detail17trampoline_kernelINS0_14default_configENS1_22reduce_config_selectorIfEEZNS1_11reduce_implILb1ES3_N6thrust23THRUST_200600_302600_NS6detail15normal_iteratorINS8_10device_ptrIfEEEEPiiNS8_4plusIiEEEE10hipError_tPvRmT1_T2_T3_mT4_P12ihipStream_tbEUlT_E1_NS1_11comp_targetILNS1_3genE10ELNS1_11target_archE1201ELNS1_3gpuE5ELNS1_3repE0EEENS1_30default_config_static_selectorELNS0_4arch9wavefront6targetE1EEEvSK_
                                        ; -- End function
	.set _ZN7rocprim17ROCPRIM_400000_NS6detail17trampoline_kernelINS0_14default_configENS1_22reduce_config_selectorIfEEZNS1_11reduce_implILb1ES3_N6thrust23THRUST_200600_302600_NS6detail15normal_iteratorINS8_10device_ptrIfEEEEPiiNS8_4plusIiEEEE10hipError_tPvRmT1_T2_T3_mT4_P12ihipStream_tbEUlT_E1_NS1_11comp_targetILNS1_3genE10ELNS1_11target_archE1201ELNS1_3gpuE5ELNS1_3repE0EEENS1_30default_config_static_selectorELNS0_4arch9wavefront6targetE1EEEvSK_.num_vgpr, 0
	.set _ZN7rocprim17ROCPRIM_400000_NS6detail17trampoline_kernelINS0_14default_configENS1_22reduce_config_selectorIfEEZNS1_11reduce_implILb1ES3_N6thrust23THRUST_200600_302600_NS6detail15normal_iteratorINS8_10device_ptrIfEEEEPiiNS8_4plusIiEEEE10hipError_tPvRmT1_T2_T3_mT4_P12ihipStream_tbEUlT_E1_NS1_11comp_targetILNS1_3genE10ELNS1_11target_archE1201ELNS1_3gpuE5ELNS1_3repE0EEENS1_30default_config_static_selectorELNS0_4arch9wavefront6targetE1EEEvSK_.num_agpr, 0
	.set _ZN7rocprim17ROCPRIM_400000_NS6detail17trampoline_kernelINS0_14default_configENS1_22reduce_config_selectorIfEEZNS1_11reduce_implILb1ES3_N6thrust23THRUST_200600_302600_NS6detail15normal_iteratorINS8_10device_ptrIfEEEEPiiNS8_4plusIiEEEE10hipError_tPvRmT1_T2_T3_mT4_P12ihipStream_tbEUlT_E1_NS1_11comp_targetILNS1_3genE10ELNS1_11target_archE1201ELNS1_3gpuE5ELNS1_3repE0EEENS1_30default_config_static_selectorELNS0_4arch9wavefront6targetE1EEEvSK_.numbered_sgpr, 0
	.set _ZN7rocprim17ROCPRIM_400000_NS6detail17trampoline_kernelINS0_14default_configENS1_22reduce_config_selectorIfEEZNS1_11reduce_implILb1ES3_N6thrust23THRUST_200600_302600_NS6detail15normal_iteratorINS8_10device_ptrIfEEEEPiiNS8_4plusIiEEEE10hipError_tPvRmT1_T2_T3_mT4_P12ihipStream_tbEUlT_E1_NS1_11comp_targetILNS1_3genE10ELNS1_11target_archE1201ELNS1_3gpuE5ELNS1_3repE0EEENS1_30default_config_static_selectorELNS0_4arch9wavefront6targetE1EEEvSK_.num_named_barrier, 0
	.set _ZN7rocprim17ROCPRIM_400000_NS6detail17trampoline_kernelINS0_14default_configENS1_22reduce_config_selectorIfEEZNS1_11reduce_implILb1ES3_N6thrust23THRUST_200600_302600_NS6detail15normal_iteratorINS8_10device_ptrIfEEEEPiiNS8_4plusIiEEEE10hipError_tPvRmT1_T2_T3_mT4_P12ihipStream_tbEUlT_E1_NS1_11comp_targetILNS1_3genE10ELNS1_11target_archE1201ELNS1_3gpuE5ELNS1_3repE0EEENS1_30default_config_static_selectorELNS0_4arch9wavefront6targetE1EEEvSK_.private_seg_size, 0
	.set _ZN7rocprim17ROCPRIM_400000_NS6detail17trampoline_kernelINS0_14default_configENS1_22reduce_config_selectorIfEEZNS1_11reduce_implILb1ES3_N6thrust23THRUST_200600_302600_NS6detail15normal_iteratorINS8_10device_ptrIfEEEEPiiNS8_4plusIiEEEE10hipError_tPvRmT1_T2_T3_mT4_P12ihipStream_tbEUlT_E1_NS1_11comp_targetILNS1_3genE10ELNS1_11target_archE1201ELNS1_3gpuE5ELNS1_3repE0EEENS1_30default_config_static_selectorELNS0_4arch9wavefront6targetE1EEEvSK_.uses_vcc, 0
	.set _ZN7rocprim17ROCPRIM_400000_NS6detail17trampoline_kernelINS0_14default_configENS1_22reduce_config_selectorIfEEZNS1_11reduce_implILb1ES3_N6thrust23THRUST_200600_302600_NS6detail15normal_iteratorINS8_10device_ptrIfEEEEPiiNS8_4plusIiEEEE10hipError_tPvRmT1_T2_T3_mT4_P12ihipStream_tbEUlT_E1_NS1_11comp_targetILNS1_3genE10ELNS1_11target_archE1201ELNS1_3gpuE5ELNS1_3repE0EEENS1_30default_config_static_selectorELNS0_4arch9wavefront6targetE1EEEvSK_.uses_flat_scratch, 0
	.set _ZN7rocprim17ROCPRIM_400000_NS6detail17trampoline_kernelINS0_14default_configENS1_22reduce_config_selectorIfEEZNS1_11reduce_implILb1ES3_N6thrust23THRUST_200600_302600_NS6detail15normal_iteratorINS8_10device_ptrIfEEEEPiiNS8_4plusIiEEEE10hipError_tPvRmT1_T2_T3_mT4_P12ihipStream_tbEUlT_E1_NS1_11comp_targetILNS1_3genE10ELNS1_11target_archE1201ELNS1_3gpuE5ELNS1_3repE0EEENS1_30default_config_static_selectorELNS0_4arch9wavefront6targetE1EEEvSK_.has_dyn_sized_stack, 0
	.set _ZN7rocprim17ROCPRIM_400000_NS6detail17trampoline_kernelINS0_14default_configENS1_22reduce_config_selectorIfEEZNS1_11reduce_implILb1ES3_N6thrust23THRUST_200600_302600_NS6detail15normal_iteratorINS8_10device_ptrIfEEEEPiiNS8_4plusIiEEEE10hipError_tPvRmT1_T2_T3_mT4_P12ihipStream_tbEUlT_E1_NS1_11comp_targetILNS1_3genE10ELNS1_11target_archE1201ELNS1_3gpuE5ELNS1_3repE0EEENS1_30default_config_static_selectorELNS0_4arch9wavefront6targetE1EEEvSK_.has_recursion, 0
	.set _ZN7rocprim17ROCPRIM_400000_NS6detail17trampoline_kernelINS0_14default_configENS1_22reduce_config_selectorIfEEZNS1_11reduce_implILb1ES3_N6thrust23THRUST_200600_302600_NS6detail15normal_iteratorINS8_10device_ptrIfEEEEPiiNS8_4plusIiEEEE10hipError_tPvRmT1_T2_T3_mT4_P12ihipStream_tbEUlT_E1_NS1_11comp_targetILNS1_3genE10ELNS1_11target_archE1201ELNS1_3gpuE5ELNS1_3repE0EEENS1_30default_config_static_selectorELNS0_4arch9wavefront6targetE1EEEvSK_.has_indirect_call, 0
	.section	.AMDGPU.csdata,"",@progbits
; Kernel info:
; codeLenInByte = 0
; TotalNumSgprs: 6
; NumVgprs: 0
; NumAgprs: 0
; TotalNumVgprs: 0
; ScratchSize: 0
; MemoryBound: 0
; FloatMode: 240
; IeeeMode: 1
; LDSByteSize: 0 bytes/workgroup (compile time only)
; SGPRBlocks: 0
; VGPRBlocks: 0
; NumSGPRsForWavesPerEU: 6
; NumVGPRsForWavesPerEU: 1
; AccumOffset: 4
; Occupancy: 8
; WaveLimiterHint : 0
; COMPUTE_PGM_RSRC2:SCRATCH_EN: 0
; COMPUTE_PGM_RSRC2:USER_SGPR: 2
; COMPUTE_PGM_RSRC2:TRAP_HANDLER: 0
; COMPUTE_PGM_RSRC2:TGID_X_EN: 1
; COMPUTE_PGM_RSRC2:TGID_Y_EN: 0
; COMPUTE_PGM_RSRC2:TGID_Z_EN: 0
; COMPUTE_PGM_RSRC2:TIDIG_COMP_CNT: 0
; COMPUTE_PGM_RSRC3_GFX90A:ACCUM_OFFSET: 0
; COMPUTE_PGM_RSRC3_GFX90A:TG_SPLIT: 0
	.section	.text._ZN7rocprim17ROCPRIM_400000_NS6detail17trampoline_kernelINS0_14default_configENS1_22reduce_config_selectorIfEEZNS1_11reduce_implILb1ES3_N6thrust23THRUST_200600_302600_NS6detail15normal_iteratorINS8_10device_ptrIfEEEEPiiNS8_4plusIiEEEE10hipError_tPvRmT1_T2_T3_mT4_P12ihipStream_tbEUlT_E1_NS1_11comp_targetILNS1_3genE10ELNS1_11target_archE1200ELNS1_3gpuE4ELNS1_3repE0EEENS1_30default_config_static_selectorELNS0_4arch9wavefront6targetE1EEEvSK_,"axG",@progbits,_ZN7rocprim17ROCPRIM_400000_NS6detail17trampoline_kernelINS0_14default_configENS1_22reduce_config_selectorIfEEZNS1_11reduce_implILb1ES3_N6thrust23THRUST_200600_302600_NS6detail15normal_iteratorINS8_10device_ptrIfEEEEPiiNS8_4plusIiEEEE10hipError_tPvRmT1_T2_T3_mT4_P12ihipStream_tbEUlT_E1_NS1_11comp_targetILNS1_3genE10ELNS1_11target_archE1200ELNS1_3gpuE4ELNS1_3repE0EEENS1_30default_config_static_selectorELNS0_4arch9wavefront6targetE1EEEvSK_,comdat
	.protected	_ZN7rocprim17ROCPRIM_400000_NS6detail17trampoline_kernelINS0_14default_configENS1_22reduce_config_selectorIfEEZNS1_11reduce_implILb1ES3_N6thrust23THRUST_200600_302600_NS6detail15normal_iteratorINS8_10device_ptrIfEEEEPiiNS8_4plusIiEEEE10hipError_tPvRmT1_T2_T3_mT4_P12ihipStream_tbEUlT_E1_NS1_11comp_targetILNS1_3genE10ELNS1_11target_archE1200ELNS1_3gpuE4ELNS1_3repE0EEENS1_30default_config_static_selectorELNS0_4arch9wavefront6targetE1EEEvSK_ ; -- Begin function _ZN7rocprim17ROCPRIM_400000_NS6detail17trampoline_kernelINS0_14default_configENS1_22reduce_config_selectorIfEEZNS1_11reduce_implILb1ES3_N6thrust23THRUST_200600_302600_NS6detail15normal_iteratorINS8_10device_ptrIfEEEEPiiNS8_4plusIiEEEE10hipError_tPvRmT1_T2_T3_mT4_P12ihipStream_tbEUlT_E1_NS1_11comp_targetILNS1_3genE10ELNS1_11target_archE1200ELNS1_3gpuE4ELNS1_3repE0EEENS1_30default_config_static_selectorELNS0_4arch9wavefront6targetE1EEEvSK_
	.globl	_ZN7rocprim17ROCPRIM_400000_NS6detail17trampoline_kernelINS0_14default_configENS1_22reduce_config_selectorIfEEZNS1_11reduce_implILb1ES3_N6thrust23THRUST_200600_302600_NS6detail15normal_iteratorINS8_10device_ptrIfEEEEPiiNS8_4plusIiEEEE10hipError_tPvRmT1_T2_T3_mT4_P12ihipStream_tbEUlT_E1_NS1_11comp_targetILNS1_3genE10ELNS1_11target_archE1200ELNS1_3gpuE4ELNS1_3repE0EEENS1_30default_config_static_selectorELNS0_4arch9wavefront6targetE1EEEvSK_
	.p2align	8
	.type	_ZN7rocprim17ROCPRIM_400000_NS6detail17trampoline_kernelINS0_14default_configENS1_22reduce_config_selectorIfEEZNS1_11reduce_implILb1ES3_N6thrust23THRUST_200600_302600_NS6detail15normal_iteratorINS8_10device_ptrIfEEEEPiiNS8_4plusIiEEEE10hipError_tPvRmT1_T2_T3_mT4_P12ihipStream_tbEUlT_E1_NS1_11comp_targetILNS1_3genE10ELNS1_11target_archE1200ELNS1_3gpuE4ELNS1_3repE0EEENS1_30default_config_static_selectorELNS0_4arch9wavefront6targetE1EEEvSK_,@function
_ZN7rocprim17ROCPRIM_400000_NS6detail17trampoline_kernelINS0_14default_configENS1_22reduce_config_selectorIfEEZNS1_11reduce_implILb1ES3_N6thrust23THRUST_200600_302600_NS6detail15normal_iteratorINS8_10device_ptrIfEEEEPiiNS8_4plusIiEEEE10hipError_tPvRmT1_T2_T3_mT4_P12ihipStream_tbEUlT_E1_NS1_11comp_targetILNS1_3genE10ELNS1_11target_archE1200ELNS1_3gpuE4ELNS1_3repE0EEENS1_30default_config_static_selectorELNS0_4arch9wavefront6targetE1EEEvSK_: ; @_ZN7rocprim17ROCPRIM_400000_NS6detail17trampoline_kernelINS0_14default_configENS1_22reduce_config_selectorIfEEZNS1_11reduce_implILb1ES3_N6thrust23THRUST_200600_302600_NS6detail15normal_iteratorINS8_10device_ptrIfEEEEPiiNS8_4plusIiEEEE10hipError_tPvRmT1_T2_T3_mT4_P12ihipStream_tbEUlT_E1_NS1_11comp_targetILNS1_3genE10ELNS1_11target_archE1200ELNS1_3gpuE4ELNS1_3repE0EEENS1_30default_config_static_selectorELNS0_4arch9wavefront6targetE1EEEvSK_
; %bb.0:
	.section	.rodata,"a",@progbits
	.p2align	6, 0x0
	.amdhsa_kernel _ZN7rocprim17ROCPRIM_400000_NS6detail17trampoline_kernelINS0_14default_configENS1_22reduce_config_selectorIfEEZNS1_11reduce_implILb1ES3_N6thrust23THRUST_200600_302600_NS6detail15normal_iteratorINS8_10device_ptrIfEEEEPiiNS8_4plusIiEEEE10hipError_tPvRmT1_T2_T3_mT4_P12ihipStream_tbEUlT_E1_NS1_11comp_targetILNS1_3genE10ELNS1_11target_archE1200ELNS1_3gpuE4ELNS1_3repE0EEENS1_30default_config_static_selectorELNS0_4arch9wavefront6targetE1EEEvSK_
		.amdhsa_group_segment_fixed_size 0
		.amdhsa_private_segment_fixed_size 0
		.amdhsa_kernarg_size 40
		.amdhsa_user_sgpr_count 2
		.amdhsa_user_sgpr_dispatch_ptr 0
		.amdhsa_user_sgpr_queue_ptr 0
		.amdhsa_user_sgpr_kernarg_segment_ptr 1
		.amdhsa_user_sgpr_dispatch_id 0
		.amdhsa_user_sgpr_kernarg_preload_length 0
		.amdhsa_user_sgpr_kernarg_preload_offset 0
		.amdhsa_user_sgpr_private_segment_size 0
		.amdhsa_uses_dynamic_stack 0
		.amdhsa_enable_private_segment 0
		.amdhsa_system_sgpr_workgroup_id_x 1
		.amdhsa_system_sgpr_workgroup_id_y 0
		.amdhsa_system_sgpr_workgroup_id_z 0
		.amdhsa_system_sgpr_workgroup_info 0
		.amdhsa_system_vgpr_workitem_id 0
		.amdhsa_next_free_vgpr 1
		.amdhsa_next_free_sgpr 0
		.amdhsa_accum_offset 4
		.amdhsa_reserve_vcc 0
		.amdhsa_float_round_mode_32 0
		.amdhsa_float_round_mode_16_64 0
		.amdhsa_float_denorm_mode_32 3
		.amdhsa_float_denorm_mode_16_64 3
		.amdhsa_dx10_clamp 1
		.amdhsa_ieee_mode 1
		.amdhsa_fp16_overflow 0
		.amdhsa_tg_split 0
		.amdhsa_exception_fp_ieee_invalid_op 0
		.amdhsa_exception_fp_denorm_src 0
		.amdhsa_exception_fp_ieee_div_zero 0
		.amdhsa_exception_fp_ieee_overflow 0
		.amdhsa_exception_fp_ieee_underflow 0
		.amdhsa_exception_fp_ieee_inexact 0
		.amdhsa_exception_int_div_zero 0
	.end_amdhsa_kernel
	.section	.text._ZN7rocprim17ROCPRIM_400000_NS6detail17trampoline_kernelINS0_14default_configENS1_22reduce_config_selectorIfEEZNS1_11reduce_implILb1ES3_N6thrust23THRUST_200600_302600_NS6detail15normal_iteratorINS8_10device_ptrIfEEEEPiiNS8_4plusIiEEEE10hipError_tPvRmT1_T2_T3_mT4_P12ihipStream_tbEUlT_E1_NS1_11comp_targetILNS1_3genE10ELNS1_11target_archE1200ELNS1_3gpuE4ELNS1_3repE0EEENS1_30default_config_static_selectorELNS0_4arch9wavefront6targetE1EEEvSK_,"axG",@progbits,_ZN7rocprim17ROCPRIM_400000_NS6detail17trampoline_kernelINS0_14default_configENS1_22reduce_config_selectorIfEEZNS1_11reduce_implILb1ES3_N6thrust23THRUST_200600_302600_NS6detail15normal_iteratorINS8_10device_ptrIfEEEEPiiNS8_4plusIiEEEE10hipError_tPvRmT1_T2_T3_mT4_P12ihipStream_tbEUlT_E1_NS1_11comp_targetILNS1_3genE10ELNS1_11target_archE1200ELNS1_3gpuE4ELNS1_3repE0EEENS1_30default_config_static_selectorELNS0_4arch9wavefront6targetE1EEEvSK_,comdat
.Lfunc_end348:
	.size	_ZN7rocprim17ROCPRIM_400000_NS6detail17trampoline_kernelINS0_14default_configENS1_22reduce_config_selectorIfEEZNS1_11reduce_implILb1ES3_N6thrust23THRUST_200600_302600_NS6detail15normal_iteratorINS8_10device_ptrIfEEEEPiiNS8_4plusIiEEEE10hipError_tPvRmT1_T2_T3_mT4_P12ihipStream_tbEUlT_E1_NS1_11comp_targetILNS1_3genE10ELNS1_11target_archE1200ELNS1_3gpuE4ELNS1_3repE0EEENS1_30default_config_static_selectorELNS0_4arch9wavefront6targetE1EEEvSK_, .Lfunc_end348-_ZN7rocprim17ROCPRIM_400000_NS6detail17trampoline_kernelINS0_14default_configENS1_22reduce_config_selectorIfEEZNS1_11reduce_implILb1ES3_N6thrust23THRUST_200600_302600_NS6detail15normal_iteratorINS8_10device_ptrIfEEEEPiiNS8_4plusIiEEEE10hipError_tPvRmT1_T2_T3_mT4_P12ihipStream_tbEUlT_E1_NS1_11comp_targetILNS1_3genE10ELNS1_11target_archE1200ELNS1_3gpuE4ELNS1_3repE0EEENS1_30default_config_static_selectorELNS0_4arch9wavefront6targetE1EEEvSK_
                                        ; -- End function
	.set _ZN7rocprim17ROCPRIM_400000_NS6detail17trampoline_kernelINS0_14default_configENS1_22reduce_config_selectorIfEEZNS1_11reduce_implILb1ES3_N6thrust23THRUST_200600_302600_NS6detail15normal_iteratorINS8_10device_ptrIfEEEEPiiNS8_4plusIiEEEE10hipError_tPvRmT1_T2_T3_mT4_P12ihipStream_tbEUlT_E1_NS1_11comp_targetILNS1_3genE10ELNS1_11target_archE1200ELNS1_3gpuE4ELNS1_3repE0EEENS1_30default_config_static_selectorELNS0_4arch9wavefront6targetE1EEEvSK_.num_vgpr, 0
	.set _ZN7rocprim17ROCPRIM_400000_NS6detail17trampoline_kernelINS0_14default_configENS1_22reduce_config_selectorIfEEZNS1_11reduce_implILb1ES3_N6thrust23THRUST_200600_302600_NS6detail15normal_iteratorINS8_10device_ptrIfEEEEPiiNS8_4plusIiEEEE10hipError_tPvRmT1_T2_T3_mT4_P12ihipStream_tbEUlT_E1_NS1_11comp_targetILNS1_3genE10ELNS1_11target_archE1200ELNS1_3gpuE4ELNS1_3repE0EEENS1_30default_config_static_selectorELNS0_4arch9wavefront6targetE1EEEvSK_.num_agpr, 0
	.set _ZN7rocprim17ROCPRIM_400000_NS6detail17trampoline_kernelINS0_14default_configENS1_22reduce_config_selectorIfEEZNS1_11reduce_implILb1ES3_N6thrust23THRUST_200600_302600_NS6detail15normal_iteratorINS8_10device_ptrIfEEEEPiiNS8_4plusIiEEEE10hipError_tPvRmT1_T2_T3_mT4_P12ihipStream_tbEUlT_E1_NS1_11comp_targetILNS1_3genE10ELNS1_11target_archE1200ELNS1_3gpuE4ELNS1_3repE0EEENS1_30default_config_static_selectorELNS0_4arch9wavefront6targetE1EEEvSK_.numbered_sgpr, 0
	.set _ZN7rocprim17ROCPRIM_400000_NS6detail17trampoline_kernelINS0_14default_configENS1_22reduce_config_selectorIfEEZNS1_11reduce_implILb1ES3_N6thrust23THRUST_200600_302600_NS6detail15normal_iteratorINS8_10device_ptrIfEEEEPiiNS8_4plusIiEEEE10hipError_tPvRmT1_T2_T3_mT4_P12ihipStream_tbEUlT_E1_NS1_11comp_targetILNS1_3genE10ELNS1_11target_archE1200ELNS1_3gpuE4ELNS1_3repE0EEENS1_30default_config_static_selectorELNS0_4arch9wavefront6targetE1EEEvSK_.num_named_barrier, 0
	.set _ZN7rocprim17ROCPRIM_400000_NS6detail17trampoline_kernelINS0_14default_configENS1_22reduce_config_selectorIfEEZNS1_11reduce_implILb1ES3_N6thrust23THRUST_200600_302600_NS6detail15normal_iteratorINS8_10device_ptrIfEEEEPiiNS8_4plusIiEEEE10hipError_tPvRmT1_T2_T3_mT4_P12ihipStream_tbEUlT_E1_NS1_11comp_targetILNS1_3genE10ELNS1_11target_archE1200ELNS1_3gpuE4ELNS1_3repE0EEENS1_30default_config_static_selectorELNS0_4arch9wavefront6targetE1EEEvSK_.private_seg_size, 0
	.set _ZN7rocprim17ROCPRIM_400000_NS6detail17trampoline_kernelINS0_14default_configENS1_22reduce_config_selectorIfEEZNS1_11reduce_implILb1ES3_N6thrust23THRUST_200600_302600_NS6detail15normal_iteratorINS8_10device_ptrIfEEEEPiiNS8_4plusIiEEEE10hipError_tPvRmT1_T2_T3_mT4_P12ihipStream_tbEUlT_E1_NS1_11comp_targetILNS1_3genE10ELNS1_11target_archE1200ELNS1_3gpuE4ELNS1_3repE0EEENS1_30default_config_static_selectorELNS0_4arch9wavefront6targetE1EEEvSK_.uses_vcc, 0
	.set _ZN7rocprim17ROCPRIM_400000_NS6detail17trampoline_kernelINS0_14default_configENS1_22reduce_config_selectorIfEEZNS1_11reduce_implILb1ES3_N6thrust23THRUST_200600_302600_NS6detail15normal_iteratorINS8_10device_ptrIfEEEEPiiNS8_4plusIiEEEE10hipError_tPvRmT1_T2_T3_mT4_P12ihipStream_tbEUlT_E1_NS1_11comp_targetILNS1_3genE10ELNS1_11target_archE1200ELNS1_3gpuE4ELNS1_3repE0EEENS1_30default_config_static_selectorELNS0_4arch9wavefront6targetE1EEEvSK_.uses_flat_scratch, 0
	.set _ZN7rocprim17ROCPRIM_400000_NS6detail17trampoline_kernelINS0_14default_configENS1_22reduce_config_selectorIfEEZNS1_11reduce_implILb1ES3_N6thrust23THRUST_200600_302600_NS6detail15normal_iteratorINS8_10device_ptrIfEEEEPiiNS8_4plusIiEEEE10hipError_tPvRmT1_T2_T3_mT4_P12ihipStream_tbEUlT_E1_NS1_11comp_targetILNS1_3genE10ELNS1_11target_archE1200ELNS1_3gpuE4ELNS1_3repE0EEENS1_30default_config_static_selectorELNS0_4arch9wavefront6targetE1EEEvSK_.has_dyn_sized_stack, 0
	.set _ZN7rocprim17ROCPRIM_400000_NS6detail17trampoline_kernelINS0_14default_configENS1_22reduce_config_selectorIfEEZNS1_11reduce_implILb1ES3_N6thrust23THRUST_200600_302600_NS6detail15normal_iteratorINS8_10device_ptrIfEEEEPiiNS8_4plusIiEEEE10hipError_tPvRmT1_T2_T3_mT4_P12ihipStream_tbEUlT_E1_NS1_11comp_targetILNS1_3genE10ELNS1_11target_archE1200ELNS1_3gpuE4ELNS1_3repE0EEENS1_30default_config_static_selectorELNS0_4arch9wavefront6targetE1EEEvSK_.has_recursion, 0
	.set _ZN7rocprim17ROCPRIM_400000_NS6detail17trampoline_kernelINS0_14default_configENS1_22reduce_config_selectorIfEEZNS1_11reduce_implILb1ES3_N6thrust23THRUST_200600_302600_NS6detail15normal_iteratorINS8_10device_ptrIfEEEEPiiNS8_4plusIiEEEE10hipError_tPvRmT1_T2_T3_mT4_P12ihipStream_tbEUlT_E1_NS1_11comp_targetILNS1_3genE10ELNS1_11target_archE1200ELNS1_3gpuE4ELNS1_3repE0EEENS1_30default_config_static_selectorELNS0_4arch9wavefront6targetE1EEEvSK_.has_indirect_call, 0
	.section	.AMDGPU.csdata,"",@progbits
; Kernel info:
; codeLenInByte = 0
; TotalNumSgprs: 6
; NumVgprs: 0
; NumAgprs: 0
; TotalNumVgprs: 0
; ScratchSize: 0
; MemoryBound: 0
; FloatMode: 240
; IeeeMode: 1
; LDSByteSize: 0 bytes/workgroup (compile time only)
; SGPRBlocks: 0
; VGPRBlocks: 0
; NumSGPRsForWavesPerEU: 6
; NumVGPRsForWavesPerEU: 1
; AccumOffset: 4
; Occupancy: 8
; WaveLimiterHint : 0
; COMPUTE_PGM_RSRC2:SCRATCH_EN: 0
; COMPUTE_PGM_RSRC2:USER_SGPR: 2
; COMPUTE_PGM_RSRC2:TRAP_HANDLER: 0
; COMPUTE_PGM_RSRC2:TGID_X_EN: 1
; COMPUTE_PGM_RSRC2:TGID_Y_EN: 0
; COMPUTE_PGM_RSRC2:TGID_Z_EN: 0
; COMPUTE_PGM_RSRC2:TIDIG_COMP_CNT: 0
; COMPUTE_PGM_RSRC3_GFX90A:ACCUM_OFFSET: 0
; COMPUTE_PGM_RSRC3_GFX90A:TG_SPLIT: 0
	.section	.text._ZN7rocprim17ROCPRIM_400000_NS6detail17trampoline_kernelINS0_14default_configENS1_22reduce_config_selectorIfEEZNS1_11reduce_implILb1ES3_N6thrust23THRUST_200600_302600_NS6detail15normal_iteratorINS8_10device_ptrIfEEEEPiiNS8_4plusIiEEEE10hipError_tPvRmT1_T2_T3_mT4_P12ihipStream_tbEUlT_E1_NS1_11comp_targetILNS1_3genE9ELNS1_11target_archE1100ELNS1_3gpuE3ELNS1_3repE0EEENS1_30default_config_static_selectorELNS0_4arch9wavefront6targetE1EEEvSK_,"axG",@progbits,_ZN7rocprim17ROCPRIM_400000_NS6detail17trampoline_kernelINS0_14default_configENS1_22reduce_config_selectorIfEEZNS1_11reduce_implILb1ES3_N6thrust23THRUST_200600_302600_NS6detail15normal_iteratorINS8_10device_ptrIfEEEEPiiNS8_4plusIiEEEE10hipError_tPvRmT1_T2_T3_mT4_P12ihipStream_tbEUlT_E1_NS1_11comp_targetILNS1_3genE9ELNS1_11target_archE1100ELNS1_3gpuE3ELNS1_3repE0EEENS1_30default_config_static_selectorELNS0_4arch9wavefront6targetE1EEEvSK_,comdat
	.protected	_ZN7rocprim17ROCPRIM_400000_NS6detail17trampoline_kernelINS0_14default_configENS1_22reduce_config_selectorIfEEZNS1_11reduce_implILb1ES3_N6thrust23THRUST_200600_302600_NS6detail15normal_iteratorINS8_10device_ptrIfEEEEPiiNS8_4plusIiEEEE10hipError_tPvRmT1_T2_T3_mT4_P12ihipStream_tbEUlT_E1_NS1_11comp_targetILNS1_3genE9ELNS1_11target_archE1100ELNS1_3gpuE3ELNS1_3repE0EEENS1_30default_config_static_selectorELNS0_4arch9wavefront6targetE1EEEvSK_ ; -- Begin function _ZN7rocprim17ROCPRIM_400000_NS6detail17trampoline_kernelINS0_14default_configENS1_22reduce_config_selectorIfEEZNS1_11reduce_implILb1ES3_N6thrust23THRUST_200600_302600_NS6detail15normal_iteratorINS8_10device_ptrIfEEEEPiiNS8_4plusIiEEEE10hipError_tPvRmT1_T2_T3_mT4_P12ihipStream_tbEUlT_E1_NS1_11comp_targetILNS1_3genE9ELNS1_11target_archE1100ELNS1_3gpuE3ELNS1_3repE0EEENS1_30default_config_static_selectorELNS0_4arch9wavefront6targetE1EEEvSK_
	.globl	_ZN7rocprim17ROCPRIM_400000_NS6detail17trampoline_kernelINS0_14default_configENS1_22reduce_config_selectorIfEEZNS1_11reduce_implILb1ES3_N6thrust23THRUST_200600_302600_NS6detail15normal_iteratorINS8_10device_ptrIfEEEEPiiNS8_4plusIiEEEE10hipError_tPvRmT1_T2_T3_mT4_P12ihipStream_tbEUlT_E1_NS1_11comp_targetILNS1_3genE9ELNS1_11target_archE1100ELNS1_3gpuE3ELNS1_3repE0EEENS1_30default_config_static_selectorELNS0_4arch9wavefront6targetE1EEEvSK_
	.p2align	8
	.type	_ZN7rocprim17ROCPRIM_400000_NS6detail17trampoline_kernelINS0_14default_configENS1_22reduce_config_selectorIfEEZNS1_11reduce_implILb1ES3_N6thrust23THRUST_200600_302600_NS6detail15normal_iteratorINS8_10device_ptrIfEEEEPiiNS8_4plusIiEEEE10hipError_tPvRmT1_T2_T3_mT4_P12ihipStream_tbEUlT_E1_NS1_11comp_targetILNS1_3genE9ELNS1_11target_archE1100ELNS1_3gpuE3ELNS1_3repE0EEENS1_30default_config_static_selectorELNS0_4arch9wavefront6targetE1EEEvSK_,@function
_ZN7rocprim17ROCPRIM_400000_NS6detail17trampoline_kernelINS0_14default_configENS1_22reduce_config_selectorIfEEZNS1_11reduce_implILb1ES3_N6thrust23THRUST_200600_302600_NS6detail15normal_iteratorINS8_10device_ptrIfEEEEPiiNS8_4plusIiEEEE10hipError_tPvRmT1_T2_T3_mT4_P12ihipStream_tbEUlT_E1_NS1_11comp_targetILNS1_3genE9ELNS1_11target_archE1100ELNS1_3gpuE3ELNS1_3repE0EEENS1_30default_config_static_selectorELNS0_4arch9wavefront6targetE1EEEvSK_: ; @_ZN7rocprim17ROCPRIM_400000_NS6detail17trampoline_kernelINS0_14default_configENS1_22reduce_config_selectorIfEEZNS1_11reduce_implILb1ES3_N6thrust23THRUST_200600_302600_NS6detail15normal_iteratorINS8_10device_ptrIfEEEEPiiNS8_4plusIiEEEE10hipError_tPvRmT1_T2_T3_mT4_P12ihipStream_tbEUlT_E1_NS1_11comp_targetILNS1_3genE9ELNS1_11target_archE1100ELNS1_3gpuE3ELNS1_3repE0EEENS1_30default_config_static_selectorELNS0_4arch9wavefront6targetE1EEEvSK_
; %bb.0:
	.section	.rodata,"a",@progbits
	.p2align	6, 0x0
	.amdhsa_kernel _ZN7rocprim17ROCPRIM_400000_NS6detail17trampoline_kernelINS0_14default_configENS1_22reduce_config_selectorIfEEZNS1_11reduce_implILb1ES3_N6thrust23THRUST_200600_302600_NS6detail15normal_iteratorINS8_10device_ptrIfEEEEPiiNS8_4plusIiEEEE10hipError_tPvRmT1_T2_T3_mT4_P12ihipStream_tbEUlT_E1_NS1_11comp_targetILNS1_3genE9ELNS1_11target_archE1100ELNS1_3gpuE3ELNS1_3repE0EEENS1_30default_config_static_selectorELNS0_4arch9wavefront6targetE1EEEvSK_
		.amdhsa_group_segment_fixed_size 0
		.amdhsa_private_segment_fixed_size 0
		.amdhsa_kernarg_size 40
		.amdhsa_user_sgpr_count 2
		.amdhsa_user_sgpr_dispatch_ptr 0
		.amdhsa_user_sgpr_queue_ptr 0
		.amdhsa_user_sgpr_kernarg_segment_ptr 1
		.amdhsa_user_sgpr_dispatch_id 0
		.amdhsa_user_sgpr_kernarg_preload_length 0
		.amdhsa_user_sgpr_kernarg_preload_offset 0
		.amdhsa_user_sgpr_private_segment_size 0
		.amdhsa_uses_dynamic_stack 0
		.amdhsa_enable_private_segment 0
		.amdhsa_system_sgpr_workgroup_id_x 1
		.amdhsa_system_sgpr_workgroup_id_y 0
		.amdhsa_system_sgpr_workgroup_id_z 0
		.amdhsa_system_sgpr_workgroup_info 0
		.amdhsa_system_vgpr_workitem_id 0
		.amdhsa_next_free_vgpr 1
		.amdhsa_next_free_sgpr 0
		.amdhsa_accum_offset 4
		.amdhsa_reserve_vcc 0
		.amdhsa_float_round_mode_32 0
		.amdhsa_float_round_mode_16_64 0
		.amdhsa_float_denorm_mode_32 3
		.amdhsa_float_denorm_mode_16_64 3
		.amdhsa_dx10_clamp 1
		.amdhsa_ieee_mode 1
		.amdhsa_fp16_overflow 0
		.amdhsa_tg_split 0
		.amdhsa_exception_fp_ieee_invalid_op 0
		.amdhsa_exception_fp_denorm_src 0
		.amdhsa_exception_fp_ieee_div_zero 0
		.amdhsa_exception_fp_ieee_overflow 0
		.amdhsa_exception_fp_ieee_underflow 0
		.amdhsa_exception_fp_ieee_inexact 0
		.amdhsa_exception_int_div_zero 0
	.end_amdhsa_kernel
	.section	.text._ZN7rocprim17ROCPRIM_400000_NS6detail17trampoline_kernelINS0_14default_configENS1_22reduce_config_selectorIfEEZNS1_11reduce_implILb1ES3_N6thrust23THRUST_200600_302600_NS6detail15normal_iteratorINS8_10device_ptrIfEEEEPiiNS8_4plusIiEEEE10hipError_tPvRmT1_T2_T3_mT4_P12ihipStream_tbEUlT_E1_NS1_11comp_targetILNS1_3genE9ELNS1_11target_archE1100ELNS1_3gpuE3ELNS1_3repE0EEENS1_30default_config_static_selectorELNS0_4arch9wavefront6targetE1EEEvSK_,"axG",@progbits,_ZN7rocprim17ROCPRIM_400000_NS6detail17trampoline_kernelINS0_14default_configENS1_22reduce_config_selectorIfEEZNS1_11reduce_implILb1ES3_N6thrust23THRUST_200600_302600_NS6detail15normal_iteratorINS8_10device_ptrIfEEEEPiiNS8_4plusIiEEEE10hipError_tPvRmT1_T2_T3_mT4_P12ihipStream_tbEUlT_E1_NS1_11comp_targetILNS1_3genE9ELNS1_11target_archE1100ELNS1_3gpuE3ELNS1_3repE0EEENS1_30default_config_static_selectorELNS0_4arch9wavefront6targetE1EEEvSK_,comdat
.Lfunc_end349:
	.size	_ZN7rocprim17ROCPRIM_400000_NS6detail17trampoline_kernelINS0_14default_configENS1_22reduce_config_selectorIfEEZNS1_11reduce_implILb1ES3_N6thrust23THRUST_200600_302600_NS6detail15normal_iteratorINS8_10device_ptrIfEEEEPiiNS8_4plusIiEEEE10hipError_tPvRmT1_T2_T3_mT4_P12ihipStream_tbEUlT_E1_NS1_11comp_targetILNS1_3genE9ELNS1_11target_archE1100ELNS1_3gpuE3ELNS1_3repE0EEENS1_30default_config_static_selectorELNS0_4arch9wavefront6targetE1EEEvSK_, .Lfunc_end349-_ZN7rocprim17ROCPRIM_400000_NS6detail17trampoline_kernelINS0_14default_configENS1_22reduce_config_selectorIfEEZNS1_11reduce_implILb1ES3_N6thrust23THRUST_200600_302600_NS6detail15normal_iteratorINS8_10device_ptrIfEEEEPiiNS8_4plusIiEEEE10hipError_tPvRmT1_T2_T3_mT4_P12ihipStream_tbEUlT_E1_NS1_11comp_targetILNS1_3genE9ELNS1_11target_archE1100ELNS1_3gpuE3ELNS1_3repE0EEENS1_30default_config_static_selectorELNS0_4arch9wavefront6targetE1EEEvSK_
                                        ; -- End function
	.set _ZN7rocprim17ROCPRIM_400000_NS6detail17trampoline_kernelINS0_14default_configENS1_22reduce_config_selectorIfEEZNS1_11reduce_implILb1ES3_N6thrust23THRUST_200600_302600_NS6detail15normal_iteratorINS8_10device_ptrIfEEEEPiiNS8_4plusIiEEEE10hipError_tPvRmT1_T2_T3_mT4_P12ihipStream_tbEUlT_E1_NS1_11comp_targetILNS1_3genE9ELNS1_11target_archE1100ELNS1_3gpuE3ELNS1_3repE0EEENS1_30default_config_static_selectorELNS0_4arch9wavefront6targetE1EEEvSK_.num_vgpr, 0
	.set _ZN7rocprim17ROCPRIM_400000_NS6detail17trampoline_kernelINS0_14default_configENS1_22reduce_config_selectorIfEEZNS1_11reduce_implILb1ES3_N6thrust23THRUST_200600_302600_NS6detail15normal_iteratorINS8_10device_ptrIfEEEEPiiNS8_4plusIiEEEE10hipError_tPvRmT1_T2_T3_mT4_P12ihipStream_tbEUlT_E1_NS1_11comp_targetILNS1_3genE9ELNS1_11target_archE1100ELNS1_3gpuE3ELNS1_3repE0EEENS1_30default_config_static_selectorELNS0_4arch9wavefront6targetE1EEEvSK_.num_agpr, 0
	.set _ZN7rocprim17ROCPRIM_400000_NS6detail17trampoline_kernelINS0_14default_configENS1_22reduce_config_selectorIfEEZNS1_11reduce_implILb1ES3_N6thrust23THRUST_200600_302600_NS6detail15normal_iteratorINS8_10device_ptrIfEEEEPiiNS8_4plusIiEEEE10hipError_tPvRmT1_T2_T3_mT4_P12ihipStream_tbEUlT_E1_NS1_11comp_targetILNS1_3genE9ELNS1_11target_archE1100ELNS1_3gpuE3ELNS1_3repE0EEENS1_30default_config_static_selectorELNS0_4arch9wavefront6targetE1EEEvSK_.numbered_sgpr, 0
	.set _ZN7rocprim17ROCPRIM_400000_NS6detail17trampoline_kernelINS0_14default_configENS1_22reduce_config_selectorIfEEZNS1_11reduce_implILb1ES3_N6thrust23THRUST_200600_302600_NS6detail15normal_iteratorINS8_10device_ptrIfEEEEPiiNS8_4plusIiEEEE10hipError_tPvRmT1_T2_T3_mT4_P12ihipStream_tbEUlT_E1_NS1_11comp_targetILNS1_3genE9ELNS1_11target_archE1100ELNS1_3gpuE3ELNS1_3repE0EEENS1_30default_config_static_selectorELNS0_4arch9wavefront6targetE1EEEvSK_.num_named_barrier, 0
	.set _ZN7rocprim17ROCPRIM_400000_NS6detail17trampoline_kernelINS0_14default_configENS1_22reduce_config_selectorIfEEZNS1_11reduce_implILb1ES3_N6thrust23THRUST_200600_302600_NS6detail15normal_iteratorINS8_10device_ptrIfEEEEPiiNS8_4plusIiEEEE10hipError_tPvRmT1_T2_T3_mT4_P12ihipStream_tbEUlT_E1_NS1_11comp_targetILNS1_3genE9ELNS1_11target_archE1100ELNS1_3gpuE3ELNS1_3repE0EEENS1_30default_config_static_selectorELNS0_4arch9wavefront6targetE1EEEvSK_.private_seg_size, 0
	.set _ZN7rocprim17ROCPRIM_400000_NS6detail17trampoline_kernelINS0_14default_configENS1_22reduce_config_selectorIfEEZNS1_11reduce_implILb1ES3_N6thrust23THRUST_200600_302600_NS6detail15normal_iteratorINS8_10device_ptrIfEEEEPiiNS8_4plusIiEEEE10hipError_tPvRmT1_T2_T3_mT4_P12ihipStream_tbEUlT_E1_NS1_11comp_targetILNS1_3genE9ELNS1_11target_archE1100ELNS1_3gpuE3ELNS1_3repE0EEENS1_30default_config_static_selectorELNS0_4arch9wavefront6targetE1EEEvSK_.uses_vcc, 0
	.set _ZN7rocprim17ROCPRIM_400000_NS6detail17trampoline_kernelINS0_14default_configENS1_22reduce_config_selectorIfEEZNS1_11reduce_implILb1ES3_N6thrust23THRUST_200600_302600_NS6detail15normal_iteratorINS8_10device_ptrIfEEEEPiiNS8_4plusIiEEEE10hipError_tPvRmT1_T2_T3_mT4_P12ihipStream_tbEUlT_E1_NS1_11comp_targetILNS1_3genE9ELNS1_11target_archE1100ELNS1_3gpuE3ELNS1_3repE0EEENS1_30default_config_static_selectorELNS0_4arch9wavefront6targetE1EEEvSK_.uses_flat_scratch, 0
	.set _ZN7rocprim17ROCPRIM_400000_NS6detail17trampoline_kernelINS0_14default_configENS1_22reduce_config_selectorIfEEZNS1_11reduce_implILb1ES3_N6thrust23THRUST_200600_302600_NS6detail15normal_iteratorINS8_10device_ptrIfEEEEPiiNS8_4plusIiEEEE10hipError_tPvRmT1_T2_T3_mT4_P12ihipStream_tbEUlT_E1_NS1_11comp_targetILNS1_3genE9ELNS1_11target_archE1100ELNS1_3gpuE3ELNS1_3repE0EEENS1_30default_config_static_selectorELNS0_4arch9wavefront6targetE1EEEvSK_.has_dyn_sized_stack, 0
	.set _ZN7rocprim17ROCPRIM_400000_NS6detail17trampoline_kernelINS0_14default_configENS1_22reduce_config_selectorIfEEZNS1_11reduce_implILb1ES3_N6thrust23THRUST_200600_302600_NS6detail15normal_iteratorINS8_10device_ptrIfEEEEPiiNS8_4plusIiEEEE10hipError_tPvRmT1_T2_T3_mT4_P12ihipStream_tbEUlT_E1_NS1_11comp_targetILNS1_3genE9ELNS1_11target_archE1100ELNS1_3gpuE3ELNS1_3repE0EEENS1_30default_config_static_selectorELNS0_4arch9wavefront6targetE1EEEvSK_.has_recursion, 0
	.set _ZN7rocprim17ROCPRIM_400000_NS6detail17trampoline_kernelINS0_14default_configENS1_22reduce_config_selectorIfEEZNS1_11reduce_implILb1ES3_N6thrust23THRUST_200600_302600_NS6detail15normal_iteratorINS8_10device_ptrIfEEEEPiiNS8_4plusIiEEEE10hipError_tPvRmT1_T2_T3_mT4_P12ihipStream_tbEUlT_E1_NS1_11comp_targetILNS1_3genE9ELNS1_11target_archE1100ELNS1_3gpuE3ELNS1_3repE0EEENS1_30default_config_static_selectorELNS0_4arch9wavefront6targetE1EEEvSK_.has_indirect_call, 0
	.section	.AMDGPU.csdata,"",@progbits
; Kernel info:
; codeLenInByte = 0
; TotalNumSgprs: 6
; NumVgprs: 0
; NumAgprs: 0
; TotalNumVgprs: 0
; ScratchSize: 0
; MemoryBound: 0
; FloatMode: 240
; IeeeMode: 1
; LDSByteSize: 0 bytes/workgroup (compile time only)
; SGPRBlocks: 0
; VGPRBlocks: 0
; NumSGPRsForWavesPerEU: 6
; NumVGPRsForWavesPerEU: 1
; AccumOffset: 4
; Occupancy: 8
; WaveLimiterHint : 0
; COMPUTE_PGM_RSRC2:SCRATCH_EN: 0
; COMPUTE_PGM_RSRC2:USER_SGPR: 2
; COMPUTE_PGM_RSRC2:TRAP_HANDLER: 0
; COMPUTE_PGM_RSRC2:TGID_X_EN: 1
; COMPUTE_PGM_RSRC2:TGID_Y_EN: 0
; COMPUTE_PGM_RSRC2:TGID_Z_EN: 0
; COMPUTE_PGM_RSRC2:TIDIG_COMP_CNT: 0
; COMPUTE_PGM_RSRC3_GFX90A:ACCUM_OFFSET: 0
; COMPUTE_PGM_RSRC3_GFX90A:TG_SPLIT: 0
	.section	.text._ZN7rocprim17ROCPRIM_400000_NS6detail17trampoline_kernelINS0_14default_configENS1_22reduce_config_selectorIfEEZNS1_11reduce_implILb1ES3_N6thrust23THRUST_200600_302600_NS6detail15normal_iteratorINS8_10device_ptrIfEEEEPiiNS8_4plusIiEEEE10hipError_tPvRmT1_T2_T3_mT4_P12ihipStream_tbEUlT_E1_NS1_11comp_targetILNS1_3genE8ELNS1_11target_archE1030ELNS1_3gpuE2ELNS1_3repE0EEENS1_30default_config_static_selectorELNS0_4arch9wavefront6targetE1EEEvSK_,"axG",@progbits,_ZN7rocprim17ROCPRIM_400000_NS6detail17trampoline_kernelINS0_14default_configENS1_22reduce_config_selectorIfEEZNS1_11reduce_implILb1ES3_N6thrust23THRUST_200600_302600_NS6detail15normal_iteratorINS8_10device_ptrIfEEEEPiiNS8_4plusIiEEEE10hipError_tPvRmT1_T2_T3_mT4_P12ihipStream_tbEUlT_E1_NS1_11comp_targetILNS1_3genE8ELNS1_11target_archE1030ELNS1_3gpuE2ELNS1_3repE0EEENS1_30default_config_static_selectorELNS0_4arch9wavefront6targetE1EEEvSK_,comdat
	.protected	_ZN7rocprim17ROCPRIM_400000_NS6detail17trampoline_kernelINS0_14default_configENS1_22reduce_config_selectorIfEEZNS1_11reduce_implILb1ES3_N6thrust23THRUST_200600_302600_NS6detail15normal_iteratorINS8_10device_ptrIfEEEEPiiNS8_4plusIiEEEE10hipError_tPvRmT1_T2_T3_mT4_P12ihipStream_tbEUlT_E1_NS1_11comp_targetILNS1_3genE8ELNS1_11target_archE1030ELNS1_3gpuE2ELNS1_3repE0EEENS1_30default_config_static_selectorELNS0_4arch9wavefront6targetE1EEEvSK_ ; -- Begin function _ZN7rocprim17ROCPRIM_400000_NS6detail17trampoline_kernelINS0_14default_configENS1_22reduce_config_selectorIfEEZNS1_11reduce_implILb1ES3_N6thrust23THRUST_200600_302600_NS6detail15normal_iteratorINS8_10device_ptrIfEEEEPiiNS8_4plusIiEEEE10hipError_tPvRmT1_T2_T3_mT4_P12ihipStream_tbEUlT_E1_NS1_11comp_targetILNS1_3genE8ELNS1_11target_archE1030ELNS1_3gpuE2ELNS1_3repE0EEENS1_30default_config_static_selectorELNS0_4arch9wavefront6targetE1EEEvSK_
	.globl	_ZN7rocprim17ROCPRIM_400000_NS6detail17trampoline_kernelINS0_14default_configENS1_22reduce_config_selectorIfEEZNS1_11reduce_implILb1ES3_N6thrust23THRUST_200600_302600_NS6detail15normal_iteratorINS8_10device_ptrIfEEEEPiiNS8_4plusIiEEEE10hipError_tPvRmT1_T2_T3_mT4_P12ihipStream_tbEUlT_E1_NS1_11comp_targetILNS1_3genE8ELNS1_11target_archE1030ELNS1_3gpuE2ELNS1_3repE0EEENS1_30default_config_static_selectorELNS0_4arch9wavefront6targetE1EEEvSK_
	.p2align	8
	.type	_ZN7rocprim17ROCPRIM_400000_NS6detail17trampoline_kernelINS0_14default_configENS1_22reduce_config_selectorIfEEZNS1_11reduce_implILb1ES3_N6thrust23THRUST_200600_302600_NS6detail15normal_iteratorINS8_10device_ptrIfEEEEPiiNS8_4plusIiEEEE10hipError_tPvRmT1_T2_T3_mT4_P12ihipStream_tbEUlT_E1_NS1_11comp_targetILNS1_3genE8ELNS1_11target_archE1030ELNS1_3gpuE2ELNS1_3repE0EEENS1_30default_config_static_selectorELNS0_4arch9wavefront6targetE1EEEvSK_,@function
_ZN7rocprim17ROCPRIM_400000_NS6detail17trampoline_kernelINS0_14default_configENS1_22reduce_config_selectorIfEEZNS1_11reduce_implILb1ES3_N6thrust23THRUST_200600_302600_NS6detail15normal_iteratorINS8_10device_ptrIfEEEEPiiNS8_4plusIiEEEE10hipError_tPvRmT1_T2_T3_mT4_P12ihipStream_tbEUlT_E1_NS1_11comp_targetILNS1_3genE8ELNS1_11target_archE1030ELNS1_3gpuE2ELNS1_3repE0EEENS1_30default_config_static_selectorELNS0_4arch9wavefront6targetE1EEEvSK_: ; @_ZN7rocprim17ROCPRIM_400000_NS6detail17trampoline_kernelINS0_14default_configENS1_22reduce_config_selectorIfEEZNS1_11reduce_implILb1ES3_N6thrust23THRUST_200600_302600_NS6detail15normal_iteratorINS8_10device_ptrIfEEEEPiiNS8_4plusIiEEEE10hipError_tPvRmT1_T2_T3_mT4_P12ihipStream_tbEUlT_E1_NS1_11comp_targetILNS1_3genE8ELNS1_11target_archE1030ELNS1_3gpuE2ELNS1_3repE0EEENS1_30default_config_static_selectorELNS0_4arch9wavefront6targetE1EEEvSK_
; %bb.0:
	.section	.rodata,"a",@progbits
	.p2align	6, 0x0
	.amdhsa_kernel _ZN7rocprim17ROCPRIM_400000_NS6detail17trampoline_kernelINS0_14default_configENS1_22reduce_config_selectorIfEEZNS1_11reduce_implILb1ES3_N6thrust23THRUST_200600_302600_NS6detail15normal_iteratorINS8_10device_ptrIfEEEEPiiNS8_4plusIiEEEE10hipError_tPvRmT1_T2_T3_mT4_P12ihipStream_tbEUlT_E1_NS1_11comp_targetILNS1_3genE8ELNS1_11target_archE1030ELNS1_3gpuE2ELNS1_3repE0EEENS1_30default_config_static_selectorELNS0_4arch9wavefront6targetE1EEEvSK_
		.amdhsa_group_segment_fixed_size 0
		.amdhsa_private_segment_fixed_size 0
		.amdhsa_kernarg_size 40
		.amdhsa_user_sgpr_count 2
		.amdhsa_user_sgpr_dispatch_ptr 0
		.amdhsa_user_sgpr_queue_ptr 0
		.amdhsa_user_sgpr_kernarg_segment_ptr 1
		.amdhsa_user_sgpr_dispatch_id 0
		.amdhsa_user_sgpr_kernarg_preload_length 0
		.amdhsa_user_sgpr_kernarg_preload_offset 0
		.amdhsa_user_sgpr_private_segment_size 0
		.amdhsa_uses_dynamic_stack 0
		.amdhsa_enable_private_segment 0
		.amdhsa_system_sgpr_workgroup_id_x 1
		.amdhsa_system_sgpr_workgroup_id_y 0
		.amdhsa_system_sgpr_workgroup_id_z 0
		.amdhsa_system_sgpr_workgroup_info 0
		.amdhsa_system_vgpr_workitem_id 0
		.amdhsa_next_free_vgpr 1
		.amdhsa_next_free_sgpr 0
		.amdhsa_accum_offset 4
		.amdhsa_reserve_vcc 0
		.amdhsa_float_round_mode_32 0
		.amdhsa_float_round_mode_16_64 0
		.amdhsa_float_denorm_mode_32 3
		.amdhsa_float_denorm_mode_16_64 3
		.amdhsa_dx10_clamp 1
		.amdhsa_ieee_mode 1
		.amdhsa_fp16_overflow 0
		.amdhsa_tg_split 0
		.amdhsa_exception_fp_ieee_invalid_op 0
		.amdhsa_exception_fp_denorm_src 0
		.amdhsa_exception_fp_ieee_div_zero 0
		.amdhsa_exception_fp_ieee_overflow 0
		.amdhsa_exception_fp_ieee_underflow 0
		.amdhsa_exception_fp_ieee_inexact 0
		.amdhsa_exception_int_div_zero 0
	.end_amdhsa_kernel
	.section	.text._ZN7rocprim17ROCPRIM_400000_NS6detail17trampoline_kernelINS0_14default_configENS1_22reduce_config_selectorIfEEZNS1_11reduce_implILb1ES3_N6thrust23THRUST_200600_302600_NS6detail15normal_iteratorINS8_10device_ptrIfEEEEPiiNS8_4plusIiEEEE10hipError_tPvRmT1_T2_T3_mT4_P12ihipStream_tbEUlT_E1_NS1_11comp_targetILNS1_3genE8ELNS1_11target_archE1030ELNS1_3gpuE2ELNS1_3repE0EEENS1_30default_config_static_selectorELNS0_4arch9wavefront6targetE1EEEvSK_,"axG",@progbits,_ZN7rocprim17ROCPRIM_400000_NS6detail17trampoline_kernelINS0_14default_configENS1_22reduce_config_selectorIfEEZNS1_11reduce_implILb1ES3_N6thrust23THRUST_200600_302600_NS6detail15normal_iteratorINS8_10device_ptrIfEEEEPiiNS8_4plusIiEEEE10hipError_tPvRmT1_T2_T3_mT4_P12ihipStream_tbEUlT_E1_NS1_11comp_targetILNS1_3genE8ELNS1_11target_archE1030ELNS1_3gpuE2ELNS1_3repE0EEENS1_30default_config_static_selectorELNS0_4arch9wavefront6targetE1EEEvSK_,comdat
.Lfunc_end350:
	.size	_ZN7rocprim17ROCPRIM_400000_NS6detail17trampoline_kernelINS0_14default_configENS1_22reduce_config_selectorIfEEZNS1_11reduce_implILb1ES3_N6thrust23THRUST_200600_302600_NS6detail15normal_iteratorINS8_10device_ptrIfEEEEPiiNS8_4plusIiEEEE10hipError_tPvRmT1_T2_T3_mT4_P12ihipStream_tbEUlT_E1_NS1_11comp_targetILNS1_3genE8ELNS1_11target_archE1030ELNS1_3gpuE2ELNS1_3repE0EEENS1_30default_config_static_selectorELNS0_4arch9wavefront6targetE1EEEvSK_, .Lfunc_end350-_ZN7rocprim17ROCPRIM_400000_NS6detail17trampoline_kernelINS0_14default_configENS1_22reduce_config_selectorIfEEZNS1_11reduce_implILb1ES3_N6thrust23THRUST_200600_302600_NS6detail15normal_iteratorINS8_10device_ptrIfEEEEPiiNS8_4plusIiEEEE10hipError_tPvRmT1_T2_T3_mT4_P12ihipStream_tbEUlT_E1_NS1_11comp_targetILNS1_3genE8ELNS1_11target_archE1030ELNS1_3gpuE2ELNS1_3repE0EEENS1_30default_config_static_selectorELNS0_4arch9wavefront6targetE1EEEvSK_
                                        ; -- End function
	.set _ZN7rocprim17ROCPRIM_400000_NS6detail17trampoline_kernelINS0_14default_configENS1_22reduce_config_selectorIfEEZNS1_11reduce_implILb1ES3_N6thrust23THRUST_200600_302600_NS6detail15normal_iteratorINS8_10device_ptrIfEEEEPiiNS8_4plusIiEEEE10hipError_tPvRmT1_T2_T3_mT4_P12ihipStream_tbEUlT_E1_NS1_11comp_targetILNS1_3genE8ELNS1_11target_archE1030ELNS1_3gpuE2ELNS1_3repE0EEENS1_30default_config_static_selectorELNS0_4arch9wavefront6targetE1EEEvSK_.num_vgpr, 0
	.set _ZN7rocprim17ROCPRIM_400000_NS6detail17trampoline_kernelINS0_14default_configENS1_22reduce_config_selectorIfEEZNS1_11reduce_implILb1ES3_N6thrust23THRUST_200600_302600_NS6detail15normal_iteratorINS8_10device_ptrIfEEEEPiiNS8_4plusIiEEEE10hipError_tPvRmT1_T2_T3_mT4_P12ihipStream_tbEUlT_E1_NS1_11comp_targetILNS1_3genE8ELNS1_11target_archE1030ELNS1_3gpuE2ELNS1_3repE0EEENS1_30default_config_static_selectorELNS0_4arch9wavefront6targetE1EEEvSK_.num_agpr, 0
	.set _ZN7rocprim17ROCPRIM_400000_NS6detail17trampoline_kernelINS0_14default_configENS1_22reduce_config_selectorIfEEZNS1_11reduce_implILb1ES3_N6thrust23THRUST_200600_302600_NS6detail15normal_iteratorINS8_10device_ptrIfEEEEPiiNS8_4plusIiEEEE10hipError_tPvRmT1_T2_T3_mT4_P12ihipStream_tbEUlT_E1_NS1_11comp_targetILNS1_3genE8ELNS1_11target_archE1030ELNS1_3gpuE2ELNS1_3repE0EEENS1_30default_config_static_selectorELNS0_4arch9wavefront6targetE1EEEvSK_.numbered_sgpr, 0
	.set _ZN7rocprim17ROCPRIM_400000_NS6detail17trampoline_kernelINS0_14default_configENS1_22reduce_config_selectorIfEEZNS1_11reduce_implILb1ES3_N6thrust23THRUST_200600_302600_NS6detail15normal_iteratorINS8_10device_ptrIfEEEEPiiNS8_4plusIiEEEE10hipError_tPvRmT1_T2_T3_mT4_P12ihipStream_tbEUlT_E1_NS1_11comp_targetILNS1_3genE8ELNS1_11target_archE1030ELNS1_3gpuE2ELNS1_3repE0EEENS1_30default_config_static_selectorELNS0_4arch9wavefront6targetE1EEEvSK_.num_named_barrier, 0
	.set _ZN7rocprim17ROCPRIM_400000_NS6detail17trampoline_kernelINS0_14default_configENS1_22reduce_config_selectorIfEEZNS1_11reduce_implILb1ES3_N6thrust23THRUST_200600_302600_NS6detail15normal_iteratorINS8_10device_ptrIfEEEEPiiNS8_4plusIiEEEE10hipError_tPvRmT1_T2_T3_mT4_P12ihipStream_tbEUlT_E1_NS1_11comp_targetILNS1_3genE8ELNS1_11target_archE1030ELNS1_3gpuE2ELNS1_3repE0EEENS1_30default_config_static_selectorELNS0_4arch9wavefront6targetE1EEEvSK_.private_seg_size, 0
	.set _ZN7rocprim17ROCPRIM_400000_NS6detail17trampoline_kernelINS0_14default_configENS1_22reduce_config_selectorIfEEZNS1_11reduce_implILb1ES3_N6thrust23THRUST_200600_302600_NS6detail15normal_iteratorINS8_10device_ptrIfEEEEPiiNS8_4plusIiEEEE10hipError_tPvRmT1_T2_T3_mT4_P12ihipStream_tbEUlT_E1_NS1_11comp_targetILNS1_3genE8ELNS1_11target_archE1030ELNS1_3gpuE2ELNS1_3repE0EEENS1_30default_config_static_selectorELNS0_4arch9wavefront6targetE1EEEvSK_.uses_vcc, 0
	.set _ZN7rocprim17ROCPRIM_400000_NS6detail17trampoline_kernelINS0_14default_configENS1_22reduce_config_selectorIfEEZNS1_11reduce_implILb1ES3_N6thrust23THRUST_200600_302600_NS6detail15normal_iteratorINS8_10device_ptrIfEEEEPiiNS8_4plusIiEEEE10hipError_tPvRmT1_T2_T3_mT4_P12ihipStream_tbEUlT_E1_NS1_11comp_targetILNS1_3genE8ELNS1_11target_archE1030ELNS1_3gpuE2ELNS1_3repE0EEENS1_30default_config_static_selectorELNS0_4arch9wavefront6targetE1EEEvSK_.uses_flat_scratch, 0
	.set _ZN7rocprim17ROCPRIM_400000_NS6detail17trampoline_kernelINS0_14default_configENS1_22reduce_config_selectorIfEEZNS1_11reduce_implILb1ES3_N6thrust23THRUST_200600_302600_NS6detail15normal_iteratorINS8_10device_ptrIfEEEEPiiNS8_4plusIiEEEE10hipError_tPvRmT1_T2_T3_mT4_P12ihipStream_tbEUlT_E1_NS1_11comp_targetILNS1_3genE8ELNS1_11target_archE1030ELNS1_3gpuE2ELNS1_3repE0EEENS1_30default_config_static_selectorELNS0_4arch9wavefront6targetE1EEEvSK_.has_dyn_sized_stack, 0
	.set _ZN7rocprim17ROCPRIM_400000_NS6detail17trampoline_kernelINS0_14default_configENS1_22reduce_config_selectorIfEEZNS1_11reduce_implILb1ES3_N6thrust23THRUST_200600_302600_NS6detail15normal_iteratorINS8_10device_ptrIfEEEEPiiNS8_4plusIiEEEE10hipError_tPvRmT1_T2_T3_mT4_P12ihipStream_tbEUlT_E1_NS1_11comp_targetILNS1_3genE8ELNS1_11target_archE1030ELNS1_3gpuE2ELNS1_3repE0EEENS1_30default_config_static_selectorELNS0_4arch9wavefront6targetE1EEEvSK_.has_recursion, 0
	.set _ZN7rocprim17ROCPRIM_400000_NS6detail17trampoline_kernelINS0_14default_configENS1_22reduce_config_selectorIfEEZNS1_11reduce_implILb1ES3_N6thrust23THRUST_200600_302600_NS6detail15normal_iteratorINS8_10device_ptrIfEEEEPiiNS8_4plusIiEEEE10hipError_tPvRmT1_T2_T3_mT4_P12ihipStream_tbEUlT_E1_NS1_11comp_targetILNS1_3genE8ELNS1_11target_archE1030ELNS1_3gpuE2ELNS1_3repE0EEENS1_30default_config_static_selectorELNS0_4arch9wavefront6targetE1EEEvSK_.has_indirect_call, 0
	.section	.AMDGPU.csdata,"",@progbits
; Kernel info:
; codeLenInByte = 0
; TotalNumSgprs: 6
; NumVgprs: 0
; NumAgprs: 0
; TotalNumVgprs: 0
; ScratchSize: 0
; MemoryBound: 0
; FloatMode: 240
; IeeeMode: 1
; LDSByteSize: 0 bytes/workgroup (compile time only)
; SGPRBlocks: 0
; VGPRBlocks: 0
; NumSGPRsForWavesPerEU: 6
; NumVGPRsForWavesPerEU: 1
; AccumOffset: 4
; Occupancy: 8
; WaveLimiterHint : 0
; COMPUTE_PGM_RSRC2:SCRATCH_EN: 0
; COMPUTE_PGM_RSRC2:USER_SGPR: 2
; COMPUTE_PGM_RSRC2:TRAP_HANDLER: 0
; COMPUTE_PGM_RSRC2:TGID_X_EN: 1
; COMPUTE_PGM_RSRC2:TGID_Y_EN: 0
; COMPUTE_PGM_RSRC2:TGID_Z_EN: 0
; COMPUTE_PGM_RSRC2:TIDIG_COMP_CNT: 0
; COMPUTE_PGM_RSRC3_GFX90A:ACCUM_OFFSET: 0
; COMPUTE_PGM_RSRC3_GFX90A:TG_SPLIT: 0
	.section	.text._ZN7rocprim17ROCPRIM_400000_NS6detail17trampoline_kernelINS0_14default_configENS1_22reduce_config_selectorIyEEZNS1_11reduce_implILb1ES3_N6thrust23THRUST_200600_302600_NS6detail15normal_iteratorINS8_10device_ptrIyEEEEPiiNS8_4plusIiEEEE10hipError_tPvRmT1_T2_T3_mT4_P12ihipStream_tbEUlT_E0_NS1_11comp_targetILNS1_3genE0ELNS1_11target_archE4294967295ELNS1_3gpuE0ELNS1_3repE0EEENS1_30default_config_static_selectorELNS0_4arch9wavefront6targetE1EEEvSK_,"axG",@progbits,_ZN7rocprim17ROCPRIM_400000_NS6detail17trampoline_kernelINS0_14default_configENS1_22reduce_config_selectorIyEEZNS1_11reduce_implILb1ES3_N6thrust23THRUST_200600_302600_NS6detail15normal_iteratorINS8_10device_ptrIyEEEEPiiNS8_4plusIiEEEE10hipError_tPvRmT1_T2_T3_mT4_P12ihipStream_tbEUlT_E0_NS1_11comp_targetILNS1_3genE0ELNS1_11target_archE4294967295ELNS1_3gpuE0ELNS1_3repE0EEENS1_30default_config_static_selectorELNS0_4arch9wavefront6targetE1EEEvSK_,comdat
	.protected	_ZN7rocprim17ROCPRIM_400000_NS6detail17trampoline_kernelINS0_14default_configENS1_22reduce_config_selectorIyEEZNS1_11reduce_implILb1ES3_N6thrust23THRUST_200600_302600_NS6detail15normal_iteratorINS8_10device_ptrIyEEEEPiiNS8_4plusIiEEEE10hipError_tPvRmT1_T2_T3_mT4_P12ihipStream_tbEUlT_E0_NS1_11comp_targetILNS1_3genE0ELNS1_11target_archE4294967295ELNS1_3gpuE0ELNS1_3repE0EEENS1_30default_config_static_selectorELNS0_4arch9wavefront6targetE1EEEvSK_ ; -- Begin function _ZN7rocprim17ROCPRIM_400000_NS6detail17trampoline_kernelINS0_14default_configENS1_22reduce_config_selectorIyEEZNS1_11reduce_implILb1ES3_N6thrust23THRUST_200600_302600_NS6detail15normal_iteratorINS8_10device_ptrIyEEEEPiiNS8_4plusIiEEEE10hipError_tPvRmT1_T2_T3_mT4_P12ihipStream_tbEUlT_E0_NS1_11comp_targetILNS1_3genE0ELNS1_11target_archE4294967295ELNS1_3gpuE0ELNS1_3repE0EEENS1_30default_config_static_selectorELNS0_4arch9wavefront6targetE1EEEvSK_
	.globl	_ZN7rocprim17ROCPRIM_400000_NS6detail17trampoline_kernelINS0_14default_configENS1_22reduce_config_selectorIyEEZNS1_11reduce_implILb1ES3_N6thrust23THRUST_200600_302600_NS6detail15normal_iteratorINS8_10device_ptrIyEEEEPiiNS8_4plusIiEEEE10hipError_tPvRmT1_T2_T3_mT4_P12ihipStream_tbEUlT_E0_NS1_11comp_targetILNS1_3genE0ELNS1_11target_archE4294967295ELNS1_3gpuE0ELNS1_3repE0EEENS1_30default_config_static_selectorELNS0_4arch9wavefront6targetE1EEEvSK_
	.p2align	8
	.type	_ZN7rocprim17ROCPRIM_400000_NS6detail17trampoline_kernelINS0_14default_configENS1_22reduce_config_selectorIyEEZNS1_11reduce_implILb1ES3_N6thrust23THRUST_200600_302600_NS6detail15normal_iteratorINS8_10device_ptrIyEEEEPiiNS8_4plusIiEEEE10hipError_tPvRmT1_T2_T3_mT4_P12ihipStream_tbEUlT_E0_NS1_11comp_targetILNS1_3genE0ELNS1_11target_archE4294967295ELNS1_3gpuE0ELNS1_3repE0EEENS1_30default_config_static_selectorELNS0_4arch9wavefront6targetE1EEEvSK_,@function
_ZN7rocprim17ROCPRIM_400000_NS6detail17trampoline_kernelINS0_14default_configENS1_22reduce_config_selectorIyEEZNS1_11reduce_implILb1ES3_N6thrust23THRUST_200600_302600_NS6detail15normal_iteratorINS8_10device_ptrIyEEEEPiiNS8_4plusIiEEEE10hipError_tPvRmT1_T2_T3_mT4_P12ihipStream_tbEUlT_E0_NS1_11comp_targetILNS1_3genE0ELNS1_11target_archE4294967295ELNS1_3gpuE0ELNS1_3repE0EEENS1_30default_config_static_selectorELNS0_4arch9wavefront6targetE1EEEvSK_: ; @_ZN7rocprim17ROCPRIM_400000_NS6detail17trampoline_kernelINS0_14default_configENS1_22reduce_config_selectorIyEEZNS1_11reduce_implILb1ES3_N6thrust23THRUST_200600_302600_NS6detail15normal_iteratorINS8_10device_ptrIyEEEEPiiNS8_4plusIiEEEE10hipError_tPvRmT1_T2_T3_mT4_P12ihipStream_tbEUlT_E0_NS1_11comp_targetILNS1_3genE0ELNS1_11target_archE4294967295ELNS1_3gpuE0ELNS1_3repE0EEENS1_30default_config_static_selectorELNS0_4arch9wavefront6targetE1EEEvSK_
; %bb.0:
	s_load_dwordx8 s[36:43], s[0:1], 0x0
	s_load_dwordx4 s[44:47], s[0:1], 0x20
	v_lshlrev_b32_e32 v18, 3, v0
	v_mbcnt_lo_u32_b32 v1, -1, 0
	s_waitcnt lgkmcnt(0)
	s_lshl_b64 s[4:5], s[38:39], 3
	s_add_u32 s10, s36, s4
	s_addc_u32 s11, s37, s5
	s_lshl_b32 s4, s2, 12
	s_mov_b32 s5, 0
	s_lshr_b64 s[6:7], s[40:41], 12
	s_lshl_b64 s[8:9], s[4:5], 3
	s_add_u32 s30, s10, s8
	s_mov_b32 s3, s5
	s_addc_u32 s31, s11, s9
	s_cmp_lg_u64 s[6:7], s[2:3]
	s_cbranch_scc0 .LBB351_6
; %bb.1:
	v_mov_b32_e32 v19, 0
	v_lshl_add_u64 v[2:3], s[30:31], 0, v[18:19]
	v_add_co_u32_e32 v4, vcc, 0x1000, v2
	s_nop 1
	v_addc_co_u32_e32 v5, vcc, 0, v3, vcc
	v_add_co_u32_e32 v6, vcc, 0x2000, v2
	s_nop 1
	v_addc_co_u32_e32 v7, vcc, 0, v3, vcc
	v_add_co_u32_e32 v8, vcc, 0x3000, v2
	s_nop 1
	v_addc_co_u32_e32 v9, vcc, 0, v3, vcc
	flat_load_dword v10, v[2:3]
	flat_load_dword v11, v[2:3] offset:2048
	flat_load_dword v12, v[4:5]
	flat_load_dword v13, v[4:5] offset:2048
	;; [unrolled: 2-line block ×4, first 2 shown]
	v_add_co_u32_e32 v4, vcc, 0x4000, v2
	s_nop 1
	v_addc_co_u32_e32 v5, vcc, 0, v3, vcc
	v_add_co_u32_e32 v6, vcc, 0x5000, v2
	s_nop 1
	v_addc_co_u32_e32 v7, vcc, 0, v3, vcc
	;; [unrolled: 3-line block ×4, first 2 shown]
	flat_load_dword v19, v[4:5]
	flat_load_dword v20, v[4:5] offset:2048
	flat_load_dword v21, v[6:7]
	flat_load_dword v22, v[6:7] offset:2048
	;; [unrolled: 2-line block ×4, first 2 shown]
	v_mbcnt_hi_u32_b32 v3, -1, v1
	v_lshlrev_b32_e32 v4, 2, v3
	v_or_b32_e32 v5, 0xfc, v4
	v_cmp_eq_u32_e32 vcc, 0, v3
	s_waitcnt vmcnt(0) lgkmcnt(0)
	v_add_u32_e32 v2, v11, v10
	v_add3_u32 v2, v2, v12, v13
	v_add3_u32 v2, v2, v14, v15
	;; [unrolled: 1-line block ×7, first 2 shown]
	s_nop 1
	v_add_u32_dpp v2, v2, v2 quad_perm:[1,0,3,2] row_mask:0xf bank_mask:0xf bound_ctrl:1
	s_nop 1
	v_add_u32_dpp v2, v2, v2 quad_perm:[2,3,0,1] row_mask:0xf bank_mask:0xf bound_ctrl:1
	s_nop 1
	v_add_u32_dpp v2, v2, v2 row_ror:4 row_mask:0xf bank_mask:0xf bound_ctrl:1
	s_nop 1
	v_add_u32_dpp v2, v2, v2 row_ror:8 row_mask:0xf bank_mask:0xf bound_ctrl:1
	s_nop 1
	v_add_u32_dpp v2, v2, v2 row_bcast:15 row_mask:0xf bank_mask:0xf bound_ctrl:1
	s_nop 1
	v_add_u32_dpp v2, v2, v2 row_bcast:31 row_mask:0xf bank_mask:0xf bound_ctrl:1
	ds_bpermute_b32 v2, v5, v2
	s_and_saveexec_b64 s[6:7], vcc
	s_cbranch_execz .LBB351_3
; %bb.2:
	v_lshrrev_b32_e32 v5, 4, v0
	v_and_b32_e32 v5, 12, v5
	s_waitcnt lgkmcnt(0)
	ds_write_b32 v5, v2
.LBB351_3:
	s_or_b64 exec, exec, s[6:7]
	v_cmp_gt_u32_e32 vcc, 64, v0
	s_waitcnt lgkmcnt(0)
	s_barrier
	s_and_saveexec_b64 s[6:7], vcc
	s_cbranch_execz .LBB351_5
; %bb.4:
	v_and_b32_e32 v2, 3, v3
	v_lshlrev_b32_e32 v5, 2, v2
	ds_read_b32 v5, v5
	v_cmp_ne_u32_e32 vcc, 3, v2
	s_nop 1
	v_addc_co_u32_e32 v2, vcc, 0, v3, vcc
	v_lshlrev_b32_e32 v2, 2, v2
	s_waitcnt lgkmcnt(0)
	ds_bpermute_b32 v2, v2, v5
	v_or_b32_e32 v3, 8, v4
	s_waitcnt lgkmcnt(0)
	v_add_u32_e32 v2, v2, v5
	ds_bpermute_b32 v3, v3, v2
	s_waitcnt lgkmcnt(0)
	v_add_u32_e32 v2, v3, v2
.LBB351_5:
	s_or_b64 exec, exec, s[6:7]
	s_load_dword s33, s[0:1], 0x30
	s_branch .LBB351_44
.LBB351_6:
                                        ; implicit-def: $vgpr2
	s_load_dword s33, s[0:1], 0x30
	s_cbranch_execz .LBB351_44
; %bb.7:
	s_sub_i32 s36, s40, s4
	v_mov_b32_e32 v2, 0
	v_cmp_gt_u32_e32 vcc, s36, v0
	v_mov_b32_e32 v3, v2
	v_mov_b32_e32 v4, v2
	;; [unrolled: 1-line block ×15, first 2 shown]
	s_and_saveexec_b64 s[0:1], vcc
	s_cbranch_execz .LBB351_9
; %bb.8:
	v_mov_b32_e32 v19, v2
	v_lshl_add_u64 v[4:5], s[30:31], 0, v[18:19]
	flat_load_dword v20, v[4:5]
	v_mov_b32_e32 v21, v2
	v_mov_b32_e32 v22, v2
	;; [unrolled: 1-line block ×15, first 2 shown]
	s_waitcnt vmcnt(0) lgkmcnt(0)
	v_mov_b64_e32 v[2:3], v[20:21]
	v_mov_b64_e32 v[4:5], v[22:23]
	;; [unrolled: 1-line block ×8, first 2 shown]
.LBB351_9:
	s_or_b64 exec, exec, s[0:1]
	v_or_b32_e32 v19, 0x100, v0
	v_cmp_gt_u32_e32 vcc, s36, v19
	s_and_saveexec_b64 s[0:1], vcc
	s_cbranch_execz .LBB351_11
; %bb.10:
	v_mov_b32_e32 v19, 0
	v_lshl_add_u64 v[18:19], s[30:31], 0, v[18:19]
	flat_load_dword v3, v[18:19] offset:2048
.LBB351_11:
	s_or_b64 exec, exec, s[0:1]
	v_or_b32_e32 v18, 0x200, v0
	v_cmp_gt_u32_e64 s[0:1], s36, v18
	s_and_saveexec_b64 s[4:5], s[0:1]
	s_cbranch_execz .LBB351_13
; %bb.12:
	v_lshlrev_b32_e32 v18, 3, v18
	v_mov_b32_e32 v19, 0
	v_lshl_add_u64 v[18:19], s[30:31], 0, v[18:19]
	flat_load_dword v4, v[18:19]
.LBB351_13:
	s_or_b64 exec, exec, s[4:5]
	v_or_b32_e32 v18, 0x300, v0
	v_cmp_gt_u32_e64 s[4:5], s36, v18
	s_and_saveexec_b64 s[6:7], s[4:5]
	s_cbranch_execz .LBB351_15
; %bb.14:
	v_lshlrev_b32_e32 v18, 3, v18
	v_mov_b32_e32 v19, 0
	v_lshl_add_u64 v[18:19], s[30:31], 0, v[18:19]
	flat_load_dword v5, v[18:19]
.LBB351_15:
	;; [unrolled: 11-line block ×14, first 2 shown]
	s_or_b64 exec, exec, s[34:35]
	s_waitcnt vmcnt(0) lgkmcnt(0)
	v_cndmask_b32_e32 v3, 0, v3, vcc
	v_add_u32_e32 v2, v3, v2
	v_cndmask_b32_e64 v3, 0, v4, s[0:1]
	v_cndmask_b32_e64 v4, 0, v5, s[4:5]
	v_add3_u32 v2, v2, v3, v4
	v_cndmask_b32_e64 v3, 0, v6, s[6:7]
	v_cndmask_b32_e64 v4, 0, v7, s[8:9]
	v_add3_u32 v2, v2, v3, v4
	;; [unrolled: 3-line block ×6, first 2 shown]
	v_cndmask_b32_e64 v3, 0, v16, s[26:27]
	v_cndmask_b32_e64 v4, 0, v17, s[28:29]
	v_mbcnt_hi_u32_b32 v1, -1, v1
	v_add3_u32 v2, v2, v3, v4
	v_and_b32_e32 v4, 63, v1
	v_cmp_ne_u32_e32 vcc, 63, v4
	s_min_u32 s4, s36, 0x100
	v_and_b32_e32 v5, 0xc0, v0
	v_addc_co_u32_e32 v3, vcc, 0, v1, vcc
	v_lshlrev_b32_e32 v3, 2, v3
	ds_bpermute_b32 v3, v3, v2
	v_sub_u32_e64 v5, s4, v5 clamp
	v_add_u32_e32 v6, 1, v4
	v_cmp_lt_u32_e32 vcc, v6, v5
	v_add_u32_e32 v6, 2, v4
	s_waitcnt lgkmcnt(0)
	v_cndmask_b32_e32 v3, 0, v3, vcc
	v_cmp_gt_u32_e32 vcc, 62, v4
	v_add_u32_e32 v2, v2, v3
	s_nop 0
	v_cndmask_b32_e64 v3, 0, 2, vcc
	v_add_lshl_u32 v3, v3, v1, 2
	ds_bpermute_b32 v3, v3, v2
	v_cmp_lt_u32_e32 vcc, v6, v5
	v_add_u32_e32 v6, 4, v4
	s_waitcnt lgkmcnt(0)
	v_cndmask_b32_e32 v3, 0, v3, vcc
	v_cmp_gt_u32_e32 vcc, 60, v4
	v_add_u32_e32 v2, v2, v3
	s_nop 0
	v_cndmask_b32_e64 v3, 0, 4, vcc
	v_add_lshl_u32 v3, v3, v1, 2
	ds_bpermute_b32 v3, v3, v2
	;; [unrolled: 10-line block ×3, first 2 shown]
	v_cmp_lt_u32_e32 vcc, v6, v5
	v_add_u32_e32 v6, 16, v4
	s_waitcnt lgkmcnt(0)
	v_cndmask_b32_e32 v3, 0, v3, vcc
	v_cmp_gt_u32_e32 vcc, 48, v4
	v_add_u32_e32 v2, v2, v3
	v_add_u32_e32 v4, 32, v4
	v_cndmask_b32_e64 v3, 0, 16, vcc
	v_add_lshl_u32 v3, v3, v1, 2
	ds_bpermute_b32 v3, v3, v2
	v_cmp_lt_u32_e32 vcc, v6, v5
	s_waitcnt lgkmcnt(0)
	s_nop 0
	v_cndmask_b32_e32 v3, 0, v3, vcc
	v_add_u32_e32 v2, v2, v3
	v_lshlrev_b32_e32 v3, 2, v1
	v_or_b32_e32 v6, 0x80, v3
	ds_bpermute_b32 v6, v6, v2
	v_cmp_lt_u32_e32 vcc, v4, v5
	s_waitcnt lgkmcnt(0)
	s_nop 0
	v_cndmask_b32_e32 v4, 0, v6, vcc
	v_add_u32_e32 v2, v2, v4
	v_cmp_eq_u32_e32 vcc, 0, v1
	s_and_saveexec_b64 s[0:1], vcc
; %bb.40:
	v_lshrrev_b32_e32 v4, 4, v0
	v_and_b32_e32 v4, 12, v4
	ds_write_b32 v4, v2 offset:16
; %bb.41:
	s_or_b64 exec, exec, s[0:1]
	v_cmp_gt_u32_e32 vcc, 4, v0
	s_waitcnt lgkmcnt(0)
	s_barrier
	s_and_saveexec_b64 s[0:1], vcc
	s_cbranch_execz .LBB351_43
; %bb.42:
	ds_read_b32 v2, v3 offset:16
	v_and_b32_e32 v4, 3, v1
	v_cmp_ne_u32_e32 vcc, 3, v4
	s_add_i32 s4, s4, 63
	s_lshr_b32 s4, s4, 6
	v_addc_co_u32_e32 v1, vcc, 0, v1, vcc
	v_lshlrev_b32_e32 v1, 2, v1
	s_waitcnt lgkmcnt(0)
	ds_bpermute_b32 v1, v1, v2
	v_add_u32_e32 v5, 1, v4
	v_cmp_gt_u32_e32 vcc, s4, v5
	s_waitcnt lgkmcnt(0)
	s_nop 0
	v_cndmask_b32_e32 v1, 0, v1, vcc
	v_add_u32_e32 v1, v1, v2
	v_or_b32_e32 v2, 8, v3
	ds_bpermute_b32 v2, v2, v1
	v_add_u32_e32 v3, 2, v4
	v_cmp_gt_u32_e32 vcc, s4, v3
	s_waitcnt lgkmcnt(0)
	s_nop 0
	v_cndmask_b32_e32 v2, 0, v2, vcc
	v_add_u32_e32 v2, v1, v2
.LBB351_43:
	s_or_b64 exec, exec, s[0:1]
.LBB351_44:
	v_cmp_eq_u32_e32 vcc, 0, v0
	s_and_saveexec_b64 s[0:1], vcc
	s_cbranch_execnz .LBB351_46
; %bb.45:
	s_endpgm
.LBB351_46:
	s_mul_i32 s0, s46, s45
	s_mul_hi_u32 s1, s46, s44
	s_add_i32 s0, s1, s0
	s_mul_i32 s1, s47, s44
	s_add_i32 s1, s0, s1
	s_mul_i32 s0, s46, s44
	s_lshl_b64 s[0:1], s[0:1], 2
	s_add_u32 s4, s42, s0
	s_addc_u32 s5, s43, s1
	s_cmp_eq_u64 s[40:41], 0
	s_cselect_b64 vcc, -1, 0
	s_lshl_b64 s[0:1], s[2:3], 2
	s_waitcnt lgkmcnt(0)
	v_mov_b32_e32 v0, s33
	s_add_u32 s0, s4, s0
	v_cndmask_b32_e32 v0, v2, v0, vcc
	s_addc_u32 s1, s5, s1
	v_mov_b32_e32 v1, 0
	global_store_dword v1, v0, s[0:1]
	s_endpgm
	.section	.rodata,"a",@progbits
	.p2align	6, 0x0
	.amdhsa_kernel _ZN7rocprim17ROCPRIM_400000_NS6detail17trampoline_kernelINS0_14default_configENS1_22reduce_config_selectorIyEEZNS1_11reduce_implILb1ES3_N6thrust23THRUST_200600_302600_NS6detail15normal_iteratorINS8_10device_ptrIyEEEEPiiNS8_4plusIiEEEE10hipError_tPvRmT1_T2_T3_mT4_P12ihipStream_tbEUlT_E0_NS1_11comp_targetILNS1_3genE0ELNS1_11target_archE4294967295ELNS1_3gpuE0ELNS1_3repE0EEENS1_30default_config_static_selectorELNS0_4arch9wavefront6targetE1EEEvSK_
		.amdhsa_group_segment_fixed_size 32
		.amdhsa_private_segment_fixed_size 0
		.amdhsa_kernarg_size 56
		.amdhsa_user_sgpr_count 2
		.amdhsa_user_sgpr_dispatch_ptr 0
		.amdhsa_user_sgpr_queue_ptr 0
		.amdhsa_user_sgpr_kernarg_segment_ptr 1
		.amdhsa_user_sgpr_dispatch_id 0
		.amdhsa_user_sgpr_kernarg_preload_length 0
		.amdhsa_user_sgpr_kernarg_preload_offset 0
		.amdhsa_user_sgpr_private_segment_size 0
		.amdhsa_uses_dynamic_stack 0
		.amdhsa_enable_private_segment 0
		.amdhsa_system_sgpr_workgroup_id_x 1
		.amdhsa_system_sgpr_workgroup_id_y 0
		.amdhsa_system_sgpr_workgroup_id_z 0
		.amdhsa_system_sgpr_workgroup_info 0
		.amdhsa_system_vgpr_workitem_id 0
		.amdhsa_next_free_vgpr 36
		.amdhsa_next_free_sgpr 48
		.amdhsa_accum_offset 36
		.amdhsa_reserve_vcc 1
		.amdhsa_float_round_mode_32 0
		.amdhsa_float_round_mode_16_64 0
		.amdhsa_float_denorm_mode_32 3
		.amdhsa_float_denorm_mode_16_64 3
		.amdhsa_dx10_clamp 1
		.amdhsa_ieee_mode 1
		.amdhsa_fp16_overflow 0
		.amdhsa_tg_split 0
		.amdhsa_exception_fp_ieee_invalid_op 0
		.amdhsa_exception_fp_denorm_src 0
		.amdhsa_exception_fp_ieee_div_zero 0
		.amdhsa_exception_fp_ieee_overflow 0
		.amdhsa_exception_fp_ieee_underflow 0
		.amdhsa_exception_fp_ieee_inexact 0
		.amdhsa_exception_int_div_zero 0
	.end_amdhsa_kernel
	.section	.text._ZN7rocprim17ROCPRIM_400000_NS6detail17trampoline_kernelINS0_14default_configENS1_22reduce_config_selectorIyEEZNS1_11reduce_implILb1ES3_N6thrust23THRUST_200600_302600_NS6detail15normal_iteratorINS8_10device_ptrIyEEEEPiiNS8_4plusIiEEEE10hipError_tPvRmT1_T2_T3_mT4_P12ihipStream_tbEUlT_E0_NS1_11comp_targetILNS1_3genE0ELNS1_11target_archE4294967295ELNS1_3gpuE0ELNS1_3repE0EEENS1_30default_config_static_selectorELNS0_4arch9wavefront6targetE1EEEvSK_,"axG",@progbits,_ZN7rocprim17ROCPRIM_400000_NS6detail17trampoline_kernelINS0_14default_configENS1_22reduce_config_selectorIyEEZNS1_11reduce_implILb1ES3_N6thrust23THRUST_200600_302600_NS6detail15normal_iteratorINS8_10device_ptrIyEEEEPiiNS8_4plusIiEEEE10hipError_tPvRmT1_T2_T3_mT4_P12ihipStream_tbEUlT_E0_NS1_11comp_targetILNS1_3genE0ELNS1_11target_archE4294967295ELNS1_3gpuE0ELNS1_3repE0EEENS1_30default_config_static_selectorELNS0_4arch9wavefront6targetE1EEEvSK_,comdat
.Lfunc_end351:
	.size	_ZN7rocprim17ROCPRIM_400000_NS6detail17trampoline_kernelINS0_14default_configENS1_22reduce_config_selectorIyEEZNS1_11reduce_implILb1ES3_N6thrust23THRUST_200600_302600_NS6detail15normal_iteratorINS8_10device_ptrIyEEEEPiiNS8_4plusIiEEEE10hipError_tPvRmT1_T2_T3_mT4_P12ihipStream_tbEUlT_E0_NS1_11comp_targetILNS1_3genE0ELNS1_11target_archE4294967295ELNS1_3gpuE0ELNS1_3repE0EEENS1_30default_config_static_selectorELNS0_4arch9wavefront6targetE1EEEvSK_, .Lfunc_end351-_ZN7rocprim17ROCPRIM_400000_NS6detail17trampoline_kernelINS0_14default_configENS1_22reduce_config_selectorIyEEZNS1_11reduce_implILb1ES3_N6thrust23THRUST_200600_302600_NS6detail15normal_iteratorINS8_10device_ptrIyEEEEPiiNS8_4plusIiEEEE10hipError_tPvRmT1_T2_T3_mT4_P12ihipStream_tbEUlT_E0_NS1_11comp_targetILNS1_3genE0ELNS1_11target_archE4294967295ELNS1_3gpuE0ELNS1_3repE0EEENS1_30default_config_static_selectorELNS0_4arch9wavefront6targetE1EEEvSK_
                                        ; -- End function
	.set _ZN7rocprim17ROCPRIM_400000_NS6detail17trampoline_kernelINS0_14default_configENS1_22reduce_config_selectorIyEEZNS1_11reduce_implILb1ES3_N6thrust23THRUST_200600_302600_NS6detail15normal_iteratorINS8_10device_ptrIyEEEEPiiNS8_4plusIiEEEE10hipError_tPvRmT1_T2_T3_mT4_P12ihipStream_tbEUlT_E0_NS1_11comp_targetILNS1_3genE0ELNS1_11target_archE4294967295ELNS1_3gpuE0ELNS1_3repE0EEENS1_30default_config_static_selectorELNS0_4arch9wavefront6targetE1EEEvSK_.num_vgpr, 36
	.set _ZN7rocprim17ROCPRIM_400000_NS6detail17trampoline_kernelINS0_14default_configENS1_22reduce_config_selectorIyEEZNS1_11reduce_implILb1ES3_N6thrust23THRUST_200600_302600_NS6detail15normal_iteratorINS8_10device_ptrIyEEEEPiiNS8_4plusIiEEEE10hipError_tPvRmT1_T2_T3_mT4_P12ihipStream_tbEUlT_E0_NS1_11comp_targetILNS1_3genE0ELNS1_11target_archE4294967295ELNS1_3gpuE0ELNS1_3repE0EEENS1_30default_config_static_selectorELNS0_4arch9wavefront6targetE1EEEvSK_.num_agpr, 0
	.set _ZN7rocprim17ROCPRIM_400000_NS6detail17trampoline_kernelINS0_14default_configENS1_22reduce_config_selectorIyEEZNS1_11reduce_implILb1ES3_N6thrust23THRUST_200600_302600_NS6detail15normal_iteratorINS8_10device_ptrIyEEEEPiiNS8_4plusIiEEEE10hipError_tPvRmT1_T2_T3_mT4_P12ihipStream_tbEUlT_E0_NS1_11comp_targetILNS1_3genE0ELNS1_11target_archE4294967295ELNS1_3gpuE0ELNS1_3repE0EEENS1_30default_config_static_selectorELNS0_4arch9wavefront6targetE1EEEvSK_.numbered_sgpr, 48
	.set _ZN7rocprim17ROCPRIM_400000_NS6detail17trampoline_kernelINS0_14default_configENS1_22reduce_config_selectorIyEEZNS1_11reduce_implILb1ES3_N6thrust23THRUST_200600_302600_NS6detail15normal_iteratorINS8_10device_ptrIyEEEEPiiNS8_4plusIiEEEE10hipError_tPvRmT1_T2_T3_mT4_P12ihipStream_tbEUlT_E0_NS1_11comp_targetILNS1_3genE0ELNS1_11target_archE4294967295ELNS1_3gpuE0ELNS1_3repE0EEENS1_30default_config_static_selectorELNS0_4arch9wavefront6targetE1EEEvSK_.num_named_barrier, 0
	.set _ZN7rocprim17ROCPRIM_400000_NS6detail17trampoline_kernelINS0_14default_configENS1_22reduce_config_selectorIyEEZNS1_11reduce_implILb1ES3_N6thrust23THRUST_200600_302600_NS6detail15normal_iteratorINS8_10device_ptrIyEEEEPiiNS8_4plusIiEEEE10hipError_tPvRmT1_T2_T3_mT4_P12ihipStream_tbEUlT_E0_NS1_11comp_targetILNS1_3genE0ELNS1_11target_archE4294967295ELNS1_3gpuE0ELNS1_3repE0EEENS1_30default_config_static_selectorELNS0_4arch9wavefront6targetE1EEEvSK_.private_seg_size, 0
	.set _ZN7rocprim17ROCPRIM_400000_NS6detail17trampoline_kernelINS0_14default_configENS1_22reduce_config_selectorIyEEZNS1_11reduce_implILb1ES3_N6thrust23THRUST_200600_302600_NS6detail15normal_iteratorINS8_10device_ptrIyEEEEPiiNS8_4plusIiEEEE10hipError_tPvRmT1_T2_T3_mT4_P12ihipStream_tbEUlT_E0_NS1_11comp_targetILNS1_3genE0ELNS1_11target_archE4294967295ELNS1_3gpuE0ELNS1_3repE0EEENS1_30default_config_static_selectorELNS0_4arch9wavefront6targetE1EEEvSK_.uses_vcc, 1
	.set _ZN7rocprim17ROCPRIM_400000_NS6detail17trampoline_kernelINS0_14default_configENS1_22reduce_config_selectorIyEEZNS1_11reduce_implILb1ES3_N6thrust23THRUST_200600_302600_NS6detail15normal_iteratorINS8_10device_ptrIyEEEEPiiNS8_4plusIiEEEE10hipError_tPvRmT1_T2_T3_mT4_P12ihipStream_tbEUlT_E0_NS1_11comp_targetILNS1_3genE0ELNS1_11target_archE4294967295ELNS1_3gpuE0ELNS1_3repE0EEENS1_30default_config_static_selectorELNS0_4arch9wavefront6targetE1EEEvSK_.uses_flat_scratch, 0
	.set _ZN7rocprim17ROCPRIM_400000_NS6detail17trampoline_kernelINS0_14default_configENS1_22reduce_config_selectorIyEEZNS1_11reduce_implILb1ES3_N6thrust23THRUST_200600_302600_NS6detail15normal_iteratorINS8_10device_ptrIyEEEEPiiNS8_4plusIiEEEE10hipError_tPvRmT1_T2_T3_mT4_P12ihipStream_tbEUlT_E0_NS1_11comp_targetILNS1_3genE0ELNS1_11target_archE4294967295ELNS1_3gpuE0ELNS1_3repE0EEENS1_30default_config_static_selectorELNS0_4arch9wavefront6targetE1EEEvSK_.has_dyn_sized_stack, 0
	.set _ZN7rocprim17ROCPRIM_400000_NS6detail17trampoline_kernelINS0_14default_configENS1_22reduce_config_selectorIyEEZNS1_11reduce_implILb1ES3_N6thrust23THRUST_200600_302600_NS6detail15normal_iteratorINS8_10device_ptrIyEEEEPiiNS8_4plusIiEEEE10hipError_tPvRmT1_T2_T3_mT4_P12ihipStream_tbEUlT_E0_NS1_11comp_targetILNS1_3genE0ELNS1_11target_archE4294967295ELNS1_3gpuE0ELNS1_3repE0EEENS1_30default_config_static_selectorELNS0_4arch9wavefront6targetE1EEEvSK_.has_recursion, 0
	.set _ZN7rocprim17ROCPRIM_400000_NS6detail17trampoline_kernelINS0_14default_configENS1_22reduce_config_selectorIyEEZNS1_11reduce_implILb1ES3_N6thrust23THRUST_200600_302600_NS6detail15normal_iteratorINS8_10device_ptrIyEEEEPiiNS8_4plusIiEEEE10hipError_tPvRmT1_T2_T3_mT4_P12ihipStream_tbEUlT_E0_NS1_11comp_targetILNS1_3genE0ELNS1_11target_archE4294967295ELNS1_3gpuE0ELNS1_3repE0EEENS1_30default_config_static_selectorELNS0_4arch9wavefront6targetE1EEEvSK_.has_indirect_call, 0
	.section	.AMDGPU.csdata,"",@progbits
; Kernel info:
; codeLenInByte = 2388
; TotalNumSgprs: 54
; NumVgprs: 36
; NumAgprs: 0
; TotalNumVgprs: 36
; ScratchSize: 0
; MemoryBound: 0
; FloatMode: 240
; IeeeMode: 1
; LDSByteSize: 32 bytes/workgroup (compile time only)
; SGPRBlocks: 6
; VGPRBlocks: 4
; NumSGPRsForWavesPerEU: 54
; NumVGPRsForWavesPerEU: 36
; AccumOffset: 36
; Occupancy: 8
; WaveLimiterHint : 1
; COMPUTE_PGM_RSRC2:SCRATCH_EN: 0
; COMPUTE_PGM_RSRC2:USER_SGPR: 2
; COMPUTE_PGM_RSRC2:TRAP_HANDLER: 0
; COMPUTE_PGM_RSRC2:TGID_X_EN: 1
; COMPUTE_PGM_RSRC2:TGID_Y_EN: 0
; COMPUTE_PGM_RSRC2:TGID_Z_EN: 0
; COMPUTE_PGM_RSRC2:TIDIG_COMP_CNT: 0
; COMPUTE_PGM_RSRC3_GFX90A:ACCUM_OFFSET: 8
; COMPUTE_PGM_RSRC3_GFX90A:TG_SPLIT: 0
	.section	.text._ZN7rocprim17ROCPRIM_400000_NS6detail17trampoline_kernelINS0_14default_configENS1_22reduce_config_selectorIyEEZNS1_11reduce_implILb1ES3_N6thrust23THRUST_200600_302600_NS6detail15normal_iteratorINS8_10device_ptrIyEEEEPiiNS8_4plusIiEEEE10hipError_tPvRmT1_T2_T3_mT4_P12ihipStream_tbEUlT_E0_NS1_11comp_targetILNS1_3genE5ELNS1_11target_archE942ELNS1_3gpuE9ELNS1_3repE0EEENS1_30default_config_static_selectorELNS0_4arch9wavefront6targetE1EEEvSK_,"axG",@progbits,_ZN7rocprim17ROCPRIM_400000_NS6detail17trampoline_kernelINS0_14default_configENS1_22reduce_config_selectorIyEEZNS1_11reduce_implILb1ES3_N6thrust23THRUST_200600_302600_NS6detail15normal_iteratorINS8_10device_ptrIyEEEEPiiNS8_4plusIiEEEE10hipError_tPvRmT1_T2_T3_mT4_P12ihipStream_tbEUlT_E0_NS1_11comp_targetILNS1_3genE5ELNS1_11target_archE942ELNS1_3gpuE9ELNS1_3repE0EEENS1_30default_config_static_selectorELNS0_4arch9wavefront6targetE1EEEvSK_,comdat
	.protected	_ZN7rocprim17ROCPRIM_400000_NS6detail17trampoline_kernelINS0_14default_configENS1_22reduce_config_selectorIyEEZNS1_11reduce_implILb1ES3_N6thrust23THRUST_200600_302600_NS6detail15normal_iteratorINS8_10device_ptrIyEEEEPiiNS8_4plusIiEEEE10hipError_tPvRmT1_T2_T3_mT4_P12ihipStream_tbEUlT_E0_NS1_11comp_targetILNS1_3genE5ELNS1_11target_archE942ELNS1_3gpuE9ELNS1_3repE0EEENS1_30default_config_static_selectorELNS0_4arch9wavefront6targetE1EEEvSK_ ; -- Begin function _ZN7rocprim17ROCPRIM_400000_NS6detail17trampoline_kernelINS0_14default_configENS1_22reduce_config_selectorIyEEZNS1_11reduce_implILb1ES3_N6thrust23THRUST_200600_302600_NS6detail15normal_iteratorINS8_10device_ptrIyEEEEPiiNS8_4plusIiEEEE10hipError_tPvRmT1_T2_T3_mT4_P12ihipStream_tbEUlT_E0_NS1_11comp_targetILNS1_3genE5ELNS1_11target_archE942ELNS1_3gpuE9ELNS1_3repE0EEENS1_30default_config_static_selectorELNS0_4arch9wavefront6targetE1EEEvSK_
	.globl	_ZN7rocprim17ROCPRIM_400000_NS6detail17trampoline_kernelINS0_14default_configENS1_22reduce_config_selectorIyEEZNS1_11reduce_implILb1ES3_N6thrust23THRUST_200600_302600_NS6detail15normal_iteratorINS8_10device_ptrIyEEEEPiiNS8_4plusIiEEEE10hipError_tPvRmT1_T2_T3_mT4_P12ihipStream_tbEUlT_E0_NS1_11comp_targetILNS1_3genE5ELNS1_11target_archE942ELNS1_3gpuE9ELNS1_3repE0EEENS1_30default_config_static_selectorELNS0_4arch9wavefront6targetE1EEEvSK_
	.p2align	8
	.type	_ZN7rocprim17ROCPRIM_400000_NS6detail17trampoline_kernelINS0_14default_configENS1_22reduce_config_selectorIyEEZNS1_11reduce_implILb1ES3_N6thrust23THRUST_200600_302600_NS6detail15normal_iteratorINS8_10device_ptrIyEEEEPiiNS8_4plusIiEEEE10hipError_tPvRmT1_T2_T3_mT4_P12ihipStream_tbEUlT_E0_NS1_11comp_targetILNS1_3genE5ELNS1_11target_archE942ELNS1_3gpuE9ELNS1_3repE0EEENS1_30default_config_static_selectorELNS0_4arch9wavefront6targetE1EEEvSK_,@function
_ZN7rocprim17ROCPRIM_400000_NS6detail17trampoline_kernelINS0_14default_configENS1_22reduce_config_selectorIyEEZNS1_11reduce_implILb1ES3_N6thrust23THRUST_200600_302600_NS6detail15normal_iteratorINS8_10device_ptrIyEEEEPiiNS8_4plusIiEEEE10hipError_tPvRmT1_T2_T3_mT4_P12ihipStream_tbEUlT_E0_NS1_11comp_targetILNS1_3genE5ELNS1_11target_archE942ELNS1_3gpuE9ELNS1_3repE0EEENS1_30default_config_static_selectorELNS0_4arch9wavefront6targetE1EEEvSK_: ; @_ZN7rocprim17ROCPRIM_400000_NS6detail17trampoline_kernelINS0_14default_configENS1_22reduce_config_selectorIyEEZNS1_11reduce_implILb1ES3_N6thrust23THRUST_200600_302600_NS6detail15normal_iteratorINS8_10device_ptrIyEEEEPiiNS8_4plusIiEEEE10hipError_tPvRmT1_T2_T3_mT4_P12ihipStream_tbEUlT_E0_NS1_11comp_targetILNS1_3genE5ELNS1_11target_archE942ELNS1_3gpuE9ELNS1_3repE0EEENS1_30default_config_static_selectorELNS0_4arch9wavefront6targetE1EEEvSK_
; %bb.0:
	.section	.rodata,"a",@progbits
	.p2align	6, 0x0
	.amdhsa_kernel _ZN7rocprim17ROCPRIM_400000_NS6detail17trampoline_kernelINS0_14default_configENS1_22reduce_config_selectorIyEEZNS1_11reduce_implILb1ES3_N6thrust23THRUST_200600_302600_NS6detail15normal_iteratorINS8_10device_ptrIyEEEEPiiNS8_4plusIiEEEE10hipError_tPvRmT1_T2_T3_mT4_P12ihipStream_tbEUlT_E0_NS1_11comp_targetILNS1_3genE5ELNS1_11target_archE942ELNS1_3gpuE9ELNS1_3repE0EEENS1_30default_config_static_selectorELNS0_4arch9wavefront6targetE1EEEvSK_
		.amdhsa_group_segment_fixed_size 0
		.amdhsa_private_segment_fixed_size 0
		.amdhsa_kernarg_size 56
		.amdhsa_user_sgpr_count 2
		.amdhsa_user_sgpr_dispatch_ptr 0
		.amdhsa_user_sgpr_queue_ptr 0
		.amdhsa_user_sgpr_kernarg_segment_ptr 1
		.amdhsa_user_sgpr_dispatch_id 0
		.amdhsa_user_sgpr_kernarg_preload_length 0
		.amdhsa_user_sgpr_kernarg_preload_offset 0
		.amdhsa_user_sgpr_private_segment_size 0
		.amdhsa_uses_dynamic_stack 0
		.amdhsa_enable_private_segment 0
		.amdhsa_system_sgpr_workgroup_id_x 1
		.amdhsa_system_sgpr_workgroup_id_y 0
		.amdhsa_system_sgpr_workgroup_id_z 0
		.amdhsa_system_sgpr_workgroup_info 0
		.amdhsa_system_vgpr_workitem_id 0
		.amdhsa_next_free_vgpr 1
		.amdhsa_next_free_sgpr 0
		.amdhsa_accum_offset 4
		.amdhsa_reserve_vcc 0
		.amdhsa_float_round_mode_32 0
		.amdhsa_float_round_mode_16_64 0
		.amdhsa_float_denorm_mode_32 3
		.amdhsa_float_denorm_mode_16_64 3
		.amdhsa_dx10_clamp 1
		.amdhsa_ieee_mode 1
		.amdhsa_fp16_overflow 0
		.amdhsa_tg_split 0
		.amdhsa_exception_fp_ieee_invalid_op 0
		.amdhsa_exception_fp_denorm_src 0
		.amdhsa_exception_fp_ieee_div_zero 0
		.amdhsa_exception_fp_ieee_overflow 0
		.amdhsa_exception_fp_ieee_underflow 0
		.amdhsa_exception_fp_ieee_inexact 0
		.amdhsa_exception_int_div_zero 0
	.end_amdhsa_kernel
	.section	.text._ZN7rocprim17ROCPRIM_400000_NS6detail17trampoline_kernelINS0_14default_configENS1_22reduce_config_selectorIyEEZNS1_11reduce_implILb1ES3_N6thrust23THRUST_200600_302600_NS6detail15normal_iteratorINS8_10device_ptrIyEEEEPiiNS8_4plusIiEEEE10hipError_tPvRmT1_T2_T3_mT4_P12ihipStream_tbEUlT_E0_NS1_11comp_targetILNS1_3genE5ELNS1_11target_archE942ELNS1_3gpuE9ELNS1_3repE0EEENS1_30default_config_static_selectorELNS0_4arch9wavefront6targetE1EEEvSK_,"axG",@progbits,_ZN7rocprim17ROCPRIM_400000_NS6detail17trampoline_kernelINS0_14default_configENS1_22reduce_config_selectorIyEEZNS1_11reduce_implILb1ES3_N6thrust23THRUST_200600_302600_NS6detail15normal_iteratorINS8_10device_ptrIyEEEEPiiNS8_4plusIiEEEE10hipError_tPvRmT1_T2_T3_mT4_P12ihipStream_tbEUlT_E0_NS1_11comp_targetILNS1_3genE5ELNS1_11target_archE942ELNS1_3gpuE9ELNS1_3repE0EEENS1_30default_config_static_selectorELNS0_4arch9wavefront6targetE1EEEvSK_,comdat
.Lfunc_end352:
	.size	_ZN7rocprim17ROCPRIM_400000_NS6detail17trampoline_kernelINS0_14default_configENS1_22reduce_config_selectorIyEEZNS1_11reduce_implILb1ES3_N6thrust23THRUST_200600_302600_NS6detail15normal_iteratorINS8_10device_ptrIyEEEEPiiNS8_4plusIiEEEE10hipError_tPvRmT1_T2_T3_mT4_P12ihipStream_tbEUlT_E0_NS1_11comp_targetILNS1_3genE5ELNS1_11target_archE942ELNS1_3gpuE9ELNS1_3repE0EEENS1_30default_config_static_selectorELNS0_4arch9wavefront6targetE1EEEvSK_, .Lfunc_end352-_ZN7rocprim17ROCPRIM_400000_NS6detail17trampoline_kernelINS0_14default_configENS1_22reduce_config_selectorIyEEZNS1_11reduce_implILb1ES3_N6thrust23THRUST_200600_302600_NS6detail15normal_iteratorINS8_10device_ptrIyEEEEPiiNS8_4plusIiEEEE10hipError_tPvRmT1_T2_T3_mT4_P12ihipStream_tbEUlT_E0_NS1_11comp_targetILNS1_3genE5ELNS1_11target_archE942ELNS1_3gpuE9ELNS1_3repE0EEENS1_30default_config_static_selectorELNS0_4arch9wavefront6targetE1EEEvSK_
                                        ; -- End function
	.set _ZN7rocprim17ROCPRIM_400000_NS6detail17trampoline_kernelINS0_14default_configENS1_22reduce_config_selectorIyEEZNS1_11reduce_implILb1ES3_N6thrust23THRUST_200600_302600_NS6detail15normal_iteratorINS8_10device_ptrIyEEEEPiiNS8_4plusIiEEEE10hipError_tPvRmT1_T2_T3_mT4_P12ihipStream_tbEUlT_E0_NS1_11comp_targetILNS1_3genE5ELNS1_11target_archE942ELNS1_3gpuE9ELNS1_3repE0EEENS1_30default_config_static_selectorELNS0_4arch9wavefront6targetE1EEEvSK_.num_vgpr, 0
	.set _ZN7rocprim17ROCPRIM_400000_NS6detail17trampoline_kernelINS0_14default_configENS1_22reduce_config_selectorIyEEZNS1_11reduce_implILb1ES3_N6thrust23THRUST_200600_302600_NS6detail15normal_iteratorINS8_10device_ptrIyEEEEPiiNS8_4plusIiEEEE10hipError_tPvRmT1_T2_T3_mT4_P12ihipStream_tbEUlT_E0_NS1_11comp_targetILNS1_3genE5ELNS1_11target_archE942ELNS1_3gpuE9ELNS1_3repE0EEENS1_30default_config_static_selectorELNS0_4arch9wavefront6targetE1EEEvSK_.num_agpr, 0
	.set _ZN7rocprim17ROCPRIM_400000_NS6detail17trampoline_kernelINS0_14default_configENS1_22reduce_config_selectorIyEEZNS1_11reduce_implILb1ES3_N6thrust23THRUST_200600_302600_NS6detail15normal_iteratorINS8_10device_ptrIyEEEEPiiNS8_4plusIiEEEE10hipError_tPvRmT1_T2_T3_mT4_P12ihipStream_tbEUlT_E0_NS1_11comp_targetILNS1_3genE5ELNS1_11target_archE942ELNS1_3gpuE9ELNS1_3repE0EEENS1_30default_config_static_selectorELNS0_4arch9wavefront6targetE1EEEvSK_.numbered_sgpr, 0
	.set _ZN7rocprim17ROCPRIM_400000_NS6detail17trampoline_kernelINS0_14default_configENS1_22reduce_config_selectorIyEEZNS1_11reduce_implILb1ES3_N6thrust23THRUST_200600_302600_NS6detail15normal_iteratorINS8_10device_ptrIyEEEEPiiNS8_4plusIiEEEE10hipError_tPvRmT1_T2_T3_mT4_P12ihipStream_tbEUlT_E0_NS1_11comp_targetILNS1_3genE5ELNS1_11target_archE942ELNS1_3gpuE9ELNS1_3repE0EEENS1_30default_config_static_selectorELNS0_4arch9wavefront6targetE1EEEvSK_.num_named_barrier, 0
	.set _ZN7rocprim17ROCPRIM_400000_NS6detail17trampoline_kernelINS0_14default_configENS1_22reduce_config_selectorIyEEZNS1_11reduce_implILb1ES3_N6thrust23THRUST_200600_302600_NS6detail15normal_iteratorINS8_10device_ptrIyEEEEPiiNS8_4plusIiEEEE10hipError_tPvRmT1_T2_T3_mT4_P12ihipStream_tbEUlT_E0_NS1_11comp_targetILNS1_3genE5ELNS1_11target_archE942ELNS1_3gpuE9ELNS1_3repE0EEENS1_30default_config_static_selectorELNS0_4arch9wavefront6targetE1EEEvSK_.private_seg_size, 0
	.set _ZN7rocprim17ROCPRIM_400000_NS6detail17trampoline_kernelINS0_14default_configENS1_22reduce_config_selectorIyEEZNS1_11reduce_implILb1ES3_N6thrust23THRUST_200600_302600_NS6detail15normal_iteratorINS8_10device_ptrIyEEEEPiiNS8_4plusIiEEEE10hipError_tPvRmT1_T2_T3_mT4_P12ihipStream_tbEUlT_E0_NS1_11comp_targetILNS1_3genE5ELNS1_11target_archE942ELNS1_3gpuE9ELNS1_3repE0EEENS1_30default_config_static_selectorELNS0_4arch9wavefront6targetE1EEEvSK_.uses_vcc, 0
	.set _ZN7rocprim17ROCPRIM_400000_NS6detail17trampoline_kernelINS0_14default_configENS1_22reduce_config_selectorIyEEZNS1_11reduce_implILb1ES3_N6thrust23THRUST_200600_302600_NS6detail15normal_iteratorINS8_10device_ptrIyEEEEPiiNS8_4plusIiEEEE10hipError_tPvRmT1_T2_T3_mT4_P12ihipStream_tbEUlT_E0_NS1_11comp_targetILNS1_3genE5ELNS1_11target_archE942ELNS1_3gpuE9ELNS1_3repE0EEENS1_30default_config_static_selectorELNS0_4arch9wavefront6targetE1EEEvSK_.uses_flat_scratch, 0
	.set _ZN7rocprim17ROCPRIM_400000_NS6detail17trampoline_kernelINS0_14default_configENS1_22reduce_config_selectorIyEEZNS1_11reduce_implILb1ES3_N6thrust23THRUST_200600_302600_NS6detail15normal_iteratorINS8_10device_ptrIyEEEEPiiNS8_4plusIiEEEE10hipError_tPvRmT1_T2_T3_mT4_P12ihipStream_tbEUlT_E0_NS1_11comp_targetILNS1_3genE5ELNS1_11target_archE942ELNS1_3gpuE9ELNS1_3repE0EEENS1_30default_config_static_selectorELNS0_4arch9wavefront6targetE1EEEvSK_.has_dyn_sized_stack, 0
	.set _ZN7rocprim17ROCPRIM_400000_NS6detail17trampoline_kernelINS0_14default_configENS1_22reduce_config_selectorIyEEZNS1_11reduce_implILb1ES3_N6thrust23THRUST_200600_302600_NS6detail15normal_iteratorINS8_10device_ptrIyEEEEPiiNS8_4plusIiEEEE10hipError_tPvRmT1_T2_T3_mT4_P12ihipStream_tbEUlT_E0_NS1_11comp_targetILNS1_3genE5ELNS1_11target_archE942ELNS1_3gpuE9ELNS1_3repE0EEENS1_30default_config_static_selectorELNS0_4arch9wavefront6targetE1EEEvSK_.has_recursion, 0
	.set _ZN7rocprim17ROCPRIM_400000_NS6detail17trampoline_kernelINS0_14default_configENS1_22reduce_config_selectorIyEEZNS1_11reduce_implILb1ES3_N6thrust23THRUST_200600_302600_NS6detail15normal_iteratorINS8_10device_ptrIyEEEEPiiNS8_4plusIiEEEE10hipError_tPvRmT1_T2_T3_mT4_P12ihipStream_tbEUlT_E0_NS1_11comp_targetILNS1_3genE5ELNS1_11target_archE942ELNS1_3gpuE9ELNS1_3repE0EEENS1_30default_config_static_selectorELNS0_4arch9wavefront6targetE1EEEvSK_.has_indirect_call, 0
	.section	.AMDGPU.csdata,"",@progbits
; Kernel info:
; codeLenInByte = 0
; TotalNumSgprs: 6
; NumVgprs: 0
; NumAgprs: 0
; TotalNumVgprs: 0
; ScratchSize: 0
; MemoryBound: 0
; FloatMode: 240
; IeeeMode: 1
; LDSByteSize: 0 bytes/workgroup (compile time only)
; SGPRBlocks: 0
; VGPRBlocks: 0
; NumSGPRsForWavesPerEU: 6
; NumVGPRsForWavesPerEU: 1
; AccumOffset: 4
; Occupancy: 8
; WaveLimiterHint : 0
; COMPUTE_PGM_RSRC2:SCRATCH_EN: 0
; COMPUTE_PGM_RSRC2:USER_SGPR: 2
; COMPUTE_PGM_RSRC2:TRAP_HANDLER: 0
; COMPUTE_PGM_RSRC2:TGID_X_EN: 1
; COMPUTE_PGM_RSRC2:TGID_Y_EN: 0
; COMPUTE_PGM_RSRC2:TGID_Z_EN: 0
; COMPUTE_PGM_RSRC2:TIDIG_COMP_CNT: 0
; COMPUTE_PGM_RSRC3_GFX90A:ACCUM_OFFSET: 0
; COMPUTE_PGM_RSRC3_GFX90A:TG_SPLIT: 0
	.section	.text._ZN7rocprim17ROCPRIM_400000_NS6detail17trampoline_kernelINS0_14default_configENS1_22reduce_config_selectorIyEEZNS1_11reduce_implILb1ES3_N6thrust23THRUST_200600_302600_NS6detail15normal_iteratorINS8_10device_ptrIyEEEEPiiNS8_4plusIiEEEE10hipError_tPvRmT1_T2_T3_mT4_P12ihipStream_tbEUlT_E0_NS1_11comp_targetILNS1_3genE4ELNS1_11target_archE910ELNS1_3gpuE8ELNS1_3repE0EEENS1_30default_config_static_selectorELNS0_4arch9wavefront6targetE1EEEvSK_,"axG",@progbits,_ZN7rocprim17ROCPRIM_400000_NS6detail17trampoline_kernelINS0_14default_configENS1_22reduce_config_selectorIyEEZNS1_11reduce_implILb1ES3_N6thrust23THRUST_200600_302600_NS6detail15normal_iteratorINS8_10device_ptrIyEEEEPiiNS8_4plusIiEEEE10hipError_tPvRmT1_T2_T3_mT4_P12ihipStream_tbEUlT_E0_NS1_11comp_targetILNS1_3genE4ELNS1_11target_archE910ELNS1_3gpuE8ELNS1_3repE0EEENS1_30default_config_static_selectorELNS0_4arch9wavefront6targetE1EEEvSK_,comdat
	.protected	_ZN7rocprim17ROCPRIM_400000_NS6detail17trampoline_kernelINS0_14default_configENS1_22reduce_config_selectorIyEEZNS1_11reduce_implILb1ES3_N6thrust23THRUST_200600_302600_NS6detail15normal_iteratorINS8_10device_ptrIyEEEEPiiNS8_4plusIiEEEE10hipError_tPvRmT1_T2_T3_mT4_P12ihipStream_tbEUlT_E0_NS1_11comp_targetILNS1_3genE4ELNS1_11target_archE910ELNS1_3gpuE8ELNS1_3repE0EEENS1_30default_config_static_selectorELNS0_4arch9wavefront6targetE1EEEvSK_ ; -- Begin function _ZN7rocprim17ROCPRIM_400000_NS6detail17trampoline_kernelINS0_14default_configENS1_22reduce_config_selectorIyEEZNS1_11reduce_implILb1ES3_N6thrust23THRUST_200600_302600_NS6detail15normal_iteratorINS8_10device_ptrIyEEEEPiiNS8_4plusIiEEEE10hipError_tPvRmT1_T2_T3_mT4_P12ihipStream_tbEUlT_E0_NS1_11comp_targetILNS1_3genE4ELNS1_11target_archE910ELNS1_3gpuE8ELNS1_3repE0EEENS1_30default_config_static_selectorELNS0_4arch9wavefront6targetE1EEEvSK_
	.globl	_ZN7rocprim17ROCPRIM_400000_NS6detail17trampoline_kernelINS0_14default_configENS1_22reduce_config_selectorIyEEZNS1_11reduce_implILb1ES3_N6thrust23THRUST_200600_302600_NS6detail15normal_iteratorINS8_10device_ptrIyEEEEPiiNS8_4plusIiEEEE10hipError_tPvRmT1_T2_T3_mT4_P12ihipStream_tbEUlT_E0_NS1_11comp_targetILNS1_3genE4ELNS1_11target_archE910ELNS1_3gpuE8ELNS1_3repE0EEENS1_30default_config_static_selectorELNS0_4arch9wavefront6targetE1EEEvSK_
	.p2align	8
	.type	_ZN7rocprim17ROCPRIM_400000_NS6detail17trampoline_kernelINS0_14default_configENS1_22reduce_config_selectorIyEEZNS1_11reduce_implILb1ES3_N6thrust23THRUST_200600_302600_NS6detail15normal_iteratorINS8_10device_ptrIyEEEEPiiNS8_4plusIiEEEE10hipError_tPvRmT1_T2_T3_mT4_P12ihipStream_tbEUlT_E0_NS1_11comp_targetILNS1_3genE4ELNS1_11target_archE910ELNS1_3gpuE8ELNS1_3repE0EEENS1_30default_config_static_selectorELNS0_4arch9wavefront6targetE1EEEvSK_,@function
_ZN7rocprim17ROCPRIM_400000_NS6detail17trampoline_kernelINS0_14default_configENS1_22reduce_config_selectorIyEEZNS1_11reduce_implILb1ES3_N6thrust23THRUST_200600_302600_NS6detail15normal_iteratorINS8_10device_ptrIyEEEEPiiNS8_4plusIiEEEE10hipError_tPvRmT1_T2_T3_mT4_P12ihipStream_tbEUlT_E0_NS1_11comp_targetILNS1_3genE4ELNS1_11target_archE910ELNS1_3gpuE8ELNS1_3repE0EEENS1_30default_config_static_selectorELNS0_4arch9wavefront6targetE1EEEvSK_: ; @_ZN7rocprim17ROCPRIM_400000_NS6detail17trampoline_kernelINS0_14default_configENS1_22reduce_config_selectorIyEEZNS1_11reduce_implILb1ES3_N6thrust23THRUST_200600_302600_NS6detail15normal_iteratorINS8_10device_ptrIyEEEEPiiNS8_4plusIiEEEE10hipError_tPvRmT1_T2_T3_mT4_P12ihipStream_tbEUlT_E0_NS1_11comp_targetILNS1_3genE4ELNS1_11target_archE910ELNS1_3gpuE8ELNS1_3repE0EEENS1_30default_config_static_selectorELNS0_4arch9wavefront6targetE1EEEvSK_
; %bb.0:
	.section	.rodata,"a",@progbits
	.p2align	6, 0x0
	.amdhsa_kernel _ZN7rocprim17ROCPRIM_400000_NS6detail17trampoline_kernelINS0_14default_configENS1_22reduce_config_selectorIyEEZNS1_11reduce_implILb1ES3_N6thrust23THRUST_200600_302600_NS6detail15normal_iteratorINS8_10device_ptrIyEEEEPiiNS8_4plusIiEEEE10hipError_tPvRmT1_T2_T3_mT4_P12ihipStream_tbEUlT_E0_NS1_11comp_targetILNS1_3genE4ELNS1_11target_archE910ELNS1_3gpuE8ELNS1_3repE0EEENS1_30default_config_static_selectorELNS0_4arch9wavefront6targetE1EEEvSK_
		.amdhsa_group_segment_fixed_size 0
		.amdhsa_private_segment_fixed_size 0
		.amdhsa_kernarg_size 56
		.amdhsa_user_sgpr_count 2
		.amdhsa_user_sgpr_dispatch_ptr 0
		.amdhsa_user_sgpr_queue_ptr 0
		.amdhsa_user_sgpr_kernarg_segment_ptr 1
		.amdhsa_user_sgpr_dispatch_id 0
		.amdhsa_user_sgpr_kernarg_preload_length 0
		.amdhsa_user_sgpr_kernarg_preload_offset 0
		.amdhsa_user_sgpr_private_segment_size 0
		.amdhsa_uses_dynamic_stack 0
		.amdhsa_enable_private_segment 0
		.amdhsa_system_sgpr_workgroup_id_x 1
		.amdhsa_system_sgpr_workgroup_id_y 0
		.amdhsa_system_sgpr_workgroup_id_z 0
		.amdhsa_system_sgpr_workgroup_info 0
		.amdhsa_system_vgpr_workitem_id 0
		.amdhsa_next_free_vgpr 1
		.amdhsa_next_free_sgpr 0
		.amdhsa_accum_offset 4
		.amdhsa_reserve_vcc 0
		.amdhsa_float_round_mode_32 0
		.amdhsa_float_round_mode_16_64 0
		.amdhsa_float_denorm_mode_32 3
		.amdhsa_float_denorm_mode_16_64 3
		.amdhsa_dx10_clamp 1
		.amdhsa_ieee_mode 1
		.amdhsa_fp16_overflow 0
		.amdhsa_tg_split 0
		.amdhsa_exception_fp_ieee_invalid_op 0
		.amdhsa_exception_fp_denorm_src 0
		.amdhsa_exception_fp_ieee_div_zero 0
		.amdhsa_exception_fp_ieee_overflow 0
		.amdhsa_exception_fp_ieee_underflow 0
		.amdhsa_exception_fp_ieee_inexact 0
		.amdhsa_exception_int_div_zero 0
	.end_amdhsa_kernel
	.section	.text._ZN7rocprim17ROCPRIM_400000_NS6detail17trampoline_kernelINS0_14default_configENS1_22reduce_config_selectorIyEEZNS1_11reduce_implILb1ES3_N6thrust23THRUST_200600_302600_NS6detail15normal_iteratorINS8_10device_ptrIyEEEEPiiNS8_4plusIiEEEE10hipError_tPvRmT1_T2_T3_mT4_P12ihipStream_tbEUlT_E0_NS1_11comp_targetILNS1_3genE4ELNS1_11target_archE910ELNS1_3gpuE8ELNS1_3repE0EEENS1_30default_config_static_selectorELNS0_4arch9wavefront6targetE1EEEvSK_,"axG",@progbits,_ZN7rocprim17ROCPRIM_400000_NS6detail17trampoline_kernelINS0_14default_configENS1_22reduce_config_selectorIyEEZNS1_11reduce_implILb1ES3_N6thrust23THRUST_200600_302600_NS6detail15normal_iteratorINS8_10device_ptrIyEEEEPiiNS8_4plusIiEEEE10hipError_tPvRmT1_T2_T3_mT4_P12ihipStream_tbEUlT_E0_NS1_11comp_targetILNS1_3genE4ELNS1_11target_archE910ELNS1_3gpuE8ELNS1_3repE0EEENS1_30default_config_static_selectorELNS0_4arch9wavefront6targetE1EEEvSK_,comdat
.Lfunc_end353:
	.size	_ZN7rocprim17ROCPRIM_400000_NS6detail17trampoline_kernelINS0_14default_configENS1_22reduce_config_selectorIyEEZNS1_11reduce_implILb1ES3_N6thrust23THRUST_200600_302600_NS6detail15normal_iteratorINS8_10device_ptrIyEEEEPiiNS8_4plusIiEEEE10hipError_tPvRmT1_T2_T3_mT4_P12ihipStream_tbEUlT_E0_NS1_11comp_targetILNS1_3genE4ELNS1_11target_archE910ELNS1_3gpuE8ELNS1_3repE0EEENS1_30default_config_static_selectorELNS0_4arch9wavefront6targetE1EEEvSK_, .Lfunc_end353-_ZN7rocprim17ROCPRIM_400000_NS6detail17trampoline_kernelINS0_14default_configENS1_22reduce_config_selectorIyEEZNS1_11reduce_implILb1ES3_N6thrust23THRUST_200600_302600_NS6detail15normal_iteratorINS8_10device_ptrIyEEEEPiiNS8_4plusIiEEEE10hipError_tPvRmT1_T2_T3_mT4_P12ihipStream_tbEUlT_E0_NS1_11comp_targetILNS1_3genE4ELNS1_11target_archE910ELNS1_3gpuE8ELNS1_3repE0EEENS1_30default_config_static_selectorELNS0_4arch9wavefront6targetE1EEEvSK_
                                        ; -- End function
	.set _ZN7rocprim17ROCPRIM_400000_NS6detail17trampoline_kernelINS0_14default_configENS1_22reduce_config_selectorIyEEZNS1_11reduce_implILb1ES3_N6thrust23THRUST_200600_302600_NS6detail15normal_iteratorINS8_10device_ptrIyEEEEPiiNS8_4plusIiEEEE10hipError_tPvRmT1_T2_T3_mT4_P12ihipStream_tbEUlT_E0_NS1_11comp_targetILNS1_3genE4ELNS1_11target_archE910ELNS1_3gpuE8ELNS1_3repE0EEENS1_30default_config_static_selectorELNS0_4arch9wavefront6targetE1EEEvSK_.num_vgpr, 0
	.set _ZN7rocprim17ROCPRIM_400000_NS6detail17trampoline_kernelINS0_14default_configENS1_22reduce_config_selectorIyEEZNS1_11reduce_implILb1ES3_N6thrust23THRUST_200600_302600_NS6detail15normal_iteratorINS8_10device_ptrIyEEEEPiiNS8_4plusIiEEEE10hipError_tPvRmT1_T2_T3_mT4_P12ihipStream_tbEUlT_E0_NS1_11comp_targetILNS1_3genE4ELNS1_11target_archE910ELNS1_3gpuE8ELNS1_3repE0EEENS1_30default_config_static_selectorELNS0_4arch9wavefront6targetE1EEEvSK_.num_agpr, 0
	.set _ZN7rocprim17ROCPRIM_400000_NS6detail17trampoline_kernelINS0_14default_configENS1_22reduce_config_selectorIyEEZNS1_11reduce_implILb1ES3_N6thrust23THRUST_200600_302600_NS6detail15normal_iteratorINS8_10device_ptrIyEEEEPiiNS8_4plusIiEEEE10hipError_tPvRmT1_T2_T3_mT4_P12ihipStream_tbEUlT_E0_NS1_11comp_targetILNS1_3genE4ELNS1_11target_archE910ELNS1_3gpuE8ELNS1_3repE0EEENS1_30default_config_static_selectorELNS0_4arch9wavefront6targetE1EEEvSK_.numbered_sgpr, 0
	.set _ZN7rocprim17ROCPRIM_400000_NS6detail17trampoline_kernelINS0_14default_configENS1_22reduce_config_selectorIyEEZNS1_11reduce_implILb1ES3_N6thrust23THRUST_200600_302600_NS6detail15normal_iteratorINS8_10device_ptrIyEEEEPiiNS8_4plusIiEEEE10hipError_tPvRmT1_T2_T3_mT4_P12ihipStream_tbEUlT_E0_NS1_11comp_targetILNS1_3genE4ELNS1_11target_archE910ELNS1_3gpuE8ELNS1_3repE0EEENS1_30default_config_static_selectorELNS0_4arch9wavefront6targetE1EEEvSK_.num_named_barrier, 0
	.set _ZN7rocprim17ROCPRIM_400000_NS6detail17trampoline_kernelINS0_14default_configENS1_22reduce_config_selectorIyEEZNS1_11reduce_implILb1ES3_N6thrust23THRUST_200600_302600_NS6detail15normal_iteratorINS8_10device_ptrIyEEEEPiiNS8_4plusIiEEEE10hipError_tPvRmT1_T2_T3_mT4_P12ihipStream_tbEUlT_E0_NS1_11comp_targetILNS1_3genE4ELNS1_11target_archE910ELNS1_3gpuE8ELNS1_3repE0EEENS1_30default_config_static_selectorELNS0_4arch9wavefront6targetE1EEEvSK_.private_seg_size, 0
	.set _ZN7rocprim17ROCPRIM_400000_NS6detail17trampoline_kernelINS0_14default_configENS1_22reduce_config_selectorIyEEZNS1_11reduce_implILb1ES3_N6thrust23THRUST_200600_302600_NS6detail15normal_iteratorINS8_10device_ptrIyEEEEPiiNS8_4plusIiEEEE10hipError_tPvRmT1_T2_T3_mT4_P12ihipStream_tbEUlT_E0_NS1_11comp_targetILNS1_3genE4ELNS1_11target_archE910ELNS1_3gpuE8ELNS1_3repE0EEENS1_30default_config_static_selectorELNS0_4arch9wavefront6targetE1EEEvSK_.uses_vcc, 0
	.set _ZN7rocprim17ROCPRIM_400000_NS6detail17trampoline_kernelINS0_14default_configENS1_22reduce_config_selectorIyEEZNS1_11reduce_implILb1ES3_N6thrust23THRUST_200600_302600_NS6detail15normal_iteratorINS8_10device_ptrIyEEEEPiiNS8_4plusIiEEEE10hipError_tPvRmT1_T2_T3_mT4_P12ihipStream_tbEUlT_E0_NS1_11comp_targetILNS1_3genE4ELNS1_11target_archE910ELNS1_3gpuE8ELNS1_3repE0EEENS1_30default_config_static_selectorELNS0_4arch9wavefront6targetE1EEEvSK_.uses_flat_scratch, 0
	.set _ZN7rocprim17ROCPRIM_400000_NS6detail17trampoline_kernelINS0_14default_configENS1_22reduce_config_selectorIyEEZNS1_11reduce_implILb1ES3_N6thrust23THRUST_200600_302600_NS6detail15normal_iteratorINS8_10device_ptrIyEEEEPiiNS8_4plusIiEEEE10hipError_tPvRmT1_T2_T3_mT4_P12ihipStream_tbEUlT_E0_NS1_11comp_targetILNS1_3genE4ELNS1_11target_archE910ELNS1_3gpuE8ELNS1_3repE0EEENS1_30default_config_static_selectorELNS0_4arch9wavefront6targetE1EEEvSK_.has_dyn_sized_stack, 0
	.set _ZN7rocprim17ROCPRIM_400000_NS6detail17trampoline_kernelINS0_14default_configENS1_22reduce_config_selectorIyEEZNS1_11reduce_implILb1ES3_N6thrust23THRUST_200600_302600_NS6detail15normal_iteratorINS8_10device_ptrIyEEEEPiiNS8_4plusIiEEEE10hipError_tPvRmT1_T2_T3_mT4_P12ihipStream_tbEUlT_E0_NS1_11comp_targetILNS1_3genE4ELNS1_11target_archE910ELNS1_3gpuE8ELNS1_3repE0EEENS1_30default_config_static_selectorELNS0_4arch9wavefront6targetE1EEEvSK_.has_recursion, 0
	.set _ZN7rocprim17ROCPRIM_400000_NS6detail17trampoline_kernelINS0_14default_configENS1_22reduce_config_selectorIyEEZNS1_11reduce_implILb1ES3_N6thrust23THRUST_200600_302600_NS6detail15normal_iteratorINS8_10device_ptrIyEEEEPiiNS8_4plusIiEEEE10hipError_tPvRmT1_T2_T3_mT4_P12ihipStream_tbEUlT_E0_NS1_11comp_targetILNS1_3genE4ELNS1_11target_archE910ELNS1_3gpuE8ELNS1_3repE0EEENS1_30default_config_static_selectorELNS0_4arch9wavefront6targetE1EEEvSK_.has_indirect_call, 0
	.section	.AMDGPU.csdata,"",@progbits
; Kernel info:
; codeLenInByte = 0
; TotalNumSgprs: 6
; NumVgprs: 0
; NumAgprs: 0
; TotalNumVgprs: 0
; ScratchSize: 0
; MemoryBound: 0
; FloatMode: 240
; IeeeMode: 1
; LDSByteSize: 0 bytes/workgroup (compile time only)
; SGPRBlocks: 0
; VGPRBlocks: 0
; NumSGPRsForWavesPerEU: 6
; NumVGPRsForWavesPerEU: 1
; AccumOffset: 4
; Occupancy: 8
; WaveLimiterHint : 0
; COMPUTE_PGM_RSRC2:SCRATCH_EN: 0
; COMPUTE_PGM_RSRC2:USER_SGPR: 2
; COMPUTE_PGM_RSRC2:TRAP_HANDLER: 0
; COMPUTE_PGM_RSRC2:TGID_X_EN: 1
; COMPUTE_PGM_RSRC2:TGID_Y_EN: 0
; COMPUTE_PGM_RSRC2:TGID_Z_EN: 0
; COMPUTE_PGM_RSRC2:TIDIG_COMP_CNT: 0
; COMPUTE_PGM_RSRC3_GFX90A:ACCUM_OFFSET: 0
; COMPUTE_PGM_RSRC3_GFX90A:TG_SPLIT: 0
	.section	.text._ZN7rocprim17ROCPRIM_400000_NS6detail17trampoline_kernelINS0_14default_configENS1_22reduce_config_selectorIyEEZNS1_11reduce_implILb1ES3_N6thrust23THRUST_200600_302600_NS6detail15normal_iteratorINS8_10device_ptrIyEEEEPiiNS8_4plusIiEEEE10hipError_tPvRmT1_T2_T3_mT4_P12ihipStream_tbEUlT_E0_NS1_11comp_targetILNS1_3genE3ELNS1_11target_archE908ELNS1_3gpuE7ELNS1_3repE0EEENS1_30default_config_static_selectorELNS0_4arch9wavefront6targetE1EEEvSK_,"axG",@progbits,_ZN7rocprim17ROCPRIM_400000_NS6detail17trampoline_kernelINS0_14default_configENS1_22reduce_config_selectorIyEEZNS1_11reduce_implILb1ES3_N6thrust23THRUST_200600_302600_NS6detail15normal_iteratorINS8_10device_ptrIyEEEEPiiNS8_4plusIiEEEE10hipError_tPvRmT1_T2_T3_mT4_P12ihipStream_tbEUlT_E0_NS1_11comp_targetILNS1_3genE3ELNS1_11target_archE908ELNS1_3gpuE7ELNS1_3repE0EEENS1_30default_config_static_selectorELNS0_4arch9wavefront6targetE1EEEvSK_,comdat
	.protected	_ZN7rocprim17ROCPRIM_400000_NS6detail17trampoline_kernelINS0_14default_configENS1_22reduce_config_selectorIyEEZNS1_11reduce_implILb1ES3_N6thrust23THRUST_200600_302600_NS6detail15normal_iteratorINS8_10device_ptrIyEEEEPiiNS8_4plusIiEEEE10hipError_tPvRmT1_T2_T3_mT4_P12ihipStream_tbEUlT_E0_NS1_11comp_targetILNS1_3genE3ELNS1_11target_archE908ELNS1_3gpuE7ELNS1_3repE0EEENS1_30default_config_static_selectorELNS0_4arch9wavefront6targetE1EEEvSK_ ; -- Begin function _ZN7rocprim17ROCPRIM_400000_NS6detail17trampoline_kernelINS0_14default_configENS1_22reduce_config_selectorIyEEZNS1_11reduce_implILb1ES3_N6thrust23THRUST_200600_302600_NS6detail15normal_iteratorINS8_10device_ptrIyEEEEPiiNS8_4plusIiEEEE10hipError_tPvRmT1_T2_T3_mT4_P12ihipStream_tbEUlT_E0_NS1_11comp_targetILNS1_3genE3ELNS1_11target_archE908ELNS1_3gpuE7ELNS1_3repE0EEENS1_30default_config_static_selectorELNS0_4arch9wavefront6targetE1EEEvSK_
	.globl	_ZN7rocprim17ROCPRIM_400000_NS6detail17trampoline_kernelINS0_14default_configENS1_22reduce_config_selectorIyEEZNS1_11reduce_implILb1ES3_N6thrust23THRUST_200600_302600_NS6detail15normal_iteratorINS8_10device_ptrIyEEEEPiiNS8_4plusIiEEEE10hipError_tPvRmT1_T2_T3_mT4_P12ihipStream_tbEUlT_E0_NS1_11comp_targetILNS1_3genE3ELNS1_11target_archE908ELNS1_3gpuE7ELNS1_3repE0EEENS1_30default_config_static_selectorELNS0_4arch9wavefront6targetE1EEEvSK_
	.p2align	8
	.type	_ZN7rocprim17ROCPRIM_400000_NS6detail17trampoline_kernelINS0_14default_configENS1_22reduce_config_selectorIyEEZNS1_11reduce_implILb1ES3_N6thrust23THRUST_200600_302600_NS6detail15normal_iteratorINS8_10device_ptrIyEEEEPiiNS8_4plusIiEEEE10hipError_tPvRmT1_T2_T3_mT4_P12ihipStream_tbEUlT_E0_NS1_11comp_targetILNS1_3genE3ELNS1_11target_archE908ELNS1_3gpuE7ELNS1_3repE0EEENS1_30default_config_static_selectorELNS0_4arch9wavefront6targetE1EEEvSK_,@function
_ZN7rocprim17ROCPRIM_400000_NS6detail17trampoline_kernelINS0_14default_configENS1_22reduce_config_selectorIyEEZNS1_11reduce_implILb1ES3_N6thrust23THRUST_200600_302600_NS6detail15normal_iteratorINS8_10device_ptrIyEEEEPiiNS8_4plusIiEEEE10hipError_tPvRmT1_T2_T3_mT4_P12ihipStream_tbEUlT_E0_NS1_11comp_targetILNS1_3genE3ELNS1_11target_archE908ELNS1_3gpuE7ELNS1_3repE0EEENS1_30default_config_static_selectorELNS0_4arch9wavefront6targetE1EEEvSK_: ; @_ZN7rocprim17ROCPRIM_400000_NS6detail17trampoline_kernelINS0_14default_configENS1_22reduce_config_selectorIyEEZNS1_11reduce_implILb1ES3_N6thrust23THRUST_200600_302600_NS6detail15normal_iteratorINS8_10device_ptrIyEEEEPiiNS8_4plusIiEEEE10hipError_tPvRmT1_T2_T3_mT4_P12ihipStream_tbEUlT_E0_NS1_11comp_targetILNS1_3genE3ELNS1_11target_archE908ELNS1_3gpuE7ELNS1_3repE0EEENS1_30default_config_static_selectorELNS0_4arch9wavefront6targetE1EEEvSK_
; %bb.0:
	.section	.rodata,"a",@progbits
	.p2align	6, 0x0
	.amdhsa_kernel _ZN7rocprim17ROCPRIM_400000_NS6detail17trampoline_kernelINS0_14default_configENS1_22reduce_config_selectorIyEEZNS1_11reduce_implILb1ES3_N6thrust23THRUST_200600_302600_NS6detail15normal_iteratorINS8_10device_ptrIyEEEEPiiNS8_4plusIiEEEE10hipError_tPvRmT1_T2_T3_mT4_P12ihipStream_tbEUlT_E0_NS1_11comp_targetILNS1_3genE3ELNS1_11target_archE908ELNS1_3gpuE7ELNS1_3repE0EEENS1_30default_config_static_selectorELNS0_4arch9wavefront6targetE1EEEvSK_
		.amdhsa_group_segment_fixed_size 0
		.amdhsa_private_segment_fixed_size 0
		.amdhsa_kernarg_size 56
		.amdhsa_user_sgpr_count 2
		.amdhsa_user_sgpr_dispatch_ptr 0
		.amdhsa_user_sgpr_queue_ptr 0
		.amdhsa_user_sgpr_kernarg_segment_ptr 1
		.amdhsa_user_sgpr_dispatch_id 0
		.amdhsa_user_sgpr_kernarg_preload_length 0
		.amdhsa_user_sgpr_kernarg_preload_offset 0
		.amdhsa_user_sgpr_private_segment_size 0
		.amdhsa_uses_dynamic_stack 0
		.amdhsa_enable_private_segment 0
		.amdhsa_system_sgpr_workgroup_id_x 1
		.amdhsa_system_sgpr_workgroup_id_y 0
		.amdhsa_system_sgpr_workgroup_id_z 0
		.amdhsa_system_sgpr_workgroup_info 0
		.amdhsa_system_vgpr_workitem_id 0
		.amdhsa_next_free_vgpr 1
		.amdhsa_next_free_sgpr 0
		.amdhsa_accum_offset 4
		.amdhsa_reserve_vcc 0
		.amdhsa_float_round_mode_32 0
		.amdhsa_float_round_mode_16_64 0
		.amdhsa_float_denorm_mode_32 3
		.amdhsa_float_denorm_mode_16_64 3
		.amdhsa_dx10_clamp 1
		.amdhsa_ieee_mode 1
		.amdhsa_fp16_overflow 0
		.amdhsa_tg_split 0
		.amdhsa_exception_fp_ieee_invalid_op 0
		.amdhsa_exception_fp_denorm_src 0
		.amdhsa_exception_fp_ieee_div_zero 0
		.amdhsa_exception_fp_ieee_overflow 0
		.amdhsa_exception_fp_ieee_underflow 0
		.amdhsa_exception_fp_ieee_inexact 0
		.amdhsa_exception_int_div_zero 0
	.end_amdhsa_kernel
	.section	.text._ZN7rocprim17ROCPRIM_400000_NS6detail17trampoline_kernelINS0_14default_configENS1_22reduce_config_selectorIyEEZNS1_11reduce_implILb1ES3_N6thrust23THRUST_200600_302600_NS6detail15normal_iteratorINS8_10device_ptrIyEEEEPiiNS8_4plusIiEEEE10hipError_tPvRmT1_T2_T3_mT4_P12ihipStream_tbEUlT_E0_NS1_11comp_targetILNS1_3genE3ELNS1_11target_archE908ELNS1_3gpuE7ELNS1_3repE0EEENS1_30default_config_static_selectorELNS0_4arch9wavefront6targetE1EEEvSK_,"axG",@progbits,_ZN7rocprim17ROCPRIM_400000_NS6detail17trampoline_kernelINS0_14default_configENS1_22reduce_config_selectorIyEEZNS1_11reduce_implILb1ES3_N6thrust23THRUST_200600_302600_NS6detail15normal_iteratorINS8_10device_ptrIyEEEEPiiNS8_4plusIiEEEE10hipError_tPvRmT1_T2_T3_mT4_P12ihipStream_tbEUlT_E0_NS1_11comp_targetILNS1_3genE3ELNS1_11target_archE908ELNS1_3gpuE7ELNS1_3repE0EEENS1_30default_config_static_selectorELNS0_4arch9wavefront6targetE1EEEvSK_,comdat
.Lfunc_end354:
	.size	_ZN7rocprim17ROCPRIM_400000_NS6detail17trampoline_kernelINS0_14default_configENS1_22reduce_config_selectorIyEEZNS1_11reduce_implILb1ES3_N6thrust23THRUST_200600_302600_NS6detail15normal_iteratorINS8_10device_ptrIyEEEEPiiNS8_4plusIiEEEE10hipError_tPvRmT1_T2_T3_mT4_P12ihipStream_tbEUlT_E0_NS1_11comp_targetILNS1_3genE3ELNS1_11target_archE908ELNS1_3gpuE7ELNS1_3repE0EEENS1_30default_config_static_selectorELNS0_4arch9wavefront6targetE1EEEvSK_, .Lfunc_end354-_ZN7rocprim17ROCPRIM_400000_NS6detail17trampoline_kernelINS0_14default_configENS1_22reduce_config_selectorIyEEZNS1_11reduce_implILb1ES3_N6thrust23THRUST_200600_302600_NS6detail15normal_iteratorINS8_10device_ptrIyEEEEPiiNS8_4plusIiEEEE10hipError_tPvRmT1_T2_T3_mT4_P12ihipStream_tbEUlT_E0_NS1_11comp_targetILNS1_3genE3ELNS1_11target_archE908ELNS1_3gpuE7ELNS1_3repE0EEENS1_30default_config_static_selectorELNS0_4arch9wavefront6targetE1EEEvSK_
                                        ; -- End function
	.set _ZN7rocprim17ROCPRIM_400000_NS6detail17trampoline_kernelINS0_14default_configENS1_22reduce_config_selectorIyEEZNS1_11reduce_implILb1ES3_N6thrust23THRUST_200600_302600_NS6detail15normal_iteratorINS8_10device_ptrIyEEEEPiiNS8_4plusIiEEEE10hipError_tPvRmT1_T2_T3_mT4_P12ihipStream_tbEUlT_E0_NS1_11comp_targetILNS1_3genE3ELNS1_11target_archE908ELNS1_3gpuE7ELNS1_3repE0EEENS1_30default_config_static_selectorELNS0_4arch9wavefront6targetE1EEEvSK_.num_vgpr, 0
	.set _ZN7rocprim17ROCPRIM_400000_NS6detail17trampoline_kernelINS0_14default_configENS1_22reduce_config_selectorIyEEZNS1_11reduce_implILb1ES3_N6thrust23THRUST_200600_302600_NS6detail15normal_iteratorINS8_10device_ptrIyEEEEPiiNS8_4plusIiEEEE10hipError_tPvRmT1_T2_T3_mT4_P12ihipStream_tbEUlT_E0_NS1_11comp_targetILNS1_3genE3ELNS1_11target_archE908ELNS1_3gpuE7ELNS1_3repE0EEENS1_30default_config_static_selectorELNS0_4arch9wavefront6targetE1EEEvSK_.num_agpr, 0
	.set _ZN7rocprim17ROCPRIM_400000_NS6detail17trampoline_kernelINS0_14default_configENS1_22reduce_config_selectorIyEEZNS1_11reduce_implILb1ES3_N6thrust23THRUST_200600_302600_NS6detail15normal_iteratorINS8_10device_ptrIyEEEEPiiNS8_4plusIiEEEE10hipError_tPvRmT1_T2_T3_mT4_P12ihipStream_tbEUlT_E0_NS1_11comp_targetILNS1_3genE3ELNS1_11target_archE908ELNS1_3gpuE7ELNS1_3repE0EEENS1_30default_config_static_selectorELNS0_4arch9wavefront6targetE1EEEvSK_.numbered_sgpr, 0
	.set _ZN7rocprim17ROCPRIM_400000_NS6detail17trampoline_kernelINS0_14default_configENS1_22reduce_config_selectorIyEEZNS1_11reduce_implILb1ES3_N6thrust23THRUST_200600_302600_NS6detail15normal_iteratorINS8_10device_ptrIyEEEEPiiNS8_4plusIiEEEE10hipError_tPvRmT1_T2_T3_mT4_P12ihipStream_tbEUlT_E0_NS1_11comp_targetILNS1_3genE3ELNS1_11target_archE908ELNS1_3gpuE7ELNS1_3repE0EEENS1_30default_config_static_selectorELNS0_4arch9wavefront6targetE1EEEvSK_.num_named_barrier, 0
	.set _ZN7rocprim17ROCPRIM_400000_NS6detail17trampoline_kernelINS0_14default_configENS1_22reduce_config_selectorIyEEZNS1_11reduce_implILb1ES3_N6thrust23THRUST_200600_302600_NS6detail15normal_iteratorINS8_10device_ptrIyEEEEPiiNS8_4plusIiEEEE10hipError_tPvRmT1_T2_T3_mT4_P12ihipStream_tbEUlT_E0_NS1_11comp_targetILNS1_3genE3ELNS1_11target_archE908ELNS1_3gpuE7ELNS1_3repE0EEENS1_30default_config_static_selectorELNS0_4arch9wavefront6targetE1EEEvSK_.private_seg_size, 0
	.set _ZN7rocprim17ROCPRIM_400000_NS6detail17trampoline_kernelINS0_14default_configENS1_22reduce_config_selectorIyEEZNS1_11reduce_implILb1ES3_N6thrust23THRUST_200600_302600_NS6detail15normal_iteratorINS8_10device_ptrIyEEEEPiiNS8_4plusIiEEEE10hipError_tPvRmT1_T2_T3_mT4_P12ihipStream_tbEUlT_E0_NS1_11comp_targetILNS1_3genE3ELNS1_11target_archE908ELNS1_3gpuE7ELNS1_3repE0EEENS1_30default_config_static_selectorELNS0_4arch9wavefront6targetE1EEEvSK_.uses_vcc, 0
	.set _ZN7rocprim17ROCPRIM_400000_NS6detail17trampoline_kernelINS0_14default_configENS1_22reduce_config_selectorIyEEZNS1_11reduce_implILb1ES3_N6thrust23THRUST_200600_302600_NS6detail15normal_iteratorINS8_10device_ptrIyEEEEPiiNS8_4plusIiEEEE10hipError_tPvRmT1_T2_T3_mT4_P12ihipStream_tbEUlT_E0_NS1_11comp_targetILNS1_3genE3ELNS1_11target_archE908ELNS1_3gpuE7ELNS1_3repE0EEENS1_30default_config_static_selectorELNS0_4arch9wavefront6targetE1EEEvSK_.uses_flat_scratch, 0
	.set _ZN7rocprim17ROCPRIM_400000_NS6detail17trampoline_kernelINS0_14default_configENS1_22reduce_config_selectorIyEEZNS1_11reduce_implILb1ES3_N6thrust23THRUST_200600_302600_NS6detail15normal_iteratorINS8_10device_ptrIyEEEEPiiNS8_4plusIiEEEE10hipError_tPvRmT1_T2_T3_mT4_P12ihipStream_tbEUlT_E0_NS1_11comp_targetILNS1_3genE3ELNS1_11target_archE908ELNS1_3gpuE7ELNS1_3repE0EEENS1_30default_config_static_selectorELNS0_4arch9wavefront6targetE1EEEvSK_.has_dyn_sized_stack, 0
	.set _ZN7rocprim17ROCPRIM_400000_NS6detail17trampoline_kernelINS0_14default_configENS1_22reduce_config_selectorIyEEZNS1_11reduce_implILb1ES3_N6thrust23THRUST_200600_302600_NS6detail15normal_iteratorINS8_10device_ptrIyEEEEPiiNS8_4plusIiEEEE10hipError_tPvRmT1_T2_T3_mT4_P12ihipStream_tbEUlT_E0_NS1_11comp_targetILNS1_3genE3ELNS1_11target_archE908ELNS1_3gpuE7ELNS1_3repE0EEENS1_30default_config_static_selectorELNS0_4arch9wavefront6targetE1EEEvSK_.has_recursion, 0
	.set _ZN7rocprim17ROCPRIM_400000_NS6detail17trampoline_kernelINS0_14default_configENS1_22reduce_config_selectorIyEEZNS1_11reduce_implILb1ES3_N6thrust23THRUST_200600_302600_NS6detail15normal_iteratorINS8_10device_ptrIyEEEEPiiNS8_4plusIiEEEE10hipError_tPvRmT1_T2_T3_mT4_P12ihipStream_tbEUlT_E0_NS1_11comp_targetILNS1_3genE3ELNS1_11target_archE908ELNS1_3gpuE7ELNS1_3repE0EEENS1_30default_config_static_selectorELNS0_4arch9wavefront6targetE1EEEvSK_.has_indirect_call, 0
	.section	.AMDGPU.csdata,"",@progbits
; Kernel info:
; codeLenInByte = 0
; TotalNumSgprs: 6
; NumVgprs: 0
; NumAgprs: 0
; TotalNumVgprs: 0
; ScratchSize: 0
; MemoryBound: 0
; FloatMode: 240
; IeeeMode: 1
; LDSByteSize: 0 bytes/workgroup (compile time only)
; SGPRBlocks: 0
; VGPRBlocks: 0
; NumSGPRsForWavesPerEU: 6
; NumVGPRsForWavesPerEU: 1
; AccumOffset: 4
; Occupancy: 8
; WaveLimiterHint : 0
; COMPUTE_PGM_RSRC2:SCRATCH_EN: 0
; COMPUTE_PGM_RSRC2:USER_SGPR: 2
; COMPUTE_PGM_RSRC2:TRAP_HANDLER: 0
; COMPUTE_PGM_RSRC2:TGID_X_EN: 1
; COMPUTE_PGM_RSRC2:TGID_Y_EN: 0
; COMPUTE_PGM_RSRC2:TGID_Z_EN: 0
; COMPUTE_PGM_RSRC2:TIDIG_COMP_CNT: 0
; COMPUTE_PGM_RSRC3_GFX90A:ACCUM_OFFSET: 0
; COMPUTE_PGM_RSRC3_GFX90A:TG_SPLIT: 0
	.section	.text._ZN7rocprim17ROCPRIM_400000_NS6detail17trampoline_kernelINS0_14default_configENS1_22reduce_config_selectorIyEEZNS1_11reduce_implILb1ES3_N6thrust23THRUST_200600_302600_NS6detail15normal_iteratorINS8_10device_ptrIyEEEEPiiNS8_4plusIiEEEE10hipError_tPvRmT1_T2_T3_mT4_P12ihipStream_tbEUlT_E0_NS1_11comp_targetILNS1_3genE2ELNS1_11target_archE906ELNS1_3gpuE6ELNS1_3repE0EEENS1_30default_config_static_selectorELNS0_4arch9wavefront6targetE1EEEvSK_,"axG",@progbits,_ZN7rocprim17ROCPRIM_400000_NS6detail17trampoline_kernelINS0_14default_configENS1_22reduce_config_selectorIyEEZNS1_11reduce_implILb1ES3_N6thrust23THRUST_200600_302600_NS6detail15normal_iteratorINS8_10device_ptrIyEEEEPiiNS8_4plusIiEEEE10hipError_tPvRmT1_T2_T3_mT4_P12ihipStream_tbEUlT_E0_NS1_11comp_targetILNS1_3genE2ELNS1_11target_archE906ELNS1_3gpuE6ELNS1_3repE0EEENS1_30default_config_static_selectorELNS0_4arch9wavefront6targetE1EEEvSK_,comdat
	.protected	_ZN7rocprim17ROCPRIM_400000_NS6detail17trampoline_kernelINS0_14default_configENS1_22reduce_config_selectorIyEEZNS1_11reduce_implILb1ES3_N6thrust23THRUST_200600_302600_NS6detail15normal_iteratorINS8_10device_ptrIyEEEEPiiNS8_4plusIiEEEE10hipError_tPvRmT1_T2_T3_mT4_P12ihipStream_tbEUlT_E0_NS1_11comp_targetILNS1_3genE2ELNS1_11target_archE906ELNS1_3gpuE6ELNS1_3repE0EEENS1_30default_config_static_selectorELNS0_4arch9wavefront6targetE1EEEvSK_ ; -- Begin function _ZN7rocprim17ROCPRIM_400000_NS6detail17trampoline_kernelINS0_14default_configENS1_22reduce_config_selectorIyEEZNS1_11reduce_implILb1ES3_N6thrust23THRUST_200600_302600_NS6detail15normal_iteratorINS8_10device_ptrIyEEEEPiiNS8_4plusIiEEEE10hipError_tPvRmT1_T2_T3_mT4_P12ihipStream_tbEUlT_E0_NS1_11comp_targetILNS1_3genE2ELNS1_11target_archE906ELNS1_3gpuE6ELNS1_3repE0EEENS1_30default_config_static_selectorELNS0_4arch9wavefront6targetE1EEEvSK_
	.globl	_ZN7rocprim17ROCPRIM_400000_NS6detail17trampoline_kernelINS0_14default_configENS1_22reduce_config_selectorIyEEZNS1_11reduce_implILb1ES3_N6thrust23THRUST_200600_302600_NS6detail15normal_iteratorINS8_10device_ptrIyEEEEPiiNS8_4plusIiEEEE10hipError_tPvRmT1_T2_T3_mT4_P12ihipStream_tbEUlT_E0_NS1_11comp_targetILNS1_3genE2ELNS1_11target_archE906ELNS1_3gpuE6ELNS1_3repE0EEENS1_30default_config_static_selectorELNS0_4arch9wavefront6targetE1EEEvSK_
	.p2align	8
	.type	_ZN7rocprim17ROCPRIM_400000_NS6detail17trampoline_kernelINS0_14default_configENS1_22reduce_config_selectorIyEEZNS1_11reduce_implILb1ES3_N6thrust23THRUST_200600_302600_NS6detail15normal_iteratorINS8_10device_ptrIyEEEEPiiNS8_4plusIiEEEE10hipError_tPvRmT1_T2_T3_mT4_P12ihipStream_tbEUlT_E0_NS1_11comp_targetILNS1_3genE2ELNS1_11target_archE906ELNS1_3gpuE6ELNS1_3repE0EEENS1_30default_config_static_selectorELNS0_4arch9wavefront6targetE1EEEvSK_,@function
_ZN7rocprim17ROCPRIM_400000_NS6detail17trampoline_kernelINS0_14default_configENS1_22reduce_config_selectorIyEEZNS1_11reduce_implILb1ES3_N6thrust23THRUST_200600_302600_NS6detail15normal_iteratorINS8_10device_ptrIyEEEEPiiNS8_4plusIiEEEE10hipError_tPvRmT1_T2_T3_mT4_P12ihipStream_tbEUlT_E0_NS1_11comp_targetILNS1_3genE2ELNS1_11target_archE906ELNS1_3gpuE6ELNS1_3repE0EEENS1_30default_config_static_selectorELNS0_4arch9wavefront6targetE1EEEvSK_: ; @_ZN7rocprim17ROCPRIM_400000_NS6detail17trampoline_kernelINS0_14default_configENS1_22reduce_config_selectorIyEEZNS1_11reduce_implILb1ES3_N6thrust23THRUST_200600_302600_NS6detail15normal_iteratorINS8_10device_ptrIyEEEEPiiNS8_4plusIiEEEE10hipError_tPvRmT1_T2_T3_mT4_P12ihipStream_tbEUlT_E0_NS1_11comp_targetILNS1_3genE2ELNS1_11target_archE906ELNS1_3gpuE6ELNS1_3repE0EEENS1_30default_config_static_selectorELNS0_4arch9wavefront6targetE1EEEvSK_
; %bb.0:
	.section	.rodata,"a",@progbits
	.p2align	6, 0x0
	.amdhsa_kernel _ZN7rocprim17ROCPRIM_400000_NS6detail17trampoline_kernelINS0_14default_configENS1_22reduce_config_selectorIyEEZNS1_11reduce_implILb1ES3_N6thrust23THRUST_200600_302600_NS6detail15normal_iteratorINS8_10device_ptrIyEEEEPiiNS8_4plusIiEEEE10hipError_tPvRmT1_T2_T3_mT4_P12ihipStream_tbEUlT_E0_NS1_11comp_targetILNS1_3genE2ELNS1_11target_archE906ELNS1_3gpuE6ELNS1_3repE0EEENS1_30default_config_static_selectorELNS0_4arch9wavefront6targetE1EEEvSK_
		.amdhsa_group_segment_fixed_size 0
		.amdhsa_private_segment_fixed_size 0
		.amdhsa_kernarg_size 56
		.amdhsa_user_sgpr_count 2
		.amdhsa_user_sgpr_dispatch_ptr 0
		.amdhsa_user_sgpr_queue_ptr 0
		.amdhsa_user_sgpr_kernarg_segment_ptr 1
		.amdhsa_user_sgpr_dispatch_id 0
		.amdhsa_user_sgpr_kernarg_preload_length 0
		.amdhsa_user_sgpr_kernarg_preload_offset 0
		.amdhsa_user_sgpr_private_segment_size 0
		.amdhsa_uses_dynamic_stack 0
		.amdhsa_enable_private_segment 0
		.amdhsa_system_sgpr_workgroup_id_x 1
		.amdhsa_system_sgpr_workgroup_id_y 0
		.amdhsa_system_sgpr_workgroup_id_z 0
		.amdhsa_system_sgpr_workgroup_info 0
		.amdhsa_system_vgpr_workitem_id 0
		.amdhsa_next_free_vgpr 1
		.amdhsa_next_free_sgpr 0
		.amdhsa_accum_offset 4
		.amdhsa_reserve_vcc 0
		.amdhsa_float_round_mode_32 0
		.amdhsa_float_round_mode_16_64 0
		.amdhsa_float_denorm_mode_32 3
		.amdhsa_float_denorm_mode_16_64 3
		.amdhsa_dx10_clamp 1
		.amdhsa_ieee_mode 1
		.amdhsa_fp16_overflow 0
		.amdhsa_tg_split 0
		.amdhsa_exception_fp_ieee_invalid_op 0
		.amdhsa_exception_fp_denorm_src 0
		.amdhsa_exception_fp_ieee_div_zero 0
		.amdhsa_exception_fp_ieee_overflow 0
		.amdhsa_exception_fp_ieee_underflow 0
		.amdhsa_exception_fp_ieee_inexact 0
		.amdhsa_exception_int_div_zero 0
	.end_amdhsa_kernel
	.section	.text._ZN7rocprim17ROCPRIM_400000_NS6detail17trampoline_kernelINS0_14default_configENS1_22reduce_config_selectorIyEEZNS1_11reduce_implILb1ES3_N6thrust23THRUST_200600_302600_NS6detail15normal_iteratorINS8_10device_ptrIyEEEEPiiNS8_4plusIiEEEE10hipError_tPvRmT1_T2_T3_mT4_P12ihipStream_tbEUlT_E0_NS1_11comp_targetILNS1_3genE2ELNS1_11target_archE906ELNS1_3gpuE6ELNS1_3repE0EEENS1_30default_config_static_selectorELNS0_4arch9wavefront6targetE1EEEvSK_,"axG",@progbits,_ZN7rocprim17ROCPRIM_400000_NS6detail17trampoline_kernelINS0_14default_configENS1_22reduce_config_selectorIyEEZNS1_11reduce_implILb1ES3_N6thrust23THRUST_200600_302600_NS6detail15normal_iteratorINS8_10device_ptrIyEEEEPiiNS8_4plusIiEEEE10hipError_tPvRmT1_T2_T3_mT4_P12ihipStream_tbEUlT_E0_NS1_11comp_targetILNS1_3genE2ELNS1_11target_archE906ELNS1_3gpuE6ELNS1_3repE0EEENS1_30default_config_static_selectorELNS0_4arch9wavefront6targetE1EEEvSK_,comdat
.Lfunc_end355:
	.size	_ZN7rocprim17ROCPRIM_400000_NS6detail17trampoline_kernelINS0_14default_configENS1_22reduce_config_selectorIyEEZNS1_11reduce_implILb1ES3_N6thrust23THRUST_200600_302600_NS6detail15normal_iteratorINS8_10device_ptrIyEEEEPiiNS8_4plusIiEEEE10hipError_tPvRmT1_T2_T3_mT4_P12ihipStream_tbEUlT_E0_NS1_11comp_targetILNS1_3genE2ELNS1_11target_archE906ELNS1_3gpuE6ELNS1_3repE0EEENS1_30default_config_static_selectorELNS0_4arch9wavefront6targetE1EEEvSK_, .Lfunc_end355-_ZN7rocprim17ROCPRIM_400000_NS6detail17trampoline_kernelINS0_14default_configENS1_22reduce_config_selectorIyEEZNS1_11reduce_implILb1ES3_N6thrust23THRUST_200600_302600_NS6detail15normal_iteratorINS8_10device_ptrIyEEEEPiiNS8_4plusIiEEEE10hipError_tPvRmT1_T2_T3_mT4_P12ihipStream_tbEUlT_E0_NS1_11comp_targetILNS1_3genE2ELNS1_11target_archE906ELNS1_3gpuE6ELNS1_3repE0EEENS1_30default_config_static_selectorELNS0_4arch9wavefront6targetE1EEEvSK_
                                        ; -- End function
	.set _ZN7rocprim17ROCPRIM_400000_NS6detail17trampoline_kernelINS0_14default_configENS1_22reduce_config_selectorIyEEZNS1_11reduce_implILb1ES3_N6thrust23THRUST_200600_302600_NS6detail15normal_iteratorINS8_10device_ptrIyEEEEPiiNS8_4plusIiEEEE10hipError_tPvRmT1_T2_T3_mT4_P12ihipStream_tbEUlT_E0_NS1_11comp_targetILNS1_3genE2ELNS1_11target_archE906ELNS1_3gpuE6ELNS1_3repE0EEENS1_30default_config_static_selectorELNS0_4arch9wavefront6targetE1EEEvSK_.num_vgpr, 0
	.set _ZN7rocprim17ROCPRIM_400000_NS6detail17trampoline_kernelINS0_14default_configENS1_22reduce_config_selectorIyEEZNS1_11reduce_implILb1ES3_N6thrust23THRUST_200600_302600_NS6detail15normal_iteratorINS8_10device_ptrIyEEEEPiiNS8_4plusIiEEEE10hipError_tPvRmT1_T2_T3_mT4_P12ihipStream_tbEUlT_E0_NS1_11comp_targetILNS1_3genE2ELNS1_11target_archE906ELNS1_3gpuE6ELNS1_3repE0EEENS1_30default_config_static_selectorELNS0_4arch9wavefront6targetE1EEEvSK_.num_agpr, 0
	.set _ZN7rocprim17ROCPRIM_400000_NS6detail17trampoline_kernelINS0_14default_configENS1_22reduce_config_selectorIyEEZNS1_11reduce_implILb1ES3_N6thrust23THRUST_200600_302600_NS6detail15normal_iteratorINS8_10device_ptrIyEEEEPiiNS8_4plusIiEEEE10hipError_tPvRmT1_T2_T3_mT4_P12ihipStream_tbEUlT_E0_NS1_11comp_targetILNS1_3genE2ELNS1_11target_archE906ELNS1_3gpuE6ELNS1_3repE0EEENS1_30default_config_static_selectorELNS0_4arch9wavefront6targetE1EEEvSK_.numbered_sgpr, 0
	.set _ZN7rocprim17ROCPRIM_400000_NS6detail17trampoline_kernelINS0_14default_configENS1_22reduce_config_selectorIyEEZNS1_11reduce_implILb1ES3_N6thrust23THRUST_200600_302600_NS6detail15normal_iteratorINS8_10device_ptrIyEEEEPiiNS8_4plusIiEEEE10hipError_tPvRmT1_T2_T3_mT4_P12ihipStream_tbEUlT_E0_NS1_11comp_targetILNS1_3genE2ELNS1_11target_archE906ELNS1_3gpuE6ELNS1_3repE0EEENS1_30default_config_static_selectorELNS0_4arch9wavefront6targetE1EEEvSK_.num_named_barrier, 0
	.set _ZN7rocprim17ROCPRIM_400000_NS6detail17trampoline_kernelINS0_14default_configENS1_22reduce_config_selectorIyEEZNS1_11reduce_implILb1ES3_N6thrust23THRUST_200600_302600_NS6detail15normal_iteratorINS8_10device_ptrIyEEEEPiiNS8_4plusIiEEEE10hipError_tPvRmT1_T2_T3_mT4_P12ihipStream_tbEUlT_E0_NS1_11comp_targetILNS1_3genE2ELNS1_11target_archE906ELNS1_3gpuE6ELNS1_3repE0EEENS1_30default_config_static_selectorELNS0_4arch9wavefront6targetE1EEEvSK_.private_seg_size, 0
	.set _ZN7rocprim17ROCPRIM_400000_NS6detail17trampoline_kernelINS0_14default_configENS1_22reduce_config_selectorIyEEZNS1_11reduce_implILb1ES3_N6thrust23THRUST_200600_302600_NS6detail15normal_iteratorINS8_10device_ptrIyEEEEPiiNS8_4plusIiEEEE10hipError_tPvRmT1_T2_T3_mT4_P12ihipStream_tbEUlT_E0_NS1_11comp_targetILNS1_3genE2ELNS1_11target_archE906ELNS1_3gpuE6ELNS1_3repE0EEENS1_30default_config_static_selectorELNS0_4arch9wavefront6targetE1EEEvSK_.uses_vcc, 0
	.set _ZN7rocprim17ROCPRIM_400000_NS6detail17trampoline_kernelINS0_14default_configENS1_22reduce_config_selectorIyEEZNS1_11reduce_implILb1ES3_N6thrust23THRUST_200600_302600_NS6detail15normal_iteratorINS8_10device_ptrIyEEEEPiiNS8_4plusIiEEEE10hipError_tPvRmT1_T2_T3_mT4_P12ihipStream_tbEUlT_E0_NS1_11comp_targetILNS1_3genE2ELNS1_11target_archE906ELNS1_3gpuE6ELNS1_3repE0EEENS1_30default_config_static_selectorELNS0_4arch9wavefront6targetE1EEEvSK_.uses_flat_scratch, 0
	.set _ZN7rocprim17ROCPRIM_400000_NS6detail17trampoline_kernelINS0_14default_configENS1_22reduce_config_selectorIyEEZNS1_11reduce_implILb1ES3_N6thrust23THRUST_200600_302600_NS6detail15normal_iteratorINS8_10device_ptrIyEEEEPiiNS8_4plusIiEEEE10hipError_tPvRmT1_T2_T3_mT4_P12ihipStream_tbEUlT_E0_NS1_11comp_targetILNS1_3genE2ELNS1_11target_archE906ELNS1_3gpuE6ELNS1_3repE0EEENS1_30default_config_static_selectorELNS0_4arch9wavefront6targetE1EEEvSK_.has_dyn_sized_stack, 0
	.set _ZN7rocprim17ROCPRIM_400000_NS6detail17trampoline_kernelINS0_14default_configENS1_22reduce_config_selectorIyEEZNS1_11reduce_implILb1ES3_N6thrust23THRUST_200600_302600_NS6detail15normal_iteratorINS8_10device_ptrIyEEEEPiiNS8_4plusIiEEEE10hipError_tPvRmT1_T2_T3_mT4_P12ihipStream_tbEUlT_E0_NS1_11comp_targetILNS1_3genE2ELNS1_11target_archE906ELNS1_3gpuE6ELNS1_3repE0EEENS1_30default_config_static_selectorELNS0_4arch9wavefront6targetE1EEEvSK_.has_recursion, 0
	.set _ZN7rocprim17ROCPRIM_400000_NS6detail17trampoline_kernelINS0_14default_configENS1_22reduce_config_selectorIyEEZNS1_11reduce_implILb1ES3_N6thrust23THRUST_200600_302600_NS6detail15normal_iteratorINS8_10device_ptrIyEEEEPiiNS8_4plusIiEEEE10hipError_tPvRmT1_T2_T3_mT4_P12ihipStream_tbEUlT_E0_NS1_11comp_targetILNS1_3genE2ELNS1_11target_archE906ELNS1_3gpuE6ELNS1_3repE0EEENS1_30default_config_static_selectorELNS0_4arch9wavefront6targetE1EEEvSK_.has_indirect_call, 0
	.section	.AMDGPU.csdata,"",@progbits
; Kernel info:
; codeLenInByte = 0
; TotalNumSgprs: 6
; NumVgprs: 0
; NumAgprs: 0
; TotalNumVgprs: 0
; ScratchSize: 0
; MemoryBound: 0
; FloatMode: 240
; IeeeMode: 1
; LDSByteSize: 0 bytes/workgroup (compile time only)
; SGPRBlocks: 0
; VGPRBlocks: 0
; NumSGPRsForWavesPerEU: 6
; NumVGPRsForWavesPerEU: 1
; AccumOffset: 4
; Occupancy: 8
; WaveLimiterHint : 0
; COMPUTE_PGM_RSRC2:SCRATCH_EN: 0
; COMPUTE_PGM_RSRC2:USER_SGPR: 2
; COMPUTE_PGM_RSRC2:TRAP_HANDLER: 0
; COMPUTE_PGM_RSRC2:TGID_X_EN: 1
; COMPUTE_PGM_RSRC2:TGID_Y_EN: 0
; COMPUTE_PGM_RSRC2:TGID_Z_EN: 0
; COMPUTE_PGM_RSRC2:TIDIG_COMP_CNT: 0
; COMPUTE_PGM_RSRC3_GFX90A:ACCUM_OFFSET: 0
; COMPUTE_PGM_RSRC3_GFX90A:TG_SPLIT: 0
	.section	.text._ZN7rocprim17ROCPRIM_400000_NS6detail17trampoline_kernelINS0_14default_configENS1_22reduce_config_selectorIyEEZNS1_11reduce_implILb1ES3_N6thrust23THRUST_200600_302600_NS6detail15normal_iteratorINS8_10device_ptrIyEEEEPiiNS8_4plusIiEEEE10hipError_tPvRmT1_T2_T3_mT4_P12ihipStream_tbEUlT_E0_NS1_11comp_targetILNS1_3genE10ELNS1_11target_archE1201ELNS1_3gpuE5ELNS1_3repE0EEENS1_30default_config_static_selectorELNS0_4arch9wavefront6targetE1EEEvSK_,"axG",@progbits,_ZN7rocprim17ROCPRIM_400000_NS6detail17trampoline_kernelINS0_14default_configENS1_22reduce_config_selectorIyEEZNS1_11reduce_implILb1ES3_N6thrust23THRUST_200600_302600_NS6detail15normal_iteratorINS8_10device_ptrIyEEEEPiiNS8_4plusIiEEEE10hipError_tPvRmT1_T2_T3_mT4_P12ihipStream_tbEUlT_E0_NS1_11comp_targetILNS1_3genE10ELNS1_11target_archE1201ELNS1_3gpuE5ELNS1_3repE0EEENS1_30default_config_static_selectorELNS0_4arch9wavefront6targetE1EEEvSK_,comdat
	.protected	_ZN7rocprim17ROCPRIM_400000_NS6detail17trampoline_kernelINS0_14default_configENS1_22reduce_config_selectorIyEEZNS1_11reduce_implILb1ES3_N6thrust23THRUST_200600_302600_NS6detail15normal_iteratorINS8_10device_ptrIyEEEEPiiNS8_4plusIiEEEE10hipError_tPvRmT1_T2_T3_mT4_P12ihipStream_tbEUlT_E0_NS1_11comp_targetILNS1_3genE10ELNS1_11target_archE1201ELNS1_3gpuE5ELNS1_3repE0EEENS1_30default_config_static_selectorELNS0_4arch9wavefront6targetE1EEEvSK_ ; -- Begin function _ZN7rocprim17ROCPRIM_400000_NS6detail17trampoline_kernelINS0_14default_configENS1_22reduce_config_selectorIyEEZNS1_11reduce_implILb1ES3_N6thrust23THRUST_200600_302600_NS6detail15normal_iteratorINS8_10device_ptrIyEEEEPiiNS8_4plusIiEEEE10hipError_tPvRmT1_T2_T3_mT4_P12ihipStream_tbEUlT_E0_NS1_11comp_targetILNS1_3genE10ELNS1_11target_archE1201ELNS1_3gpuE5ELNS1_3repE0EEENS1_30default_config_static_selectorELNS0_4arch9wavefront6targetE1EEEvSK_
	.globl	_ZN7rocprim17ROCPRIM_400000_NS6detail17trampoline_kernelINS0_14default_configENS1_22reduce_config_selectorIyEEZNS1_11reduce_implILb1ES3_N6thrust23THRUST_200600_302600_NS6detail15normal_iteratorINS8_10device_ptrIyEEEEPiiNS8_4plusIiEEEE10hipError_tPvRmT1_T2_T3_mT4_P12ihipStream_tbEUlT_E0_NS1_11comp_targetILNS1_3genE10ELNS1_11target_archE1201ELNS1_3gpuE5ELNS1_3repE0EEENS1_30default_config_static_selectorELNS0_4arch9wavefront6targetE1EEEvSK_
	.p2align	8
	.type	_ZN7rocprim17ROCPRIM_400000_NS6detail17trampoline_kernelINS0_14default_configENS1_22reduce_config_selectorIyEEZNS1_11reduce_implILb1ES3_N6thrust23THRUST_200600_302600_NS6detail15normal_iteratorINS8_10device_ptrIyEEEEPiiNS8_4plusIiEEEE10hipError_tPvRmT1_T2_T3_mT4_P12ihipStream_tbEUlT_E0_NS1_11comp_targetILNS1_3genE10ELNS1_11target_archE1201ELNS1_3gpuE5ELNS1_3repE0EEENS1_30default_config_static_selectorELNS0_4arch9wavefront6targetE1EEEvSK_,@function
_ZN7rocprim17ROCPRIM_400000_NS6detail17trampoline_kernelINS0_14default_configENS1_22reduce_config_selectorIyEEZNS1_11reduce_implILb1ES3_N6thrust23THRUST_200600_302600_NS6detail15normal_iteratorINS8_10device_ptrIyEEEEPiiNS8_4plusIiEEEE10hipError_tPvRmT1_T2_T3_mT4_P12ihipStream_tbEUlT_E0_NS1_11comp_targetILNS1_3genE10ELNS1_11target_archE1201ELNS1_3gpuE5ELNS1_3repE0EEENS1_30default_config_static_selectorELNS0_4arch9wavefront6targetE1EEEvSK_: ; @_ZN7rocprim17ROCPRIM_400000_NS6detail17trampoline_kernelINS0_14default_configENS1_22reduce_config_selectorIyEEZNS1_11reduce_implILb1ES3_N6thrust23THRUST_200600_302600_NS6detail15normal_iteratorINS8_10device_ptrIyEEEEPiiNS8_4plusIiEEEE10hipError_tPvRmT1_T2_T3_mT4_P12ihipStream_tbEUlT_E0_NS1_11comp_targetILNS1_3genE10ELNS1_11target_archE1201ELNS1_3gpuE5ELNS1_3repE0EEENS1_30default_config_static_selectorELNS0_4arch9wavefront6targetE1EEEvSK_
; %bb.0:
	.section	.rodata,"a",@progbits
	.p2align	6, 0x0
	.amdhsa_kernel _ZN7rocprim17ROCPRIM_400000_NS6detail17trampoline_kernelINS0_14default_configENS1_22reduce_config_selectorIyEEZNS1_11reduce_implILb1ES3_N6thrust23THRUST_200600_302600_NS6detail15normal_iteratorINS8_10device_ptrIyEEEEPiiNS8_4plusIiEEEE10hipError_tPvRmT1_T2_T3_mT4_P12ihipStream_tbEUlT_E0_NS1_11comp_targetILNS1_3genE10ELNS1_11target_archE1201ELNS1_3gpuE5ELNS1_3repE0EEENS1_30default_config_static_selectorELNS0_4arch9wavefront6targetE1EEEvSK_
		.amdhsa_group_segment_fixed_size 0
		.amdhsa_private_segment_fixed_size 0
		.amdhsa_kernarg_size 56
		.amdhsa_user_sgpr_count 2
		.amdhsa_user_sgpr_dispatch_ptr 0
		.amdhsa_user_sgpr_queue_ptr 0
		.amdhsa_user_sgpr_kernarg_segment_ptr 1
		.amdhsa_user_sgpr_dispatch_id 0
		.amdhsa_user_sgpr_kernarg_preload_length 0
		.amdhsa_user_sgpr_kernarg_preload_offset 0
		.amdhsa_user_sgpr_private_segment_size 0
		.amdhsa_uses_dynamic_stack 0
		.amdhsa_enable_private_segment 0
		.amdhsa_system_sgpr_workgroup_id_x 1
		.amdhsa_system_sgpr_workgroup_id_y 0
		.amdhsa_system_sgpr_workgroup_id_z 0
		.amdhsa_system_sgpr_workgroup_info 0
		.amdhsa_system_vgpr_workitem_id 0
		.amdhsa_next_free_vgpr 1
		.amdhsa_next_free_sgpr 0
		.amdhsa_accum_offset 4
		.amdhsa_reserve_vcc 0
		.amdhsa_float_round_mode_32 0
		.amdhsa_float_round_mode_16_64 0
		.amdhsa_float_denorm_mode_32 3
		.amdhsa_float_denorm_mode_16_64 3
		.amdhsa_dx10_clamp 1
		.amdhsa_ieee_mode 1
		.amdhsa_fp16_overflow 0
		.amdhsa_tg_split 0
		.amdhsa_exception_fp_ieee_invalid_op 0
		.amdhsa_exception_fp_denorm_src 0
		.amdhsa_exception_fp_ieee_div_zero 0
		.amdhsa_exception_fp_ieee_overflow 0
		.amdhsa_exception_fp_ieee_underflow 0
		.amdhsa_exception_fp_ieee_inexact 0
		.amdhsa_exception_int_div_zero 0
	.end_amdhsa_kernel
	.section	.text._ZN7rocprim17ROCPRIM_400000_NS6detail17trampoline_kernelINS0_14default_configENS1_22reduce_config_selectorIyEEZNS1_11reduce_implILb1ES3_N6thrust23THRUST_200600_302600_NS6detail15normal_iteratorINS8_10device_ptrIyEEEEPiiNS8_4plusIiEEEE10hipError_tPvRmT1_T2_T3_mT4_P12ihipStream_tbEUlT_E0_NS1_11comp_targetILNS1_3genE10ELNS1_11target_archE1201ELNS1_3gpuE5ELNS1_3repE0EEENS1_30default_config_static_selectorELNS0_4arch9wavefront6targetE1EEEvSK_,"axG",@progbits,_ZN7rocprim17ROCPRIM_400000_NS6detail17trampoline_kernelINS0_14default_configENS1_22reduce_config_selectorIyEEZNS1_11reduce_implILb1ES3_N6thrust23THRUST_200600_302600_NS6detail15normal_iteratorINS8_10device_ptrIyEEEEPiiNS8_4plusIiEEEE10hipError_tPvRmT1_T2_T3_mT4_P12ihipStream_tbEUlT_E0_NS1_11comp_targetILNS1_3genE10ELNS1_11target_archE1201ELNS1_3gpuE5ELNS1_3repE0EEENS1_30default_config_static_selectorELNS0_4arch9wavefront6targetE1EEEvSK_,comdat
.Lfunc_end356:
	.size	_ZN7rocprim17ROCPRIM_400000_NS6detail17trampoline_kernelINS0_14default_configENS1_22reduce_config_selectorIyEEZNS1_11reduce_implILb1ES3_N6thrust23THRUST_200600_302600_NS6detail15normal_iteratorINS8_10device_ptrIyEEEEPiiNS8_4plusIiEEEE10hipError_tPvRmT1_T2_T3_mT4_P12ihipStream_tbEUlT_E0_NS1_11comp_targetILNS1_3genE10ELNS1_11target_archE1201ELNS1_3gpuE5ELNS1_3repE0EEENS1_30default_config_static_selectorELNS0_4arch9wavefront6targetE1EEEvSK_, .Lfunc_end356-_ZN7rocprim17ROCPRIM_400000_NS6detail17trampoline_kernelINS0_14default_configENS1_22reduce_config_selectorIyEEZNS1_11reduce_implILb1ES3_N6thrust23THRUST_200600_302600_NS6detail15normal_iteratorINS8_10device_ptrIyEEEEPiiNS8_4plusIiEEEE10hipError_tPvRmT1_T2_T3_mT4_P12ihipStream_tbEUlT_E0_NS1_11comp_targetILNS1_3genE10ELNS1_11target_archE1201ELNS1_3gpuE5ELNS1_3repE0EEENS1_30default_config_static_selectorELNS0_4arch9wavefront6targetE1EEEvSK_
                                        ; -- End function
	.set _ZN7rocprim17ROCPRIM_400000_NS6detail17trampoline_kernelINS0_14default_configENS1_22reduce_config_selectorIyEEZNS1_11reduce_implILb1ES3_N6thrust23THRUST_200600_302600_NS6detail15normal_iteratorINS8_10device_ptrIyEEEEPiiNS8_4plusIiEEEE10hipError_tPvRmT1_T2_T3_mT4_P12ihipStream_tbEUlT_E0_NS1_11comp_targetILNS1_3genE10ELNS1_11target_archE1201ELNS1_3gpuE5ELNS1_3repE0EEENS1_30default_config_static_selectorELNS0_4arch9wavefront6targetE1EEEvSK_.num_vgpr, 0
	.set _ZN7rocprim17ROCPRIM_400000_NS6detail17trampoline_kernelINS0_14default_configENS1_22reduce_config_selectorIyEEZNS1_11reduce_implILb1ES3_N6thrust23THRUST_200600_302600_NS6detail15normal_iteratorINS8_10device_ptrIyEEEEPiiNS8_4plusIiEEEE10hipError_tPvRmT1_T2_T3_mT4_P12ihipStream_tbEUlT_E0_NS1_11comp_targetILNS1_3genE10ELNS1_11target_archE1201ELNS1_3gpuE5ELNS1_3repE0EEENS1_30default_config_static_selectorELNS0_4arch9wavefront6targetE1EEEvSK_.num_agpr, 0
	.set _ZN7rocprim17ROCPRIM_400000_NS6detail17trampoline_kernelINS0_14default_configENS1_22reduce_config_selectorIyEEZNS1_11reduce_implILb1ES3_N6thrust23THRUST_200600_302600_NS6detail15normal_iteratorINS8_10device_ptrIyEEEEPiiNS8_4plusIiEEEE10hipError_tPvRmT1_T2_T3_mT4_P12ihipStream_tbEUlT_E0_NS1_11comp_targetILNS1_3genE10ELNS1_11target_archE1201ELNS1_3gpuE5ELNS1_3repE0EEENS1_30default_config_static_selectorELNS0_4arch9wavefront6targetE1EEEvSK_.numbered_sgpr, 0
	.set _ZN7rocprim17ROCPRIM_400000_NS6detail17trampoline_kernelINS0_14default_configENS1_22reduce_config_selectorIyEEZNS1_11reduce_implILb1ES3_N6thrust23THRUST_200600_302600_NS6detail15normal_iteratorINS8_10device_ptrIyEEEEPiiNS8_4plusIiEEEE10hipError_tPvRmT1_T2_T3_mT4_P12ihipStream_tbEUlT_E0_NS1_11comp_targetILNS1_3genE10ELNS1_11target_archE1201ELNS1_3gpuE5ELNS1_3repE0EEENS1_30default_config_static_selectorELNS0_4arch9wavefront6targetE1EEEvSK_.num_named_barrier, 0
	.set _ZN7rocprim17ROCPRIM_400000_NS6detail17trampoline_kernelINS0_14default_configENS1_22reduce_config_selectorIyEEZNS1_11reduce_implILb1ES3_N6thrust23THRUST_200600_302600_NS6detail15normal_iteratorINS8_10device_ptrIyEEEEPiiNS8_4plusIiEEEE10hipError_tPvRmT1_T2_T3_mT4_P12ihipStream_tbEUlT_E0_NS1_11comp_targetILNS1_3genE10ELNS1_11target_archE1201ELNS1_3gpuE5ELNS1_3repE0EEENS1_30default_config_static_selectorELNS0_4arch9wavefront6targetE1EEEvSK_.private_seg_size, 0
	.set _ZN7rocprim17ROCPRIM_400000_NS6detail17trampoline_kernelINS0_14default_configENS1_22reduce_config_selectorIyEEZNS1_11reduce_implILb1ES3_N6thrust23THRUST_200600_302600_NS6detail15normal_iteratorINS8_10device_ptrIyEEEEPiiNS8_4plusIiEEEE10hipError_tPvRmT1_T2_T3_mT4_P12ihipStream_tbEUlT_E0_NS1_11comp_targetILNS1_3genE10ELNS1_11target_archE1201ELNS1_3gpuE5ELNS1_3repE0EEENS1_30default_config_static_selectorELNS0_4arch9wavefront6targetE1EEEvSK_.uses_vcc, 0
	.set _ZN7rocprim17ROCPRIM_400000_NS6detail17trampoline_kernelINS0_14default_configENS1_22reduce_config_selectorIyEEZNS1_11reduce_implILb1ES3_N6thrust23THRUST_200600_302600_NS6detail15normal_iteratorINS8_10device_ptrIyEEEEPiiNS8_4plusIiEEEE10hipError_tPvRmT1_T2_T3_mT4_P12ihipStream_tbEUlT_E0_NS1_11comp_targetILNS1_3genE10ELNS1_11target_archE1201ELNS1_3gpuE5ELNS1_3repE0EEENS1_30default_config_static_selectorELNS0_4arch9wavefront6targetE1EEEvSK_.uses_flat_scratch, 0
	.set _ZN7rocprim17ROCPRIM_400000_NS6detail17trampoline_kernelINS0_14default_configENS1_22reduce_config_selectorIyEEZNS1_11reduce_implILb1ES3_N6thrust23THRUST_200600_302600_NS6detail15normal_iteratorINS8_10device_ptrIyEEEEPiiNS8_4plusIiEEEE10hipError_tPvRmT1_T2_T3_mT4_P12ihipStream_tbEUlT_E0_NS1_11comp_targetILNS1_3genE10ELNS1_11target_archE1201ELNS1_3gpuE5ELNS1_3repE0EEENS1_30default_config_static_selectorELNS0_4arch9wavefront6targetE1EEEvSK_.has_dyn_sized_stack, 0
	.set _ZN7rocprim17ROCPRIM_400000_NS6detail17trampoline_kernelINS0_14default_configENS1_22reduce_config_selectorIyEEZNS1_11reduce_implILb1ES3_N6thrust23THRUST_200600_302600_NS6detail15normal_iteratorINS8_10device_ptrIyEEEEPiiNS8_4plusIiEEEE10hipError_tPvRmT1_T2_T3_mT4_P12ihipStream_tbEUlT_E0_NS1_11comp_targetILNS1_3genE10ELNS1_11target_archE1201ELNS1_3gpuE5ELNS1_3repE0EEENS1_30default_config_static_selectorELNS0_4arch9wavefront6targetE1EEEvSK_.has_recursion, 0
	.set _ZN7rocprim17ROCPRIM_400000_NS6detail17trampoline_kernelINS0_14default_configENS1_22reduce_config_selectorIyEEZNS1_11reduce_implILb1ES3_N6thrust23THRUST_200600_302600_NS6detail15normal_iteratorINS8_10device_ptrIyEEEEPiiNS8_4plusIiEEEE10hipError_tPvRmT1_T2_T3_mT4_P12ihipStream_tbEUlT_E0_NS1_11comp_targetILNS1_3genE10ELNS1_11target_archE1201ELNS1_3gpuE5ELNS1_3repE0EEENS1_30default_config_static_selectorELNS0_4arch9wavefront6targetE1EEEvSK_.has_indirect_call, 0
	.section	.AMDGPU.csdata,"",@progbits
; Kernel info:
; codeLenInByte = 0
; TotalNumSgprs: 6
; NumVgprs: 0
; NumAgprs: 0
; TotalNumVgprs: 0
; ScratchSize: 0
; MemoryBound: 0
; FloatMode: 240
; IeeeMode: 1
; LDSByteSize: 0 bytes/workgroup (compile time only)
; SGPRBlocks: 0
; VGPRBlocks: 0
; NumSGPRsForWavesPerEU: 6
; NumVGPRsForWavesPerEU: 1
; AccumOffset: 4
; Occupancy: 8
; WaveLimiterHint : 0
; COMPUTE_PGM_RSRC2:SCRATCH_EN: 0
; COMPUTE_PGM_RSRC2:USER_SGPR: 2
; COMPUTE_PGM_RSRC2:TRAP_HANDLER: 0
; COMPUTE_PGM_RSRC2:TGID_X_EN: 1
; COMPUTE_PGM_RSRC2:TGID_Y_EN: 0
; COMPUTE_PGM_RSRC2:TGID_Z_EN: 0
; COMPUTE_PGM_RSRC2:TIDIG_COMP_CNT: 0
; COMPUTE_PGM_RSRC3_GFX90A:ACCUM_OFFSET: 0
; COMPUTE_PGM_RSRC3_GFX90A:TG_SPLIT: 0
	.section	.text._ZN7rocprim17ROCPRIM_400000_NS6detail17trampoline_kernelINS0_14default_configENS1_22reduce_config_selectorIyEEZNS1_11reduce_implILb1ES3_N6thrust23THRUST_200600_302600_NS6detail15normal_iteratorINS8_10device_ptrIyEEEEPiiNS8_4plusIiEEEE10hipError_tPvRmT1_T2_T3_mT4_P12ihipStream_tbEUlT_E0_NS1_11comp_targetILNS1_3genE10ELNS1_11target_archE1200ELNS1_3gpuE4ELNS1_3repE0EEENS1_30default_config_static_selectorELNS0_4arch9wavefront6targetE1EEEvSK_,"axG",@progbits,_ZN7rocprim17ROCPRIM_400000_NS6detail17trampoline_kernelINS0_14default_configENS1_22reduce_config_selectorIyEEZNS1_11reduce_implILb1ES3_N6thrust23THRUST_200600_302600_NS6detail15normal_iteratorINS8_10device_ptrIyEEEEPiiNS8_4plusIiEEEE10hipError_tPvRmT1_T2_T3_mT4_P12ihipStream_tbEUlT_E0_NS1_11comp_targetILNS1_3genE10ELNS1_11target_archE1200ELNS1_3gpuE4ELNS1_3repE0EEENS1_30default_config_static_selectorELNS0_4arch9wavefront6targetE1EEEvSK_,comdat
	.protected	_ZN7rocprim17ROCPRIM_400000_NS6detail17trampoline_kernelINS0_14default_configENS1_22reduce_config_selectorIyEEZNS1_11reduce_implILb1ES3_N6thrust23THRUST_200600_302600_NS6detail15normal_iteratorINS8_10device_ptrIyEEEEPiiNS8_4plusIiEEEE10hipError_tPvRmT1_T2_T3_mT4_P12ihipStream_tbEUlT_E0_NS1_11comp_targetILNS1_3genE10ELNS1_11target_archE1200ELNS1_3gpuE4ELNS1_3repE0EEENS1_30default_config_static_selectorELNS0_4arch9wavefront6targetE1EEEvSK_ ; -- Begin function _ZN7rocprim17ROCPRIM_400000_NS6detail17trampoline_kernelINS0_14default_configENS1_22reduce_config_selectorIyEEZNS1_11reduce_implILb1ES3_N6thrust23THRUST_200600_302600_NS6detail15normal_iteratorINS8_10device_ptrIyEEEEPiiNS8_4plusIiEEEE10hipError_tPvRmT1_T2_T3_mT4_P12ihipStream_tbEUlT_E0_NS1_11comp_targetILNS1_3genE10ELNS1_11target_archE1200ELNS1_3gpuE4ELNS1_3repE0EEENS1_30default_config_static_selectorELNS0_4arch9wavefront6targetE1EEEvSK_
	.globl	_ZN7rocprim17ROCPRIM_400000_NS6detail17trampoline_kernelINS0_14default_configENS1_22reduce_config_selectorIyEEZNS1_11reduce_implILb1ES3_N6thrust23THRUST_200600_302600_NS6detail15normal_iteratorINS8_10device_ptrIyEEEEPiiNS8_4plusIiEEEE10hipError_tPvRmT1_T2_T3_mT4_P12ihipStream_tbEUlT_E0_NS1_11comp_targetILNS1_3genE10ELNS1_11target_archE1200ELNS1_3gpuE4ELNS1_3repE0EEENS1_30default_config_static_selectorELNS0_4arch9wavefront6targetE1EEEvSK_
	.p2align	8
	.type	_ZN7rocprim17ROCPRIM_400000_NS6detail17trampoline_kernelINS0_14default_configENS1_22reduce_config_selectorIyEEZNS1_11reduce_implILb1ES3_N6thrust23THRUST_200600_302600_NS6detail15normal_iteratorINS8_10device_ptrIyEEEEPiiNS8_4plusIiEEEE10hipError_tPvRmT1_T2_T3_mT4_P12ihipStream_tbEUlT_E0_NS1_11comp_targetILNS1_3genE10ELNS1_11target_archE1200ELNS1_3gpuE4ELNS1_3repE0EEENS1_30default_config_static_selectorELNS0_4arch9wavefront6targetE1EEEvSK_,@function
_ZN7rocprim17ROCPRIM_400000_NS6detail17trampoline_kernelINS0_14default_configENS1_22reduce_config_selectorIyEEZNS1_11reduce_implILb1ES3_N6thrust23THRUST_200600_302600_NS6detail15normal_iteratorINS8_10device_ptrIyEEEEPiiNS8_4plusIiEEEE10hipError_tPvRmT1_T2_T3_mT4_P12ihipStream_tbEUlT_E0_NS1_11comp_targetILNS1_3genE10ELNS1_11target_archE1200ELNS1_3gpuE4ELNS1_3repE0EEENS1_30default_config_static_selectorELNS0_4arch9wavefront6targetE1EEEvSK_: ; @_ZN7rocprim17ROCPRIM_400000_NS6detail17trampoline_kernelINS0_14default_configENS1_22reduce_config_selectorIyEEZNS1_11reduce_implILb1ES3_N6thrust23THRUST_200600_302600_NS6detail15normal_iteratorINS8_10device_ptrIyEEEEPiiNS8_4plusIiEEEE10hipError_tPvRmT1_T2_T3_mT4_P12ihipStream_tbEUlT_E0_NS1_11comp_targetILNS1_3genE10ELNS1_11target_archE1200ELNS1_3gpuE4ELNS1_3repE0EEENS1_30default_config_static_selectorELNS0_4arch9wavefront6targetE1EEEvSK_
; %bb.0:
	.section	.rodata,"a",@progbits
	.p2align	6, 0x0
	.amdhsa_kernel _ZN7rocprim17ROCPRIM_400000_NS6detail17trampoline_kernelINS0_14default_configENS1_22reduce_config_selectorIyEEZNS1_11reduce_implILb1ES3_N6thrust23THRUST_200600_302600_NS6detail15normal_iteratorINS8_10device_ptrIyEEEEPiiNS8_4plusIiEEEE10hipError_tPvRmT1_T2_T3_mT4_P12ihipStream_tbEUlT_E0_NS1_11comp_targetILNS1_3genE10ELNS1_11target_archE1200ELNS1_3gpuE4ELNS1_3repE0EEENS1_30default_config_static_selectorELNS0_4arch9wavefront6targetE1EEEvSK_
		.amdhsa_group_segment_fixed_size 0
		.amdhsa_private_segment_fixed_size 0
		.amdhsa_kernarg_size 56
		.amdhsa_user_sgpr_count 2
		.amdhsa_user_sgpr_dispatch_ptr 0
		.amdhsa_user_sgpr_queue_ptr 0
		.amdhsa_user_sgpr_kernarg_segment_ptr 1
		.amdhsa_user_sgpr_dispatch_id 0
		.amdhsa_user_sgpr_kernarg_preload_length 0
		.amdhsa_user_sgpr_kernarg_preload_offset 0
		.amdhsa_user_sgpr_private_segment_size 0
		.amdhsa_uses_dynamic_stack 0
		.amdhsa_enable_private_segment 0
		.amdhsa_system_sgpr_workgroup_id_x 1
		.amdhsa_system_sgpr_workgroup_id_y 0
		.amdhsa_system_sgpr_workgroup_id_z 0
		.amdhsa_system_sgpr_workgroup_info 0
		.amdhsa_system_vgpr_workitem_id 0
		.amdhsa_next_free_vgpr 1
		.amdhsa_next_free_sgpr 0
		.amdhsa_accum_offset 4
		.amdhsa_reserve_vcc 0
		.amdhsa_float_round_mode_32 0
		.amdhsa_float_round_mode_16_64 0
		.amdhsa_float_denorm_mode_32 3
		.amdhsa_float_denorm_mode_16_64 3
		.amdhsa_dx10_clamp 1
		.amdhsa_ieee_mode 1
		.amdhsa_fp16_overflow 0
		.amdhsa_tg_split 0
		.amdhsa_exception_fp_ieee_invalid_op 0
		.amdhsa_exception_fp_denorm_src 0
		.amdhsa_exception_fp_ieee_div_zero 0
		.amdhsa_exception_fp_ieee_overflow 0
		.amdhsa_exception_fp_ieee_underflow 0
		.amdhsa_exception_fp_ieee_inexact 0
		.amdhsa_exception_int_div_zero 0
	.end_amdhsa_kernel
	.section	.text._ZN7rocprim17ROCPRIM_400000_NS6detail17trampoline_kernelINS0_14default_configENS1_22reduce_config_selectorIyEEZNS1_11reduce_implILb1ES3_N6thrust23THRUST_200600_302600_NS6detail15normal_iteratorINS8_10device_ptrIyEEEEPiiNS8_4plusIiEEEE10hipError_tPvRmT1_T2_T3_mT4_P12ihipStream_tbEUlT_E0_NS1_11comp_targetILNS1_3genE10ELNS1_11target_archE1200ELNS1_3gpuE4ELNS1_3repE0EEENS1_30default_config_static_selectorELNS0_4arch9wavefront6targetE1EEEvSK_,"axG",@progbits,_ZN7rocprim17ROCPRIM_400000_NS6detail17trampoline_kernelINS0_14default_configENS1_22reduce_config_selectorIyEEZNS1_11reduce_implILb1ES3_N6thrust23THRUST_200600_302600_NS6detail15normal_iteratorINS8_10device_ptrIyEEEEPiiNS8_4plusIiEEEE10hipError_tPvRmT1_T2_T3_mT4_P12ihipStream_tbEUlT_E0_NS1_11comp_targetILNS1_3genE10ELNS1_11target_archE1200ELNS1_3gpuE4ELNS1_3repE0EEENS1_30default_config_static_selectorELNS0_4arch9wavefront6targetE1EEEvSK_,comdat
.Lfunc_end357:
	.size	_ZN7rocprim17ROCPRIM_400000_NS6detail17trampoline_kernelINS0_14default_configENS1_22reduce_config_selectorIyEEZNS1_11reduce_implILb1ES3_N6thrust23THRUST_200600_302600_NS6detail15normal_iteratorINS8_10device_ptrIyEEEEPiiNS8_4plusIiEEEE10hipError_tPvRmT1_T2_T3_mT4_P12ihipStream_tbEUlT_E0_NS1_11comp_targetILNS1_3genE10ELNS1_11target_archE1200ELNS1_3gpuE4ELNS1_3repE0EEENS1_30default_config_static_selectorELNS0_4arch9wavefront6targetE1EEEvSK_, .Lfunc_end357-_ZN7rocprim17ROCPRIM_400000_NS6detail17trampoline_kernelINS0_14default_configENS1_22reduce_config_selectorIyEEZNS1_11reduce_implILb1ES3_N6thrust23THRUST_200600_302600_NS6detail15normal_iteratorINS8_10device_ptrIyEEEEPiiNS8_4plusIiEEEE10hipError_tPvRmT1_T2_T3_mT4_P12ihipStream_tbEUlT_E0_NS1_11comp_targetILNS1_3genE10ELNS1_11target_archE1200ELNS1_3gpuE4ELNS1_3repE0EEENS1_30default_config_static_selectorELNS0_4arch9wavefront6targetE1EEEvSK_
                                        ; -- End function
	.set _ZN7rocprim17ROCPRIM_400000_NS6detail17trampoline_kernelINS0_14default_configENS1_22reduce_config_selectorIyEEZNS1_11reduce_implILb1ES3_N6thrust23THRUST_200600_302600_NS6detail15normal_iteratorINS8_10device_ptrIyEEEEPiiNS8_4plusIiEEEE10hipError_tPvRmT1_T2_T3_mT4_P12ihipStream_tbEUlT_E0_NS1_11comp_targetILNS1_3genE10ELNS1_11target_archE1200ELNS1_3gpuE4ELNS1_3repE0EEENS1_30default_config_static_selectorELNS0_4arch9wavefront6targetE1EEEvSK_.num_vgpr, 0
	.set _ZN7rocprim17ROCPRIM_400000_NS6detail17trampoline_kernelINS0_14default_configENS1_22reduce_config_selectorIyEEZNS1_11reduce_implILb1ES3_N6thrust23THRUST_200600_302600_NS6detail15normal_iteratorINS8_10device_ptrIyEEEEPiiNS8_4plusIiEEEE10hipError_tPvRmT1_T2_T3_mT4_P12ihipStream_tbEUlT_E0_NS1_11comp_targetILNS1_3genE10ELNS1_11target_archE1200ELNS1_3gpuE4ELNS1_3repE0EEENS1_30default_config_static_selectorELNS0_4arch9wavefront6targetE1EEEvSK_.num_agpr, 0
	.set _ZN7rocprim17ROCPRIM_400000_NS6detail17trampoline_kernelINS0_14default_configENS1_22reduce_config_selectorIyEEZNS1_11reduce_implILb1ES3_N6thrust23THRUST_200600_302600_NS6detail15normal_iteratorINS8_10device_ptrIyEEEEPiiNS8_4plusIiEEEE10hipError_tPvRmT1_T2_T3_mT4_P12ihipStream_tbEUlT_E0_NS1_11comp_targetILNS1_3genE10ELNS1_11target_archE1200ELNS1_3gpuE4ELNS1_3repE0EEENS1_30default_config_static_selectorELNS0_4arch9wavefront6targetE1EEEvSK_.numbered_sgpr, 0
	.set _ZN7rocprim17ROCPRIM_400000_NS6detail17trampoline_kernelINS0_14default_configENS1_22reduce_config_selectorIyEEZNS1_11reduce_implILb1ES3_N6thrust23THRUST_200600_302600_NS6detail15normal_iteratorINS8_10device_ptrIyEEEEPiiNS8_4plusIiEEEE10hipError_tPvRmT1_T2_T3_mT4_P12ihipStream_tbEUlT_E0_NS1_11comp_targetILNS1_3genE10ELNS1_11target_archE1200ELNS1_3gpuE4ELNS1_3repE0EEENS1_30default_config_static_selectorELNS0_4arch9wavefront6targetE1EEEvSK_.num_named_barrier, 0
	.set _ZN7rocprim17ROCPRIM_400000_NS6detail17trampoline_kernelINS0_14default_configENS1_22reduce_config_selectorIyEEZNS1_11reduce_implILb1ES3_N6thrust23THRUST_200600_302600_NS6detail15normal_iteratorINS8_10device_ptrIyEEEEPiiNS8_4plusIiEEEE10hipError_tPvRmT1_T2_T3_mT4_P12ihipStream_tbEUlT_E0_NS1_11comp_targetILNS1_3genE10ELNS1_11target_archE1200ELNS1_3gpuE4ELNS1_3repE0EEENS1_30default_config_static_selectorELNS0_4arch9wavefront6targetE1EEEvSK_.private_seg_size, 0
	.set _ZN7rocprim17ROCPRIM_400000_NS6detail17trampoline_kernelINS0_14default_configENS1_22reduce_config_selectorIyEEZNS1_11reduce_implILb1ES3_N6thrust23THRUST_200600_302600_NS6detail15normal_iteratorINS8_10device_ptrIyEEEEPiiNS8_4plusIiEEEE10hipError_tPvRmT1_T2_T3_mT4_P12ihipStream_tbEUlT_E0_NS1_11comp_targetILNS1_3genE10ELNS1_11target_archE1200ELNS1_3gpuE4ELNS1_3repE0EEENS1_30default_config_static_selectorELNS0_4arch9wavefront6targetE1EEEvSK_.uses_vcc, 0
	.set _ZN7rocprim17ROCPRIM_400000_NS6detail17trampoline_kernelINS0_14default_configENS1_22reduce_config_selectorIyEEZNS1_11reduce_implILb1ES3_N6thrust23THRUST_200600_302600_NS6detail15normal_iteratorINS8_10device_ptrIyEEEEPiiNS8_4plusIiEEEE10hipError_tPvRmT1_T2_T3_mT4_P12ihipStream_tbEUlT_E0_NS1_11comp_targetILNS1_3genE10ELNS1_11target_archE1200ELNS1_3gpuE4ELNS1_3repE0EEENS1_30default_config_static_selectorELNS0_4arch9wavefront6targetE1EEEvSK_.uses_flat_scratch, 0
	.set _ZN7rocprim17ROCPRIM_400000_NS6detail17trampoline_kernelINS0_14default_configENS1_22reduce_config_selectorIyEEZNS1_11reduce_implILb1ES3_N6thrust23THRUST_200600_302600_NS6detail15normal_iteratorINS8_10device_ptrIyEEEEPiiNS8_4plusIiEEEE10hipError_tPvRmT1_T2_T3_mT4_P12ihipStream_tbEUlT_E0_NS1_11comp_targetILNS1_3genE10ELNS1_11target_archE1200ELNS1_3gpuE4ELNS1_3repE0EEENS1_30default_config_static_selectorELNS0_4arch9wavefront6targetE1EEEvSK_.has_dyn_sized_stack, 0
	.set _ZN7rocprim17ROCPRIM_400000_NS6detail17trampoline_kernelINS0_14default_configENS1_22reduce_config_selectorIyEEZNS1_11reduce_implILb1ES3_N6thrust23THRUST_200600_302600_NS6detail15normal_iteratorINS8_10device_ptrIyEEEEPiiNS8_4plusIiEEEE10hipError_tPvRmT1_T2_T3_mT4_P12ihipStream_tbEUlT_E0_NS1_11comp_targetILNS1_3genE10ELNS1_11target_archE1200ELNS1_3gpuE4ELNS1_3repE0EEENS1_30default_config_static_selectorELNS0_4arch9wavefront6targetE1EEEvSK_.has_recursion, 0
	.set _ZN7rocprim17ROCPRIM_400000_NS6detail17trampoline_kernelINS0_14default_configENS1_22reduce_config_selectorIyEEZNS1_11reduce_implILb1ES3_N6thrust23THRUST_200600_302600_NS6detail15normal_iteratorINS8_10device_ptrIyEEEEPiiNS8_4plusIiEEEE10hipError_tPvRmT1_T2_T3_mT4_P12ihipStream_tbEUlT_E0_NS1_11comp_targetILNS1_3genE10ELNS1_11target_archE1200ELNS1_3gpuE4ELNS1_3repE0EEENS1_30default_config_static_selectorELNS0_4arch9wavefront6targetE1EEEvSK_.has_indirect_call, 0
	.section	.AMDGPU.csdata,"",@progbits
; Kernel info:
; codeLenInByte = 0
; TotalNumSgprs: 6
; NumVgprs: 0
; NumAgprs: 0
; TotalNumVgprs: 0
; ScratchSize: 0
; MemoryBound: 0
; FloatMode: 240
; IeeeMode: 1
; LDSByteSize: 0 bytes/workgroup (compile time only)
; SGPRBlocks: 0
; VGPRBlocks: 0
; NumSGPRsForWavesPerEU: 6
; NumVGPRsForWavesPerEU: 1
; AccumOffset: 4
; Occupancy: 8
; WaveLimiterHint : 0
; COMPUTE_PGM_RSRC2:SCRATCH_EN: 0
; COMPUTE_PGM_RSRC2:USER_SGPR: 2
; COMPUTE_PGM_RSRC2:TRAP_HANDLER: 0
; COMPUTE_PGM_RSRC2:TGID_X_EN: 1
; COMPUTE_PGM_RSRC2:TGID_Y_EN: 0
; COMPUTE_PGM_RSRC2:TGID_Z_EN: 0
; COMPUTE_PGM_RSRC2:TIDIG_COMP_CNT: 0
; COMPUTE_PGM_RSRC3_GFX90A:ACCUM_OFFSET: 0
; COMPUTE_PGM_RSRC3_GFX90A:TG_SPLIT: 0
	.section	.text._ZN7rocprim17ROCPRIM_400000_NS6detail17trampoline_kernelINS0_14default_configENS1_22reduce_config_selectorIyEEZNS1_11reduce_implILb1ES3_N6thrust23THRUST_200600_302600_NS6detail15normal_iteratorINS8_10device_ptrIyEEEEPiiNS8_4plusIiEEEE10hipError_tPvRmT1_T2_T3_mT4_P12ihipStream_tbEUlT_E0_NS1_11comp_targetILNS1_3genE9ELNS1_11target_archE1100ELNS1_3gpuE3ELNS1_3repE0EEENS1_30default_config_static_selectorELNS0_4arch9wavefront6targetE1EEEvSK_,"axG",@progbits,_ZN7rocprim17ROCPRIM_400000_NS6detail17trampoline_kernelINS0_14default_configENS1_22reduce_config_selectorIyEEZNS1_11reduce_implILb1ES3_N6thrust23THRUST_200600_302600_NS6detail15normal_iteratorINS8_10device_ptrIyEEEEPiiNS8_4plusIiEEEE10hipError_tPvRmT1_T2_T3_mT4_P12ihipStream_tbEUlT_E0_NS1_11comp_targetILNS1_3genE9ELNS1_11target_archE1100ELNS1_3gpuE3ELNS1_3repE0EEENS1_30default_config_static_selectorELNS0_4arch9wavefront6targetE1EEEvSK_,comdat
	.protected	_ZN7rocprim17ROCPRIM_400000_NS6detail17trampoline_kernelINS0_14default_configENS1_22reduce_config_selectorIyEEZNS1_11reduce_implILb1ES3_N6thrust23THRUST_200600_302600_NS6detail15normal_iteratorINS8_10device_ptrIyEEEEPiiNS8_4plusIiEEEE10hipError_tPvRmT1_T2_T3_mT4_P12ihipStream_tbEUlT_E0_NS1_11comp_targetILNS1_3genE9ELNS1_11target_archE1100ELNS1_3gpuE3ELNS1_3repE0EEENS1_30default_config_static_selectorELNS0_4arch9wavefront6targetE1EEEvSK_ ; -- Begin function _ZN7rocprim17ROCPRIM_400000_NS6detail17trampoline_kernelINS0_14default_configENS1_22reduce_config_selectorIyEEZNS1_11reduce_implILb1ES3_N6thrust23THRUST_200600_302600_NS6detail15normal_iteratorINS8_10device_ptrIyEEEEPiiNS8_4plusIiEEEE10hipError_tPvRmT1_T2_T3_mT4_P12ihipStream_tbEUlT_E0_NS1_11comp_targetILNS1_3genE9ELNS1_11target_archE1100ELNS1_3gpuE3ELNS1_3repE0EEENS1_30default_config_static_selectorELNS0_4arch9wavefront6targetE1EEEvSK_
	.globl	_ZN7rocprim17ROCPRIM_400000_NS6detail17trampoline_kernelINS0_14default_configENS1_22reduce_config_selectorIyEEZNS1_11reduce_implILb1ES3_N6thrust23THRUST_200600_302600_NS6detail15normal_iteratorINS8_10device_ptrIyEEEEPiiNS8_4plusIiEEEE10hipError_tPvRmT1_T2_T3_mT4_P12ihipStream_tbEUlT_E0_NS1_11comp_targetILNS1_3genE9ELNS1_11target_archE1100ELNS1_3gpuE3ELNS1_3repE0EEENS1_30default_config_static_selectorELNS0_4arch9wavefront6targetE1EEEvSK_
	.p2align	8
	.type	_ZN7rocprim17ROCPRIM_400000_NS6detail17trampoline_kernelINS0_14default_configENS1_22reduce_config_selectorIyEEZNS1_11reduce_implILb1ES3_N6thrust23THRUST_200600_302600_NS6detail15normal_iteratorINS8_10device_ptrIyEEEEPiiNS8_4plusIiEEEE10hipError_tPvRmT1_T2_T3_mT4_P12ihipStream_tbEUlT_E0_NS1_11comp_targetILNS1_3genE9ELNS1_11target_archE1100ELNS1_3gpuE3ELNS1_3repE0EEENS1_30default_config_static_selectorELNS0_4arch9wavefront6targetE1EEEvSK_,@function
_ZN7rocprim17ROCPRIM_400000_NS6detail17trampoline_kernelINS0_14default_configENS1_22reduce_config_selectorIyEEZNS1_11reduce_implILb1ES3_N6thrust23THRUST_200600_302600_NS6detail15normal_iteratorINS8_10device_ptrIyEEEEPiiNS8_4plusIiEEEE10hipError_tPvRmT1_T2_T3_mT4_P12ihipStream_tbEUlT_E0_NS1_11comp_targetILNS1_3genE9ELNS1_11target_archE1100ELNS1_3gpuE3ELNS1_3repE0EEENS1_30default_config_static_selectorELNS0_4arch9wavefront6targetE1EEEvSK_: ; @_ZN7rocprim17ROCPRIM_400000_NS6detail17trampoline_kernelINS0_14default_configENS1_22reduce_config_selectorIyEEZNS1_11reduce_implILb1ES3_N6thrust23THRUST_200600_302600_NS6detail15normal_iteratorINS8_10device_ptrIyEEEEPiiNS8_4plusIiEEEE10hipError_tPvRmT1_T2_T3_mT4_P12ihipStream_tbEUlT_E0_NS1_11comp_targetILNS1_3genE9ELNS1_11target_archE1100ELNS1_3gpuE3ELNS1_3repE0EEENS1_30default_config_static_selectorELNS0_4arch9wavefront6targetE1EEEvSK_
; %bb.0:
	.section	.rodata,"a",@progbits
	.p2align	6, 0x0
	.amdhsa_kernel _ZN7rocprim17ROCPRIM_400000_NS6detail17trampoline_kernelINS0_14default_configENS1_22reduce_config_selectorIyEEZNS1_11reduce_implILb1ES3_N6thrust23THRUST_200600_302600_NS6detail15normal_iteratorINS8_10device_ptrIyEEEEPiiNS8_4plusIiEEEE10hipError_tPvRmT1_T2_T3_mT4_P12ihipStream_tbEUlT_E0_NS1_11comp_targetILNS1_3genE9ELNS1_11target_archE1100ELNS1_3gpuE3ELNS1_3repE0EEENS1_30default_config_static_selectorELNS0_4arch9wavefront6targetE1EEEvSK_
		.amdhsa_group_segment_fixed_size 0
		.amdhsa_private_segment_fixed_size 0
		.amdhsa_kernarg_size 56
		.amdhsa_user_sgpr_count 2
		.amdhsa_user_sgpr_dispatch_ptr 0
		.amdhsa_user_sgpr_queue_ptr 0
		.amdhsa_user_sgpr_kernarg_segment_ptr 1
		.amdhsa_user_sgpr_dispatch_id 0
		.amdhsa_user_sgpr_kernarg_preload_length 0
		.amdhsa_user_sgpr_kernarg_preload_offset 0
		.amdhsa_user_sgpr_private_segment_size 0
		.amdhsa_uses_dynamic_stack 0
		.amdhsa_enable_private_segment 0
		.amdhsa_system_sgpr_workgroup_id_x 1
		.amdhsa_system_sgpr_workgroup_id_y 0
		.amdhsa_system_sgpr_workgroup_id_z 0
		.amdhsa_system_sgpr_workgroup_info 0
		.amdhsa_system_vgpr_workitem_id 0
		.amdhsa_next_free_vgpr 1
		.amdhsa_next_free_sgpr 0
		.amdhsa_accum_offset 4
		.amdhsa_reserve_vcc 0
		.amdhsa_float_round_mode_32 0
		.amdhsa_float_round_mode_16_64 0
		.amdhsa_float_denorm_mode_32 3
		.amdhsa_float_denorm_mode_16_64 3
		.amdhsa_dx10_clamp 1
		.amdhsa_ieee_mode 1
		.amdhsa_fp16_overflow 0
		.amdhsa_tg_split 0
		.amdhsa_exception_fp_ieee_invalid_op 0
		.amdhsa_exception_fp_denorm_src 0
		.amdhsa_exception_fp_ieee_div_zero 0
		.amdhsa_exception_fp_ieee_overflow 0
		.amdhsa_exception_fp_ieee_underflow 0
		.amdhsa_exception_fp_ieee_inexact 0
		.amdhsa_exception_int_div_zero 0
	.end_amdhsa_kernel
	.section	.text._ZN7rocprim17ROCPRIM_400000_NS6detail17trampoline_kernelINS0_14default_configENS1_22reduce_config_selectorIyEEZNS1_11reduce_implILb1ES3_N6thrust23THRUST_200600_302600_NS6detail15normal_iteratorINS8_10device_ptrIyEEEEPiiNS8_4plusIiEEEE10hipError_tPvRmT1_T2_T3_mT4_P12ihipStream_tbEUlT_E0_NS1_11comp_targetILNS1_3genE9ELNS1_11target_archE1100ELNS1_3gpuE3ELNS1_3repE0EEENS1_30default_config_static_selectorELNS0_4arch9wavefront6targetE1EEEvSK_,"axG",@progbits,_ZN7rocprim17ROCPRIM_400000_NS6detail17trampoline_kernelINS0_14default_configENS1_22reduce_config_selectorIyEEZNS1_11reduce_implILb1ES3_N6thrust23THRUST_200600_302600_NS6detail15normal_iteratorINS8_10device_ptrIyEEEEPiiNS8_4plusIiEEEE10hipError_tPvRmT1_T2_T3_mT4_P12ihipStream_tbEUlT_E0_NS1_11comp_targetILNS1_3genE9ELNS1_11target_archE1100ELNS1_3gpuE3ELNS1_3repE0EEENS1_30default_config_static_selectorELNS0_4arch9wavefront6targetE1EEEvSK_,comdat
.Lfunc_end358:
	.size	_ZN7rocprim17ROCPRIM_400000_NS6detail17trampoline_kernelINS0_14default_configENS1_22reduce_config_selectorIyEEZNS1_11reduce_implILb1ES3_N6thrust23THRUST_200600_302600_NS6detail15normal_iteratorINS8_10device_ptrIyEEEEPiiNS8_4plusIiEEEE10hipError_tPvRmT1_T2_T3_mT4_P12ihipStream_tbEUlT_E0_NS1_11comp_targetILNS1_3genE9ELNS1_11target_archE1100ELNS1_3gpuE3ELNS1_3repE0EEENS1_30default_config_static_selectorELNS0_4arch9wavefront6targetE1EEEvSK_, .Lfunc_end358-_ZN7rocprim17ROCPRIM_400000_NS6detail17trampoline_kernelINS0_14default_configENS1_22reduce_config_selectorIyEEZNS1_11reduce_implILb1ES3_N6thrust23THRUST_200600_302600_NS6detail15normal_iteratorINS8_10device_ptrIyEEEEPiiNS8_4plusIiEEEE10hipError_tPvRmT1_T2_T3_mT4_P12ihipStream_tbEUlT_E0_NS1_11comp_targetILNS1_3genE9ELNS1_11target_archE1100ELNS1_3gpuE3ELNS1_3repE0EEENS1_30default_config_static_selectorELNS0_4arch9wavefront6targetE1EEEvSK_
                                        ; -- End function
	.set _ZN7rocprim17ROCPRIM_400000_NS6detail17trampoline_kernelINS0_14default_configENS1_22reduce_config_selectorIyEEZNS1_11reduce_implILb1ES3_N6thrust23THRUST_200600_302600_NS6detail15normal_iteratorINS8_10device_ptrIyEEEEPiiNS8_4plusIiEEEE10hipError_tPvRmT1_T2_T3_mT4_P12ihipStream_tbEUlT_E0_NS1_11comp_targetILNS1_3genE9ELNS1_11target_archE1100ELNS1_3gpuE3ELNS1_3repE0EEENS1_30default_config_static_selectorELNS0_4arch9wavefront6targetE1EEEvSK_.num_vgpr, 0
	.set _ZN7rocprim17ROCPRIM_400000_NS6detail17trampoline_kernelINS0_14default_configENS1_22reduce_config_selectorIyEEZNS1_11reduce_implILb1ES3_N6thrust23THRUST_200600_302600_NS6detail15normal_iteratorINS8_10device_ptrIyEEEEPiiNS8_4plusIiEEEE10hipError_tPvRmT1_T2_T3_mT4_P12ihipStream_tbEUlT_E0_NS1_11comp_targetILNS1_3genE9ELNS1_11target_archE1100ELNS1_3gpuE3ELNS1_3repE0EEENS1_30default_config_static_selectorELNS0_4arch9wavefront6targetE1EEEvSK_.num_agpr, 0
	.set _ZN7rocprim17ROCPRIM_400000_NS6detail17trampoline_kernelINS0_14default_configENS1_22reduce_config_selectorIyEEZNS1_11reduce_implILb1ES3_N6thrust23THRUST_200600_302600_NS6detail15normal_iteratorINS8_10device_ptrIyEEEEPiiNS8_4plusIiEEEE10hipError_tPvRmT1_T2_T3_mT4_P12ihipStream_tbEUlT_E0_NS1_11comp_targetILNS1_3genE9ELNS1_11target_archE1100ELNS1_3gpuE3ELNS1_3repE0EEENS1_30default_config_static_selectorELNS0_4arch9wavefront6targetE1EEEvSK_.numbered_sgpr, 0
	.set _ZN7rocprim17ROCPRIM_400000_NS6detail17trampoline_kernelINS0_14default_configENS1_22reduce_config_selectorIyEEZNS1_11reduce_implILb1ES3_N6thrust23THRUST_200600_302600_NS6detail15normal_iteratorINS8_10device_ptrIyEEEEPiiNS8_4plusIiEEEE10hipError_tPvRmT1_T2_T3_mT4_P12ihipStream_tbEUlT_E0_NS1_11comp_targetILNS1_3genE9ELNS1_11target_archE1100ELNS1_3gpuE3ELNS1_3repE0EEENS1_30default_config_static_selectorELNS0_4arch9wavefront6targetE1EEEvSK_.num_named_barrier, 0
	.set _ZN7rocprim17ROCPRIM_400000_NS6detail17trampoline_kernelINS0_14default_configENS1_22reduce_config_selectorIyEEZNS1_11reduce_implILb1ES3_N6thrust23THRUST_200600_302600_NS6detail15normal_iteratorINS8_10device_ptrIyEEEEPiiNS8_4plusIiEEEE10hipError_tPvRmT1_T2_T3_mT4_P12ihipStream_tbEUlT_E0_NS1_11comp_targetILNS1_3genE9ELNS1_11target_archE1100ELNS1_3gpuE3ELNS1_3repE0EEENS1_30default_config_static_selectorELNS0_4arch9wavefront6targetE1EEEvSK_.private_seg_size, 0
	.set _ZN7rocprim17ROCPRIM_400000_NS6detail17trampoline_kernelINS0_14default_configENS1_22reduce_config_selectorIyEEZNS1_11reduce_implILb1ES3_N6thrust23THRUST_200600_302600_NS6detail15normal_iteratorINS8_10device_ptrIyEEEEPiiNS8_4plusIiEEEE10hipError_tPvRmT1_T2_T3_mT4_P12ihipStream_tbEUlT_E0_NS1_11comp_targetILNS1_3genE9ELNS1_11target_archE1100ELNS1_3gpuE3ELNS1_3repE0EEENS1_30default_config_static_selectorELNS0_4arch9wavefront6targetE1EEEvSK_.uses_vcc, 0
	.set _ZN7rocprim17ROCPRIM_400000_NS6detail17trampoline_kernelINS0_14default_configENS1_22reduce_config_selectorIyEEZNS1_11reduce_implILb1ES3_N6thrust23THRUST_200600_302600_NS6detail15normal_iteratorINS8_10device_ptrIyEEEEPiiNS8_4plusIiEEEE10hipError_tPvRmT1_T2_T3_mT4_P12ihipStream_tbEUlT_E0_NS1_11comp_targetILNS1_3genE9ELNS1_11target_archE1100ELNS1_3gpuE3ELNS1_3repE0EEENS1_30default_config_static_selectorELNS0_4arch9wavefront6targetE1EEEvSK_.uses_flat_scratch, 0
	.set _ZN7rocprim17ROCPRIM_400000_NS6detail17trampoline_kernelINS0_14default_configENS1_22reduce_config_selectorIyEEZNS1_11reduce_implILb1ES3_N6thrust23THRUST_200600_302600_NS6detail15normal_iteratorINS8_10device_ptrIyEEEEPiiNS8_4plusIiEEEE10hipError_tPvRmT1_T2_T3_mT4_P12ihipStream_tbEUlT_E0_NS1_11comp_targetILNS1_3genE9ELNS1_11target_archE1100ELNS1_3gpuE3ELNS1_3repE0EEENS1_30default_config_static_selectorELNS0_4arch9wavefront6targetE1EEEvSK_.has_dyn_sized_stack, 0
	.set _ZN7rocprim17ROCPRIM_400000_NS6detail17trampoline_kernelINS0_14default_configENS1_22reduce_config_selectorIyEEZNS1_11reduce_implILb1ES3_N6thrust23THRUST_200600_302600_NS6detail15normal_iteratorINS8_10device_ptrIyEEEEPiiNS8_4plusIiEEEE10hipError_tPvRmT1_T2_T3_mT4_P12ihipStream_tbEUlT_E0_NS1_11comp_targetILNS1_3genE9ELNS1_11target_archE1100ELNS1_3gpuE3ELNS1_3repE0EEENS1_30default_config_static_selectorELNS0_4arch9wavefront6targetE1EEEvSK_.has_recursion, 0
	.set _ZN7rocprim17ROCPRIM_400000_NS6detail17trampoline_kernelINS0_14default_configENS1_22reduce_config_selectorIyEEZNS1_11reduce_implILb1ES3_N6thrust23THRUST_200600_302600_NS6detail15normal_iteratorINS8_10device_ptrIyEEEEPiiNS8_4plusIiEEEE10hipError_tPvRmT1_T2_T3_mT4_P12ihipStream_tbEUlT_E0_NS1_11comp_targetILNS1_3genE9ELNS1_11target_archE1100ELNS1_3gpuE3ELNS1_3repE0EEENS1_30default_config_static_selectorELNS0_4arch9wavefront6targetE1EEEvSK_.has_indirect_call, 0
	.section	.AMDGPU.csdata,"",@progbits
; Kernel info:
; codeLenInByte = 0
; TotalNumSgprs: 6
; NumVgprs: 0
; NumAgprs: 0
; TotalNumVgprs: 0
; ScratchSize: 0
; MemoryBound: 0
; FloatMode: 240
; IeeeMode: 1
; LDSByteSize: 0 bytes/workgroup (compile time only)
; SGPRBlocks: 0
; VGPRBlocks: 0
; NumSGPRsForWavesPerEU: 6
; NumVGPRsForWavesPerEU: 1
; AccumOffset: 4
; Occupancy: 8
; WaveLimiterHint : 0
; COMPUTE_PGM_RSRC2:SCRATCH_EN: 0
; COMPUTE_PGM_RSRC2:USER_SGPR: 2
; COMPUTE_PGM_RSRC2:TRAP_HANDLER: 0
; COMPUTE_PGM_RSRC2:TGID_X_EN: 1
; COMPUTE_PGM_RSRC2:TGID_Y_EN: 0
; COMPUTE_PGM_RSRC2:TGID_Z_EN: 0
; COMPUTE_PGM_RSRC2:TIDIG_COMP_CNT: 0
; COMPUTE_PGM_RSRC3_GFX90A:ACCUM_OFFSET: 0
; COMPUTE_PGM_RSRC3_GFX90A:TG_SPLIT: 0
	.section	.text._ZN7rocprim17ROCPRIM_400000_NS6detail17trampoline_kernelINS0_14default_configENS1_22reduce_config_selectorIyEEZNS1_11reduce_implILb1ES3_N6thrust23THRUST_200600_302600_NS6detail15normal_iteratorINS8_10device_ptrIyEEEEPiiNS8_4plusIiEEEE10hipError_tPvRmT1_T2_T3_mT4_P12ihipStream_tbEUlT_E0_NS1_11comp_targetILNS1_3genE8ELNS1_11target_archE1030ELNS1_3gpuE2ELNS1_3repE0EEENS1_30default_config_static_selectorELNS0_4arch9wavefront6targetE1EEEvSK_,"axG",@progbits,_ZN7rocprim17ROCPRIM_400000_NS6detail17trampoline_kernelINS0_14default_configENS1_22reduce_config_selectorIyEEZNS1_11reduce_implILb1ES3_N6thrust23THRUST_200600_302600_NS6detail15normal_iteratorINS8_10device_ptrIyEEEEPiiNS8_4plusIiEEEE10hipError_tPvRmT1_T2_T3_mT4_P12ihipStream_tbEUlT_E0_NS1_11comp_targetILNS1_3genE8ELNS1_11target_archE1030ELNS1_3gpuE2ELNS1_3repE0EEENS1_30default_config_static_selectorELNS0_4arch9wavefront6targetE1EEEvSK_,comdat
	.protected	_ZN7rocprim17ROCPRIM_400000_NS6detail17trampoline_kernelINS0_14default_configENS1_22reduce_config_selectorIyEEZNS1_11reduce_implILb1ES3_N6thrust23THRUST_200600_302600_NS6detail15normal_iteratorINS8_10device_ptrIyEEEEPiiNS8_4plusIiEEEE10hipError_tPvRmT1_T2_T3_mT4_P12ihipStream_tbEUlT_E0_NS1_11comp_targetILNS1_3genE8ELNS1_11target_archE1030ELNS1_3gpuE2ELNS1_3repE0EEENS1_30default_config_static_selectorELNS0_4arch9wavefront6targetE1EEEvSK_ ; -- Begin function _ZN7rocprim17ROCPRIM_400000_NS6detail17trampoline_kernelINS0_14default_configENS1_22reduce_config_selectorIyEEZNS1_11reduce_implILb1ES3_N6thrust23THRUST_200600_302600_NS6detail15normal_iteratorINS8_10device_ptrIyEEEEPiiNS8_4plusIiEEEE10hipError_tPvRmT1_T2_T3_mT4_P12ihipStream_tbEUlT_E0_NS1_11comp_targetILNS1_3genE8ELNS1_11target_archE1030ELNS1_3gpuE2ELNS1_3repE0EEENS1_30default_config_static_selectorELNS0_4arch9wavefront6targetE1EEEvSK_
	.globl	_ZN7rocprim17ROCPRIM_400000_NS6detail17trampoline_kernelINS0_14default_configENS1_22reduce_config_selectorIyEEZNS1_11reduce_implILb1ES3_N6thrust23THRUST_200600_302600_NS6detail15normal_iteratorINS8_10device_ptrIyEEEEPiiNS8_4plusIiEEEE10hipError_tPvRmT1_T2_T3_mT4_P12ihipStream_tbEUlT_E0_NS1_11comp_targetILNS1_3genE8ELNS1_11target_archE1030ELNS1_3gpuE2ELNS1_3repE0EEENS1_30default_config_static_selectorELNS0_4arch9wavefront6targetE1EEEvSK_
	.p2align	8
	.type	_ZN7rocprim17ROCPRIM_400000_NS6detail17trampoline_kernelINS0_14default_configENS1_22reduce_config_selectorIyEEZNS1_11reduce_implILb1ES3_N6thrust23THRUST_200600_302600_NS6detail15normal_iteratorINS8_10device_ptrIyEEEEPiiNS8_4plusIiEEEE10hipError_tPvRmT1_T2_T3_mT4_P12ihipStream_tbEUlT_E0_NS1_11comp_targetILNS1_3genE8ELNS1_11target_archE1030ELNS1_3gpuE2ELNS1_3repE0EEENS1_30default_config_static_selectorELNS0_4arch9wavefront6targetE1EEEvSK_,@function
_ZN7rocprim17ROCPRIM_400000_NS6detail17trampoline_kernelINS0_14default_configENS1_22reduce_config_selectorIyEEZNS1_11reduce_implILb1ES3_N6thrust23THRUST_200600_302600_NS6detail15normal_iteratorINS8_10device_ptrIyEEEEPiiNS8_4plusIiEEEE10hipError_tPvRmT1_T2_T3_mT4_P12ihipStream_tbEUlT_E0_NS1_11comp_targetILNS1_3genE8ELNS1_11target_archE1030ELNS1_3gpuE2ELNS1_3repE0EEENS1_30default_config_static_selectorELNS0_4arch9wavefront6targetE1EEEvSK_: ; @_ZN7rocprim17ROCPRIM_400000_NS6detail17trampoline_kernelINS0_14default_configENS1_22reduce_config_selectorIyEEZNS1_11reduce_implILb1ES3_N6thrust23THRUST_200600_302600_NS6detail15normal_iteratorINS8_10device_ptrIyEEEEPiiNS8_4plusIiEEEE10hipError_tPvRmT1_T2_T3_mT4_P12ihipStream_tbEUlT_E0_NS1_11comp_targetILNS1_3genE8ELNS1_11target_archE1030ELNS1_3gpuE2ELNS1_3repE0EEENS1_30default_config_static_selectorELNS0_4arch9wavefront6targetE1EEEvSK_
; %bb.0:
	.section	.rodata,"a",@progbits
	.p2align	6, 0x0
	.amdhsa_kernel _ZN7rocprim17ROCPRIM_400000_NS6detail17trampoline_kernelINS0_14default_configENS1_22reduce_config_selectorIyEEZNS1_11reduce_implILb1ES3_N6thrust23THRUST_200600_302600_NS6detail15normal_iteratorINS8_10device_ptrIyEEEEPiiNS8_4plusIiEEEE10hipError_tPvRmT1_T2_T3_mT4_P12ihipStream_tbEUlT_E0_NS1_11comp_targetILNS1_3genE8ELNS1_11target_archE1030ELNS1_3gpuE2ELNS1_3repE0EEENS1_30default_config_static_selectorELNS0_4arch9wavefront6targetE1EEEvSK_
		.amdhsa_group_segment_fixed_size 0
		.amdhsa_private_segment_fixed_size 0
		.amdhsa_kernarg_size 56
		.amdhsa_user_sgpr_count 2
		.amdhsa_user_sgpr_dispatch_ptr 0
		.amdhsa_user_sgpr_queue_ptr 0
		.amdhsa_user_sgpr_kernarg_segment_ptr 1
		.amdhsa_user_sgpr_dispatch_id 0
		.amdhsa_user_sgpr_kernarg_preload_length 0
		.amdhsa_user_sgpr_kernarg_preload_offset 0
		.amdhsa_user_sgpr_private_segment_size 0
		.amdhsa_uses_dynamic_stack 0
		.amdhsa_enable_private_segment 0
		.amdhsa_system_sgpr_workgroup_id_x 1
		.amdhsa_system_sgpr_workgroup_id_y 0
		.amdhsa_system_sgpr_workgroup_id_z 0
		.amdhsa_system_sgpr_workgroup_info 0
		.amdhsa_system_vgpr_workitem_id 0
		.amdhsa_next_free_vgpr 1
		.amdhsa_next_free_sgpr 0
		.amdhsa_accum_offset 4
		.amdhsa_reserve_vcc 0
		.amdhsa_float_round_mode_32 0
		.amdhsa_float_round_mode_16_64 0
		.amdhsa_float_denorm_mode_32 3
		.amdhsa_float_denorm_mode_16_64 3
		.amdhsa_dx10_clamp 1
		.amdhsa_ieee_mode 1
		.amdhsa_fp16_overflow 0
		.amdhsa_tg_split 0
		.amdhsa_exception_fp_ieee_invalid_op 0
		.amdhsa_exception_fp_denorm_src 0
		.amdhsa_exception_fp_ieee_div_zero 0
		.amdhsa_exception_fp_ieee_overflow 0
		.amdhsa_exception_fp_ieee_underflow 0
		.amdhsa_exception_fp_ieee_inexact 0
		.amdhsa_exception_int_div_zero 0
	.end_amdhsa_kernel
	.section	.text._ZN7rocprim17ROCPRIM_400000_NS6detail17trampoline_kernelINS0_14default_configENS1_22reduce_config_selectorIyEEZNS1_11reduce_implILb1ES3_N6thrust23THRUST_200600_302600_NS6detail15normal_iteratorINS8_10device_ptrIyEEEEPiiNS8_4plusIiEEEE10hipError_tPvRmT1_T2_T3_mT4_P12ihipStream_tbEUlT_E0_NS1_11comp_targetILNS1_3genE8ELNS1_11target_archE1030ELNS1_3gpuE2ELNS1_3repE0EEENS1_30default_config_static_selectorELNS0_4arch9wavefront6targetE1EEEvSK_,"axG",@progbits,_ZN7rocprim17ROCPRIM_400000_NS6detail17trampoline_kernelINS0_14default_configENS1_22reduce_config_selectorIyEEZNS1_11reduce_implILb1ES3_N6thrust23THRUST_200600_302600_NS6detail15normal_iteratorINS8_10device_ptrIyEEEEPiiNS8_4plusIiEEEE10hipError_tPvRmT1_T2_T3_mT4_P12ihipStream_tbEUlT_E0_NS1_11comp_targetILNS1_3genE8ELNS1_11target_archE1030ELNS1_3gpuE2ELNS1_3repE0EEENS1_30default_config_static_selectorELNS0_4arch9wavefront6targetE1EEEvSK_,comdat
.Lfunc_end359:
	.size	_ZN7rocprim17ROCPRIM_400000_NS6detail17trampoline_kernelINS0_14default_configENS1_22reduce_config_selectorIyEEZNS1_11reduce_implILb1ES3_N6thrust23THRUST_200600_302600_NS6detail15normal_iteratorINS8_10device_ptrIyEEEEPiiNS8_4plusIiEEEE10hipError_tPvRmT1_T2_T3_mT4_P12ihipStream_tbEUlT_E0_NS1_11comp_targetILNS1_3genE8ELNS1_11target_archE1030ELNS1_3gpuE2ELNS1_3repE0EEENS1_30default_config_static_selectorELNS0_4arch9wavefront6targetE1EEEvSK_, .Lfunc_end359-_ZN7rocprim17ROCPRIM_400000_NS6detail17trampoline_kernelINS0_14default_configENS1_22reduce_config_selectorIyEEZNS1_11reduce_implILb1ES3_N6thrust23THRUST_200600_302600_NS6detail15normal_iteratorINS8_10device_ptrIyEEEEPiiNS8_4plusIiEEEE10hipError_tPvRmT1_T2_T3_mT4_P12ihipStream_tbEUlT_E0_NS1_11comp_targetILNS1_3genE8ELNS1_11target_archE1030ELNS1_3gpuE2ELNS1_3repE0EEENS1_30default_config_static_selectorELNS0_4arch9wavefront6targetE1EEEvSK_
                                        ; -- End function
	.set _ZN7rocprim17ROCPRIM_400000_NS6detail17trampoline_kernelINS0_14default_configENS1_22reduce_config_selectorIyEEZNS1_11reduce_implILb1ES3_N6thrust23THRUST_200600_302600_NS6detail15normal_iteratorINS8_10device_ptrIyEEEEPiiNS8_4plusIiEEEE10hipError_tPvRmT1_T2_T3_mT4_P12ihipStream_tbEUlT_E0_NS1_11comp_targetILNS1_3genE8ELNS1_11target_archE1030ELNS1_3gpuE2ELNS1_3repE0EEENS1_30default_config_static_selectorELNS0_4arch9wavefront6targetE1EEEvSK_.num_vgpr, 0
	.set _ZN7rocprim17ROCPRIM_400000_NS6detail17trampoline_kernelINS0_14default_configENS1_22reduce_config_selectorIyEEZNS1_11reduce_implILb1ES3_N6thrust23THRUST_200600_302600_NS6detail15normal_iteratorINS8_10device_ptrIyEEEEPiiNS8_4plusIiEEEE10hipError_tPvRmT1_T2_T3_mT4_P12ihipStream_tbEUlT_E0_NS1_11comp_targetILNS1_3genE8ELNS1_11target_archE1030ELNS1_3gpuE2ELNS1_3repE0EEENS1_30default_config_static_selectorELNS0_4arch9wavefront6targetE1EEEvSK_.num_agpr, 0
	.set _ZN7rocprim17ROCPRIM_400000_NS6detail17trampoline_kernelINS0_14default_configENS1_22reduce_config_selectorIyEEZNS1_11reduce_implILb1ES3_N6thrust23THRUST_200600_302600_NS6detail15normal_iteratorINS8_10device_ptrIyEEEEPiiNS8_4plusIiEEEE10hipError_tPvRmT1_T2_T3_mT4_P12ihipStream_tbEUlT_E0_NS1_11comp_targetILNS1_3genE8ELNS1_11target_archE1030ELNS1_3gpuE2ELNS1_3repE0EEENS1_30default_config_static_selectorELNS0_4arch9wavefront6targetE1EEEvSK_.numbered_sgpr, 0
	.set _ZN7rocprim17ROCPRIM_400000_NS6detail17trampoline_kernelINS0_14default_configENS1_22reduce_config_selectorIyEEZNS1_11reduce_implILb1ES3_N6thrust23THRUST_200600_302600_NS6detail15normal_iteratorINS8_10device_ptrIyEEEEPiiNS8_4plusIiEEEE10hipError_tPvRmT1_T2_T3_mT4_P12ihipStream_tbEUlT_E0_NS1_11comp_targetILNS1_3genE8ELNS1_11target_archE1030ELNS1_3gpuE2ELNS1_3repE0EEENS1_30default_config_static_selectorELNS0_4arch9wavefront6targetE1EEEvSK_.num_named_barrier, 0
	.set _ZN7rocprim17ROCPRIM_400000_NS6detail17trampoline_kernelINS0_14default_configENS1_22reduce_config_selectorIyEEZNS1_11reduce_implILb1ES3_N6thrust23THRUST_200600_302600_NS6detail15normal_iteratorINS8_10device_ptrIyEEEEPiiNS8_4plusIiEEEE10hipError_tPvRmT1_T2_T3_mT4_P12ihipStream_tbEUlT_E0_NS1_11comp_targetILNS1_3genE8ELNS1_11target_archE1030ELNS1_3gpuE2ELNS1_3repE0EEENS1_30default_config_static_selectorELNS0_4arch9wavefront6targetE1EEEvSK_.private_seg_size, 0
	.set _ZN7rocprim17ROCPRIM_400000_NS6detail17trampoline_kernelINS0_14default_configENS1_22reduce_config_selectorIyEEZNS1_11reduce_implILb1ES3_N6thrust23THRUST_200600_302600_NS6detail15normal_iteratorINS8_10device_ptrIyEEEEPiiNS8_4plusIiEEEE10hipError_tPvRmT1_T2_T3_mT4_P12ihipStream_tbEUlT_E0_NS1_11comp_targetILNS1_3genE8ELNS1_11target_archE1030ELNS1_3gpuE2ELNS1_3repE0EEENS1_30default_config_static_selectorELNS0_4arch9wavefront6targetE1EEEvSK_.uses_vcc, 0
	.set _ZN7rocprim17ROCPRIM_400000_NS6detail17trampoline_kernelINS0_14default_configENS1_22reduce_config_selectorIyEEZNS1_11reduce_implILb1ES3_N6thrust23THRUST_200600_302600_NS6detail15normal_iteratorINS8_10device_ptrIyEEEEPiiNS8_4plusIiEEEE10hipError_tPvRmT1_T2_T3_mT4_P12ihipStream_tbEUlT_E0_NS1_11comp_targetILNS1_3genE8ELNS1_11target_archE1030ELNS1_3gpuE2ELNS1_3repE0EEENS1_30default_config_static_selectorELNS0_4arch9wavefront6targetE1EEEvSK_.uses_flat_scratch, 0
	.set _ZN7rocprim17ROCPRIM_400000_NS6detail17trampoline_kernelINS0_14default_configENS1_22reduce_config_selectorIyEEZNS1_11reduce_implILb1ES3_N6thrust23THRUST_200600_302600_NS6detail15normal_iteratorINS8_10device_ptrIyEEEEPiiNS8_4plusIiEEEE10hipError_tPvRmT1_T2_T3_mT4_P12ihipStream_tbEUlT_E0_NS1_11comp_targetILNS1_3genE8ELNS1_11target_archE1030ELNS1_3gpuE2ELNS1_3repE0EEENS1_30default_config_static_selectorELNS0_4arch9wavefront6targetE1EEEvSK_.has_dyn_sized_stack, 0
	.set _ZN7rocprim17ROCPRIM_400000_NS6detail17trampoline_kernelINS0_14default_configENS1_22reduce_config_selectorIyEEZNS1_11reduce_implILb1ES3_N6thrust23THRUST_200600_302600_NS6detail15normal_iteratorINS8_10device_ptrIyEEEEPiiNS8_4plusIiEEEE10hipError_tPvRmT1_T2_T3_mT4_P12ihipStream_tbEUlT_E0_NS1_11comp_targetILNS1_3genE8ELNS1_11target_archE1030ELNS1_3gpuE2ELNS1_3repE0EEENS1_30default_config_static_selectorELNS0_4arch9wavefront6targetE1EEEvSK_.has_recursion, 0
	.set _ZN7rocprim17ROCPRIM_400000_NS6detail17trampoline_kernelINS0_14default_configENS1_22reduce_config_selectorIyEEZNS1_11reduce_implILb1ES3_N6thrust23THRUST_200600_302600_NS6detail15normal_iteratorINS8_10device_ptrIyEEEEPiiNS8_4plusIiEEEE10hipError_tPvRmT1_T2_T3_mT4_P12ihipStream_tbEUlT_E0_NS1_11comp_targetILNS1_3genE8ELNS1_11target_archE1030ELNS1_3gpuE2ELNS1_3repE0EEENS1_30default_config_static_selectorELNS0_4arch9wavefront6targetE1EEEvSK_.has_indirect_call, 0
	.section	.AMDGPU.csdata,"",@progbits
; Kernel info:
; codeLenInByte = 0
; TotalNumSgprs: 6
; NumVgprs: 0
; NumAgprs: 0
; TotalNumVgprs: 0
; ScratchSize: 0
; MemoryBound: 0
; FloatMode: 240
; IeeeMode: 1
; LDSByteSize: 0 bytes/workgroup (compile time only)
; SGPRBlocks: 0
; VGPRBlocks: 0
; NumSGPRsForWavesPerEU: 6
; NumVGPRsForWavesPerEU: 1
; AccumOffset: 4
; Occupancy: 8
; WaveLimiterHint : 0
; COMPUTE_PGM_RSRC2:SCRATCH_EN: 0
; COMPUTE_PGM_RSRC2:USER_SGPR: 2
; COMPUTE_PGM_RSRC2:TRAP_HANDLER: 0
; COMPUTE_PGM_RSRC2:TGID_X_EN: 1
; COMPUTE_PGM_RSRC2:TGID_Y_EN: 0
; COMPUTE_PGM_RSRC2:TGID_Z_EN: 0
; COMPUTE_PGM_RSRC2:TIDIG_COMP_CNT: 0
; COMPUTE_PGM_RSRC3_GFX90A:ACCUM_OFFSET: 0
; COMPUTE_PGM_RSRC3_GFX90A:TG_SPLIT: 0
	.section	.text._ZN7rocprim17ROCPRIM_400000_NS6detail17trampoline_kernelINS0_14default_configENS1_22reduce_config_selectorIyEEZNS1_11reduce_implILb1ES3_N6thrust23THRUST_200600_302600_NS6detail15normal_iteratorINS8_10device_ptrIyEEEEPiiNS8_4plusIiEEEE10hipError_tPvRmT1_T2_T3_mT4_P12ihipStream_tbEUlT_E1_NS1_11comp_targetILNS1_3genE0ELNS1_11target_archE4294967295ELNS1_3gpuE0ELNS1_3repE0EEENS1_30default_config_static_selectorELNS0_4arch9wavefront6targetE1EEEvSK_,"axG",@progbits,_ZN7rocprim17ROCPRIM_400000_NS6detail17trampoline_kernelINS0_14default_configENS1_22reduce_config_selectorIyEEZNS1_11reduce_implILb1ES3_N6thrust23THRUST_200600_302600_NS6detail15normal_iteratorINS8_10device_ptrIyEEEEPiiNS8_4plusIiEEEE10hipError_tPvRmT1_T2_T3_mT4_P12ihipStream_tbEUlT_E1_NS1_11comp_targetILNS1_3genE0ELNS1_11target_archE4294967295ELNS1_3gpuE0ELNS1_3repE0EEENS1_30default_config_static_selectorELNS0_4arch9wavefront6targetE1EEEvSK_,comdat
	.protected	_ZN7rocprim17ROCPRIM_400000_NS6detail17trampoline_kernelINS0_14default_configENS1_22reduce_config_selectorIyEEZNS1_11reduce_implILb1ES3_N6thrust23THRUST_200600_302600_NS6detail15normal_iteratorINS8_10device_ptrIyEEEEPiiNS8_4plusIiEEEE10hipError_tPvRmT1_T2_T3_mT4_P12ihipStream_tbEUlT_E1_NS1_11comp_targetILNS1_3genE0ELNS1_11target_archE4294967295ELNS1_3gpuE0ELNS1_3repE0EEENS1_30default_config_static_selectorELNS0_4arch9wavefront6targetE1EEEvSK_ ; -- Begin function _ZN7rocprim17ROCPRIM_400000_NS6detail17trampoline_kernelINS0_14default_configENS1_22reduce_config_selectorIyEEZNS1_11reduce_implILb1ES3_N6thrust23THRUST_200600_302600_NS6detail15normal_iteratorINS8_10device_ptrIyEEEEPiiNS8_4plusIiEEEE10hipError_tPvRmT1_T2_T3_mT4_P12ihipStream_tbEUlT_E1_NS1_11comp_targetILNS1_3genE0ELNS1_11target_archE4294967295ELNS1_3gpuE0ELNS1_3repE0EEENS1_30default_config_static_selectorELNS0_4arch9wavefront6targetE1EEEvSK_
	.globl	_ZN7rocprim17ROCPRIM_400000_NS6detail17trampoline_kernelINS0_14default_configENS1_22reduce_config_selectorIyEEZNS1_11reduce_implILb1ES3_N6thrust23THRUST_200600_302600_NS6detail15normal_iteratorINS8_10device_ptrIyEEEEPiiNS8_4plusIiEEEE10hipError_tPvRmT1_T2_T3_mT4_P12ihipStream_tbEUlT_E1_NS1_11comp_targetILNS1_3genE0ELNS1_11target_archE4294967295ELNS1_3gpuE0ELNS1_3repE0EEENS1_30default_config_static_selectorELNS0_4arch9wavefront6targetE1EEEvSK_
	.p2align	8
	.type	_ZN7rocprim17ROCPRIM_400000_NS6detail17trampoline_kernelINS0_14default_configENS1_22reduce_config_selectorIyEEZNS1_11reduce_implILb1ES3_N6thrust23THRUST_200600_302600_NS6detail15normal_iteratorINS8_10device_ptrIyEEEEPiiNS8_4plusIiEEEE10hipError_tPvRmT1_T2_T3_mT4_P12ihipStream_tbEUlT_E1_NS1_11comp_targetILNS1_3genE0ELNS1_11target_archE4294967295ELNS1_3gpuE0ELNS1_3repE0EEENS1_30default_config_static_selectorELNS0_4arch9wavefront6targetE1EEEvSK_,@function
_ZN7rocprim17ROCPRIM_400000_NS6detail17trampoline_kernelINS0_14default_configENS1_22reduce_config_selectorIyEEZNS1_11reduce_implILb1ES3_N6thrust23THRUST_200600_302600_NS6detail15normal_iteratorINS8_10device_ptrIyEEEEPiiNS8_4plusIiEEEE10hipError_tPvRmT1_T2_T3_mT4_P12ihipStream_tbEUlT_E1_NS1_11comp_targetILNS1_3genE0ELNS1_11target_archE4294967295ELNS1_3gpuE0ELNS1_3repE0EEENS1_30default_config_static_selectorELNS0_4arch9wavefront6targetE1EEEvSK_: ; @_ZN7rocprim17ROCPRIM_400000_NS6detail17trampoline_kernelINS0_14default_configENS1_22reduce_config_selectorIyEEZNS1_11reduce_implILb1ES3_N6thrust23THRUST_200600_302600_NS6detail15normal_iteratorINS8_10device_ptrIyEEEEPiiNS8_4plusIiEEEE10hipError_tPvRmT1_T2_T3_mT4_P12ihipStream_tbEUlT_E1_NS1_11comp_targetILNS1_3genE0ELNS1_11target_archE4294967295ELNS1_3gpuE0ELNS1_3repE0EEENS1_30default_config_static_selectorELNS0_4arch9wavefront6targetE1EEEvSK_
; %bb.0:
	s_load_dword s33, s[0:1], 0x4
	s_load_dwordx4 s[36:39], s[0:1], 0x8
	s_waitcnt lgkmcnt(0)
	s_cmp_lt_i32 s33, 4
	s_cbranch_scc1 .LBB360_11
; %bb.1:
	s_cmp_gt_i32 s33, 7
	s_cbranch_scc0 .LBB360_12
; %bb.2:
	s_cmp_gt_i32 s33, 15
	s_cbranch_scc0 .LBB360_13
; %bb.3:
	s_cmp_eq_u32 s33, 16
	s_mov_b64 s[34:35], 0
	s_cbranch_scc0 .LBB360_14
; %bb.4:
	s_mov_b32 s3, 0
	s_lshl_b32 s4, s2, 12
	s_mov_b32 s5, s3
	s_lshr_b64 s[6:7], s[38:39], 12
	s_lshl_b64 s[8:9], s[4:5], 3
	s_add_u32 s40, s36, s8
	s_addc_u32 s41, s37, s9
	s_cmp_lg_u64 s[6:7], s[2:3]
	s_cbranch_scc0 .LBB360_23
; %bb.5:
	v_lshlrev_b32_e32 v2, 3, v0
	v_mov_b32_e32 v3, 0
	v_lshl_add_u64 v[4:5], s[40:41], 0, v[2:3]
	global_load_dword v1, v2, s[40:41]
	global_load_dword v12, v2, s[40:41] offset:2048
	v_add_co_u32_e32 v2, vcc, 0x1000, v4
	s_waitcnt vmcnt(0)
	v_add_u32_e32 v1, v12, v1
	v_addc_co_u32_e32 v3, vcc, 0, v5, vcc
	v_add_co_u32_e32 v6, vcc, 0x2000, v4
	s_nop 1
	v_addc_co_u32_e32 v7, vcc, 0, v5, vcc
	v_add_co_u32_e32 v8, vcc, 0x3000, v4
	s_nop 1
	;; [unrolled: 3-line block ×3, first 2 shown]
	v_addc_co_u32_e32 v11, vcc, 0, v5, vcc
	global_load_dword v13, v[2:3], off
	global_load_dword v14, v[2:3], off offset:2048
	global_load_dword v15, v[6:7], off
	global_load_dword v16, v[6:7], off offset:2048
	;; [unrolled: 2-line block ×4, first 2 shown]
	v_add_co_u32_e32 v2, vcc, 0x5000, v4
	s_waitcnt vmcnt(6)
	v_add3_u32 v1, v1, v13, v14
	v_addc_co_u32_e32 v3, vcc, 0, v5, vcc
	v_add_co_u32_e32 v6, vcc, 0x6000, v4
	s_waitcnt vmcnt(4)
	v_add3_u32 v1, v1, v15, v16
	v_addc_co_u32_e32 v7, vcc, 0, v5, vcc
	;; [unrolled: 4-line block ×3, first 2 shown]
	global_load_dword v8, v[2:3], off
	global_load_dword v9, v[2:3], off offset:2048
	global_load_dword v10, v[6:7], off
	global_load_dword v11, v[6:7], off offset:2048
	;; [unrolled: 2-line block ×3, first 2 shown]
	s_waitcnt vmcnt(6)
	v_add3_u32 v1, v1, v19, v20
	v_mbcnt_lo_u32_b32 v2, -1, 0
	v_mbcnt_hi_u32_b32 v2, -1, v2
	v_lshlrev_b32_e32 v3, 2, v2
	v_or_b32_e32 v4, 0xfc, v3
	v_cmp_eq_u32_e32 vcc, 0, v2
	s_waitcnt vmcnt(4)
	v_add3_u32 v1, v1, v8, v9
	s_waitcnt vmcnt(2)
	v_add3_u32 v1, v1, v10, v11
	;; [unrolled: 2-line block ×3, first 2 shown]
	s_nop 1
	v_add_u32_dpp v1, v1, v1 quad_perm:[1,0,3,2] row_mask:0xf bank_mask:0xf bound_ctrl:1
	s_nop 1
	v_add_u32_dpp v1, v1, v1 quad_perm:[2,3,0,1] row_mask:0xf bank_mask:0xf bound_ctrl:1
	s_nop 1
	v_add_u32_dpp v1, v1, v1 row_ror:4 row_mask:0xf bank_mask:0xf bound_ctrl:1
	s_nop 1
	v_add_u32_dpp v1, v1, v1 row_ror:8 row_mask:0xf bank_mask:0xf bound_ctrl:1
	s_nop 1
	v_add_u32_dpp v1, v1, v1 row_bcast:15 row_mask:0xf bank_mask:0xf bound_ctrl:1
	s_nop 1
	v_add_u32_dpp v1, v1, v1 row_bcast:31 row_mask:0xf bank_mask:0xf bound_ctrl:1
	ds_bpermute_b32 v1, v4, v1
	s_and_saveexec_b64 s[6:7], vcc
	s_cbranch_execz .LBB360_7
; %bb.6:
	v_lshrrev_b32_e32 v4, 4, v0
	v_and_b32_e32 v4, 12, v4
	s_waitcnt lgkmcnt(0)
	ds_write_b32 v4, v1
.LBB360_7:
	s_or_b64 exec, exec, s[6:7]
	v_cmp_gt_u32_e32 vcc, 64, v0
	s_waitcnt lgkmcnt(0)
	s_barrier
	s_and_saveexec_b64 s[6:7], vcc
	s_cbranch_execz .LBB360_9
; %bb.8:
	v_and_b32_e32 v1, 3, v2
	v_lshlrev_b32_e32 v4, 2, v1
	ds_read_b32 v4, v4
	v_cmp_ne_u32_e32 vcc, 3, v1
	s_nop 1
	v_addc_co_u32_e32 v1, vcc, 0, v2, vcc
	v_lshlrev_b32_e32 v1, 2, v1
	s_waitcnt lgkmcnt(0)
	ds_bpermute_b32 v1, v1, v4
	v_or_b32_e32 v2, 8, v3
	s_waitcnt lgkmcnt(0)
	v_add_u32_e32 v1, v1, v4
	ds_bpermute_b32 v2, v2, v1
	s_waitcnt lgkmcnt(0)
	v_add_u32_e32 v1, v2, v1
.LBB360_9:
	s_or_b64 exec, exec, s[6:7]
.LBB360_10:
	v_cmp_eq_u32_e64 s[4:5], 0, v0
	s_and_b64 vcc, exec, s[34:35]
	s_cbranch_vccnz .LBB360_15
	s_branch .LBB360_61
.LBB360_11:
	s_mov_b64 s[4:5], 0
                                        ; implicit-def: $vgpr1
	s_cbranch_execnz .LBB360_110
	s_branch .LBB360_140
.LBB360_12:
	s_mov_b64 s[4:5], 0
                                        ; implicit-def: $vgpr1
	s_cbranch_execnz .LBB360_86
	s_branch .LBB360_94
.LBB360_13:
	s_mov_b64 s[34:35], -1
.LBB360_14:
	s_mov_b64 s[4:5], 0
                                        ; implicit-def: $vgpr1
	s_and_b64 vcc, exec, s[34:35]
	s_cbranch_vccz .LBB360_61
.LBB360_15:
	s_cmp_eq_u32 s33, 8
	s_cbranch_scc0 .LBB360_22
; %bb.16:
	s_mov_b32 s3, 0
	s_lshl_b32 s4, s2, 11
	s_mov_b32 s5, s3
	s_lshr_b64 s[6:7], s[38:39], 11
	s_lshl_b64 s[8:9], s[4:5], 3
	s_add_u32 s16, s36, s8
	s_addc_u32 s17, s37, s9
	s_cmp_lg_u64 s[6:7], s[2:3]
	s_cbranch_scc0 .LBB360_62
; %bb.17:
	v_lshlrev_b32_e32 v2, 3, v0
	v_mov_b32_e32 v3, 0
	v_lshl_add_u64 v[4:5], s[16:17], 0, v[2:3]
	v_add_co_u32_e32 v6, vcc, 0x1000, v4
	s_nop 1
	v_addc_co_u32_e32 v7, vcc, 0, v5, vcc
	v_add_co_u32_e32 v8, vcc, 0x2000, v4
	s_nop 1
	v_addc_co_u32_e32 v9, vcc, 0, v5, vcc
	;; [unrolled: 3-line block ×3, first 2 shown]
	global_load_dword v1, v2, s[16:17]
	global_load_dword v10, v2, s[16:17] offset:2048
	global_load_dword v11, v[6:7], off
	global_load_dword v12, v[6:7], off offset:2048
	global_load_dword v13, v[8:9], off
	global_load_dword v14, v[8:9], off offset:2048
	;; [unrolled: 2-line block ×3, first 2 shown]
	v_mbcnt_lo_u32_b32 v2, -1, 0
	v_mbcnt_hi_u32_b32 v2, -1, v2
	v_lshlrev_b32_e32 v3, 2, v2
	v_or_b32_e32 v4, 0xfc, v3
	v_cmp_eq_u32_e32 vcc, 0, v2
	s_waitcnt vmcnt(6)
	v_add_u32_e32 v1, v10, v1
	s_waitcnt vmcnt(4)
	v_add3_u32 v1, v1, v11, v12
	s_waitcnt vmcnt(2)
	v_add3_u32 v1, v1, v13, v14
	;; [unrolled: 2-line block ×3, first 2 shown]
	s_nop 1
	v_add_u32_dpp v1, v1, v1 quad_perm:[1,0,3,2] row_mask:0xf bank_mask:0xf bound_ctrl:1
	s_nop 1
	v_add_u32_dpp v1, v1, v1 quad_perm:[2,3,0,1] row_mask:0xf bank_mask:0xf bound_ctrl:1
	s_nop 1
	v_add_u32_dpp v1, v1, v1 row_ror:4 row_mask:0xf bank_mask:0xf bound_ctrl:1
	s_nop 1
	v_add_u32_dpp v1, v1, v1 row_ror:8 row_mask:0xf bank_mask:0xf bound_ctrl:1
	s_nop 1
	v_add_u32_dpp v1, v1, v1 row_bcast:15 row_mask:0xf bank_mask:0xf bound_ctrl:1
	s_nop 1
	v_add_u32_dpp v1, v1, v1 row_bcast:31 row_mask:0xf bank_mask:0xf bound_ctrl:1
	ds_bpermute_b32 v1, v4, v1
	s_and_saveexec_b64 s[6:7], vcc
	s_cbranch_execz .LBB360_19
; %bb.18:
	v_lshrrev_b32_e32 v4, 4, v0
	v_and_b32_e32 v4, 12, v4
	s_waitcnt lgkmcnt(0)
	ds_write_b32 v4, v1 offset:64
.LBB360_19:
	s_or_b64 exec, exec, s[6:7]
	v_cmp_gt_u32_e32 vcc, 64, v0
	s_waitcnt lgkmcnt(0)
	s_barrier
	s_and_saveexec_b64 s[6:7], vcc
	s_cbranch_execz .LBB360_21
; %bb.20:
	v_and_b32_e32 v1, 3, v2
	v_lshlrev_b32_e32 v4, 2, v1
	ds_read_b32 v4, v4 offset:64
	v_cmp_ne_u32_e32 vcc, 3, v1
	s_nop 1
	v_addc_co_u32_e32 v1, vcc, 0, v2, vcc
	v_lshlrev_b32_e32 v1, 2, v1
	s_waitcnt lgkmcnt(0)
	ds_bpermute_b32 v1, v1, v4
	v_or_b32_e32 v2, 8, v3
	s_waitcnt lgkmcnt(0)
	v_add_u32_e32 v1, v1, v4
	ds_bpermute_b32 v2, v2, v1
	s_waitcnt lgkmcnt(0)
	v_add_u32_e32 v1, v2, v1
.LBB360_21:
	s_or_b64 exec, exec, s[6:7]
	s_mov_b64 s[6:7], 0
	s_branch .LBB360_63
.LBB360_22:
                                        ; implicit-def: $vgpr1
	s_branch .LBB360_94
.LBB360_23:
                                        ; implicit-def: $vgpr1
	s_cbranch_execz .LBB360_10
; %bb.24:
	s_sub_i32 s44, s38, s4
	v_mov_b32_e32 v2, 0
	v_cmp_gt_u32_e32 vcc, s44, v0
	v_mov_b32_e32 v3, v2
	v_mov_b32_e32 v4, v2
	;; [unrolled: 1-line block ×15, first 2 shown]
	s_and_saveexec_b64 s[4:5], vcc
	s_cbranch_execz .LBB360_26
; %bb.25:
	v_lshlrev_b32_e32 v1, 3, v0
	global_load_dword v4, v1, s[40:41]
	v_mov_b32_e32 v5, v2
	v_mov_b32_e32 v6, v2
	v_mov_b32_e32 v7, v2
	v_mov_b32_e32 v8, v2
	v_mov_b32_e32 v9, v2
	v_mov_b32_e32 v10, v2
	v_mov_b32_e32 v11, v2
	v_mov_b32_e32 v12, v2
	v_mov_b32_e32 v13, v2
	v_mov_b32_e32 v14, v2
	v_mov_b32_e32 v15, v2
	v_mov_b32_e32 v16, v2
	v_mov_b32_e32 v17, v2
	v_mov_b32_e32 v18, v2
	v_mov_b32_e32 v19, v2
	s_waitcnt vmcnt(0)
	v_mov_b64_e32 v[2:3], v[4:5]
	v_mov_b64_e32 v[4:5], v[6:7]
	;; [unrolled: 1-line block ×8, first 2 shown]
.LBB360_26:
	s_or_b64 exec, exec, s[4:5]
	v_or_b32_e32 v1, 0x100, v0
	v_cmp_gt_u32_e32 vcc, s44, v1
	s_and_saveexec_b64 s[4:5], vcc
	s_cbranch_execz .LBB360_28
; %bb.27:
	v_lshlrev_b32_e32 v1, 3, v0
	global_load_dword v3, v1, s[40:41] offset:2048
.LBB360_28:
	s_or_b64 exec, exec, s[4:5]
	v_or_b32_e32 v1, 0x200, v0
	v_cmp_gt_u32_e64 s[4:5], s44, v1
	s_and_saveexec_b64 s[6:7], s[4:5]
	s_cbranch_execz .LBB360_30
; %bb.29:
	v_lshlrev_b32_e32 v1, 3, v1
	global_load_dword v4, v1, s[40:41]
.LBB360_30:
	s_or_b64 exec, exec, s[6:7]
	v_or_b32_e32 v1, 0x300, v0
	v_cmp_gt_u32_e64 s[6:7], s44, v1
	s_and_saveexec_b64 s[8:9], s[6:7]
	s_cbranch_execz .LBB360_32
; %bb.31:
	v_lshlrev_b32_e32 v1, 3, v1
	global_load_dword v5, v1, s[40:41]
.LBB360_32:
	;; [unrolled: 9-line block ×14, first 2 shown]
	s_or_b64 exec, exec, s[42:43]
	s_waitcnt vmcnt(0)
	v_cndmask_b32_e32 v1, 0, v3, vcc
	v_add_u32_e32 v1, v1, v2
	v_cndmask_b32_e64 v2, 0, v4, s[4:5]
	v_cndmask_b32_e64 v3, 0, v5, s[6:7]
	v_add3_u32 v1, v1, v2, v3
	v_cndmask_b32_e64 v2, 0, v6, s[8:9]
	v_cndmask_b32_e64 v3, 0, v7, s[10:11]
	v_add3_u32 v1, v1, v2, v3
	;; [unrolled: 3-line block ×7, first 2 shown]
	v_mbcnt_lo_u32_b32 v2, -1, 0
	v_mbcnt_hi_u32_b32 v2, -1, v2
	v_and_b32_e32 v4, 63, v2
	v_cmp_ne_u32_e32 vcc, 63, v4
	s_min_u32 s6, s44, 0x100
	v_and_b32_e32 v5, 0xc0, v0
	v_addc_co_u32_e32 v3, vcc, 0, v2, vcc
	v_lshlrev_b32_e32 v3, 2, v3
	ds_bpermute_b32 v3, v3, v1
	v_sub_u32_e64 v5, s6, v5 clamp
	v_add_u32_e32 v6, 1, v4
	v_cmp_lt_u32_e32 vcc, v6, v5
	v_add_u32_e32 v6, 2, v4
	s_waitcnt lgkmcnt(0)
	v_cndmask_b32_e32 v3, 0, v3, vcc
	v_cmp_gt_u32_e32 vcc, 62, v4
	v_add_u32_e32 v1, v1, v3
	s_nop 0
	v_cndmask_b32_e64 v3, 0, 2, vcc
	v_add_lshl_u32 v3, v3, v2, 2
	ds_bpermute_b32 v3, v3, v1
	v_cmp_lt_u32_e32 vcc, v6, v5
	v_add_u32_e32 v6, 4, v4
	s_waitcnt lgkmcnt(0)
	v_cndmask_b32_e32 v3, 0, v3, vcc
	v_cmp_gt_u32_e32 vcc, 60, v4
	v_add_u32_e32 v1, v1, v3
	s_nop 0
	v_cndmask_b32_e64 v3, 0, 4, vcc
	v_add_lshl_u32 v3, v3, v2, 2
	ds_bpermute_b32 v3, v3, v1
	;; [unrolled: 10-line block ×3, first 2 shown]
	v_cmp_lt_u32_e32 vcc, v6, v5
	v_add_u32_e32 v6, 16, v4
	s_waitcnt lgkmcnt(0)
	v_cndmask_b32_e32 v3, 0, v3, vcc
	v_cmp_gt_u32_e32 vcc, 48, v4
	v_add_u32_e32 v1, v1, v3
	v_add_u32_e32 v4, 32, v4
	v_cndmask_b32_e64 v3, 0, 16, vcc
	v_add_lshl_u32 v3, v3, v2, 2
	ds_bpermute_b32 v3, v3, v1
	v_cmp_lt_u32_e32 vcc, v6, v5
	s_waitcnt lgkmcnt(0)
	s_nop 0
	v_cndmask_b32_e32 v3, 0, v3, vcc
	v_add_u32_e32 v1, v1, v3
	v_lshlrev_b32_e32 v3, 2, v2
	v_or_b32_e32 v6, 0x80, v3
	ds_bpermute_b32 v6, v6, v1
	v_cmp_lt_u32_e32 vcc, v4, v5
	s_waitcnt lgkmcnt(0)
	s_nop 0
	v_cndmask_b32_e32 v4, 0, v6, vcc
	v_add_u32_e32 v1, v1, v4
	v_cmp_eq_u32_e32 vcc, 0, v2
	s_and_saveexec_b64 s[4:5], vcc
; %bb.57:
	v_lshrrev_b32_e32 v4, 4, v0
	v_and_b32_e32 v4, 12, v4
	ds_write_b32 v4, v1 offset:80
; %bb.58:
	s_or_b64 exec, exec, s[4:5]
	v_cmp_gt_u32_e32 vcc, 4, v0
	s_waitcnt lgkmcnt(0)
	s_barrier
	s_and_saveexec_b64 s[4:5], vcc
	s_cbranch_execz .LBB360_60
; %bb.59:
	ds_read_b32 v1, v3 offset:80
	v_and_b32_e32 v4, 3, v2
	v_cmp_ne_u32_e32 vcc, 3, v4
	s_add_i32 s6, s6, 63
	s_lshr_b32 s6, s6, 6
	v_addc_co_u32_e32 v2, vcc, 0, v2, vcc
	v_lshlrev_b32_e32 v2, 2, v2
	s_waitcnt lgkmcnt(0)
	ds_bpermute_b32 v2, v2, v1
	v_add_u32_e32 v5, 1, v4
	v_cmp_gt_u32_e32 vcc, s6, v5
	s_waitcnt lgkmcnt(0)
	s_nop 0
	v_cndmask_b32_e32 v2, 0, v2, vcc
	v_add_u32_e32 v1, v2, v1
	v_or_b32_e32 v2, 8, v3
	ds_bpermute_b32 v2, v2, v1
	v_add_u32_e32 v3, 2, v4
	v_cmp_gt_u32_e32 vcc, s6, v3
	s_waitcnt lgkmcnt(0)
	s_nop 0
	v_cndmask_b32_e32 v2, 0, v2, vcc
	v_add_u32_e32 v1, v1, v2
.LBB360_60:
	s_or_b64 exec, exec, s[4:5]
	v_cmp_eq_u32_e64 s[4:5], 0, v0
	s_and_b64 vcc, exec, s[34:35]
	s_cbranch_vccnz .LBB360_15
.LBB360_61:
	s_branch .LBB360_94
.LBB360_62:
	s_mov_b64 s[6:7], -1
                                        ; implicit-def: $vgpr1
.LBB360_63:
	s_and_b64 vcc, exec, s[6:7]
	s_cbranch_vccz .LBB360_85
; %bb.64:
	s_sub_i32 s20, s38, s4
	v_mov_b32_e32 v2, 0
	v_cmp_gt_u32_e32 vcc, s20, v0
	v_mov_b32_e32 v3, v2
	v_mov_b32_e32 v4, v2
	;; [unrolled: 1-line block ×7, first 2 shown]
	s_and_saveexec_b64 s[4:5], vcc
	s_cbranch_execz .LBB360_66
; %bb.65:
	v_lshlrev_b32_e32 v1, 3, v0
	global_load_dword v4, v1, s[16:17]
	v_mov_b32_e32 v5, v2
	v_mov_b32_e32 v6, v2
	;; [unrolled: 1-line block ×7, first 2 shown]
	s_waitcnt vmcnt(0)
	v_mov_b64_e32 v[2:3], v[4:5]
	v_mov_b64_e32 v[4:5], v[6:7]
	;; [unrolled: 1-line block ×4, first 2 shown]
.LBB360_66:
	s_or_b64 exec, exec, s[4:5]
	v_or_b32_e32 v1, 0x100, v0
	v_cmp_gt_u32_e32 vcc, s20, v1
	s_and_saveexec_b64 s[4:5], vcc
	s_cbranch_execz .LBB360_68
; %bb.67:
	v_lshlrev_b32_e32 v1, 3, v0
	global_load_dword v3, v1, s[16:17] offset:2048
.LBB360_68:
	s_or_b64 exec, exec, s[4:5]
	v_or_b32_e32 v1, 0x200, v0
	v_cmp_gt_u32_e64 s[4:5], s20, v1
	s_and_saveexec_b64 s[6:7], s[4:5]
	s_cbranch_execz .LBB360_70
; %bb.69:
	v_lshlrev_b32_e32 v1, 3, v1
	global_load_dword v4, v1, s[16:17]
.LBB360_70:
	s_or_b64 exec, exec, s[6:7]
	v_or_b32_e32 v1, 0x300, v0
	v_cmp_gt_u32_e64 s[6:7], s20, v1
	s_and_saveexec_b64 s[8:9], s[6:7]
	s_cbranch_execz .LBB360_72
; %bb.71:
	v_lshlrev_b32_e32 v1, 3, v1
	global_load_dword v5, v1, s[16:17]
.LBB360_72:
	;; [unrolled: 9-line block ×6, first 2 shown]
	s_or_b64 exec, exec, s[18:19]
	s_waitcnt vmcnt(0)
	v_cndmask_b32_e32 v1, 0, v3, vcc
	v_add_u32_e32 v1, v1, v2
	v_cndmask_b32_e64 v2, 0, v4, s[4:5]
	v_cndmask_b32_e64 v3, 0, v5, s[6:7]
	v_add3_u32 v1, v1, v2, v3
	v_cndmask_b32_e64 v2, 0, v6, s[8:9]
	v_cndmask_b32_e64 v3, 0, v7, s[10:11]
	v_add3_u32 v1, v1, v2, v3
	v_cndmask_b32_e64 v2, 0, v8, s[12:13]
	v_cndmask_b32_e64 v3, 0, v9, s[14:15]
	v_add3_u32 v1, v1, v2, v3
	v_mbcnt_lo_u32_b32 v2, -1, 0
	v_mbcnt_hi_u32_b32 v2, -1, v2
	v_and_b32_e32 v4, 63, v2
	v_cmp_ne_u32_e32 vcc, 63, v4
	s_min_u32 s6, s20, 0x100
	v_and_b32_e32 v5, 0xc0, v0
	v_addc_co_u32_e32 v3, vcc, 0, v2, vcc
	v_lshlrev_b32_e32 v3, 2, v3
	ds_bpermute_b32 v3, v3, v1
	v_sub_u32_e64 v5, s6, v5 clamp
	v_add_u32_e32 v6, 1, v4
	v_cmp_lt_u32_e32 vcc, v6, v5
	v_add_u32_e32 v6, 2, v4
	s_waitcnt lgkmcnt(0)
	v_cndmask_b32_e32 v3, 0, v3, vcc
	v_cmp_gt_u32_e32 vcc, 62, v4
	v_add_u32_e32 v1, v1, v3
	s_nop 0
	v_cndmask_b32_e64 v3, 0, 2, vcc
	v_add_lshl_u32 v3, v3, v2, 2
	ds_bpermute_b32 v3, v3, v1
	v_cmp_lt_u32_e32 vcc, v6, v5
	v_add_u32_e32 v6, 4, v4
	s_waitcnt lgkmcnt(0)
	v_cndmask_b32_e32 v3, 0, v3, vcc
	v_cmp_gt_u32_e32 vcc, 60, v4
	v_add_u32_e32 v1, v1, v3
	s_nop 0
	v_cndmask_b32_e64 v3, 0, 4, vcc
	v_add_lshl_u32 v3, v3, v2, 2
	ds_bpermute_b32 v3, v3, v1
	;; [unrolled: 10-line block ×3, first 2 shown]
	v_cmp_lt_u32_e32 vcc, v6, v5
	v_add_u32_e32 v6, 16, v4
	s_waitcnt lgkmcnt(0)
	v_cndmask_b32_e32 v3, 0, v3, vcc
	v_cmp_gt_u32_e32 vcc, 48, v4
	v_add_u32_e32 v1, v1, v3
	v_add_u32_e32 v4, 32, v4
	v_cndmask_b32_e64 v3, 0, 16, vcc
	v_add_lshl_u32 v3, v3, v2, 2
	ds_bpermute_b32 v3, v3, v1
	v_cmp_lt_u32_e32 vcc, v6, v5
	s_waitcnt lgkmcnt(0)
	s_nop 0
	v_cndmask_b32_e32 v3, 0, v3, vcc
	v_add_u32_e32 v1, v1, v3
	v_lshlrev_b32_e32 v3, 2, v2
	v_or_b32_e32 v6, 0x80, v3
	ds_bpermute_b32 v6, v6, v1
	v_cmp_lt_u32_e32 vcc, v4, v5
	s_waitcnt lgkmcnt(0)
	s_nop 0
	v_cndmask_b32_e32 v4, 0, v6, vcc
	v_add_u32_e32 v1, v1, v4
	v_cmp_eq_u32_e32 vcc, 0, v2
	s_and_saveexec_b64 s[4:5], vcc
; %bb.81:
	v_lshrrev_b32_e32 v4, 4, v0
	v_and_b32_e32 v4, 12, v4
	ds_write_b32 v4, v1 offset:80
; %bb.82:
	s_or_b64 exec, exec, s[4:5]
	v_cmp_gt_u32_e32 vcc, 4, v0
	s_waitcnt lgkmcnt(0)
	s_barrier
	s_and_saveexec_b64 s[4:5], vcc
	s_cbranch_execz .LBB360_84
; %bb.83:
	ds_read_b32 v1, v3 offset:80
	v_and_b32_e32 v4, 3, v2
	v_cmp_ne_u32_e32 vcc, 3, v4
	s_add_i32 s6, s6, 63
	s_lshr_b32 s6, s6, 6
	v_addc_co_u32_e32 v2, vcc, 0, v2, vcc
	v_lshlrev_b32_e32 v2, 2, v2
	s_waitcnt lgkmcnt(0)
	ds_bpermute_b32 v2, v2, v1
	v_add_u32_e32 v5, 1, v4
	v_cmp_gt_u32_e32 vcc, s6, v5
	s_waitcnt lgkmcnt(0)
	s_nop 0
	v_cndmask_b32_e32 v2, 0, v2, vcc
	v_add_u32_e32 v1, v2, v1
	v_or_b32_e32 v2, 8, v3
	ds_bpermute_b32 v2, v2, v1
	v_add_u32_e32 v3, 2, v4
	v_cmp_gt_u32_e32 vcc, s6, v3
	s_waitcnt lgkmcnt(0)
	s_nop 0
	v_cndmask_b32_e32 v2, 0, v2, vcc
	v_add_u32_e32 v1, v1, v2
.LBB360_84:
	s_or_b64 exec, exec, s[4:5]
.LBB360_85:
	v_cmp_eq_u32_e64 s[4:5], 0, v0
	s_branch .LBB360_94
.LBB360_86:
	s_cmp_eq_u32 s33, 4
	s_cbranch_scc0 .LBB360_93
; %bb.87:
	s_mov_b32 s3, 0
	s_lshl_b32 s4, s2, 10
	s_mov_b32 s5, s3
	s_lshr_b64 s[6:7], s[38:39], 10
	s_lshl_b64 s[8:9], s[4:5], 3
	s_add_u32 s8, s36, s8
	s_addc_u32 s9, s37, s9
	s_cmp_lg_u64 s[6:7], s[2:3]
	s_cbranch_scc0 .LBB360_95
; %bb.88:
	v_lshlrev_b32_e32 v2, 3, v0
	v_mov_b32_e32 v3, 0
	v_lshl_add_u64 v[4:5], s[8:9], 0, v[2:3]
	v_add_co_u32_e32 v4, vcc, 0x1000, v4
	s_nop 1
	v_addc_co_u32_e32 v5, vcc, 0, v5, vcc
	global_load_dword v1, v2, s[8:9]
	global_load_dword v6, v2, s[8:9] offset:2048
	global_load_dword v7, v[4:5], off
	global_load_dword v8, v[4:5], off offset:2048
	v_mbcnt_lo_u32_b32 v2, -1, 0
	v_mbcnt_hi_u32_b32 v2, -1, v2
	v_lshlrev_b32_e32 v3, 2, v2
	v_or_b32_e32 v4, 0xfc, v3
	v_cmp_eq_u32_e32 vcc, 0, v2
	s_waitcnt vmcnt(2)
	v_add_u32_e32 v1, v6, v1
	s_waitcnt vmcnt(0)
	v_add3_u32 v1, v1, v7, v8
	s_nop 1
	v_add_u32_dpp v1, v1, v1 quad_perm:[1,0,3,2] row_mask:0xf bank_mask:0xf bound_ctrl:1
	s_nop 1
	v_add_u32_dpp v1, v1, v1 quad_perm:[2,3,0,1] row_mask:0xf bank_mask:0xf bound_ctrl:1
	s_nop 1
	v_add_u32_dpp v1, v1, v1 row_ror:4 row_mask:0xf bank_mask:0xf bound_ctrl:1
	s_nop 1
	v_add_u32_dpp v1, v1, v1 row_ror:8 row_mask:0xf bank_mask:0xf bound_ctrl:1
	s_nop 1
	v_add_u32_dpp v1, v1, v1 row_bcast:15 row_mask:0xf bank_mask:0xf bound_ctrl:1
	s_nop 1
	v_add_u32_dpp v1, v1, v1 row_bcast:31 row_mask:0xf bank_mask:0xf bound_ctrl:1
	ds_bpermute_b32 v1, v4, v1
	s_and_saveexec_b64 s[6:7], vcc
	s_cbranch_execz .LBB360_90
; %bb.89:
	v_lshrrev_b32_e32 v4, 4, v0
	v_and_b32_e32 v4, 12, v4
	s_waitcnt lgkmcnt(0)
	ds_write_b32 v4, v1 offset:48
.LBB360_90:
	s_or_b64 exec, exec, s[6:7]
	v_cmp_gt_u32_e32 vcc, 64, v0
	s_waitcnt lgkmcnt(0)
	s_barrier
	s_and_saveexec_b64 s[6:7], vcc
	s_cbranch_execz .LBB360_92
; %bb.91:
	v_and_b32_e32 v1, 3, v2
	v_lshlrev_b32_e32 v4, 2, v1
	ds_read_b32 v4, v4 offset:48
	v_cmp_ne_u32_e32 vcc, 3, v1
	s_nop 1
	v_addc_co_u32_e32 v1, vcc, 0, v2, vcc
	v_lshlrev_b32_e32 v1, 2, v1
	s_waitcnt lgkmcnt(0)
	ds_bpermute_b32 v1, v1, v4
	v_or_b32_e32 v2, 8, v3
	s_waitcnt lgkmcnt(0)
	v_add_u32_e32 v1, v1, v4
	ds_bpermute_b32 v2, v2, v1
	s_waitcnt lgkmcnt(0)
	v_add_u32_e32 v1, v2, v1
.LBB360_92:
	s_or_b64 exec, exec, s[6:7]
	s_branch .LBB360_109
.LBB360_93:
                                        ; implicit-def: $vgpr1
.LBB360_94:
	s_branch .LBB360_140
.LBB360_95:
                                        ; implicit-def: $vgpr1
	s_cbranch_execz .LBB360_109
; %bb.96:
	s_sub_i32 s12, s38, s4
	v_mov_b32_e32 v2, 0
	v_cmp_gt_u32_e32 vcc, s12, v0
	v_mov_b32_e32 v3, v2
	v_mov_b32_e32 v4, v2
	;; [unrolled: 1-line block ×3, first 2 shown]
	s_and_saveexec_b64 s[4:5], vcc
	s_cbranch_execz .LBB360_98
; %bb.97:
	v_lshlrev_b32_e32 v1, 3, v0
	global_load_dword v4, v1, s[8:9]
	v_mov_b32_e32 v5, v2
	v_mov_b32_e32 v6, v2
	;; [unrolled: 1-line block ×3, first 2 shown]
	s_waitcnt vmcnt(0)
	v_mov_b64_e32 v[2:3], v[4:5]
	v_mov_b64_e32 v[4:5], v[6:7]
.LBB360_98:
	s_or_b64 exec, exec, s[4:5]
	v_or_b32_e32 v1, 0x100, v0
	v_cmp_gt_u32_e32 vcc, s12, v1
	s_and_saveexec_b64 s[4:5], vcc
	s_cbranch_execz .LBB360_100
; %bb.99:
	v_lshlrev_b32_e32 v1, 3, v0
	global_load_dword v3, v1, s[8:9] offset:2048
.LBB360_100:
	s_or_b64 exec, exec, s[4:5]
	v_or_b32_e32 v1, 0x200, v0
	v_cmp_gt_u32_e64 s[4:5], s12, v1
	s_and_saveexec_b64 s[6:7], s[4:5]
	s_cbranch_execz .LBB360_102
; %bb.101:
	v_lshlrev_b32_e32 v1, 3, v1
	global_load_dword v4, v1, s[8:9]
.LBB360_102:
	s_or_b64 exec, exec, s[6:7]
	v_or_b32_e32 v1, 0x300, v0
	v_cmp_gt_u32_e64 s[6:7], s12, v1
	s_and_saveexec_b64 s[10:11], s[6:7]
	s_cbranch_execz .LBB360_104
; %bb.103:
	v_lshlrev_b32_e32 v1, 3, v1
	global_load_dword v5, v1, s[8:9]
.LBB360_104:
	s_or_b64 exec, exec, s[10:11]
	s_waitcnt vmcnt(0)
	v_cndmask_b32_e32 v1, 0, v3, vcc
	v_add_u32_e32 v1, v1, v2
	v_cndmask_b32_e64 v2, 0, v4, s[4:5]
	v_cndmask_b32_e64 v3, 0, v5, s[6:7]
	v_add3_u32 v1, v1, v2, v3
	v_mbcnt_lo_u32_b32 v2, -1, 0
	v_mbcnt_hi_u32_b32 v2, -1, v2
	v_and_b32_e32 v4, 63, v2
	v_cmp_ne_u32_e32 vcc, 63, v4
	s_min_u32 s6, s12, 0x100
	v_and_b32_e32 v5, 0xc0, v0
	v_addc_co_u32_e32 v3, vcc, 0, v2, vcc
	v_lshlrev_b32_e32 v3, 2, v3
	ds_bpermute_b32 v3, v3, v1
	v_sub_u32_e64 v5, s6, v5 clamp
	v_add_u32_e32 v6, 1, v4
	v_cmp_lt_u32_e32 vcc, v6, v5
	v_add_u32_e32 v6, 2, v4
	s_waitcnt lgkmcnt(0)
	v_cndmask_b32_e32 v3, 0, v3, vcc
	v_cmp_gt_u32_e32 vcc, 62, v4
	v_add_u32_e32 v1, v3, v1
	s_nop 0
	v_cndmask_b32_e64 v3, 0, 2, vcc
	v_add_lshl_u32 v3, v3, v2, 2
	ds_bpermute_b32 v3, v3, v1
	v_cmp_lt_u32_e32 vcc, v6, v5
	v_add_u32_e32 v6, 4, v4
	s_waitcnt lgkmcnt(0)
	v_cndmask_b32_e32 v3, 0, v3, vcc
	v_cmp_gt_u32_e32 vcc, 60, v4
	v_add_u32_e32 v1, v1, v3
	s_nop 0
	v_cndmask_b32_e64 v3, 0, 4, vcc
	v_add_lshl_u32 v3, v3, v2, 2
	ds_bpermute_b32 v3, v3, v1
	;; [unrolled: 10-line block ×3, first 2 shown]
	v_cmp_lt_u32_e32 vcc, v6, v5
	v_add_u32_e32 v6, 16, v4
	s_waitcnt lgkmcnt(0)
	v_cndmask_b32_e32 v3, 0, v3, vcc
	v_cmp_gt_u32_e32 vcc, 48, v4
	v_add_u32_e32 v1, v1, v3
	v_add_u32_e32 v4, 32, v4
	v_cndmask_b32_e64 v3, 0, 16, vcc
	v_add_lshl_u32 v3, v3, v2, 2
	ds_bpermute_b32 v3, v3, v1
	v_cmp_lt_u32_e32 vcc, v6, v5
	s_waitcnt lgkmcnt(0)
	s_nop 0
	v_cndmask_b32_e32 v3, 0, v3, vcc
	v_add_u32_e32 v1, v1, v3
	v_lshlrev_b32_e32 v3, 2, v2
	v_or_b32_e32 v6, 0x80, v3
	ds_bpermute_b32 v6, v6, v1
	v_cmp_lt_u32_e32 vcc, v4, v5
	s_waitcnt lgkmcnt(0)
	s_nop 0
	v_cndmask_b32_e32 v4, 0, v6, vcc
	v_add_u32_e32 v1, v1, v4
	v_cmp_eq_u32_e32 vcc, 0, v2
	s_and_saveexec_b64 s[4:5], vcc
; %bb.105:
	v_lshrrev_b32_e32 v4, 4, v0
	v_and_b32_e32 v4, 12, v4
	ds_write_b32 v4, v1 offset:80
; %bb.106:
	s_or_b64 exec, exec, s[4:5]
	v_cmp_gt_u32_e32 vcc, 4, v0
	s_waitcnt lgkmcnt(0)
	s_barrier
	s_and_saveexec_b64 s[4:5], vcc
	s_cbranch_execz .LBB360_108
; %bb.107:
	ds_read_b32 v1, v3 offset:80
	v_and_b32_e32 v4, 3, v2
	v_cmp_ne_u32_e32 vcc, 3, v4
	s_add_i32 s6, s6, 63
	s_lshr_b32 s6, s6, 6
	v_addc_co_u32_e32 v2, vcc, 0, v2, vcc
	v_lshlrev_b32_e32 v2, 2, v2
	s_waitcnt lgkmcnt(0)
	ds_bpermute_b32 v2, v2, v1
	v_add_u32_e32 v5, 1, v4
	v_cmp_gt_u32_e32 vcc, s6, v5
	s_waitcnt lgkmcnt(0)
	s_nop 0
	v_cndmask_b32_e32 v2, 0, v2, vcc
	v_add_u32_e32 v1, v2, v1
	v_or_b32_e32 v2, 8, v3
	ds_bpermute_b32 v2, v2, v1
	v_add_u32_e32 v3, 2, v4
	v_cmp_gt_u32_e32 vcc, s6, v3
	s_waitcnt lgkmcnt(0)
	s_nop 0
	v_cndmask_b32_e32 v2, 0, v2, vcc
	v_add_u32_e32 v1, v1, v2
.LBB360_108:
	s_or_b64 exec, exec, s[4:5]
.LBB360_109:
	v_cmp_eq_u32_e64 s[4:5], 0, v0
	s_branch .LBB360_140
.LBB360_110:
	s_cmp_gt_i32 s33, 1
	s_cbranch_scc0 .LBB360_118
; %bb.111:
	s_cmp_eq_u32 s33, 2
	s_cbranch_scc0 .LBB360_119
; %bb.112:
	s_mov_b32 s3, 0
	s_lshl_b32 s6, s2, 9
	s_mov_b32 s7, s3
	s_lshr_b64 s[8:9], s[38:39], 9
	s_lshl_b64 s[4:5], s[6:7], 3
	s_add_u32 s4, s36, s4
	s_addc_u32 s5, s37, s5
	s_cmp_lg_u64 s[8:9], s[2:3]
	s_cbranch_scc0 .LBB360_120
; %bb.113:
	v_lshlrev_b32_e32 v1, 3, v0
	global_load_dword v4, v1, s[4:5]
	global_load_dword v5, v1, s[4:5] offset:2048
	v_mbcnt_lo_u32_b32 v1, -1, 0
	v_mbcnt_hi_u32_b32 v2, -1, v1
	v_lshlrev_b32_e32 v3, 2, v2
	v_cmp_eq_u32_e32 vcc, 0, v2
	s_waitcnt vmcnt(0)
	v_add_u32_e32 v1, v5, v4
	s_nop 1
	v_add_u32_dpp v1, v1, v1 quad_perm:[1,0,3,2] row_mask:0xf bank_mask:0xf bound_ctrl:1
	v_or_b32_e32 v4, 0xfc, v3
	s_nop 0
	v_add_u32_dpp v1, v1, v1 quad_perm:[2,3,0,1] row_mask:0xf bank_mask:0xf bound_ctrl:1
	s_nop 1
	v_add_u32_dpp v1, v1, v1 row_ror:4 row_mask:0xf bank_mask:0xf bound_ctrl:1
	s_nop 1
	v_add_u32_dpp v1, v1, v1 row_ror:8 row_mask:0xf bank_mask:0xf bound_ctrl:1
	s_nop 1
	v_add_u32_dpp v1, v1, v1 row_bcast:15 row_mask:0xf bank_mask:0xf bound_ctrl:1
	s_nop 1
	v_add_u32_dpp v1, v1, v1 row_bcast:31 row_mask:0xf bank_mask:0xf bound_ctrl:1
	ds_bpermute_b32 v1, v4, v1
	s_and_saveexec_b64 s[8:9], vcc
	s_cbranch_execz .LBB360_115
; %bb.114:
	v_lshrrev_b32_e32 v4, 4, v0
	v_and_b32_e32 v4, 12, v4
	s_waitcnt lgkmcnt(0)
	ds_write_b32 v4, v1 offset:32
.LBB360_115:
	s_or_b64 exec, exec, s[8:9]
	v_cmp_gt_u32_e32 vcc, 64, v0
	s_waitcnt lgkmcnt(0)
	s_barrier
	s_and_saveexec_b64 s[8:9], vcc
	s_cbranch_execz .LBB360_117
; %bb.116:
	v_and_b32_e32 v1, 3, v2
	v_lshlrev_b32_e32 v4, 2, v1
	ds_read_b32 v4, v4 offset:32
	v_cmp_ne_u32_e32 vcc, 3, v1
	s_nop 1
	v_addc_co_u32_e32 v1, vcc, 0, v2, vcc
	v_lshlrev_b32_e32 v1, 2, v1
	s_waitcnt lgkmcnt(0)
	ds_bpermute_b32 v1, v1, v4
	v_or_b32_e32 v2, 8, v3
	s_waitcnt lgkmcnt(0)
	v_add_u32_e32 v1, v1, v4
	ds_bpermute_b32 v2, v2, v1
	s_waitcnt lgkmcnt(0)
	v_add_u32_e32 v1, v2, v1
.LBB360_117:
	s_or_b64 exec, exec, s[8:9]
	s_branch .LBB360_130
.LBB360_118:
                                        ; implicit-def: $vgpr1
	s_cbranch_execnz .LBB360_131
	s_branch .LBB360_140
.LBB360_119:
                                        ; implicit-def: $vgpr1
	s_branch .LBB360_140
.LBB360_120:
                                        ; implicit-def: $vgpr1
	s_cbranch_execz .LBB360_130
; %bb.121:
	s_sub_i32 s8, s38, s6
	v_mov_b32_e32 v2, 0
	v_cmp_gt_u32_e32 vcc, s8, v0
	v_mov_b32_e32 v3, v2
	s_and_saveexec_b64 s[6:7], vcc
	s_cbranch_execz .LBB360_123
; %bb.122:
	v_lshlrev_b32_e32 v1, 3, v0
	global_load_dword v4, v1, s[4:5]
	v_mov_b32_e32 v5, v2
	s_waitcnt vmcnt(0)
	v_mov_b64_e32 v[2:3], v[4:5]
.LBB360_123:
	s_or_b64 exec, exec, s[6:7]
	v_or_b32_e32 v1, 0x100, v0
	v_cmp_gt_u32_e32 vcc, s8, v1
	s_and_saveexec_b64 s[6:7], vcc
	s_cbranch_execz .LBB360_125
; %bb.124:
	v_lshlrev_b32_e32 v1, 3, v0
	global_load_dword v3, v1, s[4:5] offset:2048
.LBB360_125:
	s_or_b64 exec, exec, s[6:7]
	s_waitcnt vmcnt(0)
	v_cndmask_b32_e32 v1, 0, v3, vcc
	v_add_u32_e32 v1, v1, v2
	v_mbcnt_lo_u32_b32 v2, -1, 0
	v_mbcnt_hi_u32_b32 v2, -1, v2
	v_and_b32_e32 v4, 63, v2
	v_cmp_ne_u32_e32 vcc, 63, v4
	s_min_u32 s6, s8, 0x100
	v_and_b32_e32 v5, 0xc0, v0
	v_addc_co_u32_e32 v3, vcc, 0, v2, vcc
	v_lshlrev_b32_e32 v3, 2, v3
	ds_bpermute_b32 v3, v3, v1
	v_sub_u32_e64 v5, s6, v5 clamp
	v_add_u32_e32 v6, 1, v4
	v_cmp_lt_u32_e32 vcc, v6, v5
	v_add_u32_e32 v6, 2, v4
	s_waitcnt lgkmcnt(0)
	v_cndmask_b32_e32 v3, 0, v3, vcc
	v_cmp_gt_u32_e32 vcc, 62, v4
	v_add_u32_e32 v1, v3, v1
	s_nop 0
	v_cndmask_b32_e64 v3, 0, 2, vcc
	v_add_lshl_u32 v3, v3, v2, 2
	ds_bpermute_b32 v3, v3, v1
	v_cmp_lt_u32_e32 vcc, v6, v5
	v_add_u32_e32 v6, 4, v4
	s_waitcnt lgkmcnt(0)
	v_cndmask_b32_e32 v3, 0, v3, vcc
	v_cmp_gt_u32_e32 vcc, 60, v4
	v_add_u32_e32 v1, v1, v3
	s_nop 0
	v_cndmask_b32_e64 v3, 0, 4, vcc
	v_add_lshl_u32 v3, v3, v2, 2
	ds_bpermute_b32 v3, v3, v1
	;; [unrolled: 10-line block ×3, first 2 shown]
	v_cmp_lt_u32_e32 vcc, v6, v5
	v_add_u32_e32 v6, 16, v4
	s_waitcnt lgkmcnt(0)
	v_cndmask_b32_e32 v3, 0, v3, vcc
	v_cmp_gt_u32_e32 vcc, 48, v4
	v_add_u32_e32 v1, v1, v3
	v_add_u32_e32 v4, 32, v4
	v_cndmask_b32_e64 v3, 0, 16, vcc
	v_add_lshl_u32 v3, v3, v2, 2
	ds_bpermute_b32 v3, v3, v1
	v_cmp_lt_u32_e32 vcc, v6, v5
	s_waitcnt lgkmcnt(0)
	s_nop 0
	v_cndmask_b32_e32 v3, 0, v3, vcc
	v_add_u32_e32 v1, v1, v3
	v_lshlrev_b32_e32 v3, 2, v2
	v_or_b32_e32 v6, 0x80, v3
	ds_bpermute_b32 v6, v6, v1
	v_cmp_lt_u32_e32 vcc, v4, v5
	s_waitcnt lgkmcnt(0)
	s_nop 0
	v_cndmask_b32_e32 v4, 0, v6, vcc
	v_add_u32_e32 v1, v1, v4
	v_cmp_eq_u32_e32 vcc, 0, v2
	s_and_saveexec_b64 s[4:5], vcc
; %bb.126:
	v_lshrrev_b32_e32 v4, 4, v0
	v_and_b32_e32 v4, 12, v4
	ds_write_b32 v4, v1 offset:80
; %bb.127:
	s_or_b64 exec, exec, s[4:5]
	v_cmp_gt_u32_e32 vcc, 4, v0
	s_waitcnt lgkmcnt(0)
	s_barrier
	s_and_saveexec_b64 s[4:5], vcc
	s_cbranch_execz .LBB360_129
; %bb.128:
	ds_read_b32 v1, v3 offset:80
	v_and_b32_e32 v4, 3, v2
	v_cmp_ne_u32_e32 vcc, 3, v4
	s_add_i32 s6, s6, 63
	s_lshr_b32 s6, s6, 6
	v_addc_co_u32_e32 v2, vcc, 0, v2, vcc
	v_lshlrev_b32_e32 v2, 2, v2
	s_waitcnt lgkmcnt(0)
	ds_bpermute_b32 v2, v2, v1
	v_add_u32_e32 v5, 1, v4
	v_cmp_gt_u32_e32 vcc, s6, v5
	s_waitcnt lgkmcnt(0)
	s_nop 0
	v_cndmask_b32_e32 v2, 0, v2, vcc
	v_add_u32_e32 v1, v2, v1
	v_or_b32_e32 v2, 8, v3
	ds_bpermute_b32 v2, v2, v1
	v_add_u32_e32 v3, 2, v4
	v_cmp_gt_u32_e32 vcc, s6, v3
	s_waitcnt lgkmcnt(0)
	s_nop 0
	v_cndmask_b32_e32 v2, 0, v2, vcc
	v_add_u32_e32 v1, v1, v2
.LBB360_129:
	s_or_b64 exec, exec, s[4:5]
.LBB360_130:
	v_cmp_eq_u32_e64 s[4:5], 0, v0
	s_branch .LBB360_140
.LBB360_131:
	s_cmp_eq_u32 s33, 1
	s_cbranch_scc0 .LBB360_139
; %bb.132:
	s_mov_b32 s5, 0
	s_lshl_b32 s4, s2, 8
	s_mov_b32 s3, s5
	s_lshr_b64 s[6:7], s[38:39], 8
	s_cmp_lg_u64 s[6:7], s[2:3]
	v_mbcnt_lo_u32_b32 v2, -1, 0
	s_cbranch_scc0 .LBB360_143
; %bb.133:
	s_lshl_b64 s[6:7], s[4:5], 3
	s_add_u32 s6, s36, s6
	s_addc_u32 s7, s37, s7
	v_lshlrev_b32_e32 v1, 3, v0
	global_load_dword v1, v1, s[6:7]
	v_mbcnt_hi_u32_b32 v3, -1, v2
	v_lshlrev_b32_e32 v4, 2, v3
	v_or_b32_e32 v5, 0xfc, v4
	v_cmp_eq_u32_e32 vcc, 0, v3
	s_waitcnt vmcnt(0)
	v_add_u32_dpp v1, v1, v1 quad_perm:[1,0,3,2] row_mask:0xf bank_mask:0xf bound_ctrl:1
	s_nop 1
	v_add_u32_dpp v1, v1, v1 quad_perm:[2,3,0,1] row_mask:0xf bank_mask:0xf bound_ctrl:1
	s_nop 1
	v_add_u32_dpp v1, v1, v1 row_ror:4 row_mask:0xf bank_mask:0xf bound_ctrl:1
	s_nop 1
	v_add_u32_dpp v1, v1, v1 row_ror:8 row_mask:0xf bank_mask:0xf bound_ctrl:1
	s_nop 1
	v_add_u32_dpp v1, v1, v1 row_bcast:15 row_mask:0xf bank_mask:0xf bound_ctrl:1
	s_nop 1
	v_add_u32_dpp v1, v1, v1 row_bcast:31 row_mask:0xf bank_mask:0xf bound_ctrl:1
	ds_bpermute_b32 v1, v5, v1
	s_and_saveexec_b64 s[6:7], vcc
	s_cbranch_execz .LBB360_135
; %bb.134:
	v_lshrrev_b32_e32 v5, 4, v0
	v_and_b32_e32 v5, 12, v5
	s_waitcnt lgkmcnt(0)
	ds_write_b32 v5, v1 offset:16
.LBB360_135:
	s_or_b64 exec, exec, s[6:7]
	v_cmp_gt_u32_e32 vcc, 64, v0
	s_waitcnt lgkmcnt(0)
	s_barrier
	s_and_saveexec_b64 s[6:7], vcc
	s_cbranch_execz .LBB360_137
; %bb.136:
	v_and_b32_e32 v1, 3, v3
	v_lshlrev_b32_e32 v5, 2, v1
	ds_read_b32 v5, v5 offset:16
	v_cmp_ne_u32_e32 vcc, 3, v1
	s_nop 1
	v_addc_co_u32_e32 v1, vcc, 0, v3, vcc
	v_lshlrev_b32_e32 v1, 2, v1
	s_waitcnt lgkmcnt(0)
	ds_bpermute_b32 v1, v1, v5
	v_or_b32_e32 v3, 8, v4
	s_waitcnt lgkmcnt(0)
	v_add_u32_e32 v1, v1, v5
	ds_bpermute_b32 v3, v3, v1
	s_waitcnt lgkmcnt(0)
	v_add_u32_e32 v1, v3, v1
.LBB360_137:
	s_or_b64 exec, exec, s[6:7]
.LBB360_138:
	v_cmp_eq_u32_e64 s[4:5], 0, v0
	s_and_saveexec_b64 s[6:7], s[4:5]
	s_cbranch_execnz .LBB360_141
	s_branch .LBB360_142
.LBB360_139:
                                        ; implicit-def: $vgpr1
                                        ; implicit-def: $sgpr2_sgpr3
.LBB360_140:
	s_and_saveexec_b64 s[6:7], s[4:5]
	s_cbranch_execz .LBB360_142
.LBB360_141:
	s_load_dwordx2 s[4:5], s[0:1], 0x18
	s_load_dword s6, s[0:1], 0x20
	s_lshl_b64 s[0:1], s[2:3], 2
	v_mov_b32_e32 v0, 0
	s_waitcnt lgkmcnt(0)
	s_add_u32 s0, s4, s0
	s_addc_u32 s1, s5, s1
	s_cmp_lg_u64 s[38:39], 0
	s_cselect_b64 vcc, -1, 0
	v_cndmask_b32_e32 v1, 0, v1, vcc
	v_add_u32_e32 v1, s6, v1
	global_store_dword v0, v1, s[0:1]
.LBB360_142:
	s_endpgm
.LBB360_143:
                                        ; implicit-def: $vgpr1
	s_cbranch_execz .LBB360_138
; %bb.144:
	s_sub_i32 s8, s38, s4
	v_cmp_gt_u32_e32 vcc, s8, v0
                                        ; implicit-def: $vgpr1
	s_and_saveexec_b64 s[6:7], vcc
	s_cbranch_execz .LBB360_146
; %bb.145:
	s_lshl_b64 s[4:5], s[4:5], 3
	s_add_u32 s4, s36, s4
	s_addc_u32 s5, s37, s5
	v_lshlrev_b32_e32 v1, 3, v0
	global_load_dword v1, v1, s[4:5]
.LBB360_146:
	s_or_b64 exec, exec, s[6:7]
	v_mbcnt_hi_u32_b32 v2, -1, v2
	v_and_b32_e32 v4, 63, v2
	v_cmp_ne_u32_e32 vcc, 63, v4
	s_min_u32 s6, s8, 0x100
	v_and_b32_e32 v5, 0xc0, v0
	v_addc_co_u32_e32 v3, vcc, 0, v2, vcc
	v_lshlrev_b32_e32 v3, 2, v3
	s_waitcnt vmcnt(0)
	ds_bpermute_b32 v3, v3, v1
	v_sub_u32_e64 v5, s6, v5 clamp
	v_add_u32_e32 v6, 1, v4
	v_cmp_lt_u32_e32 vcc, v6, v5
	v_add_u32_e32 v6, 2, v4
	s_waitcnt lgkmcnt(0)
	v_cndmask_b32_e32 v3, 0, v3, vcc
	v_cmp_gt_u32_e32 vcc, 62, v4
	v_add_u32_e32 v1, v3, v1
	s_nop 0
	v_cndmask_b32_e64 v3, 0, 2, vcc
	v_add_lshl_u32 v3, v3, v2, 2
	ds_bpermute_b32 v3, v3, v1
	v_cmp_lt_u32_e32 vcc, v6, v5
	v_add_u32_e32 v6, 4, v4
	s_waitcnt lgkmcnt(0)
	v_cndmask_b32_e32 v3, 0, v3, vcc
	v_cmp_gt_u32_e32 vcc, 60, v4
	v_add_u32_e32 v1, v1, v3
	s_nop 0
	v_cndmask_b32_e64 v3, 0, 4, vcc
	v_add_lshl_u32 v3, v3, v2, 2
	ds_bpermute_b32 v3, v3, v1
	;; [unrolled: 10-line block ×3, first 2 shown]
	v_cmp_lt_u32_e32 vcc, v6, v5
	v_add_u32_e32 v6, 16, v4
	s_waitcnt lgkmcnt(0)
	v_cndmask_b32_e32 v3, 0, v3, vcc
	v_cmp_gt_u32_e32 vcc, 48, v4
	v_add_u32_e32 v1, v1, v3
	v_add_u32_e32 v4, 32, v4
	v_cndmask_b32_e64 v3, 0, 16, vcc
	v_add_lshl_u32 v3, v3, v2, 2
	ds_bpermute_b32 v3, v3, v1
	v_cmp_lt_u32_e32 vcc, v6, v5
	s_waitcnt lgkmcnt(0)
	s_nop 0
	v_cndmask_b32_e32 v3, 0, v3, vcc
	v_add_u32_e32 v1, v1, v3
	v_lshlrev_b32_e32 v3, 2, v2
	v_or_b32_e32 v6, 0x80, v3
	ds_bpermute_b32 v6, v6, v1
	v_cmp_lt_u32_e32 vcc, v4, v5
	s_waitcnt lgkmcnt(0)
	s_nop 0
	v_cndmask_b32_e32 v4, 0, v6, vcc
	v_add_u32_e32 v1, v1, v4
	v_cmp_eq_u32_e32 vcc, 0, v2
	s_and_saveexec_b64 s[4:5], vcc
; %bb.147:
	v_lshrrev_b32_e32 v4, 4, v0
	v_and_b32_e32 v4, 12, v4
	ds_write_b32 v4, v1 offset:80
; %bb.148:
	s_or_b64 exec, exec, s[4:5]
	v_cmp_gt_u32_e32 vcc, 4, v0
	s_waitcnt lgkmcnt(0)
	s_barrier
	s_and_saveexec_b64 s[4:5], vcc
	s_cbranch_execz .LBB360_150
; %bb.149:
	ds_read_b32 v1, v3 offset:80
	v_and_b32_e32 v4, 3, v2
	v_cmp_ne_u32_e32 vcc, 3, v4
	s_add_i32 s6, s6, 63
	s_lshr_b32 s6, s6, 6
	v_addc_co_u32_e32 v2, vcc, 0, v2, vcc
	v_lshlrev_b32_e32 v2, 2, v2
	s_waitcnt lgkmcnt(0)
	ds_bpermute_b32 v2, v2, v1
	v_add_u32_e32 v5, 1, v4
	v_cmp_gt_u32_e32 vcc, s6, v5
	s_waitcnt lgkmcnt(0)
	s_nop 0
	v_cndmask_b32_e32 v2, 0, v2, vcc
	v_add_u32_e32 v1, v2, v1
	v_or_b32_e32 v2, 8, v3
	ds_bpermute_b32 v2, v2, v1
	v_add_u32_e32 v3, 2, v4
	v_cmp_gt_u32_e32 vcc, s6, v3
	s_waitcnt lgkmcnt(0)
	s_nop 0
	v_cndmask_b32_e32 v2, 0, v2, vcc
	v_add_u32_e32 v1, v1, v2
.LBB360_150:
	s_or_b64 exec, exec, s[4:5]
	v_cmp_eq_u32_e64 s[4:5], 0, v0
	s_and_saveexec_b64 s[6:7], s[4:5]
	s_cbranch_execnz .LBB360_141
	s_branch .LBB360_142
	.section	.rodata,"a",@progbits
	.p2align	6, 0x0
	.amdhsa_kernel _ZN7rocprim17ROCPRIM_400000_NS6detail17trampoline_kernelINS0_14default_configENS1_22reduce_config_selectorIyEEZNS1_11reduce_implILb1ES3_N6thrust23THRUST_200600_302600_NS6detail15normal_iteratorINS8_10device_ptrIyEEEEPiiNS8_4plusIiEEEE10hipError_tPvRmT1_T2_T3_mT4_P12ihipStream_tbEUlT_E1_NS1_11comp_targetILNS1_3genE0ELNS1_11target_archE4294967295ELNS1_3gpuE0ELNS1_3repE0EEENS1_30default_config_static_selectorELNS0_4arch9wavefront6targetE1EEEvSK_
		.amdhsa_group_segment_fixed_size 96
		.amdhsa_private_segment_fixed_size 0
		.amdhsa_kernarg_size 40
		.amdhsa_user_sgpr_count 2
		.amdhsa_user_sgpr_dispatch_ptr 0
		.amdhsa_user_sgpr_queue_ptr 0
		.amdhsa_user_sgpr_kernarg_segment_ptr 1
		.amdhsa_user_sgpr_dispatch_id 0
		.amdhsa_user_sgpr_kernarg_preload_length 0
		.amdhsa_user_sgpr_kernarg_preload_offset 0
		.amdhsa_user_sgpr_private_segment_size 0
		.amdhsa_uses_dynamic_stack 0
		.amdhsa_enable_private_segment 0
		.amdhsa_system_sgpr_workgroup_id_x 1
		.amdhsa_system_sgpr_workgroup_id_y 0
		.amdhsa_system_sgpr_workgroup_id_z 0
		.amdhsa_system_sgpr_workgroup_info 0
		.amdhsa_system_vgpr_workitem_id 0
		.amdhsa_next_free_vgpr 23
		.amdhsa_next_free_sgpr 45
		.amdhsa_accum_offset 24
		.amdhsa_reserve_vcc 1
		.amdhsa_float_round_mode_32 0
		.amdhsa_float_round_mode_16_64 0
		.amdhsa_float_denorm_mode_32 3
		.amdhsa_float_denorm_mode_16_64 3
		.amdhsa_dx10_clamp 1
		.amdhsa_ieee_mode 1
		.amdhsa_fp16_overflow 0
		.amdhsa_tg_split 0
		.amdhsa_exception_fp_ieee_invalid_op 0
		.amdhsa_exception_fp_denorm_src 0
		.amdhsa_exception_fp_ieee_div_zero 0
		.amdhsa_exception_fp_ieee_overflow 0
		.amdhsa_exception_fp_ieee_underflow 0
		.amdhsa_exception_fp_ieee_inexact 0
		.amdhsa_exception_int_div_zero 0
	.end_amdhsa_kernel
	.section	.text._ZN7rocprim17ROCPRIM_400000_NS6detail17trampoline_kernelINS0_14default_configENS1_22reduce_config_selectorIyEEZNS1_11reduce_implILb1ES3_N6thrust23THRUST_200600_302600_NS6detail15normal_iteratorINS8_10device_ptrIyEEEEPiiNS8_4plusIiEEEE10hipError_tPvRmT1_T2_T3_mT4_P12ihipStream_tbEUlT_E1_NS1_11comp_targetILNS1_3genE0ELNS1_11target_archE4294967295ELNS1_3gpuE0ELNS1_3repE0EEENS1_30default_config_static_selectorELNS0_4arch9wavefront6targetE1EEEvSK_,"axG",@progbits,_ZN7rocprim17ROCPRIM_400000_NS6detail17trampoline_kernelINS0_14default_configENS1_22reduce_config_selectorIyEEZNS1_11reduce_implILb1ES3_N6thrust23THRUST_200600_302600_NS6detail15normal_iteratorINS8_10device_ptrIyEEEEPiiNS8_4plusIiEEEE10hipError_tPvRmT1_T2_T3_mT4_P12ihipStream_tbEUlT_E1_NS1_11comp_targetILNS1_3genE0ELNS1_11target_archE4294967295ELNS1_3gpuE0ELNS1_3repE0EEENS1_30default_config_static_selectorELNS0_4arch9wavefront6targetE1EEEvSK_,comdat
.Lfunc_end360:
	.size	_ZN7rocprim17ROCPRIM_400000_NS6detail17trampoline_kernelINS0_14default_configENS1_22reduce_config_selectorIyEEZNS1_11reduce_implILb1ES3_N6thrust23THRUST_200600_302600_NS6detail15normal_iteratorINS8_10device_ptrIyEEEEPiiNS8_4plusIiEEEE10hipError_tPvRmT1_T2_T3_mT4_P12ihipStream_tbEUlT_E1_NS1_11comp_targetILNS1_3genE0ELNS1_11target_archE4294967295ELNS1_3gpuE0ELNS1_3repE0EEENS1_30default_config_static_selectorELNS0_4arch9wavefront6targetE1EEEvSK_, .Lfunc_end360-_ZN7rocprim17ROCPRIM_400000_NS6detail17trampoline_kernelINS0_14default_configENS1_22reduce_config_selectorIyEEZNS1_11reduce_implILb1ES3_N6thrust23THRUST_200600_302600_NS6detail15normal_iteratorINS8_10device_ptrIyEEEEPiiNS8_4plusIiEEEE10hipError_tPvRmT1_T2_T3_mT4_P12ihipStream_tbEUlT_E1_NS1_11comp_targetILNS1_3genE0ELNS1_11target_archE4294967295ELNS1_3gpuE0ELNS1_3repE0EEENS1_30default_config_static_selectorELNS0_4arch9wavefront6targetE1EEEvSK_
                                        ; -- End function
	.set _ZN7rocprim17ROCPRIM_400000_NS6detail17trampoline_kernelINS0_14default_configENS1_22reduce_config_selectorIyEEZNS1_11reduce_implILb1ES3_N6thrust23THRUST_200600_302600_NS6detail15normal_iteratorINS8_10device_ptrIyEEEEPiiNS8_4plusIiEEEE10hipError_tPvRmT1_T2_T3_mT4_P12ihipStream_tbEUlT_E1_NS1_11comp_targetILNS1_3genE0ELNS1_11target_archE4294967295ELNS1_3gpuE0ELNS1_3repE0EEENS1_30default_config_static_selectorELNS0_4arch9wavefront6targetE1EEEvSK_.num_vgpr, 23
	.set _ZN7rocprim17ROCPRIM_400000_NS6detail17trampoline_kernelINS0_14default_configENS1_22reduce_config_selectorIyEEZNS1_11reduce_implILb1ES3_N6thrust23THRUST_200600_302600_NS6detail15normal_iteratorINS8_10device_ptrIyEEEEPiiNS8_4plusIiEEEE10hipError_tPvRmT1_T2_T3_mT4_P12ihipStream_tbEUlT_E1_NS1_11comp_targetILNS1_3genE0ELNS1_11target_archE4294967295ELNS1_3gpuE0ELNS1_3repE0EEENS1_30default_config_static_selectorELNS0_4arch9wavefront6targetE1EEEvSK_.num_agpr, 0
	.set _ZN7rocprim17ROCPRIM_400000_NS6detail17trampoline_kernelINS0_14default_configENS1_22reduce_config_selectorIyEEZNS1_11reduce_implILb1ES3_N6thrust23THRUST_200600_302600_NS6detail15normal_iteratorINS8_10device_ptrIyEEEEPiiNS8_4plusIiEEEE10hipError_tPvRmT1_T2_T3_mT4_P12ihipStream_tbEUlT_E1_NS1_11comp_targetILNS1_3genE0ELNS1_11target_archE4294967295ELNS1_3gpuE0ELNS1_3repE0EEENS1_30default_config_static_selectorELNS0_4arch9wavefront6targetE1EEEvSK_.numbered_sgpr, 45
	.set _ZN7rocprim17ROCPRIM_400000_NS6detail17trampoline_kernelINS0_14default_configENS1_22reduce_config_selectorIyEEZNS1_11reduce_implILb1ES3_N6thrust23THRUST_200600_302600_NS6detail15normal_iteratorINS8_10device_ptrIyEEEEPiiNS8_4plusIiEEEE10hipError_tPvRmT1_T2_T3_mT4_P12ihipStream_tbEUlT_E1_NS1_11comp_targetILNS1_3genE0ELNS1_11target_archE4294967295ELNS1_3gpuE0ELNS1_3repE0EEENS1_30default_config_static_selectorELNS0_4arch9wavefront6targetE1EEEvSK_.num_named_barrier, 0
	.set _ZN7rocprim17ROCPRIM_400000_NS6detail17trampoline_kernelINS0_14default_configENS1_22reduce_config_selectorIyEEZNS1_11reduce_implILb1ES3_N6thrust23THRUST_200600_302600_NS6detail15normal_iteratorINS8_10device_ptrIyEEEEPiiNS8_4plusIiEEEE10hipError_tPvRmT1_T2_T3_mT4_P12ihipStream_tbEUlT_E1_NS1_11comp_targetILNS1_3genE0ELNS1_11target_archE4294967295ELNS1_3gpuE0ELNS1_3repE0EEENS1_30default_config_static_selectorELNS0_4arch9wavefront6targetE1EEEvSK_.private_seg_size, 0
	.set _ZN7rocprim17ROCPRIM_400000_NS6detail17trampoline_kernelINS0_14default_configENS1_22reduce_config_selectorIyEEZNS1_11reduce_implILb1ES3_N6thrust23THRUST_200600_302600_NS6detail15normal_iteratorINS8_10device_ptrIyEEEEPiiNS8_4plusIiEEEE10hipError_tPvRmT1_T2_T3_mT4_P12ihipStream_tbEUlT_E1_NS1_11comp_targetILNS1_3genE0ELNS1_11target_archE4294967295ELNS1_3gpuE0ELNS1_3repE0EEENS1_30default_config_static_selectorELNS0_4arch9wavefront6targetE1EEEvSK_.uses_vcc, 1
	.set _ZN7rocprim17ROCPRIM_400000_NS6detail17trampoline_kernelINS0_14default_configENS1_22reduce_config_selectorIyEEZNS1_11reduce_implILb1ES3_N6thrust23THRUST_200600_302600_NS6detail15normal_iteratorINS8_10device_ptrIyEEEEPiiNS8_4plusIiEEEE10hipError_tPvRmT1_T2_T3_mT4_P12ihipStream_tbEUlT_E1_NS1_11comp_targetILNS1_3genE0ELNS1_11target_archE4294967295ELNS1_3gpuE0ELNS1_3repE0EEENS1_30default_config_static_selectorELNS0_4arch9wavefront6targetE1EEEvSK_.uses_flat_scratch, 0
	.set _ZN7rocprim17ROCPRIM_400000_NS6detail17trampoline_kernelINS0_14default_configENS1_22reduce_config_selectorIyEEZNS1_11reduce_implILb1ES3_N6thrust23THRUST_200600_302600_NS6detail15normal_iteratorINS8_10device_ptrIyEEEEPiiNS8_4plusIiEEEE10hipError_tPvRmT1_T2_T3_mT4_P12ihipStream_tbEUlT_E1_NS1_11comp_targetILNS1_3genE0ELNS1_11target_archE4294967295ELNS1_3gpuE0ELNS1_3repE0EEENS1_30default_config_static_selectorELNS0_4arch9wavefront6targetE1EEEvSK_.has_dyn_sized_stack, 0
	.set _ZN7rocprim17ROCPRIM_400000_NS6detail17trampoline_kernelINS0_14default_configENS1_22reduce_config_selectorIyEEZNS1_11reduce_implILb1ES3_N6thrust23THRUST_200600_302600_NS6detail15normal_iteratorINS8_10device_ptrIyEEEEPiiNS8_4plusIiEEEE10hipError_tPvRmT1_T2_T3_mT4_P12ihipStream_tbEUlT_E1_NS1_11comp_targetILNS1_3genE0ELNS1_11target_archE4294967295ELNS1_3gpuE0ELNS1_3repE0EEENS1_30default_config_static_selectorELNS0_4arch9wavefront6targetE1EEEvSK_.has_recursion, 0
	.set _ZN7rocprim17ROCPRIM_400000_NS6detail17trampoline_kernelINS0_14default_configENS1_22reduce_config_selectorIyEEZNS1_11reduce_implILb1ES3_N6thrust23THRUST_200600_302600_NS6detail15normal_iteratorINS8_10device_ptrIyEEEEPiiNS8_4plusIiEEEE10hipError_tPvRmT1_T2_T3_mT4_P12ihipStream_tbEUlT_E1_NS1_11comp_targetILNS1_3genE0ELNS1_11target_archE4294967295ELNS1_3gpuE0ELNS1_3repE0EEENS1_30default_config_static_selectorELNS0_4arch9wavefront6targetE1EEEvSK_.has_indirect_call, 0
	.section	.AMDGPU.csdata,"",@progbits
; Kernel info:
; codeLenInByte = 6660
; TotalNumSgprs: 51
; NumVgprs: 23
; NumAgprs: 0
; TotalNumVgprs: 23
; ScratchSize: 0
; MemoryBound: 0
; FloatMode: 240
; IeeeMode: 1
; LDSByteSize: 96 bytes/workgroup (compile time only)
; SGPRBlocks: 6
; VGPRBlocks: 2
; NumSGPRsForWavesPerEU: 51
; NumVGPRsForWavesPerEU: 23
; AccumOffset: 24
; Occupancy: 8
; WaveLimiterHint : 1
; COMPUTE_PGM_RSRC2:SCRATCH_EN: 0
; COMPUTE_PGM_RSRC2:USER_SGPR: 2
; COMPUTE_PGM_RSRC2:TRAP_HANDLER: 0
; COMPUTE_PGM_RSRC2:TGID_X_EN: 1
; COMPUTE_PGM_RSRC2:TGID_Y_EN: 0
; COMPUTE_PGM_RSRC2:TGID_Z_EN: 0
; COMPUTE_PGM_RSRC2:TIDIG_COMP_CNT: 0
; COMPUTE_PGM_RSRC3_GFX90A:ACCUM_OFFSET: 5
; COMPUTE_PGM_RSRC3_GFX90A:TG_SPLIT: 0
	.section	.text._ZN7rocprim17ROCPRIM_400000_NS6detail17trampoline_kernelINS0_14default_configENS1_22reduce_config_selectorIyEEZNS1_11reduce_implILb1ES3_N6thrust23THRUST_200600_302600_NS6detail15normal_iteratorINS8_10device_ptrIyEEEEPiiNS8_4plusIiEEEE10hipError_tPvRmT1_T2_T3_mT4_P12ihipStream_tbEUlT_E1_NS1_11comp_targetILNS1_3genE5ELNS1_11target_archE942ELNS1_3gpuE9ELNS1_3repE0EEENS1_30default_config_static_selectorELNS0_4arch9wavefront6targetE1EEEvSK_,"axG",@progbits,_ZN7rocprim17ROCPRIM_400000_NS6detail17trampoline_kernelINS0_14default_configENS1_22reduce_config_selectorIyEEZNS1_11reduce_implILb1ES3_N6thrust23THRUST_200600_302600_NS6detail15normal_iteratorINS8_10device_ptrIyEEEEPiiNS8_4plusIiEEEE10hipError_tPvRmT1_T2_T3_mT4_P12ihipStream_tbEUlT_E1_NS1_11comp_targetILNS1_3genE5ELNS1_11target_archE942ELNS1_3gpuE9ELNS1_3repE0EEENS1_30default_config_static_selectorELNS0_4arch9wavefront6targetE1EEEvSK_,comdat
	.protected	_ZN7rocprim17ROCPRIM_400000_NS6detail17trampoline_kernelINS0_14default_configENS1_22reduce_config_selectorIyEEZNS1_11reduce_implILb1ES3_N6thrust23THRUST_200600_302600_NS6detail15normal_iteratorINS8_10device_ptrIyEEEEPiiNS8_4plusIiEEEE10hipError_tPvRmT1_T2_T3_mT4_P12ihipStream_tbEUlT_E1_NS1_11comp_targetILNS1_3genE5ELNS1_11target_archE942ELNS1_3gpuE9ELNS1_3repE0EEENS1_30default_config_static_selectorELNS0_4arch9wavefront6targetE1EEEvSK_ ; -- Begin function _ZN7rocprim17ROCPRIM_400000_NS6detail17trampoline_kernelINS0_14default_configENS1_22reduce_config_selectorIyEEZNS1_11reduce_implILb1ES3_N6thrust23THRUST_200600_302600_NS6detail15normal_iteratorINS8_10device_ptrIyEEEEPiiNS8_4plusIiEEEE10hipError_tPvRmT1_T2_T3_mT4_P12ihipStream_tbEUlT_E1_NS1_11comp_targetILNS1_3genE5ELNS1_11target_archE942ELNS1_3gpuE9ELNS1_3repE0EEENS1_30default_config_static_selectorELNS0_4arch9wavefront6targetE1EEEvSK_
	.globl	_ZN7rocprim17ROCPRIM_400000_NS6detail17trampoline_kernelINS0_14default_configENS1_22reduce_config_selectorIyEEZNS1_11reduce_implILb1ES3_N6thrust23THRUST_200600_302600_NS6detail15normal_iteratorINS8_10device_ptrIyEEEEPiiNS8_4plusIiEEEE10hipError_tPvRmT1_T2_T3_mT4_P12ihipStream_tbEUlT_E1_NS1_11comp_targetILNS1_3genE5ELNS1_11target_archE942ELNS1_3gpuE9ELNS1_3repE0EEENS1_30default_config_static_selectorELNS0_4arch9wavefront6targetE1EEEvSK_
	.p2align	8
	.type	_ZN7rocprim17ROCPRIM_400000_NS6detail17trampoline_kernelINS0_14default_configENS1_22reduce_config_selectorIyEEZNS1_11reduce_implILb1ES3_N6thrust23THRUST_200600_302600_NS6detail15normal_iteratorINS8_10device_ptrIyEEEEPiiNS8_4plusIiEEEE10hipError_tPvRmT1_T2_T3_mT4_P12ihipStream_tbEUlT_E1_NS1_11comp_targetILNS1_3genE5ELNS1_11target_archE942ELNS1_3gpuE9ELNS1_3repE0EEENS1_30default_config_static_selectorELNS0_4arch9wavefront6targetE1EEEvSK_,@function
_ZN7rocprim17ROCPRIM_400000_NS6detail17trampoline_kernelINS0_14default_configENS1_22reduce_config_selectorIyEEZNS1_11reduce_implILb1ES3_N6thrust23THRUST_200600_302600_NS6detail15normal_iteratorINS8_10device_ptrIyEEEEPiiNS8_4plusIiEEEE10hipError_tPvRmT1_T2_T3_mT4_P12ihipStream_tbEUlT_E1_NS1_11comp_targetILNS1_3genE5ELNS1_11target_archE942ELNS1_3gpuE9ELNS1_3repE0EEENS1_30default_config_static_selectorELNS0_4arch9wavefront6targetE1EEEvSK_: ; @_ZN7rocprim17ROCPRIM_400000_NS6detail17trampoline_kernelINS0_14default_configENS1_22reduce_config_selectorIyEEZNS1_11reduce_implILb1ES3_N6thrust23THRUST_200600_302600_NS6detail15normal_iteratorINS8_10device_ptrIyEEEEPiiNS8_4plusIiEEEE10hipError_tPvRmT1_T2_T3_mT4_P12ihipStream_tbEUlT_E1_NS1_11comp_targetILNS1_3genE5ELNS1_11target_archE942ELNS1_3gpuE9ELNS1_3repE0EEENS1_30default_config_static_selectorELNS0_4arch9wavefront6targetE1EEEvSK_
; %bb.0:
	.section	.rodata,"a",@progbits
	.p2align	6, 0x0
	.amdhsa_kernel _ZN7rocprim17ROCPRIM_400000_NS6detail17trampoline_kernelINS0_14default_configENS1_22reduce_config_selectorIyEEZNS1_11reduce_implILb1ES3_N6thrust23THRUST_200600_302600_NS6detail15normal_iteratorINS8_10device_ptrIyEEEEPiiNS8_4plusIiEEEE10hipError_tPvRmT1_T2_T3_mT4_P12ihipStream_tbEUlT_E1_NS1_11comp_targetILNS1_3genE5ELNS1_11target_archE942ELNS1_3gpuE9ELNS1_3repE0EEENS1_30default_config_static_selectorELNS0_4arch9wavefront6targetE1EEEvSK_
		.amdhsa_group_segment_fixed_size 0
		.amdhsa_private_segment_fixed_size 0
		.amdhsa_kernarg_size 40
		.amdhsa_user_sgpr_count 2
		.amdhsa_user_sgpr_dispatch_ptr 0
		.amdhsa_user_sgpr_queue_ptr 0
		.amdhsa_user_sgpr_kernarg_segment_ptr 1
		.amdhsa_user_sgpr_dispatch_id 0
		.amdhsa_user_sgpr_kernarg_preload_length 0
		.amdhsa_user_sgpr_kernarg_preload_offset 0
		.amdhsa_user_sgpr_private_segment_size 0
		.amdhsa_uses_dynamic_stack 0
		.amdhsa_enable_private_segment 0
		.amdhsa_system_sgpr_workgroup_id_x 1
		.amdhsa_system_sgpr_workgroup_id_y 0
		.amdhsa_system_sgpr_workgroup_id_z 0
		.amdhsa_system_sgpr_workgroup_info 0
		.amdhsa_system_vgpr_workitem_id 0
		.amdhsa_next_free_vgpr 1
		.amdhsa_next_free_sgpr 0
		.amdhsa_accum_offset 4
		.amdhsa_reserve_vcc 0
		.amdhsa_float_round_mode_32 0
		.amdhsa_float_round_mode_16_64 0
		.amdhsa_float_denorm_mode_32 3
		.amdhsa_float_denorm_mode_16_64 3
		.amdhsa_dx10_clamp 1
		.amdhsa_ieee_mode 1
		.amdhsa_fp16_overflow 0
		.amdhsa_tg_split 0
		.amdhsa_exception_fp_ieee_invalid_op 0
		.amdhsa_exception_fp_denorm_src 0
		.amdhsa_exception_fp_ieee_div_zero 0
		.amdhsa_exception_fp_ieee_overflow 0
		.amdhsa_exception_fp_ieee_underflow 0
		.amdhsa_exception_fp_ieee_inexact 0
		.amdhsa_exception_int_div_zero 0
	.end_amdhsa_kernel
	.section	.text._ZN7rocprim17ROCPRIM_400000_NS6detail17trampoline_kernelINS0_14default_configENS1_22reduce_config_selectorIyEEZNS1_11reduce_implILb1ES3_N6thrust23THRUST_200600_302600_NS6detail15normal_iteratorINS8_10device_ptrIyEEEEPiiNS8_4plusIiEEEE10hipError_tPvRmT1_T2_T3_mT4_P12ihipStream_tbEUlT_E1_NS1_11comp_targetILNS1_3genE5ELNS1_11target_archE942ELNS1_3gpuE9ELNS1_3repE0EEENS1_30default_config_static_selectorELNS0_4arch9wavefront6targetE1EEEvSK_,"axG",@progbits,_ZN7rocprim17ROCPRIM_400000_NS6detail17trampoline_kernelINS0_14default_configENS1_22reduce_config_selectorIyEEZNS1_11reduce_implILb1ES3_N6thrust23THRUST_200600_302600_NS6detail15normal_iteratorINS8_10device_ptrIyEEEEPiiNS8_4plusIiEEEE10hipError_tPvRmT1_T2_T3_mT4_P12ihipStream_tbEUlT_E1_NS1_11comp_targetILNS1_3genE5ELNS1_11target_archE942ELNS1_3gpuE9ELNS1_3repE0EEENS1_30default_config_static_selectorELNS0_4arch9wavefront6targetE1EEEvSK_,comdat
.Lfunc_end361:
	.size	_ZN7rocprim17ROCPRIM_400000_NS6detail17trampoline_kernelINS0_14default_configENS1_22reduce_config_selectorIyEEZNS1_11reduce_implILb1ES3_N6thrust23THRUST_200600_302600_NS6detail15normal_iteratorINS8_10device_ptrIyEEEEPiiNS8_4plusIiEEEE10hipError_tPvRmT1_T2_T3_mT4_P12ihipStream_tbEUlT_E1_NS1_11comp_targetILNS1_3genE5ELNS1_11target_archE942ELNS1_3gpuE9ELNS1_3repE0EEENS1_30default_config_static_selectorELNS0_4arch9wavefront6targetE1EEEvSK_, .Lfunc_end361-_ZN7rocprim17ROCPRIM_400000_NS6detail17trampoline_kernelINS0_14default_configENS1_22reduce_config_selectorIyEEZNS1_11reduce_implILb1ES3_N6thrust23THRUST_200600_302600_NS6detail15normal_iteratorINS8_10device_ptrIyEEEEPiiNS8_4plusIiEEEE10hipError_tPvRmT1_T2_T3_mT4_P12ihipStream_tbEUlT_E1_NS1_11comp_targetILNS1_3genE5ELNS1_11target_archE942ELNS1_3gpuE9ELNS1_3repE0EEENS1_30default_config_static_selectorELNS0_4arch9wavefront6targetE1EEEvSK_
                                        ; -- End function
	.set _ZN7rocprim17ROCPRIM_400000_NS6detail17trampoline_kernelINS0_14default_configENS1_22reduce_config_selectorIyEEZNS1_11reduce_implILb1ES3_N6thrust23THRUST_200600_302600_NS6detail15normal_iteratorINS8_10device_ptrIyEEEEPiiNS8_4plusIiEEEE10hipError_tPvRmT1_T2_T3_mT4_P12ihipStream_tbEUlT_E1_NS1_11comp_targetILNS1_3genE5ELNS1_11target_archE942ELNS1_3gpuE9ELNS1_3repE0EEENS1_30default_config_static_selectorELNS0_4arch9wavefront6targetE1EEEvSK_.num_vgpr, 0
	.set _ZN7rocprim17ROCPRIM_400000_NS6detail17trampoline_kernelINS0_14default_configENS1_22reduce_config_selectorIyEEZNS1_11reduce_implILb1ES3_N6thrust23THRUST_200600_302600_NS6detail15normal_iteratorINS8_10device_ptrIyEEEEPiiNS8_4plusIiEEEE10hipError_tPvRmT1_T2_T3_mT4_P12ihipStream_tbEUlT_E1_NS1_11comp_targetILNS1_3genE5ELNS1_11target_archE942ELNS1_3gpuE9ELNS1_3repE0EEENS1_30default_config_static_selectorELNS0_4arch9wavefront6targetE1EEEvSK_.num_agpr, 0
	.set _ZN7rocprim17ROCPRIM_400000_NS6detail17trampoline_kernelINS0_14default_configENS1_22reduce_config_selectorIyEEZNS1_11reduce_implILb1ES3_N6thrust23THRUST_200600_302600_NS6detail15normal_iteratorINS8_10device_ptrIyEEEEPiiNS8_4plusIiEEEE10hipError_tPvRmT1_T2_T3_mT4_P12ihipStream_tbEUlT_E1_NS1_11comp_targetILNS1_3genE5ELNS1_11target_archE942ELNS1_3gpuE9ELNS1_3repE0EEENS1_30default_config_static_selectorELNS0_4arch9wavefront6targetE1EEEvSK_.numbered_sgpr, 0
	.set _ZN7rocprim17ROCPRIM_400000_NS6detail17trampoline_kernelINS0_14default_configENS1_22reduce_config_selectorIyEEZNS1_11reduce_implILb1ES3_N6thrust23THRUST_200600_302600_NS6detail15normal_iteratorINS8_10device_ptrIyEEEEPiiNS8_4plusIiEEEE10hipError_tPvRmT1_T2_T3_mT4_P12ihipStream_tbEUlT_E1_NS1_11comp_targetILNS1_3genE5ELNS1_11target_archE942ELNS1_3gpuE9ELNS1_3repE0EEENS1_30default_config_static_selectorELNS0_4arch9wavefront6targetE1EEEvSK_.num_named_barrier, 0
	.set _ZN7rocprim17ROCPRIM_400000_NS6detail17trampoline_kernelINS0_14default_configENS1_22reduce_config_selectorIyEEZNS1_11reduce_implILb1ES3_N6thrust23THRUST_200600_302600_NS6detail15normal_iteratorINS8_10device_ptrIyEEEEPiiNS8_4plusIiEEEE10hipError_tPvRmT1_T2_T3_mT4_P12ihipStream_tbEUlT_E1_NS1_11comp_targetILNS1_3genE5ELNS1_11target_archE942ELNS1_3gpuE9ELNS1_3repE0EEENS1_30default_config_static_selectorELNS0_4arch9wavefront6targetE1EEEvSK_.private_seg_size, 0
	.set _ZN7rocprim17ROCPRIM_400000_NS6detail17trampoline_kernelINS0_14default_configENS1_22reduce_config_selectorIyEEZNS1_11reduce_implILb1ES3_N6thrust23THRUST_200600_302600_NS6detail15normal_iteratorINS8_10device_ptrIyEEEEPiiNS8_4plusIiEEEE10hipError_tPvRmT1_T2_T3_mT4_P12ihipStream_tbEUlT_E1_NS1_11comp_targetILNS1_3genE5ELNS1_11target_archE942ELNS1_3gpuE9ELNS1_3repE0EEENS1_30default_config_static_selectorELNS0_4arch9wavefront6targetE1EEEvSK_.uses_vcc, 0
	.set _ZN7rocprim17ROCPRIM_400000_NS6detail17trampoline_kernelINS0_14default_configENS1_22reduce_config_selectorIyEEZNS1_11reduce_implILb1ES3_N6thrust23THRUST_200600_302600_NS6detail15normal_iteratorINS8_10device_ptrIyEEEEPiiNS8_4plusIiEEEE10hipError_tPvRmT1_T2_T3_mT4_P12ihipStream_tbEUlT_E1_NS1_11comp_targetILNS1_3genE5ELNS1_11target_archE942ELNS1_3gpuE9ELNS1_3repE0EEENS1_30default_config_static_selectorELNS0_4arch9wavefront6targetE1EEEvSK_.uses_flat_scratch, 0
	.set _ZN7rocprim17ROCPRIM_400000_NS6detail17trampoline_kernelINS0_14default_configENS1_22reduce_config_selectorIyEEZNS1_11reduce_implILb1ES3_N6thrust23THRUST_200600_302600_NS6detail15normal_iteratorINS8_10device_ptrIyEEEEPiiNS8_4plusIiEEEE10hipError_tPvRmT1_T2_T3_mT4_P12ihipStream_tbEUlT_E1_NS1_11comp_targetILNS1_3genE5ELNS1_11target_archE942ELNS1_3gpuE9ELNS1_3repE0EEENS1_30default_config_static_selectorELNS0_4arch9wavefront6targetE1EEEvSK_.has_dyn_sized_stack, 0
	.set _ZN7rocprim17ROCPRIM_400000_NS6detail17trampoline_kernelINS0_14default_configENS1_22reduce_config_selectorIyEEZNS1_11reduce_implILb1ES3_N6thrust23THRUST_200600_302600_NS6detail15normal_iteratorINS8_10device_ptrIyEEEEPiiNS8_4plusIiEEEE10hipError_tPvRmT1_T2_T3_mT4_P12ihipStream_tbEUlT_E1_NS1_11comp_targetILNS1_3genE5ELNS1_11target_archE942ELNS1_3gpuE9ELNS1_3repE0EEENS1_30default_config_static_selectorELNS0_4arch9wavefront6targetE1EEEvSK_.has_recursion, 0
	.set _ZN7rocprim17ROCPRIM_400000_NS6detail17trampoline_kernelINS0_14default_configENS1_22reduce_config_selectorIyEEZNS1_11reduce_implILb1ES3_N6thrust23THRUST_200600_302600_NS6detail15normal_iteratorINS8_10device_ptrIyEEEEPiiNS8_4plusIiEEEE10hipError_tPvRmT1_T2_T3_mT4_P12ihipStream_tbEUlT_E1_NS1_11comp_targetILNS1_3genE5ELNS1_11target_archE942ELNS1_3gpuE9ELNS1_3repE0EEENS1_30default_config_static_selectorELNS0_4arch9wavefront6targetE1EEEvSK_.has_indirect_call, 0
	.section	.AMDGPU.csdata,"",@progbits
; Kernel info:
; codeLenInByte = 0
; TotalNumSgprs: 6
; NumVgprs: 0
; NumAgprs: 0
; TotalNumVgprs: 0
; ScratchSize: 0
; MemoryBound: 0
; FloatMode: 240
; IeeeMode: 1
; LDSByteSize: 0 bytes/workgroup (compile time only)
; SGPRBlocks: 0
; VGPRBlocks: 0
; NumSGPRsForWavesPerEU: 6
; NumVGPRsForWavesPerEU: 1
; AccumOffset: 4
; Occupancy: 8
; WaveLimiterHint : 0
; COMPUTE_PGM_RSRC2:SCRATCH_EN: 0
; COMPUTE_PGM_RSRC2:USER_SGPR: 2
; COMPUTE_PGM_RSRC2:TRAP_HANDLER: 0
; COMPUTE_PGM_RSRC2:TGID_X_EN: 1
; COMPUTE_PGM_RSRC2:TGID_Y_EN: 0
; COMPUTE_PGM_RSRC2:TGID_Z_EN: 0
; COMPUTE_PGM_RSRC2:TIDIG_COMP_CNT: 0
; COMPUTE_PGM_RSRC3_GFX90A:ACCUM_OFFSET: 0
; COMPUTE_PGM_RSRC3_GFX90A:TG_SPLIT: 0
	.section	.text._ZN7rocprim17ROCPRIM_400000_NS6detail17trampoline_kernelINS0_14default_configENS1_22reduce_config_selectorIyEEZNS1_11reduce_implILb1ES3_N6thrust23THRUST_200600_302600_NS6detail15normal_iteratorINS8_10device_ptrIyEEEEPiiNS8_4plusIiEEEE10hipError_tPvRmT1_T2_T3_mT4_P12ihipStream_tbEUlT_E1_NS1_11comp_targetILNS1_3genE4ELNS1_11target_archE910ELNS1_3gpuE8ELNS1_3repE0EEENS1_30default_config_static_selectorELNS0_4arch9wavefront6targetE1EEEvSK_,"axG",@progbits,_ZN7rocprim17ROCPRIM_400000_NS6detail17trampoline_kernelINS0_14default_configENS1_22reduce_config_selectorIyEEZNS1_11reduce_implILb1ES3_N6thrust23THRUST_200600_302600_NS6detail15normal_iteratorINS8_10device_ptrIyEEEEPiiNS8_4plusIiEEEE10hipError_tPvRmT1_T2_T3_mT4_P12ihipStream_tbEUlT_E1_NS1_11comp_targetILNS1_3genE4ELNS1_11target_archE910ELNS1_3gpuE8ELNS1_3repE0EEENS1_30default_config_static_selectorELNS0_4arch9wavefront6targetE1EEEvSK_,comdat
	.protected	_ZN7rocprim17ROCPRIM_400000_NS6detail17trampoline_kernelINS0_14default_configENS1_22reduce_config_selectorIyEEZNS1_11reduce_implILb1ES3_N6thrust23THRUST_200600_302600_NS6detail15normal_iteratorINS8_10device_ptrIyEEEEPiiNS8_4plusIiEEEE10hipError_tPvRmT1_T2_T3_mT4_P12ihipStream_tbEUlT_E1_NS1_11comp_targetILNS1_3genE4ELNS1_11target_archE910ELNS1_3gpuE8ELNS1_3repE0EEENS1_30default_config_static_selectorELNS0_4arch9wavefront6targetE1EEEvSK_ ; -- Begin function _ZN7rocprim17ROCPRIM_400000_NS6detail17trampoline_kernelINS0_14default_configENS1_22reduce_config_selectorIyEEZNS1_11reduce_implILb1ES3_N6thrust23THRUST_200600_302600_NS6detail15normal_iteratorINS8_10device_ptrIyEEEEPiiNS8_4plusIiEEEE10hipError_tPvRmT1_T2_T3_mT4_P12ihipStream_tbEUlT_E1_NS1_11comp_targetILNS1_3genE4ELNS1_11target_archE910ELNS1_3gpuE8ELNS1_3repE0EEENS1_30default_config_static_selectorELNS0_4arch9wavefront6targetE1EEEvSK_
	.globl	_ZN7rocprim17ROCPRIM_400000_NS6detail17trampoline_kernelINS0_14default_configENS1_22reduce_config_selectorIyEEZNS1_11reduce_implILb1ES3_N6thrust23THRUST_200600_302600_NS6detail15normal_iteratorINS8_10device_ptrIyEEEEPiiNS8_4plusIiEEEE10hipError_tPvRmT1_T2_T3_mT4_P12ihipStream_tbEUlT_E1_NS1_11comp_targetILNS1_3genE4ELNS1_11target_archE910ELNS1_3gpuE8ELNS1_3repE0EEENS1_30default_config_static_selectorELNS0_4arch9wavefront6targetE1EEEvSK_
	.p2align	8
	.type	_ZN7rocprim17ROCPRIM_400000_NS6detail17trampoline_kernelINS0_14default_configENS1_22reduce_config_selectorIyEEZNS1_11reduce_implILb1ES3_N6thrust23THRUST_200600_302600_NS6detail15normal_iteratorINS8_10device_ptrIyEEEEPiiNS8_4plusIiEEEE10hipError_tPvRmT1_T2_T3_mT4_P12ihipStream_tbEUlT_E1_NS1_11comp_targetILNS1_3genE4ELNS1_11target_archE910ELNS1_3gpuE8ELNS1_3repE0EEENS1_30default_config_static_selectorELNS0_4arch9wavefront6targetE1EEEvSK_,@function
_ZN7rocprim17ROCPRIM_400000_NS6detail17trampoline_kernelINS0_14default_configENS1_22reduce_config_selectorIyEEZNS1_11reduce_implILb1ES3_N6thrust23THRUST_200600_302600_NS6detail15normal_iteratorINS8_10device_ptrIyEEEEPiiNS8_4plusIiEEEE10hipError_tPvRmT1_T2_T3_mT4_P12ihipStream_tbEUlT_E1_NS1_11comp_targetILNS1_3genE4ELNS1_11target_archE910ELNS1_3gpuE8ELNS1_3repE0EEENS1_30default_config_static_selectorELNS0_4arch9wavefront6targetE1EEEvSK_: ; @_ZN7rocprim17ROCPRIM_400000_NS6detail17trampoline_kernelINS0_14default_configENS1_22reduce_config_selectorIyEEZNS1_11reduce_implILb1ES3_N6thrust23THRUST_200600_302600_NS6detail15normal_iteratorINS8_10device_ptrIyEEEEPiiNS8_4plusIiEEEE10hipError_tPvRmT1_T2_T3_mT4_P12ihipStream_tbEUlT_E1_NS1_11comp_targetILNS1_3genE4ELNS1_11target_archE910ELNS1_3gpuE8ELNS1_3repE0EEENS1_30default_config_static_selectorELNS0_4arch9wavefront6targetE1EEEvSK_
; %bb.0:
	.section	.rodata,"a",@progbits
	.p2align	6, 0x0
	.amdhsa_kernel _ZN7rocprim17ROCPRIM_400000_NS6detail17trampoline_kernelINS0_14default_configENS1_22reduce_config_selectorIyEEZNS1_11reduce_implILb1ES3_N6thrust23THRUST_200600_302600_NS6detail15normal_iteratorINS8_10device_ptrIyEEEEPiiNS8_4plusIiEEEE10hipError_tPvRmT1_T2_T3_mT4_P12ihipStream_tbEUlT_E1_NS1_11comp_targetILNS1_3genE4ELNS1_11target_archE910ELNS1_3gpuE8ELNS1_3repE0EEENS1_30default_config_static_selectorELNS0_4arch9wavefront6targetE1EEEvSK_
		.amdhsa_group_segment_fixed_size 0
		.amdhsa_private_segment_fixed_size 0
		.amdhsa_kernarg_size 40
		.amdhsa_user_sgpr_count 2
		.amdhsa_user_sgpr_dispatch_ptr 0
		.amdhsa_user_sgpr_queue_ptr 0
		.amdhsa_user_sgpr_kernarg_segment_ptr 1
		.amdhsa_user_sgpr_dispatch_id 0
		.amdhsa_user_sgpr_kernarg_preload_length 0
		.amdhsa_user_sgpr_kernarg_preload_offset 0
		.amdhsa_user_sgpr_private_segment_size 0
		.amdhsa_uses_dynamic_stack 0
		.amdhsa_enable_private_segment 0
		.amdhsa_system_sgpr_workgroup_id_x 1
		.amdhsa_system_sgpr_workgroup_id_y 0
		.amdhsa_system_sgpr_workgroup_id_z 0
		.amdhsa_system_sgpr_workgroup_info 0
		.amdhsa_system_vgpr_workitem_id 0
		.amdhsa_next_free_vgpr 1
		.amdhsa_next_free_sgpr 0
		.amdhsa_accum_offset 4
		.amdhsa_reserve_vcc 0
		.amdhsa_float_round_mode_32 0
		.amdhsa_float_round_mode_16_64 0
		.amdhsa_float_denorm_mode_32 3
		.amdhsa_float_denorm_mode_16_64 3
		.amdhsa_dx10_clamp 1
		.amdhsa_ieee_mode 1
		.amdhsa_fp16_overflow 0
		.amdhsa_tg_split 0
		.amdhsa_exception_fp_ieee_invalid_op 0
		.amdhsa_exception_fp_denorm_src 0
		.amdhsa_exception_fp_ieee_div_zero 0
		.amdhsa_exception_fp_ieee_overflow 0
		.amdhsa_exception_fp_ieee_underflow 0
		.amdhsa_exception_fp_ieee_inexact 0
		.amdhsa_exception_int_div_zero 0
	.end_amdhsa_kernel
	.section	.text._ZN7rocprim17ROCPRIM_400000_NS6detail17trampoline_kernelINS0_14default_configENS1_22reduce_config_selectorIyEEZNS1_11reduce_implILb1ES3_N6thrust23THRUST_200600_302600_NS6detail15normal_iteratorINS8_10device_ptrIyEEEEPiiNS8_4plusIiEEEE10hipError_tPvRmT1_T2_T3_mT4_P12ihipStream_tbEUlT_E1_NS1_11comp_targetILNS1_3genE4ELNS1_11target_archE910ELNS1_3gpuE8ELNS1_3repE0EEENS1_30default_config_static_selectorELNS0_4arch9wavefront6targetE1EEEvSK_,"axG",@progbits,_ZN7rocprim17ROCPRIM_400000_NS6detail17trampoline_kernelINS0_14default_configENS1_22reduce_config_selectorIyEEZNS1_11reduce_implILb1ES3_N6thrust23THRUST_200600_302600_NS6detail15normal_iteratorINS8_10device_ptrIyEEEEPiiNS8_4plusIiEEEE10hipError_tPvRmT1_T2_T3_mT4_P12ihipStream_tbEUlT_E1_NS1_11comp_targetILNS1_3genE4ELNS1_11target_archE910ELNS1_3gpuE8ELNS1_3repE0EEENS1_30default_config_static_selectorELNS0_4arch9wavefront6targetE1EEEvSK_,comdat
.Lfunc_end362:
	.size	_ZN7rocprim17ROCPRIM_400000_NS6detail17trampoline_kernelINS0_14default_configENS1_22reduce_config_selectorIyEEZNS1_11reduce_implILb1ES3_N6thrust23THRUST_200600_302600_NS6detail15normal_iteratorINS8_10device_ptrIyEEEEPiiNS8_4plusIiEEEE10hipError_tPvRmT1_T2_T3_mT4_P12ihipStream_tbEUlT_E1_NS1_11comp_targetILNS1_3genE4ELNS1_11target_archE910ELNS1_3gpuE8ELNS1_3repE0EEENS1_30default_config_static_selectorELNS0_4arch9wavefront6targetE1EEEvSK_, .Lfunc_end362-_ZN7rocprim17ROCPRIM_400000_NS6detail17trampoline_kernelINS0_14default_configENS1_22reduce_config_selectorIyEEZNS1_11reduce_implILb1ES3_N6thrust23THRUST_200600_302600_NS6detail15normal_iteratorINS8_10device_ptrIyEEEEPiiNS8_4plusIiEEEE10hipError_tPvRmT1_T2_T3_mT4_P12ihipStream_tbEUlT_E1_NS1_11comp_targetILNS1_3genE4ELNS1_11target_archE910ELNS1_3gpuE8ELNS1_3repE0EEENS1_30default_config_static_selectorELNS0_4arch9wavefront6targetE1EEEvSK_
                                        ; -- End function
	.set _ZN7rocprim17ROCPRIM_400000_NS6detail17trampoline_kernelINS0_14default_configENS1_22reduce_config_selectorIyEEZNS1_11reduce_implILb1ES3_N6thrust23THRUST_200600_302600_NS6detail15normal_iteratorINS8_10device_ptrIyEEEEPiiNS8_4plusIiEEEE10hipError_tPvRmT1_T2_T3_mT4_P12ihipStream_tbEUlT_E1_NS1_11comp_targetILNS1_3genE4ELNS1_11target_archE910ELNS1_3gpuE8ELNS1_3repE0EEENS1_30default_config_static_selectorELNS0_4arch9wavefront6targetE1EEEvSK_.num_vgpr, 0
	.set _ZN7rocprim17ROCPRIM_400000_NS6detail17trampoline_kernelINS0_14default_configENS1_22reduce_config_selectorIyEEZNS1_11reduce_implILb1ES3_N6thrust23THRUST_200600_302600_NS6detail15normal_iteratorINS8_10device_ptrIyEEEEPiiNS8_4plusIiEEEE10hipError_tPvRmT1_T2_T3_mT4_P12ihipStream_tbEUlT_E1_NS1_11comp_targetILNS1_3genE4ELNS1_11target_archE910ELNS1_3gpuE8ELNS1_3repE0EEENS1_30default_config_static_selectorELNS0_4arch9wavefront6targetE1EEEvSK_.num_agpr, 0
	.set _ZN7rocprim17ROCPRIM_400000_NS6detail17trampoline_kernelINS0_14default_configENS1_22reduce_config_selectorIyEEZNS1_11reduce_implILb1ES3_N6thrust23THRUST_200600_302600_NS6detail15normal_iteratorINS8_10device_ptrIyEEEEPiiNS8_4plusIiEEEE10hipError_tPvRmT1_T2_T3_mT4_P12ihipStream_tbEUlT_E1_NS1_11comp_targetILNS1_3genE4ELNS1_11target_archE910ELNS1_3gpuE8ELNS1_3repE0EEENS1_30default_config_static_selectorELNS0_4arch9wavefront6targetE1EEEvSK_.numbered_sgpr, 0
	.set _ZN7rocprim17ROCPRIM_400000_NS6detail17trampoline_kernelINS0_14default_configENS1_22reduce_config_selectorIyEEZNS1_11reduce_implILb1ES3_N6thrust23THRUST_200600_302600_NS6detail15normal_iteratorINS8_10device_ptrIyEEEEPiiNS8_4plusIiEEEE10hipError_tPvRmT1_T2_T3_mT4_P12ihipStream_tbEUlT_E1_NS1_11comp_targetILNS1_3genE4ELNS1_11target_archE910ELNS1_3gpuE8ELNS1_3repE0EEENS1_30default_config_static_selectorELNS0_4arch9wavefront6targetE1EEEvSK_.num_named_barrier, 0
	.set _ZN7rocprim17ROCPRIM_400000_NS6detail17trampoline_kernelINS0_14default_configENS1_22reduce_config_selectorIyEEZNS1_11reduce_implILb1ES3_N6thrust23THRUST_200600_302600_NS6detail15normal_iteratorINS8_10device_ptrIyEEEEPiiNS8_4plusIiEEEE10hipError_tPvRmT1_T2_T3_mT4_P12ihipStream_tbEUlT_E1_NS1_11comp_targetILNS1_3genE4ELNS1_11target_archE910ELNS1_3gpuE8ELNS1_3repE0EEENS1_30default_config_static_selectorELNS0_4arch9wavefront6targetE1EEEvSK_.private_seg_size, 0
	.set _ZN7rocprim17ROCPRIM_400000_NS6detail17trampoline_kernelINS0_14default_configENS1_22reduce_config_selectorIyEEZNS1_11reduce_implILb1ES3_N6thrust23THRUST_200600_302600_NS6detail15normal_iteratorINS8_10device_ptrIyEEEEPiiNS8_4plusIiEEEE10hipError_tPvRmT1_T2_T3_mT4_P12ihipStream_tbEUlT_E1_NS1_11comp_targetILNS1_3genE4ELNS1_11target_archE910ELNS1_3gpuE8ELNS1_3repE0EEENS1_30default_config_static_selectorELNS0_4arch9wavefront6targetE1EEEvSK_.uses_vcc, 0
	.set _ZN7rocprim17ROCPRIM_400000_NS6detail17trampoline_kernelINS0_14default_configENS1_22reduce_config_selectorIyEEZNS1_11reduce_implILb1ES3_N6thrust23THRUST_200600_302600_NS6detail15normal_iteratorINS8_10device_ptrIyEEEEPiiNS8_4plusIiEEEE10hipError_tPvRmT1_T2_T3_mT4_P12ihipStream_tbEUlT_E1_NS1_11comp_targetILNS1_3genE4ELNS1_11target_archE910ELNS1_3gpuE8ELNS1_3repE0EEENS1_30default_config_static_selectorELNS0_4arch9wavefront6targetE1EEEvSK_.uses_flat_scratch, 0
	.set _ZN7rocprim17ROCPRIM_400000_NS6detail17trampoline_kernelINS0_14default_configENS1_22reduce_config_selectorIyEEZNS1_11reduce_implILb1ES3_N6thrust23THRUST_200600_302600_NS6detail15normal_iteratorINS8_10device_ptrIyEEEEPiiNS8_4plusIiEEEE10hipError_tPvRmT1_T2_T3_mT4_P12ihipStream_tbEUlT_E1_NS1_11comp_targetILNS1_3genE4ELNS1_11target_archE910ELNS1_3gpuE8ELNS1_3repE0EEENS1_30default_config_static_selectorELNS0_4arch9wavefront6targetE1EEEvSK_.has_dyn_sized_stack, 0
	.set _ZN7rocprim17ROCPRIM_400000_NS6detail17trampoline_kernelINS0_14default_configENS1_22reduce_config_selectorIyEEZNS1_11reduce_implILb1ES3_N6thrust23THRUST_200600_302600_NS6detail15normal_iteratorINS8_10device_ptrIyEEEEPiiNS8_4plusIiEEEE10hipError_tPvRmT1_T2_T3_mT4_P12ihipStream_tbEUlT_E1_NS1_11comp_targetILNS1_3genE4ELNS1_11target_archE910ELNS1_3gpuE8ELNS1_3repE0EEENS1_30default_config_static_selectorELNS0_4arch9wavefront6targetE1EEEvSK_.has_recursion, 0
	.set _ZN7rocprim17ROCPRIM_400000_NS6detail17trampoline_kernelINS0_14default_configENS1_22reduce_config_selectorIyEEZNS1_11reduce_implILb1ES3_N6thrust23THRUST_200600_302600_NS6detail15normal_iteratorINS8_10device_ptrIyEEEEPiiNS8_4plusIiEEEE10hipError_tPvRmT1_T2_T3_mT4_P12ihipStream_tbEUlT_E1_NS1_11comp_targetILNS1_3genE4ELNS1_11target_archE910ELNS1_3gpuE8ELNS1_3repE0EEENS1_30default_config_static_selectorELNS0_4arch9wavefront6targetE1EEEvSK_.has_indirect_call, 0
	.section	.AMDGPU.csdata,"",@progbits
; Kernel info:
; codeLenInByte = 0
; TotalNumSgprs: 6
; NumVgprs: 0
; NumAgprs: 0
; TotalNumVgprs: 0
; ScratchSize: 0
; MemoryBound: 0
; FloatMode: 240
; IeeeMode: 1
; LDSByteSize: 0 bytes/workgroup (compile time only)
; SGPRBlocks: 0
; VGPRBlocks: 0
; NumSGPRsForWavesPerEU: 6
; NumVGPRsForWavesPerEU: 1
; AccumOffset: 4
; Occupancy: 8
; WaveLimiterHint : 0
; COMPUTE_PGM_RSRC2:SCRATCH_EN: 0
; COMPUTE_PGM_RSRC2:USER_SGPR: 2
; COMPUTE_PGM_RSRC2:TRAP_HANDLER: 0
; COMPUTE_PGM_RSRC2:TGID_X_EN: 1
; COMPUTE_PGM_RSRC2:TGID_Y_EN: 0
; COMPUTE_PGM_RSRC2:TGID_Z_EN: 0
; COMPUTE_PGM_RSRC2:TIDIG_COMP_CNT: 0
; COMPUTE_PGM_RSRC3_GFX90A:ACCUM_OFFSET: 0
; COMPUTE_PGM_RSRC3_GFX90A:TG_SPLIT: 0
	.section	.text._ZN7rocprim17ROCPRIM_400000_NS6detail17trampoline_kernelINS0_14default_configENS1_22reduce_config_selectorIyEEZNS1_11reduce_implILb1ES3_N6thrust23THRUST_200600_302600_NS6detail15normal_iteratorINS8_10device_ptrIyEEEEPiiNS8_4plusIiEEEE10hipError_tPvRmT1_T2_T3_mT4_P12ihipStream_tbEUlT_E1_NS1_11comp_targetILNS1_3genE3ELNS1_11target_archE908ELNS1_3gpuE7ELNS1_3repE0EEENS1_30default_config_static_selectorELNS0_4arch9wavefront6targetE1EEEvSK_,"axG",@progbits,_ZN7rocprim17ROCPRIM_400000_NS6detail17trampoline_kernelINS0_14default_configENS1_22reduce_config_selectorIyEEZNS1_11reduce_implILb1ES3_N6thrust23THRUST_200600_302600_NS6detail15normal_iteratorINS8_10device_ptrIyEEEEPiiNS8_4plusIiEEEE10hipError_tPvRmT1_T2_T3_mT4_P12ihipStream_tbEUlT_E1_NS1_11comp_targetILNS1_3genE3ELNS1_11target_archE908ELNS1_3gpuE7ELNS1_3repE0EEENS1_30default_config_static_selectorELNS0_4arch9wavefront6targetE1EEEvSK_,comdat
	.protected	_ZN7rocprim17ROCPRIM_400000_NS6detail17trampoline_kernelINS0_14default_configENS1_22reduce_config_selectorIyEEZNS1_11reduce_implILb1ES3_N6thrust23THRUST_200600_302600_NS6detail15normal_iteratorINS8_10device_ptrIyEEEEPiiNS8_4plusIiEEEE10hipError_tPvRmT1_T2_T3_mT4_P12ihipStream_tbEUlT_E1_NS1_11comp_targetILNS1_3genE3ELNS1_11target_archE908ELNS1_3gpuE7ELNS1_3repE0EEENS1_30default_config_static_selectorELNS0_4arch9wavefront6targetE1EEEvSK_ ; -- Begin function _ZN7rocprim17ROCPRIM_400000_NS6detail17trampoline_kernelINS0_14default_configENS1_22reduce_config_selectorIyEEZNS1_11reduce_implILb1ES3_N6thrust23THRUST_200600_302600_NS6detail15normal_iteratorINS8_10device_ptrIyEEEEPiiNS8_4plusIiEEEE10hipError_tPvRmT1_T2_T3_mT4_P12ihipStream_tbEUlT_E1_NS1_11comp_targetILNS1_3genE3ELNS1_11target_archE908ELNS1_3gpuE7ELNS1_3repE0EEENS1_30default_config_static_selectorELNS0_4arch9wavefront6targetE1EEEvSK_
	.globl	_ZN7rocprim17ROCPRIM_400000_NS6detail17trampoline_kernelINS0_14default_configENS1_22reduce_config_selectorIyEEZNS1_11reduce_implILb1ES3_N6thrust23THRUST_200600_302600_NS6detail15normal_iteratorINS8_10device_ptrIyEEEEPiiNS8_4plusIiEEEE10hipError_tPvRmT1_T2_T3_mT4_P12ihipStream_tbEUlT_E1_NS1_11comp_targetILNS1_3genE3ELNS1_11target_archE908ELNS1_3gpuE7ELNS1_3repE0EEENS1_30default_config_static_selectorELNS0_4arch9wavefront6targetE1EEEvSK_
	.p2align	8
	.type	_ZN7rocprim17ROCPRIM_400000_NS6detail17trampoline_kernelINS0_14default_configENS1_22reduce_config_selectorIyEEZNS1_11reduce_implILb1ES3_N6thrust23THRUST_200600_302600_NS6detail15normal_iteratorINS8_10device_ptrIyEEEEPiiNS8_4plusIiEEEE10hipError_tPvRmT1_T2_T3_mT4_P12ihipStream_tbEUlT_E1_NS1_11comp_targetILNS1_3genE3ELNS1_11target_archE908ELNS1_3gpuE7ELNS1_3repE0EEENS1_30default_config_static_selectorELNS0_4arch9wavefront6targetE1EEEvSK_,@function
_ZN7rocprim17ROCPRIM_400000_NS6detail17trampoline_kernelINS0_14default_configENS1_22reduce_config_selectorIyEEZNS1_11reduce_implILb1ES3_N6thrust23THRUST_200600_302600_NS6detail15normal_iteratorINS8_10device_ptrIyEEEEPiiNS8_4plusIiEEEE10hipError_tPvRmT1_T2_T3_mT4_P12ihipStream_tbEUlT_E1_NS1_11comp_targetILNS1_3genE3ELNS1_11target_archE908ELNS1_3gpuE7ELNS1_3repE0EEENS1_30default_config_static_selectorELNS0_4arch9wavefront6targetE1EEEvSK_: ; @_ZN7rocprim17ROCPRIM_400000_NS6detail17trampoline_kernelINS0_14default_configENS1_22reduce_config_selectorIyEEZNS1_11reduce_implILb1ES3_N6thrust23THRUST_200600_302600_NS6detail15normal_iteratorINS8_10device_ptrIyEEEEPiiNS8_4plusIiEEEE10hipError_tPvRmT1_T2_T3_mT4_P12ihipStream_tbEUlT_E1_NS1_11comp_targetILNS1_3genE3ELNS1_11target_archE908ELNS1_3gpuE7ELNS1_3repE0EEENS1_30default_config_static_selectorELNS0_4arch9wavefront6targetE1EEEvSK_
; %bb.0:
	.section	.rodata,"a",@progbits
	.p2align	6, 0x0
	.amdhsa_kernel _ZN7rocprim17ROCPRIM_400000_NS6detail17trampoline_kernelINS0_14default_configENS1_22reduce_config_selectorIyEEZNS1_11reduce_implILb1ES3_N6thrust23THRUST_200600_302600_NS6detail15normal_iteratorINS8_10device_ptrIyEEEEPiiNS8_4plusIiEEEE10hipError_tPvRmT1_T2_T3_mT4_P12ihipStream_tbEUlT_E1_NS1_11comp_targetILNS1_3genE3ELNS1_11target_archE908ELNS1_3gpuE7ELNS1_3repE0EEENS1_30default_config_static_selectorELNS0_4arch9wavefront6targetE1EEEvSK_
		.amdhsa_group_segment_fixed_size 0
		.amdhsa_private_segment_fixed_size 0
		.amdhsa_kernarg_size 40
		.amdhsa_user_sgpr_count 2
		.amdhsa_user_sgpr_dispatch_ptr 0
		.amdhsa_user_sgpr_queue_ptr 0
		.amdhsa_user_sgpr_kernarg_segment_ptr 1
		.amdhsa_user_sgpr_dispatch_id 0
		.amdhsa_user_sgpr_kernarg_preload_length 0
		.amdhsa_user_sgpr_kernarg_preload_offset 0
		.amdhsa_user_sgpr_private_segment_size 0
		.amdhsa_uses_dynamic_stack 0
		.amdhsa_enable_private_segment 0
		.amdhsa_system_sgpr_workgroup_id_x 1
		.amdhsa_system_sgpr_workgroup_id_y 0
		.amdhsa_system_sgpr_workgroup_id_z 0
		.amdhsa_system_sgpr_workgroup_info 0
		.amdhsa_system_vgpr_workitem_id 0
		.amdhsa_next_free_vgpr 1
		.amdhsa_next_free_sgpr 0
		.amdhsa_accum_offset 4
		.amdhsa_reserve_vcc 0
		.amdhsa_float_round_mode_32 0
		.amdhsa_float_round_mode_16_64 0
		.amdhsa_float_denorm_mode_32 3
		.amdhsa_float_denorm_mode_16_64 3
		.amdhsa_dx10_clamp 1
		.amdhsa_ieee_mode 1
		.amdhsa_fp16_overflow 0
		.amdhsa_tg_split 0
		.amdhsa_exception_fp_ieee_invalid_op 0
		.amdhsa_exception_fp_denorm_src 0
		.amdhsa_exception_fp_ieee_div_zero 0
		.amdhsa_exception_fp_ieee_overflow 0
		.amdhsa_exception_fp_ieee_underflow 0
		.amdhsa_exception_fp_ieee_inexact 0
		.amdhsa_exception_int_div_zero 0
	.end_amdhsa_kernel
	.section	.text._ZN7rocprim17ROCPRIM_400000_NS6detail17trampoline_kernelINS0_14default_configENS1_22reduce_config_selectorIyEEZNS1_11reduce_implILb1ES3_N6thrust23THRUST_200600_302600_NS6detail15normal_iteratorINS8_10device_ptrIyEEEEPiiNS8_4plusIiEEEE10hipError_tPvRmT1_T2_T3_mT4_P12ihipStream_tbEUlT_E1_NS1_11comp_targetILNS1_3genE3ELNS1_11target_archE908ELNS1_3gpuE7ELNS1_3repE0EEENS1_30default_config_static_selectorELNS0_4arch9wavefront6targetE1EEEvSK_,"axG",@progbits,_ZN7rocprim17ROCPRIM_400000_NS6detail17trampoline_kernelINS0_14default_configENS1_22reduce_config_selectorIyEEZNS1_11reduce_implILb1ES3_N6thrust23THRUST_200600_302600_NS6detail15normal_iteratorINS8_10device_ptrIyEEEEPiiNS8_4plusIiEEEE10hipError_tPvRmT1_T2_T3_mT4_P12ihipStream_tbEUlT_E1_NS1_11comp_targetILNS1_3genE3ELNS1_11target_archE908ELNS1_3gpuE7ELNS1_3repE0EEENS1_30default_config_static_selectorELNS0_4arch9wavefront6targetE1EEEvSK_,comdat
.Lfunc_end363:
	.size	_ZN7rocprim17ROCPRIM_400000_NS6detail17trampoline_kernelINS0_14default_configENS1_22reduce_config_selectorIyEEZNS1_11reduce_implILb1ES3_N6thrust23THRUST_200600_302600_NS6detail15normal_iteratorINS8_10device_ptrIyEEEEPiiNS8_4plusIiEEEE10hipError_tPvRmT1_T2_T3_mT4_P12ihipStream_tbEUlT_E1_NS1_11comp_targetILNS1_3genE3ELNS1_11target_archE908ELNS1_3gpuE7ELNS1_3repE0EEENS1_30default_config_static_selectorELNS0_4arch9wavefront6targetE1EEEvSK_, .Lfunc_end363-_ZN7rocprim17ROCPRIM_400000_NS6detail17trampoline_kernelINS0_14default_configENS1_22reduce_config_selectorIyEEZNS1_11reduce_implILb1ES3_N6thrust23THRUST_200600_302600_NS6detail15normal_iteratorINS8_10device_ptrIyEEEEPiiNS8_4plusIiEEEE10hipError_tPvRmT1_T2_T3_mT4_P12ihipStream_tbEUlT_E1_NS1_11comp_targetILNS1_3genE3ELNS1_11target_archE908ELNS1_3gpuE7ELNS1_3repE0EEENS1_30default_config_static_selectorELNS0_4arch9wavefront6targetE1EEEvSK_
                                        ; -- End function
	.set _ZN7rocprim17ROCPRIM_400000_NS6detail17trampoline_kernelINS0_14default_configENS1_22reduce_config_selectorIyEEZNS1_11reduce_implILb1ES3_N6thrust23THRUST_200600_302600_NS6detail15normal_iteratorINS8_10device_ptrIyEEEEPiiNS8_4plusIiEEEE10hipError_tPvRmT1_T2_T3_mT4_P12ihipStream_tbEUlT_E1_NS1_11comp_targetILNS1_3genE3ELNS1_11target_archE908ELNS1_3gpuE7ELNS1_3repE0EEENS1_30default_config_static_selectorELNS0_4arch9wavefront6targetE1EEEvSK_.num_vgpr, 0
	.set _ZN7rocprim17ROCPRIM_400000_NS6detail17trampoline_kernelINS0_14default_configENS1_22reduce_config_selectorIyEEZNS1_11reduce_implILb1ES3_N6thrust23THRUST_200600_302600_NS6detail15normal_iteratorINS8_10device_ptrIyEEEEPiiNS8_4plusIiEEEE10hipError_tPvRmT1_T2_T3_mT4_P12ihipStream_tbEUlT_E1_NS1_11comp_targetILNS1_3genE3ELNS1_11target_archE908ELNS1_3gpuE7ELNS1_3repE0EEENS1_30default_config_static_selectorELNS0_4arch9wavefront6targetE1EEEvSK_.num_agpr, 0
	.set _ZN7rocprim17ROCPRIM_400000_NS6detail17trampoline_kernelINS0_14default_configENS1_22reduce_config_selectorIyEEZNS1_11reduce_implILb1ES3_N6thrust23THRUST_200600_302600_NS6detail15normal_iteratorINS8_10device_ptrIyEEEEPiiNS8_4plusIiEEEE10hipError_tPvRmT1_T2_T3_mT4_P12ihipStream_tbEUlT_E1_NS1_11comp_targetILNS1_3genE3ELNS1_11target_archE908ELNS1_3gpuE7ELNS1_3repE0EEENS1_30default_config_static_selectorELNS0_4arch9wavefront6targetE1EEEvSK_.numbered_sgpr, 0
	.set _ZN7rocprim17ROCPRIM_400000_NS6detail17trampoline_kernelINS0_14default_configENS1_22reduce_config_selectorIyEEZNS1_11reduce_implILb1ES3_N6thrust23THRUST_200600_302600_NS6detail15normal_iteratorINS8_10device_ptrIyEEEEPiiNS8_4plusIiEEEE10hipError_tPvRmT1_T2_T3_mT4_P12ihipStream_tbEUlT_E1_NS1_11comp_targetILNS1_3genE3ELNS1_11target_archE908ELNS1_3gpuE7ELNS1_3repE0EEENS1_30default_config_static_selectorELNS0_4arch9wavefront6targetE1EEEvSK_.num_named_barrier, 0
	.set _ZN7rocprim17ROCPRIM_400000_NS6detail17trampoline_kernelINS0_14default_configENS1_22reduce_config_selectorIyEEZNS1_11reduce_implILb1ES3_N6thrust23THRUST_200600_302600_NS6detail15normal_iteratorINS8_10device_ptrIyEEEEPiiNS8_4plusIiEEEE10hipError_tPvRmT1_T2_T3_mT4_P12ihipStream_tbEUlT_E1_NS1_11comp_targetILNS1_3genE3ELNS1_11target_archE908ELNS1_3gpuE7ELNS1_3repE0EEENS1_30default_config_static_selectorELNS0_4arch9wavefront6targetE1EEEvSK_.private_seg_size, 0
	.set _ZN7rocprim17ROCPRIM_400000_NS6detail17trampoline_kernelINS0_14default_configENS1_22reduce_config_selectorIyEEZNS1_11reduce_implILb1ES3_N6thrust23THRUST_200600_302600_NS6detail15normal_iteratorINS8_10device_ptrIyEEEEPiiNS8_4plusIiEEEE10hipError_tPvRmT1_T2_T3_mT4_P12ihipStream_tbEUlT_E1_NS1_11comp_targetILNS1_3genE3ELNS1_11target_archE908ELNS1_3gpuE7ELNS1_3repE0EEENS1_30default_config_static_selectorELNS0_4arch9wavefront6targetE1EEEvSK_.uses_vcc, 0
	.set _ZN7rocprim17ROCPRIM_400000_NS6detail17trampoline_kernelINS0_14default_configENS1_22reduce_config_selectorIyEEZNS1_11reduce_implILb1ES3_N6thrust23THRUST_200600_302600_NS6detail15normal_iteratorINS8_10device_ptrIyEEEEPiiNS8_4plusIiEEEE10hipError_tPvRmT1_T2_T3_mT4_P12ihipStream_tbEUlT_E1_NS1_11comp_targetILNS1_3genE3ELNS1_11target_archE908ELNS1_3gpuE7ELNS1_3repE0EEENS1_30default_config_static_selectorELNS0_4arch9wavefront6targetE1EEEvSK_.uses_flat_scratch, 0
	.set _ZN7rocprim17ROCPRIM_400000_NS6detail17trampoline_kernelINS0_14default_configENS1_22reduce_config_selectorIyEEZNS1_11reduce_implILb1ES3_N6thrust23THRUST_200600_302600_NS6detail15normal_iteratorINS8_10device_ptrIyEEEEPiiNS8_4plusIiEEEE10hipError_tPvRmT1_T2_T3_mT4_P12ihipStream_tbEUlT_E1_NS1_11comp_targetILNS1_3genE3ELNS1_11target_archE908ELNS1_3gpuE7ELNS1_3repE0EEENS1_30default_config_static_selectorELNS0_4arch9wavefront6targetE1EEEvSK_.has_dyn_sized_stack, 0
	.set _ZN7rocprim17ROCPRIM_400000_NS6detail17trampoline_kernelINS0_14default_configENS1_22reduce_config_selectorIyEEZNS1_11reduce_implILb1ES3_N6thrust23THRUST_200600_302600_NS6detail15normal_iteratorINS8_10device_ptrIyEEEEPiiNS8_4plusIiEEEE10hipError_tPvRmT1_T2_T3_mT4_P12ihipStream_tbEUlT_E1_NS1_11comp_targetILNS1_3genE3ELNS1_11target_archE908ELNS1_3gpuE7ELNS1_3repE0EEENS1_30default_config_static_selectorELNS0_4arch9wavefront6targetE1EEEvSK_.has_recursion, 0
	.set _ZN7rocprim17ROCPRIM_400000_NS6detail17trampoline_kernelINS0_14default_configENS1_22reduce_config_selectorIyEEZNS1_11reduce_implILb1ES3_N6thrust23THRUST_200600_302600_NS6detail15normal_iteratorINS8_10device_ptrIyEEEEPiiNS8_4plusIiEEEE10hipError_tPvRmT1_T2_T3_mT4_P12ihipStream_tbEUlT_E1_NS1_11comp_targetILNS1_3genE3ELNS1_11target_archE908ELNS1_3gpuE7ELNS1_3repE0EEENS1_30default_config_static_selectorELNS0_4arch9wavefront6targetE1EEEvSK_.has_indirect_call, 0
	.section	.AMDGPU.csdata,"",@progbits
; Kernel info:
; codeLenInByte = 0
; TotalNumSgprs: 6
; NumVgprs: 0
; NumAgprs: 0
; TotalNumVgprs: 0
; ScratchSize: 0
; MemoryBound: 0
; FloatMode: 240
; IeeeMode: 1
; LDSByteSize: 0 bytes/workgroup (compile time only)
; SGPRBlocks: 0
; VGPRBlocks: 0
; NumSGPRsForWavesPerEU: 6
; NumVGPRsForWavesPerEU: 1
; AccumOffset: 4
; Occupancy: 8
; WaveLimiterHint : 0
; COMPUTE_PGM_RSRC2:SCRATCH_EN: 0
; COMPUTE_PGM_RSRC2:USER_SGPR: 2
; COMPUTE_PGM_RSRC2:TRAP_HANDLER: 0
; COMPUTE_PGM_RSRC2:TGID_X_EN: 1
; COMPUTE_PGM_RSRC2:TGID_Y_EN: 0
; COMPUTE_PGM_RSRC2:TGID_Z_EN: 0
; COMPUTE_PGM_RSRC2:TIDIG_COMP_CNT: 0
; COMPUTE_PGM_RSRC3_GFX90A:ACCUM_OFFSET: 0
; COMPUTE_PGM_RSRC3_GFX90A:TG_SPLIT: 0
	.section	.text._ZN7rocprim17ROCPRIM_400000_NS6detail17trampoline_kernelINS0_14default_configENS1_22reduce_config_selectorIyEEZNS1_11reduce_implILb1ES3_N6thrust23THRUST_200600_302600_NS6detail15normal_iteratorINS8_10device_ptrIyEEEEPiiNS8_4plusIiEEEE10hipError_tPvRmT1_T2_T3_mT4_P12ihipStream_tbEUlT_E1_NS1_11comp_targetILNS1_3genE2ELNS1_11target_archE906ELNS1_3gpuE6ELNS1_3repE0EEENS1_30default_config_static_selectorELNS0_4arch9wavefront6targetE1EEEvSK_,"axG",@progbits,_ZN7rocprim17ROCPRIM_400000_NS6detail17trampoline_kernelINS0_14default_configENS1_22reduce_config_selectorIyEEZNS1_11reduce_implILb1ES3_N6thrust23THRUST_200600_302600_NS6detail15normal_iteratorINS8_10device_ptrIyEEEEPiiNS8_4plusIiEEEE10hipError_tPvRmT1_T2_T3_mT4_P12ihipStream_tbEUlT_E1_NS1_11comp_targetILNS1_3genE2ELNS1_11target_archE906ELNS1_3gpuE6ELNS1_3repE0EEENS1_30default_config_static_selectorELNS0_4arch9wavefront6targetE1EEEvSK_,comdat
	.protected	_ZN7rocprim17ROCPRIM_400000_NS6detail17trampoline_kernelINS0_14default_configENS1_22reduce_config_selectorIyEEZNS1_11reduce_implILb1ES3_N6thrust23THRUST_200600_302600_NS6detail15normal_iteratorINS8_10device_ptrIyEEEEPiiNS8_4plusIiEEEE10hipError_tPvRmT1_T2_T3_mT4_P12ihipStream_tbEUlT_E1_NS1_11comp_targetILNS1_3genE2ELNS1_11target_archE906ELNS1_3gpuE6ELNS1_3repE0EEENS1_30default_config_static_selectorELNS0_4arch9wavefront6targetE1EEEvSK_ ; -- Begin function _ZN7rocprim17ROCPRIM_400000_NS6detail17trampoline_kernelINS0_14default_configENS1_22reduce_config_selectorIyEEZNS1_11reduce_implILb1ES3_N6thrust23THRUST_200600_302600_NS6detail15normal_iteratorINS8_10device_ptrIyEEEEPiiNS8_4plusIiEEEE10hipError_tPvRmT1_T2_T3_mT4_P12ihipStream_tbEUlT_E1_NS1_11comp_targetILNS1_3genE2ELNS1_11target_archE906ELNS1_3gpuE6ELNS1_3repE0EEENS1_30default_config_static_selectorELNS0_4arch9wavefront6targetE1EEEvSK_
	.globl	_ZN7rocprim17ROCPRIM_400000_NS6detail17trampoline_kernelINS0_14default_configENS1_22reduce_config_selectorIyEEZNS1_11reduce_implILb1ES3_N6thrust23THRUST_200600_302600_NS6detail15normal_iteratorINS8_10device_ptrIyEEEEPiiNS8_4plusIiEEEE10hipError_tPvRmT1_T2_T3_mT4_P12ihipStream_tbEUlT_E1_NS1_11comp_targetILNS1_3genE2ELNS1_11target_archE906ELNS1_3gpuE6ELNS1_3repE0EEENS1_30default_config_static_selectorELNS0_4arch9wavefront6targetE1EEEvSK_
	.p2align	8
	.type	_ZN7rocprim17ROCPRIM_400000_NS6detail17trampoline_kernelINS0_14default_configENS1_22reduce_config_selectorIyEEZNS1_11reduce_implILb1ES3_N6thrust23THRUST_200600_302600_NS6detail15normal_iteratorINS8_10device_ptrIyEEEEPiiNS8_4plusIiEEEE10hipError_tPvRmT1_T2_T3_mT4_P12ihipStream_tbEUlT_E1_NS1_11comp_targetILNS1_3genE2ELNS1_11target_archE906ELNS1_3gpuE6ELNS1_3repE0EEENS1_30default_config_static_selectorELNS0_4arch9wavefront6targetE1EEEvSK_,@function
_ZN7rocprim17ROCPRIM_400000_NS6detail17trampoline_kernelINS0_14default_configENS1_22reduce_config_selectorIyEEZNS1_11reduce_implILb1ES3_N6thrust23THRUST_200600_302600_NS6detail15normal_iteratorINS8_10device_ptrIyEEEEPiiNS8_4plusIiEEEE10hipError_tPvRmT1_T2_T3_mT4_P12ihipStream_tbEUlT_E1_NS1_11comp_targetILNS1_3genE2ELNS1_11target_archE906ELNS1_3gpuE6ELNS1_3repE0EEENS1_30default_config_static_selectorELNS0_4arch9wavefront6targetE1EEEvSK_: ; @_ZN7rocprim17ROCPRIM_400000_NS6detail17trampoline_kernelINS0_14default_configENS1_22reduce_config_selectorIyEEZNS1_11reduce_implILb1ES3_N6thrust23THRUST_200600_302600_NS6detail15normal_iteratorINS8_10device_ptrIyEEEEPiiNS8_4plusIiEEEE10hipError_tPvRmT1_T2_T3_mT4_P12ihipStream_tbEUlT_E1_NS1_11comp_targetILNS1_3genE2ELNS1_11target_archE906ELNS1_3gpuE6ELNS1_3repE0EEENS1_30default_config_static_selectorELNS0_4arch9wavefront6targetE1EEEvSK_
; %bb.0:
	.section	.rodata,"a",@progbits
	.p2align	6, 0x0
	.amdhsa_kernel _ZN7rocprim17ROCPRIM_400000_NS6detail17trampoline_kernelINS0_14default_configENS1_22reduce_config_selectorIyEEZNS1_11reduce_implILb1ES3_N6thrust23THRUST_200600_302600_NS6detail15normal_iteratorINS8_10device_ptrIyEEEEPiiNS8_4plusIiEEEE10hipError_tPvRmT1_T2_T3_mT4_P12ihipStream_tbEUlT_E1_NS1_11comp_targetILNS1_3genE2ELNS1_11target_archE906ELNS1_3gpuE6ELNS1_3repE0EEENS1_30default_config_static_selectorELNS0_4arch9wavefront6targetE1EEEvSK_
		.amdhsa_group_segment_fixed_size 0
		.amdhsa_private_segment_fixed_size 0
		.amdhsa_kernarg_size 40
		.amdhsa_user_sgpr_count 2
		.amdhsa_user_sgpr_dispatch_ptr 0
		.amdhsa_user_sgpr_queue_ptr 0
		.amdhsa_user_sgpr_kernarg_segment_ptr 1
		.amdhsa_user_sgpr_dispatch_id 0
		.amdhsa_user_sgpr_kernarg_preload_length 0
		.amdhsa_user_sgpr_kernarg_preload_offset 0
		.amdhsa_user_sgpr_private_segment_size 0
		.amdhsa_uses_dynamic_stack 0
		.amdhsa_enable_private_segment 0
		.amdhsa_system_sgpr_workgroup_id_x 1
		.amdhsa_system_sgpr_workgroup_id_y 0
		.amdhsa_system_sgpr_workgroup_id_z 0
		.amdhsa_system_sgpr_workgroup_info 0
		.amdhsa_system_vgpr_workitem_id 0
		.amdhsa_next_free_vgpr 1
		.amdhsa_next_free_sgpr 0
		.amdhsa_accum_offset 4
		.amdhsa_reserve_vcc 0
		.amdhsa_float_round_mode_32 0
		.amdhsa_float_round_mode_16_64 0
		.amdhsa_float_denorm_mode_32 3
		.amdhsa_float_denorm_mode_16_64 3
		.amdhsa_dx10_clamp 1
		.amdhsa_ieee_mode 1
		.amdhsa_fp16_overflow 0
		.amdhsa_tg_split 0
		.amdhsa_exception_fp_ieee_invalid_op 0
		.amdhsa_exception_fp_denorm_src 0
		.amdhsa_exception_fp_ieee_div_zero 0
		.amdhsa_exception_fp_ieee_overflow 0
		.amdhsa_exception_fp_ieee_underflow 0
		.amdhsa_exception_fp_ieee_inexact 0
		.amdhsa_exception_int_div_zero 0
	.end_amdhsa_kernel
	.section	.text._ZN7rocprim17ROCPRIM_400000_NS6detail17trampoline_kernelINS0_14default_configENS1_22reduce_config_selectorIyEEZNS1_11reduce_implILb1ES3_N6thrust23THRUST_200600_302600_NS6detail15normal_iteratorINS8_10device_ptrIyEEEEPiiNS8_4plusIiEEEE10hipError_tPvRmT1_T2_T3_mT4_P12ihipStream_tbEUlT_E1_NS1_11comp_targetILNS1_3genE2ELNS1_11target_archE906ELNS1_3gpuE6ELNS1_3repE0EEENS1_30default_config_static_selectorELNS0_4arch9wavefront6targetE1EEEvSK_,"axG",@progbits,_ZN7rocprim17ROCPRIM_400000_NS6detail17trampoline_kernelINS0_14default_configENS1_22reduce_config_selectorIyEEZNS1_11reduce_implILb1ES3_N6thrust23THRUST_200600_302600_NS6detail15normal_iteratorINS8_10device_ptrIyEEEEPiiNS8_4plusIiEEEE10hipError_tPvRmT1_T2_T3_mT4_P12ihipStream_tbEUlT_E1_NS1_11comp_targetILNS1_3genE2ELNS1_11target_archE906ELNS1_3gpuE6ELNS1_3repE0EEENS1_30default_config_static_selectorELNS0_4arch9wavefront6targetE1EEEvSK_,comdat
.Lfunc_end364:
	.size	_ZN7rocprim17ROCPRIM_400000_NS6detail17trampoline_kernelINS0_14default_configENS1_22reduce_config_selectorIyEEZNS1_11reduce_implILb1ES3_N6thrust23THRUST_200600_302600_NS6detail15normal_iteratorINS8_10device_ptrIyEEEEPiiNS8_4plusIiEEEE10hipError_tPvRmT1_T2_T3_mT4_P12ihipStream_tbEUlT_E1_NS1_11comp_targetILNS1_3genE2ELNS1_11target_archE906ELNS1_3gpuE6ELNS1_3repE0EEENS1_30default_config_static_selectorELNS0_4arch9wavefront6targetE1EEEvSK_, .Lfunc_end364-_ZN7rocprim17ROCPRIM_400000_NS6detail17trampoline_kernelINS0_14default_configENS1_22reduce_config_selectorIyEEZNS1_11reduce_implILb1ES3_N6thrust23THRUST_200600_302600_NS6detail15normal_iteratorINS8_10device_ptrIyEEEEPiiNS8_4plusIiEEEE10hipError_tPvRmT1_T2_T3_mT4_P12ihipStream_tbEUlT_E1_NS1_11comp_targetILNS1_3genE2ELNS1_11target_archE906ELNS1_3gpuE6ELNS1_3repE0EEENS1_30default_config_static_selectorELNS0_4arch9wavefront6targetE1EEEvSK_
                                        ; -- End function
	.set _ZN7rocprim17ROCPRIM_400000_NS6detail17trampoline_kernelINS0_14default_configENS1_22reduce_config_selectorIyEEZNS1_11reduce_implILb1ES3_N6thrust23THRUST_200600_302600_NS6detail15normal_iteratorINS8_10device_ptrIyEEEEPiiNS8_4plusIiEEEE10hipError_tPvRmT1_T2_T3_mT4_P12ihipStream_tbEUlT_E1_NS1_11comp_targetILNS1_3genE2ELNS1_11target_archE906ELNS1_3gpuE6ELNS1_3repE0EEENS1_30default_config_static_selectorELNS0_4arch9wavefront6targetE1EEEvSK_.num_vgpr, 0
	.set _ZN7rocprim17ROCPRIM_400000_NS6detail17trampoline_kernelINS0_14default_configENS1_22reduce_config_selectorIyEEZNS1_11reduce_implILb1ES3_N6thrust23THRUST_200600_302600_NS6detail15normal_iteratorINS8_10device_ptrIyEEEEPiiNS8_4plusIiEEEE10hipError_tPvRmT1_T2_T3_mT4_P12ihipStream_tbEUlT_E1_NS1_11comp_targetILNS1_3genE2ELNS1_11target_archE906ELNS1_3gpuE6ELNS1_3repE0EEENS1_30default_config_static_selectorELNS0_4arch9wavefront6targetE1EEEvSK_.num_agpr, 0
	.set _ZN7rocprim17ROCPRIM_400000_NS6detail17trampoline_kernelINS0_14default_configENS1_22reduce_config_selectorIyEEZNS1_11reduce_implILb1ES3_N6thrust23THRUST_200600_302600_NS6detail15normal_iteratorINS8_10device_ptrIyEEEEPiiNS8_4plusIiEEEE10hipError_tPvRmT1_T2_T3_mT4_P12ihipStream_tbEUlT_E1_NS1_11comp_targetILNS1_3genE2ELNS1_11target_archE906ELNS1_3gpuE6ELNS1_3repE0EEENS1_30default_config_static_selectorELNS0_4arch9wavefront6targetE1EEEvSK_.numbered_sgpr, 0
	.set _ZN7rocprim17ROCPRIM_400000_NS6detail17trampoline_kernelINS0_14default_configENS1_22reduce_config_selectorIyEEZNS1_11reduce_implILb1ES3_N6thrust23THRUST_200600_302600_NS6detail15normal_iteratorINS8_10device_ptrIyEEEEPiiNS8_4plusIiEEEE10hipError_tPvRmT1_T2_T3_mT4_P12ihipStream_tbEUlT_E1_NS1_11comp_targetILNS1_3genE2ELNS1_11target_archE906ELNS1_3gpuE6ELNS1_3repE0EEENS1_30default_config_static_selectorELNS0_4arch9wavefront6targetE1EEEvSK_.num_named_barrier, 0
	.set _ZN7rocprim17ROCPRIM_400000_NS6detail17trampoline_kernelINS0_14default_configENS1_22reduce_config_selectorIyEEZNS1_11reduce_implILb1ES3_N6thrust23THRUST_200600_302600_NS6detail15normal_iteratorINS8_10device_ptrIyEEEEPiiNS8_4plusIiEEEE10hipError_tPvRmT1_T2_T3_mT4_P12ihipStream_tbEUlT_E1_NS1_11comp_targetILNS1_3genE2ELNS1_11target_archE906ELNS1_3gpuE6ELNS1_3repE0EEENS1_30default_config_static_selectorELNS0_4arch9wavefront6targetE1EEEvSK_.private_seg_size, 0
	.set _ZN7rocprim17ROCPRIM_400000_NS6detail17trampoline_kernelINS0_14default_configENS1_22reduce_config_selectorIyEEZNS1_11reduce_implILb1ES3_N6thrust23THRUST_200600_302600_NS6detail15normal_iteratorINS8_10device_ptrIyEEEEPiiNS8_4plusIiEEEE10hipError_tPvRmT1_T2_T3_mT4_P12ihipStream_tbEUlT_E1_NS1_11comp_targetILNS1_3genE2ELNS1_11target_archE906ELNS1_3gpuE6ELNS1_3repE0EEENS1_30default_config_static_selectorELNS0_4arch9wavefront6targetE1EEEvSK_.uses_vcc, 0
	.set _ZN7rocprim17ROCPRIM_400000_NS6detail17trampoline_kernelINS0_14default_configENS1_22reduce_config_selectorIyEEZNS1_11reduce_implILb1ES3_N6thrust23THRUST_200600_302600_NS6detail15normal_iteratorINS8_10device_ptrIyEEEEPiiNS8_4plusIiEEEE10hipError_tPvRmT1_T2_T3_mT4_P12ihipStream_tbEUlT_E1_NS1_11comp_targetILNS1_3genE2ELNS1_11target_archE906ELNS1_3gpuE6ELNS1_3repE0EEENS1_30default_config_static_selectorELNS0_4arch9wavefront6targetE1EEEvSK_.uses_flat_scratch, 0
	.set _ZN7rocprim17ROCPRIM_400000_NS6detail17trampoline_kernelINS0_14default_configENS1_22reduce_config_selectorIyEEZNS1_11reduce_implILb1ES3_N6thrust23THRUST_200600_302600_NS6detail15normal_iteratorINS8_10device_ptrIyEEEEPiiNS8_4plusIiEEEE10hipError_tPvRmT1_T2_T3_mT4_P12ihipStream_tbEUlT_E1_NS1_11comp_targetILNS1_3genE2ELNS1_11target_archE906ELNS1_3gpuE6ELNS1_3repE0EEENS1_30default_config_static_selectorELNS0_4arch9wavefront6targetE1EEEvSK_.has_dyn_sized_stack, 0
	.set _ZN7rocprim17ROCPRIM_400000_NS6detail17trampoline_kernelINS0_14default_configENS1_22reduce_config_selectorIyEEZNS1_11reduce_implILb1ES3_N6thrust23THRUST_200600_302600_NS6detail15normal_iteratorINS8_10device_ptrIyEEEEPiiNS8_4plusIiEEEE10hipError_tPvRmT1_T2_T3_mT4_P12ihipStream_tbEUlT_E1_NS1_11comp_targetILNS1_3genE2ELNS1_11target_archE906ELNS1_3gpuE6ELNS1_3repE0EEENS1_30default_config_static_selectorELNS0_4arch9wavefront6targetE1EEEvSK_.has_recursion, 0
	.set _ZN7rocprim17ROCPRIM_400000_NS6detail17trampoline_kernelINS0_14default_configENS1_22reduce_config_selectorIyEEZNS1_11reduce_implILb1ES3_N6thrust23THRUST_200600_302600_NS6detail15normal_iteratorINS8_10device_ptrIyEEEEPiiNS8_4plusIiEEEE10hipError_tPvRmT1_T2_T3_mT4_P12ihipStream_tbEUlT_E1_NS1_11comp_targetILNS1_3genE2ELNS1_11target_archE906ELNS1_3gpuE6ELNS1_3repE0EEENS1_30default_config_static_selectorELNS0_4arch9wavefront6targetE1EEEvSK_.has_indirect_call, 0
	.section	.AMDGPU.csdata,"",@progbits
; Kernel info:
; codeLenInByte = 0
; TotalNumSgprs: 6
; NumVgprs: 0
; NumAgprs: 0
; TotalNumVgprs: 0
; ScratchSize: 0
; MemoryBound: 0
; FloatMode: 240
; IeeeMode: 1
; LDSByteSize: 0 bytes/workgroup (compile time only)
; SGPRBlocks: 0
; VGPRBlocks: 0
; NumSGPRsForWavesPerEU: 6
; NumVGPRsForWavesPerEU: 1
; AccumOffset: 4
; Occupancy: 8
; WaveLimiterHint : 0
; COMPUTE_PGM_RSRC2:SCRATCH_EN: 0
; COMPUTE_PGM_RSRC2:USER_SGPR: 2
; COMPUTE_PGM_RSRC2:TRAP_HANDLER: 0
; COMPUTE_PGM_RSRC2:TGID_X_EN: 1
; COMPUTE_PGM_RSRC2:TGID_Y_EN: 0
; COMPUTE_PGM_RSRC2:TGID_Z_EN: 0
; COMPUTE_PGM_RSRC2:TIDIG_COMP_CNT: 0
; COMPUTE_PGM_RSRC3_GFX90A:ACCUM_OFFSET: 0
; COMPUTE_PGM_RSRC3_GFX90A:TG_SPLIT: 0
	.section	.text._ZN7rocprim17ROCPRIM_400000_NS6detail17trampoline_kernelINS0_14default_configENS1_22reduce_config_selectorIyEEZNS1_11reduce_implILb1ES3_N6thrust23THRUST_200600_302600_NS6detail15normal_iteratorINS8_10device_ptrIyEEEEPiiNS8_4plusIiEEEE10hipError_tPvRmT1_T2_T3_mT4_P12ihipStream_tbEUlT_E1_NS1_11comp_targetILNS1_3genE10ELNS1_11target_archE1201ELNS1_3gpuE5ELNS1_3repE0EEENS1_30default_config_static_selectorELNS0_4arch9wavefront6targetE1EEEvSK_,"axG",@progbits,_ZN7rocprim17ROCPRIM_400000_NS6detail17trampoline_kernelINS0_14default_configENS1_22reduce_config_selectorIyEEZNS1_11reduce_implILb1ES3_N6thrust23THRUST_200600_302600_NS6detail15normal_iteratorINS8_10device_ptrIyEEEEPiiNS8_4plusIiEEEE10hipError_tPvRmT1_T2_T3_mT4_P12ihipStream_tbEUlT_E1_NS1_11comp_targetILNS1_3genE10ELNS1_11target_archE1201ELNS1_3gpuE5ELNS1_3repE0EEENS1_30default_config_static_selectorELNS0_4arch9wavefront6targetE1EEEvSK_,comdat
	.protected	_ZN7rocprim17ROCPRIM_400000_NS6detail17trampoline_kernelINS0_14default_configENS1_22reduce_config_selectorIyEEZNS1_11reduce_implILb1ES3_N6thrust23THRUST_200600_302600_NS6detail15normal_iteratorINS8_10device_ptrIyEEEEPiiNS8_4plusIiEEEE10hipError_tPvRmT1_T2_T3_mT4_P12ihipStream_tbEUlT_E1_NS1_11comp_targetILNS1_3genE10ELNS1_11target_archE1201ELNS1_3gpuE5ELNS1_3repE0EEENS1_30default_config_static_selectorELNS0_4arch9wavefront6targetE1EEEvSK_ ; -- Begin function _ZN7rocprim17ROCPRIM_400000_NS6detail17trampoline_kernelINS0_14default_configENS1_22reduce_config_selectorIyEEZNS1_11reduce_implILb1ES3_N6thrust23THRUST_200600_302600_NS6detail15normal_iteratorINS8_10device_ptrIyEEEEPiiNS8_4plusIiEEEE10hipError_tPvRmT1_T2_T3_mT4_P12ihipStream_tbEUlT_E1_NS1_11comp_targetILNS1_3genE10ELNS1_11target_archE1201ELNS1_3gpuE5ELNS1_3repE0EEENS1_30default_config_static_selectorELNS0_4arch9wavefront6targetE1EEEvSK_
	.globl	_ZN7rocprim17ROCPRIM_400000_NS6detail17trampoline_kernelINS0_14default_configENS1_22reduce_config_selectorIyEEZNS1_11reduce_implILb1ES3_N6thrust23THRUST_200600_302600_NS6detail15normal_iteratorINS8_10device_ptrIyEEEEPiiNS8_4plusIiEEEE10hipError_tPvRmT1_T2_T3_mT4_P12ihipStream_tbEUlT_E1_NS1_11comp_targetILNS1_3genE10ELNS1_11target_archE1201ELNS1_3gpuE5ELNS1_3repE0EEENS1_30default_config_static_selectorELNS0_4arch9wavefront6targetE1EEEvSK_
	.p2align	8
	.type	_ZN7rocprim17ROCPRIM_400000_NS6detail17trampoline_kernelINS0_14default_configENS1_22reduce_config_selectorIyEEZNS1_11reduce_implILb1ES3_N6thrust23THRUST_200600_302600_NS6detail15normal_iteratorINS8_10device_ptrIyEEEEPiiNS8_4plusIiEEEE10hipError_tPvRmT1_T2_T3_mT4_P12ihipStream_tbEUlT_E1_NS1_11comp_targetILNS1_3genE10ELNS1_11target_archE1201ELNS1_3gpuE5ELNS1_3repE0EEENS1_30default_config_static_selectorELNS0_4arch9wavefront6targetE1EEEvSK_,@function
_ZN7rocprim17ROCPRIM_400000_NS6detail17trampoline_kernelINS0_14default_configENS1_22reduce_config_selectorIyEEZNS1_11reduce_implILb1ES3_N6thrust23THRUST_200600_302600_NS6detail15normal_iteratorINS8_10device_ptrIyEEEEPiiNS8_4plusIiEEEE10hipError_tPvRmT1_T2_T3_mT4_P12ihipStream_tbEUlT_E1_NS1_11comp_targetILNS1_3genE10ELNS1_11target_archE1201ELNS1_3gpuE5ELNS1_3repE0EEENS1_30default_config_static_selectorELNS0_4arch9wavefront6targetE1EEEvSK_: ; @_ZN7rocprim17ROCPRIM_400000_NS6detail17trampoline_kernelINS0_14default_configENS1_22reduce_config_selectorIyEEZNS1_11reduce_implILb1ES3_N6thrust23THRUST_200600_302600_NS6detail15normal_iteratorINS8_10device_ptrIyEEEEPiiNS8_4plusIiEEEE10hipError_tPvRmT1_T2_T3_mT4_P12ihipStream_tbEUlT_E1_NS1_11comp_targetILNS1_3genE10ELNS1_11target_archE1201ELNS1_3gpuE5ELNS1_3repE0EEENS1_30default_config_static_selectorELNS0_4arch9wavefront6targetE1EEEvSK_
; %bb.0:
	.section	.rodata,"a",@progbits
	.p2align	6, 0x0
	.amdhsa_kernel _ZN7rocprim17ROCPRIM_400000_NS6detail17trampoline_kernelINS0_14default_configENS1_22reduce_config_selectorIyEEZNS1_11reduce_implILb1ES3_N6thrust23THRUST_200600_302600_NS6detail15normal_iteratorINS8_10device_ptrIyEEEEPiiNS8_4plusIiEEEE10hipError_tPvRmT1_T2_T3_mT4_P12ihipStream_tbEUlT_E1_NS1_11comp_targetILNS1_3genE10ELNS1_11target_archE1201ELNS1_3gpuE5ELNS1_3repE0EEENS1_30default_config_static_selectorELNS0_4arch9wavefront6targetE1EEEvSK_
		.amdhsa_group_segment_fixed_size 0
		.amdhsa_private_segment_fixed_size 0
		.amdhsa_kernarg_size 40
		.amdhsa_user_sgpr_count 2
		.amdhsa_user_sgpr_dispatch_ptr 0
		.amdhsa_user_sgpr_queue_ptr 0
		.amdhsa_user_sgpr_kernarg_segment_ptr 1
		.amdhsa_user_sgpr_dispatch_id 0
		.amdhsa_user_sgpr_kernarg_preload_length 0
		.amdhsa_user_sgpr_kernarg_preload_offset 0
		.amdhsa_user_sgpr_private_segment_size 0
		.amdhsa_uses_dynamic_stack 0
		.amdhsa_enable_private_segment 0
		.amdhsa_system_sgpr_workgroup_id_x 1
		.amdhsa_system_sgpr_workgroup_id_y 0
		.amdhsa_system_sgpr_workgroup_id_z 0
		.amdhsa_system_sgpr_workgroup_info 0
		.amdhsa_system_vgpr_workitem_id 0
		.amdhsa_next_free_vgpr 1
		.amdhsa_next_free_sgpr 0
		.amdhsa_accum_offset 4
		.amdhsa_reserve_vcc 0
		.amdhsa_float_round_mode_32 0
		.amdhsa_float_round_mode_16_64 0
		.amdhsa_float_denorm_mode_32 3
		.amdhsa_float_denorm_mode_16_64 3
		.amdhsa_dx10_clamp 1
		.amdhsa_ieee_mode 1
		.amdhsa_fp16_overflow 0
		.amdhsa_tg_split 0
		.amdhsa_exception_fp_ieee_invalid_op 0
		.amdhsa_exception_fp_denorm_src 0
		.amdhsa_exception_fp_ieee_div_zero 0
		.amdhsa_exception_fp_ieee_overflow 0
		.amdhsa_exception_fp_ieee_underflow 0
		.amdhsa_exception_fp_ieee_inexact 0
		.amdhsa_exception_int_div_zero 0
	.end_amdhsa_kernel
	.section	.text._ZN7rocprim17ROCPRIM_400000_NS6detail17trampoline_kernelINS0_14default_configENS1_22reduce_config_selectorIyEEZNS1_11reduce_implILb1ES3_N6thrust23THRUST_200600_302600_NS6detail15normal_iteratorINS8_10device_ptrIyEEEEPiiNS8_4plusIiEEEE10hipError_tPvRmT1_T2_T3_mT4_P12ihipStream_tbEUlT_E1_NS1_11comp_targetILNS1_3genE10ELNS1_11target_archE1201ELNS1_3gpuE5ELNS1_3repE0EEENS1_30default_config_static_selectorELNS0_4arch9wavefront6targetE1EEEvSK_,"axG",@progbits,_ZN7rocprim17ROCPRIM_400000_NS6detail17trampoline_kernelINS0_14default_configENS1_22reduce_config_selectorIyEEZNS1_11reduce_implILb1ES3_N6thrust23THRUST_200600_302600_NS6detail15normal_iteratorINS8_10device_ptrIyEEEEPiiNS8_4plusIiEEEE10hipError_tPvRmT1_T2_T3_mT4_P12ihipStream_tbEUlT_E1_NS1_11comp_targetILNS1_3genE10ELNS1_11target_archE1201ELNS1_3gpuE5ELNS1_3repE0EEENS1_30default_config_static_selectorELNS0_4arch9wavefront6targetE1EEEvSK_,comdat
.Lfunc_end365:
	.size	_ZN7rocprim17ROCPRIM_400000_NS6detail17trampoline_kernelINS0_14default_configENS1_22reduce_config_selectorIyEEZNS1_11reduce_implILb1ES3_N6thrust23THRUST_200600_302600_NS6detail15normal_iteratorINS8_10device_ptrIyEEEEPiiNS8_4plusIiEEEE10hipError_tPvRmT1_T2_T3_mT4_P12ihipStream_tbEUlT_E1_NS1_11comp_targetILNS1_3genE10ELNS1_11target_archE1201ELNS1_3gpuE5ELNS1_3repE0EEENS1_30default_config_static_selectorELNS0_4arch9wavefront6targetE1EEEvSK_, .Lfunc_end365-_ZN7rocprim17ROCPRIM_400000_NS6detail17trampoline_kernelINS0_14default_configENS1_22reduce_config_selectorIyEEZNS1_11reduce_implILb1ES3_N6thrust23THRUST_200600_302600_NS6detail15normal_iteratorINS8_10device_ptrIyEEEEPiiNS8_4plusIiEEEE10hipError_tPvRmT1_T2_T3_mT4_P12ihipStream_tbEUlT_E1_NS1_11comp_targetILNS1_3genE10ELNS1_11target_archE1201ELNS1_3gpuE5ELNS1_3repE0EEENS1_30default_config_static_selectorELNS0_4arch9wavefront6targetE1EEEvSK_
                                        ; -- End function
	.set _ZN7rocprim17ROCPRIM_400000_NS6detail17trampoline_kernelINS0_14default_configENS1_22reduce_config_selectorIyEEZNS1_11reduce_implILb1ES3_N6thrust23THRUST_200600_302600_NS6detail15normal_iteratorINS8_10device_ptrIyEEEEPiiNS8_4plusIiEEEE10hipError_tPvRmT1_T2_T3_mT4_P12ihipStream_tbEUlT_E1_NS1_11comp_targetILNS1_3genE10ELNS1_11target_archE1201ELNS1_3gpuE5ELNS1_3repE0EEENS1_30default_config_static_selectorELNS0_4arch9wavefront6targetE1EEEvSK_.num_vgpr, 0
	.set _ZN7rocprim17ROCPRIM_400000_NS6detail17trampoline_kernelINS0_14default_configENS1_22reduce_config_selectorIyEEZNS1_11reduce_implILb1ES3_N6thrust23THRUST_200600_302600_NS6detail15normal_iteratorINS8_10device_ptrIyEEEEPiiNS8_4plusIiEEEE10hipError_tPvRmT1_T2_T3_mT4_P12ihipStream_tbEUlT_E1_NS1_11comp_targetILNS1_3genE10ELNS1_11target_archE1201ELNS1_3gpuE5ELNS1_3repE0EEENS1_30default_config_static_selectorELNS0_4arch9wavefront6targetE1EEEvSK_.num_agpr, 0
	.set _ZN7rocprim17ROCPRIM_400000_NS6detail17trampoline_kernelINS0_14default_configENS1_22reduce_config_selectorIyEEZNS1_11reduce_implILb1ES3_N6thrust23THRUST_200600_302600_NS6detail15normal_iteratorINS8_10device_ptrIyEEEEPiiNS8_4plusIiEEEE10hipError_tPvRmT1_T2_T3_mT4_P12ihipStream_tbEUlT_E1_NS1_11comp_targetILNS1_3genE10ELNS1_11target_archE1201ELNS1_3gpuE5ELNS1_3repE0EEENS1_30default_config_static_selectorELNS0_4arch9wavefront6targetE1EEEvSK_.numbered_sgpr, 0
	.set _ZN7rocprim17ROCPRIM_400000_NS6detail17trampoline_kernelINS0_14default_configENS1_22reduce_config_selectorIyEEZNS1_11reduce_implILb1ES3_N6thrust23THRUST_200600_302600_NS6detail15normal_iteratorINS8_10device_ptrIyEEEEPiiNS8_4plusIiEEEE10hipError_tPvRmT1_T2_T3_mT4_P12ihipStream_tbEUlT_E1_NS1_11comp_targetILNS1_3genE10ELNS1_11target_archE1201ELNS1_3gpuE5ELNS1_3repE0EEENS1_30default_config_static_selectorELNS0_4arch9wavefront6targetE1EEEvSK_.num_named_barrier, 0
	.set _ZN7rocprim17ROCPRIM_400000_NS6detail17trampoline_kernelINS0_14default_configENS1_22reduce_config_selectorIyEEZNS1_11reduce_implILb1ES3_N6thrust23THRUST_200600_302600_NS6detail15normal_iteratorINS8_10device_ptrIyEEEEPiiNS8_4plusIiEEEE10hipError_tPvRmT1_T2_T3_mT4_P12ihipStream_tbEUlT_E1_NS1_11comp_targetILNS1_3genE10ELNS1_11target_archE1201ELNS1_3gpuE5ELNS1_3repE0EEENS1_30default_config_static_selectorELNS0_4arch9wavefront6targetE1EEEvSK_.private_seg_size, 0
	.set _ZN7rocprim17ROCPRIM_400000_NS6detail17trampoline_kernelINS0_14default_configENS1_22reduce_config_selectorIyEEZNS1_11reduce_implILb1ES3_N6thrust23THRUST_200600_302600_NS6detail15normal_iteratorINS8_10device_ptrIyEEEEPiiNS8_4plusIiEEEE10hipError_tPvRmT1_T2_T3_mT4_P12ihipStream_tbEUlT_E1_NS1_11comp_targetILNS1_3genE10ELNS1_11target_archE1201ELNS1_3gpuE5ELNS1_3repE0EEENS1_30default_config_static_selectorELNS0_4arch9wavefront6targetE1EEEvSK_.uses_vcc, 0
	.set _ZN7rocprim17ROCPRIM_400000_NS6detail17trampoline_kernelINS0_14default_configENS1_22reduce_config_selectorIyEEZNS1_11reduce_implILb1ES3_N6thrust23THRUST_200600_302600_NS6detail15normal_iteratorINS8_10device_ptrIyEEEEPiiNS8_4plusIiEEEE10hipError_tPvRmT1_T2_T3_mT4_P12ihipStream_tbEUlT_E1_NS1_11comp_targetILNS1_3genE10ELNS1_11target_archE1201ELNS1_3gpuE5ELNS1_3repE0EEENS1_30default_config_static_selectorELNS0_4arch9wavefront6targetE1EEEvSK_.uses_flat_scratch, 0
	.set _ZN7rocprim17ROCPRIM_400000_NS6detail17trampoline_kernelINS0_14default_configENS1_22reduce_config_selectorIyEEZNS1_11reduce_implILb1ES3_N6thrust23THRUST_200600_302600_NS6detail15normal_iteratorINS8_10device_ptrIyEEEEPiiNS8_4plusIiEEEE10hipError_tPvRmT1_T2_T3_mT4_P12ihipStream_tbEUlT_E1_NS1_11comp_targetILNS1_3genE10ELNS1_11target_archE1201ELNS1_3gpuE5ELNS1_3repE0EEENS1_30default_config_static_selectorELNS0_4arch9wavefront6targetE1EEEvSK_.has_dyn_sized_stack, 0
	.set _ZN7rocprim17ROCPRIM_400000_NS6detail17trampoline_kernelINS0_14default_configENS1_22reduce_config_selectorIyEEZNS1_11reduce_implILb1ES3_N6thrust23THRUST_200600_302600_NS6detail15normal_iteratorINS8_10device_ptrIyEEEEPiiNS8_4plusIiEEEE10hipError_tPvRmT1_T2_T3_mT4_P12ihipStream_tbEUlT_E1_NS1_11comp_targetILNS1_3genE10ELNS1_11target_archE1201ELNS1_3gpuE5ELNS1_3repE0EEENS1_30default_config_static_selectorELNS0_4arch9wavefront6targetE1EEEvSK_.has_recursion, 0
	.set _ZN7rocprim17ROCPRIM_400000_NS6detail17trampoline_kernelINS0_14default_configENS1_22reduce_config_selectorIyEEZNS1_11reduce_implILb1ES3_N6thrust23THRUST_200600_302600_NS6detail15normal_iteratorINS8_10device_ptrIyEEEEPiiNS8_4plusIiEEEE10hipError_tPvRmT1_T2_T3_mT4_P12ihipStream_tbEUlT_E1_NS1_11comp_targetILNS1_3genE10ELNS1_11target_archE1201ELNS1_3gpuE5ELNS1_3repE0EEENS1_30default_config_static_selectorELNS0_4arch9wavefront6targetE1EEEvSK_.has_indirect_call, 0
	.section	.AMDGPU.csdata,"",@progbits
; Kernel info:
; codeLenInByte = 0
; TotalNumSgprs: 6
; NumVgprs: 0
; NumAgprs: 0
; TotalNumVgprs: 0
; ScratchSize: 0
; MemoryBound: 0
; FloatMode: 240
; IeeeMode: 1
; LDSByteSize: 0 bytes/workgroup (compile time only)
; SGPRBlocks: 0
; VGPRBlocks: 0
; NumSGPRsForWavesPerEU: 6
; NumVGPRsForWavesPerEU: 1
; AccumOffset: 4
; Occupancy: 8
; WaveLimiterHint : 0
; COMPUTE_PGM_RSRC2:SCRATCH_EN: 0
; COMPUTE_PGM_RSRC2:USER_SGPR: 2
; COMPUTE_PGM_RSRC2:TRAP_HANDLER: 0
; COMPUTE_PGM_RSRC2:TGID_X_EN: 1
; COMPUTE_PGM_RSRC2:TGID_Y_EN: 0
; COMPUTE_PGM_RSRC2:TGID_Z_EN: 0
; COMPUTE_PGM_RSRC2:TIDIG_COMP_CNT: 0
; COMPUTE_PGM_RSRC3_GFX90A:ACCUM_OFFSET: 0
; COMPUTE_PGM_RSRC3_GFX90A:TG_SPLIT: 0
	.section	.text._ZN7rocprim17ROCPRIM_400000_NS6detail17trampoline_kernelINS0_14default_configENS1_22reduce_config_selectorIyEEZNS1_11reduce_implILb1ES3_N6thrust23THRUST_200600_302600_NS6detail15normal_iteratorINS8_10device_ptrIyEEEEPiiNS8_4plusIiEEEE10hipError_tPvRmT1_T2_T3_mT4_P12ihipStream_tbEUlT_E1_NS1_11comp_targetILNS1_3genE10ELNS1_11target_archE1200ELNS1_3gpuE4ELNS1_3repE0EEENS1_30default_config_static_selectorELNS0_4arch9wavefront6targetE1EEEvSK_,"axG",@progbits,_ZN7rocprim17ROCPRIM_400000_NS6detail17trampoline_kernelINS0_14default_configENS1_22reduce_config_selectorIyEEZNS1_11reduce_implILb1ES3_N6thrust23THRUST_200600_302600_NS6detail15normal_iteratorINS8_10device_ptrIyEEEEPiiNS8_4plusIiEEEE10hipError_tPvRmT1_T2_T3_mT4_P12ihipStream_tbEUlT_E1_NS1_11comp_targetILNS1_3genE10ELNS1_11target_archE1200ELNS1_3gpuE4ELNS1_3repE0EEENS1_30default_config_static_selectorELNS0_4arch9wavefront6targetE1EEEvSK_,comdat
	.protected	_ZN7rocprim17ROCPRIM_400000_NS6detail17trampoline_kernelINS0_14default_configENS1_22reduce_config_selectorIyEEZNS1_11reduce_implILb1ES3_N6thrust23THRUST_200600_302600_NS6detail15normal_iteratorINS8_10device_ptrIyEEEEPiiNS8_4plusIiEEEE10hipError_tPvRmT1_T2_T3_mT4_P12ihipStream_tbEUlT_E1_NS1_11comp_targetILNS1_3genE10ELNS1_11target_archE1200ELNS1_3gpuE4ELNS1_3repE0EEENS1_30default_config_static_selectorELNS0_4arch9wavefront6targetE1EEEvSK_ ; -- Begin function _ZN7rocprim17ROCPRIM_400000_NS6detail17trampoline_kernelINS0_14default_configENS1_22reduce_config_selectorIyEEZNS1_11reduce_implILb1ES3_N6thrust23THRUST_200600_302600_NS6detail15normal_iteratorINS8_10device_ptrIyEEEEPiiNS8_4plusIiEEEE10hipError_tPvRmT1_T2_T3_mT4_P12ihipStream_tbEUlT_E1_NS1_11comp_targetILNS1_3genE10ELNS1_11target_archE1200ELNS1_3gpuE4ELNS1_3repE0EEENS1_30default_config_static_selectorELNS0_4arch9wavefront6targetE1EEEvSK_
	.globl	_ZN7rocprim17ROCPRIM_400000_NS6detail17trampoline_kernelINS0_14default_configENS1_22reduce_config_selectorIyEEZNS1_11reduce_implILb1ES3_N6thrust23THRUST_200600_302600_NS6detail15normal_iteratorINS8_10device_ptrIyEEEEPiiNS8_4plusIiEEEE10hipError_tPvRmT1_T2_T3_mT4_P12ihipStream_tbEUlT_E1_NS1_11comp_targetILNS1_3genE10ELNS1_11target_archE1200ELNS1_3gpuE4ELNS1_3repE0EEENS1_30default_config_static_selectorELNS0_4arch9wavefront6targetE1EEEvSK_
	.p2align	8
	.type	_ZN7rocprim17ROCPRIM_400000_NS6detail17trampoline_kernelINS0_14default_configENS1_22reduce_config_selectorIyEEZNS1_11reduce_implILb1ES3_N6thrust23THRUST_200600_302600_NS6detail15normal_iteratorINS8_10device_ptrIyEEEEPiiNS8_4plusIiEEEE10hipError_tPvRmT1_T2_T3_mT4_P12ihipStream_tbEUlT_E1_NS1_11comp_targetILNS1_3genE10ELNS1_11target_archE1200ELNS1_3gpuE4ELNS1_3repE0EEENS1_30default_config_static_selectorELNS0_4arch9wavefront6targetE1EEEvSK_,@function
_ZN7rocprim17ROCPRIM_400000_NS6detail17trampoline_kernelINS0_14default_configENS1_22reduce_config_selectorIyEEZNS1_11reduce_implILb1ES3_N6thrust23THRUST_200600_302600_NS6detail15normal_iteratorINS8_10device_ptrIyEEEEPiiNS8_4plusIiEEEE10hipError_tPvRmT1_T2_T3_mT4_P12ihipStream_tbEUlT_E1_NS1_11comp_targetILNS1_3genE10ELNS1_11target_archE1200ELNS1_3gpuE4ELNS1_3repE0EEENS1_30default_config_static_selectorELNS0_4arch9wavefront6targetE1EEEvSK_: ; @_ZN7rocprim17ROCPRIM_400000_NS6detail17trampoline_kernelINS0_14default_configENS1_22reduce_config_selectorIyEEZNS1_11reduce_implILb1ES3_N6thrust23THRUST_200600_302600_NS6detail15normal_iteratorINS8_10device_ptrIyEEEEPiiNS8_4plusIiEEEE10hipError_tPvRmT1_T2_T3_mT4_P12ihipStream_tbEUlT_E1_NS1_11comp_targetILNS1_3genE10ELNS1_11target_archE1200ELNS1_3gpuE4ELNS1_3repE0EEENS1_30default_config_static_selectorELNS0_4arch9wavefront6targetE1EEEvSK_
; %bb.0:
	.section	.rodata,"a",@progbits
	.p2align	6, 0x0
	.amdhsa_kernel _ZN7rocprim17ROCPRIM_400000_NS6detail17trampoline_kernelINS0_14default_configENS1_22reduce_config_selectorIyEEZNS1_11reduce_implILb1ES3_N6thrust23THRUST_200600_302600_NS6detail15normal_iteratorINS8_10device_ptrIyEEEEPiiNS8_4plusIiEEEE10hipError_tPvRmT1_T2_T3_mT4_P12ihipStream_tbEUlT_E1_NS1_11comp_targetILNS1_3genE10ELNS1_11target_archE1200ELNS1_3gpuE4ELNS1_3repE0EEENS1_30default_config_static_selectorELNS0_4arch9wavefront6targetE1EEEvSK_
		.amdhsa_group_segment_fixed_size 0
		.amdhsa_private_segment_fixed_size 0
		.amdhsa_kernarg_size 40
		.amdhsa_user_sgpr_count 2
		.amdhsa_user_sgpr_dispatch_ptr 0
		.amdhsa_user_sgpr_queue_ptr 0
		.amdhsa_user_sgpr_kernarg_segment_ptr 1
		.amdhsa_user_sgpr_dispatch_id 0
		.amdhsa_user_sgpr_kernarg_preload_length 0
		.amdhsa_user_sgpr_kernarg_preload_offset 0
		.amdhsa_user_sgpr_private_segment_size 0
		.amdhsa_uses_dynamic_stack 0
		.amdhsa_enable_private_segment 0
		.amdhsa_system_sgpr_workgroup_id_x 1
		.amdhsa_system_sgpr_workgroup_id_y 0
		.amdhsa_system_sgpr_workgroup_id_z 0
		.amdhsa_system_sgpr_workgroup_info 0
		.amdhsa_system_vgpr_workitem_id 0
		.amdhsa_next_free_vgpr 1
		.amdhsa_next_free_sgpr 0
		.amdhsa_accum_offset 4
		.amdhsa_reserve_vcc 0
		.amdhsa_float_round_mode_32 0
		.amdhsa_float_round_mode_16_64 0
		.amdhsa_float_denorm_mode_32 3
		.amdhsa_float_denorm_mode_16_64 3
		.amdhsa_dx10_clamp 1
		.amdhsa_ieee_mode 1
		.amdhsa_fp16_overflow 0
		.amdhsa_tg_split 0
		.amdhsa_exception_fp_ieee_invalid_op 0
		.amdhsa_exception_fp_denorm_src 0
		.amdhsa_exception_fp_ieee_div_zero 0
		.amdhsa_exception_fp_ieee_overflow 0
		.amdhsa_exception_fp_ieee_underflow 0
		.amdhsa_exception_fp_ieee_inexact 0
		.amdhsa_exception_int_div_zero 0
	.end_amdhsa_kernel
	.section	.text._ZN7rocprim17ROCPRIM_400000_NS6detail17trampoline_kernelINS0_14default_configENS1_22reduce_config_selectorIyEEZNS1_11reduce_implILb1ES3_N6thrust23THRUST_200600_302600_NS6detail15normal_iteratorINS8_10device_ptrIyEEEEPiiNS8_4plusIiEEEE10hipError_tPvRmT1_T2_T3_mT4_P12ihipStream_tbEUlT_E1_NS1_11comp_targetILNS1_3genE10ELNS1_11target_archE1200ELNS1_3gpuE4ELNS1_3repE0EEENS1_30default_config_static_selectorELNS0_4arch9wavefront6targetE1EEEvSK_,"axG",@progbits,_ZN7rocprim17ROCPRIM_400000_NS6detail17trampoline_kernelINS0_14default_configENS1_22reduce_config_selectorIyEEZNS1_11reduce_implILb1ES3_N6thrust23THRUST_200600_302600_NS6detail15normal_iteratorINS8_10device_ptrIyEEEEPiiNS8_4plusIiEEEE10hipError_tPvRmT1_T2_T3_mT4_P12ihipStream_tbEUlT_E1_NS1_11comp_targetILNS1_3genE10ELNS1_11target_archE1200ELNS1_3gpuE4ELNS1_3repE0EEENS1_30default_config_static_selectorELNS0_4arch9wavefront6targetE1EEEvSK_,comdat
.Lfunc_end366:
	.size	_ZN7rocprim17ROCPRIM_400000_NS6detail17trampoline_kernelINS0_14default_configENS1_22reduce_config_selectorIyEEZNS1_11reduce_implILb1ES3_N6thrust23THRUST_200600_302600_NS6detail15normal_iteratorINS8_10device_ptrIyEEEEPiiNS8_4plusIiEEEE10hipError_tPvRmT1_T2_T3_mT4_P12ihipStream_tbEUlT_E1_NS1_11comp_targetILNS1_3genE10ELNS1_11target_archE1200ELNS1_3gpuE4ELNS1_3repE0EEENS1_30default_config_static_selectorELNS0_4arch9wavefront6targetE1EEEvSK_, .Lfunc_end366-_ZN7rocprim17ROCPRIM_400000_NS6detail17trampoline_kernelINS0_14default_configENS1_22reduce_config_selectorIyEEZNS1_11reduce_implILb1ES3_N6thrust23THRUST_200600_302600_NS6detail15normal_iteratorINS8_10device_ptrIyEEEEPiiNS8_4plusIiEEEE10hipError_tPvRmT1_T2_T3_mT4_P12ihipStream_tbEUlT_E1_NS1_11comp_targetILNS1_3genE10ELNS1_11target_archE1200ELNS1_3gpuE4ELNS1_3repE0EEENS1_30default_config_static_selectorELNS0_4arch9wavefront6targetE1EEEvSK_
                                        ; -- End function
	.set _ZN7rocprim17ROCPRIM_400000_NS6detail17trampoline_kernelINS0_14default_configENS1_22reduce_config_selectorIyEEZNS1_11reduce_implILb1ES3_N6thrust23THRUST_200600_302600_NS6detail15normal_iteratorINS8_10device_ptrIyEEEEPiiNS8_4plusIiEEEE10hipError_tPvRmT1_T2_T3_mT4_P12ihipStream_tbEUlT_E1_NS1_11comp_targetILNS1_3genE10ELNS1_11target_archE1200ELNS1_3gpuE4ELNS1_3repE0EEENS1_30default_config_static_selectorELNS0_4arch9wavefront6targetE1EEEvSK_.num_vgpr, 0
	.set _ZN7rocprim17ROCPRIM_400000_NS6detail17trampoline_kernelINS0_14default_configENS1_22reduce_config_selectorIyEEZNS1_11reduce_implILb1ES3_N6thrust23THRUST_200600_302600_NS6detail15normal_iteratorINS8_10device_ptrIyEEEEPiiNS8_4plusIiEEEE10hipError_tPvRmT1_T2_T3_mT4_P12ihipStream_tbEUlT_E1_NS1_11comp_targetILNS1_3genE10ELNS1_11target_archE1200ELNS1_3gpuE4ELNS1_3repE0EEENS1_30default_config_static_selectorELNS0_4arch9wavefront6targetE1EEEvSK_.num_agpr, 0
	.set _ZN7rocprim17ROCPRIM_400000_NS6detail17trampoline_kernelINS0_14default_configENS1_22reduce_config_selectorIyEEZNS1_11reduce_implILb1ES3_N6thrust23THRUST_200600_302600_NS6detail15normal_iteratorINS8_10device_ptrIyEEEEPiiNS8_4plusIiEEEE10hipError_tPvRmT1_T2_T3_mT4_P12ihipStream_tbEUlT_E1_NS1_11comp_targetILNS1_3genE10ELNS1_11target_archE1200ELNS1_3gpuE4ELNS1_3repE0EEENS1_30default_config_static_selectorELNS0_4arch9wavefront6targetE1EEEvSK_.numbered_sgpr, 0
	.set _ZN7rocprim17ROCPRIM_400000_NS6detail17trampoline_kernelINS0_14default_configENS1_22reduce_config_selectorIyEEZNS1_11reduce_implILb1ES3_N6thrust23THRUST_200600_302600_NS6detail15normal_iteratorINS8_10device_ptrIyEEEEPiiNS8_4plusIiEEEE10hipError_tPvRmT1_T2_T3_mT4_P12ihipStream_tbEUlT_E1_NS1_11comp_targetILNS1_3genE10ELNS1_11target_archE1200ELNS1_3gpuE4ELNS1_3repE0EEENS1_30default_config_static_selectorELNS0_4arch9wavefront6targetE1EEEvSK_.num_named_barrier, 0
	.set _ZN7rocprim17ROCPRIM_400000_NS6detail17trampoline_kernelINS0_14default_configENS1_22reduce_config_selectorIyEEZNS1_11reduce_implILb1ES3_N6thrust23THRUST_200600_302600_NS6detail15normal_iteratorINS8_10device_ptrIyEEEEPiiNS8_4plusIiEEEE10hipError_tPvRmT1_T2_T3_mT4_P12ihipStream_tbEUlT_E1_NS1_11comp_targetILNS1_3genE10ELNS1_11target_archE1200ELNS1_3gpuE4ELNS1_3repE0EEENS1_30default_config_static_selectorELNS0_4arch9wavefront6targetE1EEEvSK_.private_seg_size, 0
	.set _ZN7rocprim17ROCPRIM_400000_NS6detail17trampoline_kernelINS0_14default_configENS1_22reduce_config_selectorIyEEZNS1_11reduce_implILb1ES3_N6thrust23THRUST_200600_302600_NS6detail15normal_iteratorINS8_10device_ptrIyEEEEPiiNS8_4plusIiEEEE10hipError_tPvRmT1_T2_T3_mT4_P12ihipStream_tbEUlT_E1_NS1_11comp_targetILNS1_3genE10ELNS1_11target_archE1200ELNS1_3gpuE4ELNS1_3repE0EEENS1_30default_config_static_selectorELNS0_4arch9wavefront6targetE1EEEvSK_.uses_vcc, 0
	.set _ZN7rocprim17ROCPRIM_400000_NS6detail17trampoline_kernelINS0_14default_configENS1_22reduce_config_selectorIyEEZNS1_11reduce_implILb1ES3_N6thrust23THRUST_200600_302600_NS6detail15normal_iteratorINS8_10device_ptrIyEEEEPiiNS8_4plusIiEEEE10hipError_tPvRmT1_T2_T3_mT4_P12ihipStream_tbEUlT_E1_NS1_11comp_targetILNS1_3genE10ELNS1_11target_archE1200ELNS1_3gpuE4ELNS1_3repE0EEENS1_30default_config_static_selectorELNS0_4arch9wavefront6targetE1EEEvSK_.uses_flat_scratch, 0
	.set _ZN7rocprim17ROCPRIM_400000_NS6detail17trampoline_kernelINS0_14default_configENS1_22reduce_config_selectorIyEEZNS1_11reduce_implILb1ES3_N6thrust23THRUST_200600_302600_NS6detail15normal_iteratorINS8_10device_ptrIyEEEEPiiNS8_4plusIiEEEE10hipError_tPvRmT1_T2_T3_mT4_P12ihipStream_tbEUlT_E1_NS1_11comp_targetILNS1_3genE10ELNS1_11target_archE1200ELNS1_3gpuE4ELNS1_3repE0EEENS1_30default_config_static_selectorELNS0_4arch9wavefront6targetE1EEEvSK_.has_dyn_sized_stack, 0
	.set _ZN7rocprim17ROCPRIM_400000_NS6detail17trampoline_kernelINS0_14default_configENS1_22reduce_config_selectorIyEEZNS1_11reduce_implILb1ES3_N6thrust23THRUST_200600_302600_NS6detail15normal_iteratorINS8_10device_ptrIyEEEEPiiNS8_4plusIiEEEE10hipError_tPvRmT1_T2_T3_mT4_P12ihipStream_tbEUlT_E1_NS1_11comp_targetILNS1_3genE10ELNS1_11target_archE1200ELNS1_3gpuE4ELNS1_3repE0EEENS1_30default_config_static_selectorELNS0_4arch9wavefront6targetE1EEEvSK_.has_recursion, 0
	.set _ZN7rocprim17ROCPRIM_400000_NS6detail17trampoline_kernelINS0_14default_configENS1_22reduce_config_selectorIyEEZNS1_11reduce_implILb1ES3_N6thrust23THRUST_200600_302600_NS6detail15normal_iteratorINS8_10device_ptrIyEEEEPiiNS8_4plusIiEEEE10hipError_tPvRmT1_T2_T3_mT4_P12ihipStream_tbEUlT_E1_NS1_11comp_targetILNS1_3genE10ELNS1_11target_archE1200ELNS1_3gpuE4ELNS1_3repE0EEENS1_30default_config_static_selectorELNS0_4arch9wavefront6targetE1EEEvSK_.has_indirect_call, 0
	.section	.AMDGPU.csdata,"",@progbits
; Kernel info:
; codeLenInByte = 0
; TotalNumSgprs: 6
; NumVgprs: 0
; NumAgprs: 0
; TotalNumVgprs: 0
; ScratchSize: 0
; MemoryBound: 0
; FloatMode: 240
; IeeeMode: 1
; LDSByteSize: 0 bytes/workgroup (compile time only)
; SGPRBlocks: 0
; VGPRBlocks: 0
; NumSGPRsForWavesPerEU: 6
; NumVGPRsForWavesPerEU: 1
; AccumOffset: 4
; Occupancy: 8
; WaveLimiterHint : 0
; COMPUTE_PGM_RSRC2:SCRATCH_EN: 0
; COMPUTE_PGM_RSRC2:USER_SGPR: 2
; COMPUTE_PGM_RSRC2:TRAP_HANDLER: 0
; COMPUTE_PGM_RSRC2:TGID_X_EN: 1
; COMPUTE_PGM_RSRC2:TGID_Y_EN: 0
; COMPUTE_PGM_RSRC2:TGID_Z_EN: 0
; COMPUTE_PGM_RSRC2:TIDIG_COMP_CNT: 0
; COMPUTE_PGM_RSRC3_GFX90A:ACCUM_OFFSET: 0
; COMPUTE_PGM_RSRC3_GFX90A:TG_SPLIT: 0
	.section	.text._ZN7rocprim17ROCPRIM_400000_NS6detail17trampoline_kernelINS0_14default_configENS1_22reduce_config_selectorIyEEZNS1_11reduce_implILb1ES3_N6thrust23THRUST_200600_302600_NS6detail15normal_iteratorINS8_10device_ptrIyEEEEPiiNS8_4plusIiEEEE10hipError_tPvRmT1_T2_T3_mT4_P12ihipStream_tbEUlT_E1_NS1_11comp_targetILNS1_3genE9ELNS1_11target_archE1100ELNS1_3gpuE3ELNS1_3repE0EEENS1_30default_config_static_selectorELNS0_4arch9wavefront6targetE1EEEvSK_,"axG",@progbits,_ZN7rocprim17ROCPRIM_400000_NS6detail17trampoline_kernelINS0_14default_configENS1_22reduce_config_selectorIyEEZNS1_11reduce_implILb1ES3_N6thrust23THRUST_200600_302600_NS6detail15normal_iteratorINS8_10device_ptrIyEEEEPiiNS8_4plusIiEEEE10hipError_tPvRmT1_T2_T3_mT4_P12ihipStream_tbEUlT_E1_NS1_11comp_targetILNS1_3genE9ELNS1_11target_archE1100ELNS1_3gpuE3ELNS1_3repE0EEENS1_30default_config_static_selectorELNS0_4arch9wavefront6targetE1EEEvSK_,comdat
	.protected	_ZN7rocprim17ROCPRIM_400000_NS6detail17trampoline_kernelINS0_14default_configENS1_22reduce_config_selectorIyEEZNS1_11reduce_implILb1ES3_N6thrust23THRUST_200600_302600_NS6detail15normal_iteratorINS8_10device_ptrIyEEEEPiiNS8_4plusIiEEEE10hipError_tPvRmT1_T2_T3_mT4_P12ihipStream_tbEUlT_E1_NS1_11comp_targetILNS1_3genE9ELNS1_11target_archE1100ELNS1_3gpuE3ELNS1_3repE0EEENS1_30default_config_static_selectorELNS0_4arch9wavefront6targetE1EEEvSK_ ; -- Begin function _ZN7rocprim17ROCPRIM_400000_NS6detail17trampoline_kernelINS0_14default_configENS1_22reduce_config_selectorIyEEZNS1_11reduce_implILb1ES3_N6thrust23THRUST_200600_302600_NS6detail15normal_iteratorINS8_10device_ptrIyEEEEPiiNS8_4plusIiEEEE10hipError_tPvRmT1_T2_T3_mT4_P12ihipStream_tbEUlT_E1_NS1_11comp_targetILNS1_3genE9ELNS1_11target_archE1100ELNS1_3gpuE3ELNS1_3repE0EEENS1_30default_config_static_selectorELNS0_4arch9wavefront6targetE1EEEvSK_
	.globl	_ZN7rocprim17ROCPRIM_400000_NS6detail17trampoline_kernelINS0_14default_configENS1_22reduce_config_selectorIyEEZNS1_11reduce_implILb1ES3_N6thrust23THRUST_200600_302600_NS6detail15normal_iteratorINS8_10device_ptrIyEEEEPiiNS8_4plusIiEEEE10hipError_tPvRmT1_T2_T3_mT4_P12ihipStream_tbEUlT_E1_NS1_11comp_targetILNS1_3genE9ELNS1_11target_archE1100ELNS1_3gpuE3ELNS1_3repE0EEENS1_30default_config_static_selectorELNS0_4arch9wavefront6targetE1EEEvSK_
	.p2align	8
	.type	_ZN7rocprim17ROCPRIM_400000_NS6detail17trampoline_kernelINS0_14default_configENS1_22reduce_config_selectorIyEEZNS1_11reduce_implILb1ES3_N6thrust23THRUST_200600_302600_NS6detail15normal_iteratorINS8_10device_ptrIyEEEEPiiNS8_4plusIiEEEE10hipError_tPvRmT1_T2_T3_mT4_P12ihipStream_tbEUlT_E1_NS1_11comp_targetILNS1_3genE9ELNS1_11target_archE1100ELNS1_3gpuE3ELNS1_3repE0EEENS1_30default_config_static_selectorELNS0_4arch9wavefront6targetE1EEEvSK_,@function
_ZN7rocprim17ROCPRIM_400000_NS6detail17trampoline_kernelINS0_14default_configENS1_22reduce_config_selectorIyEEZNS1_11reduce_implILb1ES3_N6thrust23THRUST_200600_302600_NS6detail15normal_iteratorINS8_10device_ptrIyEEEEPiiNS8_4plusIiEEEE10hipError_tPvRmT1_T2_T3_mT4_P12ihipStream_tbEUlT_E1_NS1_11comp_targetILNS1_3genE9ELNS1_11target_archE1100ELNS1_3gpuE3ELNS1_3repE0EEENS1_30default_config_static_selectorELNS0_4arch9wavefront6targetE1EEEvSK_: ; @_ZN7rocprim17ROCPRIM_400000_NS6detail17trampoline_kernelINS0_14default_configENS1_22reduce_config_selectorIyEEZNS1_11reduce_implILb1ES3_N6thrust23THRUST_200600_302600_NS6detail15normal_iteratorINS8_10device_ptrIyEEEEPiiNS8_4plusIiEEEE10hipError_tPvRmT1_T2_T3_mT4_P12ihipStream_tbEUlT_E1_NS1_11comp_targetILNS1_3genE9ELNS1_11target_archE1100ELNS1_3gpuE3ELNS1_3repE0EEENS1_30default_config_static_selectorELNS0_4arch9wavefront6targetE1EEEvSK_
; %bb.0:
	.section	.rodata,"a",@progbits
	.p2align	6, 0x0
	.amdhsa_kernel _ZN7rocprim17ROCPRIM_400000_NS6detail17trampoline_kernelINS0_14default_configENS1_22reduce_config_selectorIyEEZNS1_11reduce_implILb1ES3_N6thrust23THRUST_200600_302600_NS6detail15normal_iteratorINS8_10device_ptrIyEEEEPiiNS8_4plusIiEEEE10hipError_tPvRmT1_T2_T3_mT4_P12ihipStream_tbEUlT_E1_NS1_11comp_targetILNS1_3genE9ELNS1_11target_archE1100ELNS1_3gpuE3ELNS1_3repE0EEENS1_30default_config_static_selectorELNS0_4arch9wavefront6targetE1EEEvSK_
		.amdhsa_group_segment_fixed_size 0
		.amdhsa_private_segment_fixed_size 0
		.amdhsa_kernarg_size 40
		.amdhsa_user_sgpr_count 2
		.amdhsa_user_sgpr_dispatch_ptr 0
		.amdhsa_user_sgpr_queue_ptr 0
		.amdhsa_user_sgpr_kernarg_segment_ptr 1
		.amdhsa_user_sgpr_dispatch_id 0
		.amdhsa_user_sgpr_kernarg_preload_length 0
		.amdhsa_user_sgpr_kernarg_preload_offset 0
		.amdhsa_user_sgpr_private_segment_size 0
		.amdhsa_uses_dynamic_stack 0
		.amdhsa_enable_private_segment 0
		.amdhsa_system_sgpr_workgroup_id_x 1
		.amdhsa_system_sgpr_workgroup_id_y 0
		.amdhsa_system_sgpr_workgroup_id_z 0
		.amdhsa_system_sgpr_workgroup_info 0
		.amdhsa_system_vgpr_workitem_id 0
		.amdhsa_next_free_vgpr 1
		.amdhsa_next_free_sgpr 0
		.amdhsa_accum_offset 4
		.amdhsa_reserve_vcc 0
		.amdhsa_float_round_mode_32 0
		.amdhsa_float_round_mode_16_64 0
		.amdhsa_float_denorm_mode_32 3
		.amdhsa_float_denorm_mode_16_64 3
		.amdhsa_dx10_clamp 1
		.amdhsa_ieee_mode 1
		.amdhsa_fp16_overflow 0
		.amdhsa_tg_split 0
		.amdhsa_exception_fp_ieee_invalid_op 0
		.amdhsa_exception_fp_denorm_src 0
		.amdhsa_exception_fp_ieee_div_zero 0
		.amdhsa_exception_fp_ieee_overflow 0
		.amdhsa_exception_fp_ieee_underflow 0
		.amdhsa_exception_fp_ieee_inexact 0
		.amdhsa_exception_int_div_zero 0
	.end_amdhsa_kernel
	.section	.text._ZN7rocprim17ROCPRIM_400000_NS6detail17trampoline_kernelINS0_14default_configENS1_22reduce_config_selectorIyEEZNS1_11reduce_implILb1ES3_N6thrust23THRUST_200600_302600_NS6detail15normal_iteratorINS8_10device_ptrIyEEEEPiiNS8_4plusIiEEEE10hipError_tPvRmT1_T2_T3_mT4_P12ihipStream_tbEUlT_E1_NS1_11comp_targetILNS1_3genE9ELNS1_11target_archE1100ELNS1_3gpuE3ELNS1_3repE0EEENS1_30default_config_static_selectorELNS0_4arch9wavefront6targetE1EEEvSK_,"axG",@progbits,_ZN7rocprim17ROCPRIM_400000_NS6detail17trampoline_kernelINS0_14default_configENS1_22reduce_config_selectorIyEEZNS1_11reduce_implILb1ES3_N6thrust23THRUST_200600_302600_NS6detail15normal_iteratorINS8_10device_ptrIyEEEEPiiNS8_4plusIiEEEE10hipError_tPvRmT1_T2_T3_mT4_P12ihipStream_tbEUlT_E1_NS1_11comp_targetILNS1_3genE9ELNS1_11target_archE1100ELNS1_3gpuE3ELNS1_3repE0EEENS1_30default_config_static_selectorELNS0_4arch9wavefront6targetE1EEEvSK_,comdat
.Lfunc_end367:
	.size	_ZN7rocprim17ROCPRIM_400000_NS6detail17trampoline_kernelINS0_14default_configENS1_22reduce_config_selectorIyEEZNS1_11reduce_implILb1ES3_N6thrust23THRUST_200600_302600_NS6detail15normal_iteratorINS8_10device_ptrIyEEEEPiiNS8_4plusIiEEEE10hipError_tPvRmT1_T2_T3_mT4_P12ihipStream_tbEUlT_E1_NS1_11comp_targetILNS1_3genE9ELNS1_11target_archE1100ELNS1_3gpuE3ELNS1_3repE0EEENS1_30default_config_static_selectorELNS0_4arch9wavefront6targetE1EEEvSK_, .Lfunc_end367-_ZN7rocprim17ROCPRIM_400000_NS6detail17trampoline_kernelINS0_14default_configENS1_22reduce_config_selectorIyEEZNS1_11reduce_implILb1ES3_N6thrust23THRUST_200600_302600_NS6detail15normal_iteratorINS8_10device_ptrIyEEEEPiiNS8_4plusIiEEEE10hipError_tPvRmT1_T2_T3_mT4_P12ihipStream_tbEUlT_E1_NS1_11comp_targetILNS1_3genE9ELNS1_11target_archE1100ELNS1_3gpuE3ELNS1_3repE0EEENS1_30default_config_static_selectorELNS0_4arch9wavefront6targetE1EEEvSK_
                                        ; -- End function
	.set _ZN7rocprim17ROCPRIM_400000_NS6detail17trampoline_kernelINS0_14default_configENS1_22reduce_config_selectorIyEEZNS1_11reduce_implILb1ES3_N6thrust23THRUST_200600_302600_NS6detail15normal_iteratorINS8_10device_ptrIyEEEEPiiNS8_4plusIiEEEE10hipError_tPvRmT1_T2_T3_mT4_P12ihipStream_tbEUlT_E1_NS1_11comp_targetILNS1_3genE9ELNS1_11target_archE1100ELNS1_3gpuE3ELNS1_3repE0EEENS1_30default_config_static_selectorELNS0_4arch9wavefront6targetE1EEEvSK_.num_vgpr, 0
	.set _ZN7rocprim17ROCPRIM_400000_NS6detail17trampoline_kernelINS0_14default_configENS1_22reduce_config_selectorIyEEZNS1_11reduce_implILb1ES3_N6thrust23THRUST_200600_302600_NS6detail15normal_iteratorINS8_10device_ptrIyEEEEPiiNS8_4plusIiEEEE10hipError_tPvRmT1_T2_T3_mT4_P12ihipStream_tbEUlT_E1_NS1_11comp_targetILNS1_3genE9ELNS1_11target_archE1100ELNS1_3gpuE3ELNS1_3repE0EEENS1_30default_config_static_selectorELNS0_4arch9wavefront6targetE1EEEvSK_.num_agpr, 0
	.set _ZN7rocprim17ROCPRIM_400000_NS6detail17trampoline_kernelINS0_14default_configENS1_22reduce_config_selectorIyEEZNS1_11reduce_implILb1ES3_N6thrust23THRUST_200600_302600_NS6detail15normal_iteratorINS8_10device_ptrIyEEEEPiiNS8_4plusIiEEEE10hipError_tPvRmT1_T2_T3_mT4_P12ihipStream_tbEUlT_E1_NS1_11comp_targetILNS1_3genE9ELNS1_11target_archE1100ELNS1_3gpuE3ELNS1_3repE0EEENS1_30default_config_static_selectorELNS0_4arch9wavefront6targetE1EEEvSK_.numbered_sgpr, 0
	.set _ZN7rocprim17ROCPRIM_400000_NS6detail17trampoline_kernelINS0_14default_configENS1_22reduce_config_selectorIyEEZNS1_11reduce_implILb1ES3_N6thrust23THRUST_200600_302600_NS6detail15normal_iteratorINS8_10device_ptrIyEEEEPiiNS8_4plusIiEEEE10hipError_tPvRmT1_T2_T3_mT4_P12ihipStream_tbEUlT_E1_NS1_11comp_targetILNS1_3genE9ELNS1_11target_archE1100ELNS1_3gpuE3ELNS1_3repE0EEENS1_30default_config_static_selectorELNS0_4arch9wavefront6targetE1EEEvSK_.num_named_barrier, 0
	.set _ZN7rocprim17ROCPRIM_400000_NS6detail17trampoline_kernelINS0_14default_configENS1_22reduce_config_selectorIyEEZNS1_11reduce_implILb1ES3_N6thrust23THRUST_200600_302600_NS6detail15normal_iteratorINS8_10device_ptrIyEEEEPiiNS8_4plusIiEEEE10hipError_tPvRmT1_T2_T3_mT4_P12ihipStream_tbEUlT_E1_NS1_11comp_targetILNS1_3genE9ELNS1_11target_archE1100ELNS1_3gpuE3ELNS1_3repE0EEENS1_30default_config_static_selectorELNS0_4arch9wavefront6targetE1EEEvSK_.private_seg_size, 0
	.set _ZN7rocprim17ROCPRIM_400000_NS6detail17trampoline_kernelINS0_14default_configENS1_22reduce_config_selectorIyEEZNS1_11reduce_implILb1ES3_N6thrust23THRUST_200600_302600_NS6detail15normal_iteratorINS8_10device_ptrIyEEEEPiiNS8_4plusIiEEEE10hipError_tPvRmT1_T2_T3_mT4_P12ihipStream_tbEUlT_E1_NS1_11comp_targetILNS1_3genE9ELNS1_11target_archE1100ELNS1_3gpuE3ELNS1_3repE0EEENS1_30default_config_static_selectorELNS0_4arch9wavefront6targetE1EEEvSK_.uses_vcc, 0
	.set _ZN7rocprim17ROCPRIM_400000_NS6detail17trampoline_kernelINS0_14default_configENS1_22reduce_config_selectorIyEEZNS1_11reduce_implILb1ES3_N6thrust23THRUST_200600_302600_NS6detail15normal_iteratorINS8_10device_ptrIyEEEEPiiNS8_4plusIiEEEE10hipError_tPvRmT1_T2_T3_mT4_P12ihipStream_tbEUlT_E1_NS1_11comp_targetILNS1_3genE9ELNS1_11target_archE1100ELNS1_3gpuE3ELNS1_3repE0EEENS1_30default_config_static_selectorELNS0_4arch9wavefront6targetE1EEEvSK_.uses_flat_scratch, 0
	.set _ZN7rocprim17ROCPRIM_400000_NS6detail17trampoline_kernelINS0_14default_configENS1_22reduce_config_selectorIyEEZNS1_11reduce_implILb1ES3_N6thrust23THRUST_200600_302600_NS6detail15normal_iteratorINS8_10device_ptrIyEEEEPiiNS8_4plusIiEEEE10hipError_tPvRmT1_T2_T3_mT4_P12ihipStream_tbEUlT_E1_NS1_11comp_targetILNS1_3genE9ELNS1_11target_archE1100ELNS1_3gpuE3ELNS1_3repE0EEENS1_30default_config_static_selectorELNS0_4arch9wavefront6targetE1EEEvSK_.has_dyn_sized_stack, 0
	.set _ZN7rocprim17ROCPRIM_400000_NS6detail17trampoline_kernelINS0_14default_configENS1_22reduce_config_selectorIyEEZNS1_11reduce_implILb1ES3_N6thrust23THRUST_200600_302600_NS6detail15normal_iteratorINS8_10device_ptrIyEEEEPiiNS8_4plusIiEEEE10hipError_tPvRmT1_T2_T3_mT4_P12ihipStream_tbEUlT_E1_NS1_11comp_targetILNS1_3genE9ELNS1_11target_archE1100ELNS1_3gpuE3ELNS1_3repE0EEENS1_30default_config_static_selectorELNS0_4arch9wavefront6targetE1EEEvSK_.has_recursion, 0
	.set _ZN7rocprim17ROCPRIM_400000_NS6detail17trampoline_kernelINS0_14default_configENS1_22reduce_config_selectorIyEEZNS1_11reduce_implILb1ES3_N6thrust23THRUST_200600_302600_NS6detail15normal_iteratorINS8_10device_ptrIyEEEEPiiNS8_4plusIiEEEE10hipError_tPvRmT1_T2_T3_mT4_P12ihipStream_tbEUlT_E1_NS1_11comp_targetILNS1_3genE9ELNS1_11target_archE1100ELNS1_3gpuE3ELNS1_3repE0EEENS1_30default_config_static_selectorELNS0_4arch9wavefront6targetE1EEEvSK_.has_indirect_call, 0
	.section	.AMDGPU.csdata,"",@progbits
; Kernel info:
; codeLenInByte = 0
; TotalNumSgprs: 6
; NumVgprs: 0
; NumAgprs: 0
; TotalNumVgprs: 0
; ScratchSize: 0
; MemoryBound: 0
; FloatMode: 240
; IeeeMode: 1
; LDSByteSize: 0 bytes/workgroup (compile time only)
; SGPRBlocks: 0
; VGPRBlocks: 0
; NumSGPRsForWavesPerEU: 6
; NumVGPRsForWavesPerEU: 1
; AccumOffset: 4
; Occupancy: 8
; WaveLimiterHint : 0
; COMPUTE_PGM_RSRC2:SCRATCH_EN: 0
; COMPUTE_PGM_RSRC2:USER_SGPR: 2
; COMPUTE_PGM_RSRC2:TRAP_HANDLER: 0
; COMPUTE_PGM_RSRC2:TGID_X_EN: 1
; COMPUTE_PGM_RSRC2:TGID_Y_EN: 0
; COMPUTE_PGM_RSRC2:TGID_Z_EN: 0
; COMPUTE_PGM_RSRC2:TIDIG_COMP_CNT: 0
; COMPUTE_PGM_RSRC3_GFX90A:ACCUM_OFFSET: 0
; COMPUTE_PGM_RSRC3_GFX90A:TG_SPLIT: 0
	.section	.text._ZN7rocprim17ROCPRIM_400000_NS6detail17trampoline_kernelINS0_14default_configENS1_22reduce_config_selectorIyEEZNS1_11reduce_implILb1ES3_N6thrust23THRUST_200600_302600_NS6detail15normal_iteratorINS8_10device_ptrIyEEEEPiiNS8_4plusIiEEEE10hipError_tPvRmT1_T2_T3_mT4_P12ihipStream_tbEUlT_E1_NS1_11comp_targetILNS1_3genE8ELNS1_11target_archE1030ELNS1_3gpuE2ELNS1_3repE0EEENS1_30default_config_static_selectorELNS0_4arch9wavefront6targetE1EEEvSK_,"axG",@progbits,_ZN7rocprim17ROCPRIM_400000_NS6detail17trampoline_kernelINS0_14default_configENS1_22reduce_config_selectorIyEEZNS1_11reduce_implILb1ES3_N6thrust23THRUST_200600_302600_NS6detail15normal_iteratorINS8_10device_ptrIyEEEEPiiNS8_4plusIiEEEE10hipError_tPvRmT1_T2_T3_mT4_P12ihipStream_tbEUlT_E1_NS1_11comp_targetILNS1_3genE8ELNS1_11target_archE1030ELNS1_3gpuE2ELNS1_3repE0EEENS1_30default_config_static_selectorELNS0_4arch9wavefront6targetE1EEEvSK_,comdat
	.protected	_ZN7rocprim17ROCPRIM_400000_NS6detail17trampoline_kernelINS0_14default_configENS1_22reduce_config_selectorIyEEZNS1_11reduce_implILb1ES3_N6thrust23THRUST_200600_302600_NS6detail15normal_iteratorINS8_10device_ptrIyEEEEPiiNS8_4plusIiEEEE10hipError_tPvRmT1_T2_T3_mT4_P12ihipStream_tbEUlT_E1_NS1_11comp_targetILNS1_3genE8ELNS1_11target_archE1030ELNS1_3gpuE2ELNS1_3repE0EEENS1_30default_config_static_selectorELNS0_4arch9wavefront6targetE1EEEvSK_ ; -- Begin function _ZN7rocprim17ROCPRIM_400000_NS6detail17trampoline_kernelINS0_14default_configENS1_22reduce_config_selectorIyEEZNS1_11reduce_implILb1ES3_N6thrust23THRUST_200600_302600_NS6detail15normal_iteratorINS8_10device_ptrIyEEEEPiiNS8_4plusIiEEEE10hipError_tPvRmT1_T2_T3_mT4_P12ihipStream_tbEUlT_E1_NS1_11comp_targetILNS1_3genE8ELNS1_11target_archE1030ELNS1_3gpuE2ELNS1_3repE0EEENS1_30default_config_static_selectorELNS0_4arch9wavefront6targetE1EEEvSK_
	.globl	_ZN7rocprim17ROCPRIM_400000_NS6detail17trampoline_kernelINS0_14default_configENS1_22reduce_config_selectorIyEEZNS1_11reduce_implILb1ES3_N6thrust23THRUST_200600_302600_NS6detail15normal_iteratorINS8_10device_ptrIyEEEEPiiNS8_4plusIiEEEE10hipError_tPvRmT1_T2_T3_mT4_P12ihipStream_tbEUlT_E1_NS1_11comp_targetILNS1_3genE8ELNS1_11target_archE1030ELNS1_3gpuE2ELNS1_3repE0EEENS1_30default_config_static_selectorELNS0_4arch9wavefront6targetE1EEEvSK_
	.p2align	8
	.type	_ZN7rocprim17ROCPRIM_400000_NS6detail17trampoline_kernelINS0_14default_configENS1_22reduce_config_selectorIyEEZNS1_11reduce_implILb1ES3_N6thrust23THRUST_200600_302600_NS6detail15normal_iteratorINS8_10device_ptrIyEEEEPiiNS8_4plusIiEEEE10hipError_tPvRmT1_T2_T3_mT4_P12ihipStream_tbEUlT_E1_NS1_11comp_targetILNS1_3genE8ELNS1_11target_archE1030ELNS1_3gpuE2ELNS1_3repE0EEENS1_30default_config_static_selectorELNS0_4arch9wavefront6targetE1EEEvSK_,@function
_ZN7rocprim17ROCPRIM_400000_NS6detail17trampoline_kernelINS0_14default_configENS1_22reduce_config_selectorIyEEZNS1_11reduce_implILb1ES3_N6thrust23THRUST_200600_302600_NS6detail15normal_iteratorINS8_10device_ptrIyEEEEPiiNS8_4plusIiEEEE10hipError_tPvRmT1_T2_T3_mT4_P12ihipStream_tbEUlT_E1_NS1_11comp_targetILNS1_3genE8ELNS1_11target_archE1030ELNS1_3gpuE2ELNS1_3repE0EEENS1_30default_config_static_selectorELNS0_4arch9wavefront6targetE1EEEvSK_: ; @_ZN7rocprim17ROCPRIM_400000_NS6detail17trampoline_kernelINS0_14default_configENS1_22reduce_config_selectorIyEEZNS1_11reduce_implILb1ES3_N6thrust23THRUST_200600_302600_NS6detail15normal_iteratorINS8_10device_ptrIyEEEEPiiNS8_4plusIiEEEE10hipError_tPvRmT1_T2_T3_mT4_P12ihipStream_tbEUlT_E1_NS1_11comp_targetILNS1_3genE8ELNS1_11target_archE1030ELNS1_3gpuE2ELNS1_3repE0EEENS1_30default_config_static_selectorELNS0_4arch9wavefront6targetE1EEEvSK_
; %bb.0:
	.section	.rodata,"a",@progbits
	.p2align	6, 0x0
	.amdhsa_kernel _ZN7rocprim17ROCPRIM_400000_NS6detail17trampoline_kernelINS0_14default_configENS1_22reduce_config_selectorIyEEZNS1_11reduce_implILb1ES3_N6thrust23THRUST_200600_302600_NS6detail15normal_iteratorINS8_10device_ptrIyEEEEPiiNS8_4plusIiEEEE10hipError_tPvRmT1_T2_T3_mT4_P12ihipStream_tbEUlT_E1_NS1_11comp_targetILNS1_3genE8ELNS1_11target_archE1030ELNS1_3gpuE2ELNS1_3repE0EEENS1_30default_config_static_selectorELNS0_4arch9wavefront6targetE1EEEvSK_
		.amdhsa_group_segment_fixed_size 0
		.amdhsa_private_segment_fixed_size 0
		.amdhsa_kernarg_size 40
		.amdhsa_user_sgpr_count 2
		.amdhsa_user_sgpr_dispatch_ptr 0
		.amdhsa_user_sgpr_queue_ptr 0
		.amdhsa_user_sgpr_kernarg_segment_ptr 1
		.amdhsa_user_sgpr_dispatch_id 0
		.amdhsa_user_sgpr_kernarg_preload_length 0
		.amdhsa_user_sgpr_kernarg_preload_offset 0
		.amdhsa_user_sgpr_private_segment_size 0
		.amdhsa_uses_dynamic_stack 0
		.amdhsa_enable_private_segment 0
		.amdhsa_system_sgpr_workgroup_id_x 1
		.amdhsa_system_sgpr_workgroup_id_y 0
		.amdhsa_system_sgpr_workgroup_id_z 0
		.amdhsa_system_sgpr_workgroup_info 0
		.amdhsa_system_vgpr_workitem_id 0
		.amdhsa_next_free_vgpr 1
		.amdhsa_next_free_sgpr 0
		.amdhsa_accum_offset 4
		.amdhsa_reserve_vcc 0
		.amdhsa_float_round_mode_32 0
		.amdhsa_float_round_mode_16_64 0
		.amdhsa_float_denorm_mode_32 3
		.amdhsa_float_denorm_mode_16_64 3
		.amdhsa_dx10_clamp 1
		.amdhsa_ieee_mode 1
		.amdhsa_fp16_overflow 0
		.amdhsa_tg_split 0
		.amdhsa_exception_fp_ieee_invalid_op 0
		.amdhsa_exception_fp_denorm_src 0
		.amdhsa_exception_fp_ieee_div_zero 0
		.amdhsa_exception_fp_ieee_overflow 0
		.amdhsa_exception_fp_ieee_underflow 0
		.amdhsa_exception_fp_ieee_inexact 0
		.amdhsa_exception_int_div_zero 0
	.end_amdhsa_kernel
	.section	.text._ZN7rocprim17ROCPRIM_400000_NS6detail17trampoline_kernelINS0_14default_configENS1_22reduce_config_selectorIyEEZNS1_11reduce_implILb1ES3_N6thrust23THRUST_200600_302600_NS6detail15normal_iteratorINS8_10device_ptrIyEEEEPiiNS8_4plusIiEEEE10hipError_tPvRmT1_T2_T3_mT4_P12ihipStream_tbEUlT_E1_NS1_11comp_targetILNS1_3genE8ELNS1_11target_archE1030ELNS1_3gpuE2ELNS1_3repE0EEENS1_30default_config_static_selectorELNS0_4arch9wavefront6targetE1EEEvSK_,"axG",@progbits,_ZN7rocprim17ROCPRIM_400000_NS6detail17trampoline_kernelINS0_14default_configENS1_22reduce_config_selectorIyEEZNS1_11reduce_implILb1ES3_N6thrust23THRUST_200600_302600_NS6detail15normal_iteratorINS8_10device_ptrIyEEEEPiiNS8_4plusIiEEEE10hipError_tPvRmT1_T2_T3_mT4_P12ihipStream_tbEUlT_E1_NS1_11comp_targetILNS1_3genE8ELNS1_11target_archE1030ELNS1_3gpuE2ELNS1_3repE0EEENS1_30default_config_static_selectorELNS0_4arch9wavefront6targetE1EEEvSK_,comdat
.Lfunc_end368:
	.size	_ZN7rocprim17ROCPRIM_400000_NS6detail17trampoline_kernelINS0_14default_configENS1_22reduce_config_selectorIyEEZNS1_11reduce_implILb1ES3_N6thrust23THRUST_200600_302600_NS6detail15normal_iteratorINS8_10device_ptrIyEEEEPiiNS8_4plusIiEEEE10hipError_tPvRmT1_T2_T3_mT4_P12ihipStream_tbEUlT_E1_NS1_11comp_targetILNS1_3genE8ELNS1_11target_archE1030ELNS1_3gpuE2ELNS1_3repE0EEENS1_30default_config_static_selectorELNS0_4arch9wavefront6targetE1EEEvSK_, .Lfunc_end368-_ZN7rocprim17ROCPRIM_400000_NS6detail17trampoline_kernelINS0_14default_configENS1_22reduce_config_selectorIyEEZNS1_11reduce_implILb1ES3_N6thrust23THRUST_200600_302600_NS6detail15normal_iteratorINS8_10device_ptrIyEEEEPiiNS8_4plusIiEEEE10hipError_tPvRmT1_T2_T3_mT4_P12ihipStream_tbEUlT_E1_NS1_11comp_targetILNS1_3genE8ELNS1_11target_archE1030ELNS1_3gpuE2ELNS1_3repE0EEENS1_30default_config_static_selectorELNS0_4arch9wavefront6targetE1EEEvSK_
                                        ; -- End function
	.set _ZN7rocprim17ROCPRIM_400000_NS6detail17trampoline_kernelINS0_14default_configENS1_22reduce_config_selectorIyEEZNS1_11reduce_implILb1ES3_N6thrust23THRUST_200600_302600_NS6detail15normal_iteratorINS8_10device_ptrIyEEEEPiiNS8_4plusIiEEEE10hipError_tPvRmT1_T2_T3_mT4_P12ihipStream_tbEUlT_E1_NS1_11comp_targetILNS1_3genE8ELNS1_11target_archE1030ELNS1_3gpuE2ELNS1_3repE0EEENS1_30default_config_static_selectorELNS0_4arch9wavefront6targetE1EEEvSK_.num_vgpr, 0
	.set _ZN7rocprim17ROCPRIM_400000_NS6detail17trampoline_kernelINS0_14default_configENS1_22reduce_config_selectorIyEEZNS1_11reduce_implILb1ES3_N6thrust23THRUST_200600_302600_NS6detail15normal_iteratorINS8_10device_ptrIyEEEEPiiNS8_4plusIiEEEE10hipError_tPvRmT1_T2_T3_mT4_P12ihipStream_tbEUlT_E1_NS1_11comp_targetILNS1_3genE8ELNS1_11target_archE1030ELNS1_3gpuE2ELNS1_3repE0EEENS1_30default_config_static_selectorELNS0_4arch9wavefront6targetE1EEEvSK_.num_agpr, 0
	.set _ZN7rocprim17ROCPRIM_400000_NS6detail17trampoline_kernelINS0_14default_configENS1_22reduce_config_selectorIyEEZNS1_11reduce_implILb1ES3_N6thrust23THRUST_200600_302600_NS6detail15normal_iteratorINS8_10device_ptrIyEEEEPiiNS8_4plusIiEEEE10hipError_tPvRmT1_T2_T3_mT4_P12ihipStream_tbEUlT_E1_NS1_11comp_targetILNS1_3genE8ELNS1_11target_archE1030ELNS1_3gpuE2ELNS1_3repE0EEENS1_30default_config_static_selectorELNS0_4arch9wavefront6targetE1EEEvSK_.numbered_sgpr, 0
	.set _ZN7rocprim17ROCPRIM_400000_NS6detail17trampoline_kernelINS0_14default_configENS1_22reduce_config_selectorIyEEZNS1_11reduce_implILb1ES3_N6thrust23THRUST_200600_302600_NS6detail15normal_iteratorINS8_10device_ptrIyEEEEPiiNS8_4plusIiEEEE10hipError_tPvRmT1_T2_T3_mT4_P12ihipStream_tbEUlT_E1_NS1_11comp_targetILNS1_3genE8ELNS1_11target_archE1030ELNS1_3gpuE2ELNS1_3repE0EEENS1_30default_config_static_selectorELNS0_4arch9wavefront6targetE1EEEvSK_.num_named_barrier, 0
	.set _ZN7rocprim17ROCPRIM_400000_NS6detail17trampoline_kernelINS0_14default_configENS1_22reduce_config_selectorIyEEZNS1_11reduce_implILb1ES3_N6thrust23THRUST_200600_302600_NS6detail15normal_iteratorINS8_10device_ptrIyEEEEPiiNS8_4plusIiEEEE10hipError_tPvRmT1_T2_T3_mT4_P12ihipStream_tbEUlT_E1_NS1_11comp_targetILNS1_3genE8ELNS1_11target_archE1030ELNS1_3gpuE2ELNS1_3repE0EEENS1_30default_config_static_selectorELNS0_4arch9wavefront6targetE1EEEvSK_.private_seg_size, 0
	.set _ZN7rocprim17ROCPRIM_400000_NS6detail17trampoline_kernelINS0_14default_configENS1_22reduce_config_selectorIyEEZNS1_11reduce_implILb1ES3_N6thrust23THRUST_200600_302600_NS6detail15normal_iteratorINS8_10device_ptrIyEEEEPiiNS8_4plusIiEEEE10hipError_tPvRmT1_T2_T3_mT4_P12ihipStream_tbEUlT_E1_NS1_11comp_targetILNS1_3genE8ELNS1_11target_archE1030ELNS1_3gpuE2ELNS1_3repE0EEENS1_30default_config_static_selectorELNS0_4arch9wavefront6targetE1EEEvSK_.uses_vcc, 0
	.set _ZN7rocprim17ROCPRIM_400000_NS6detail17trampoline_kernelINS0_14default_configENS1_22reduce_config_selectorIyEEZNS1_11reduce_implILb1ES3_N6thrust23THRUST_200600_302600_NS6detail15normal_iteratorINS8_10device_ptrIyEEEEPiiNS8_4plusIiEEEE10hipError_tPvRmT1_T2_T3_mT4_P12ihipStream_tbEUlT_E1_NS1_11comp_targetILNS1_3genE8ELNS1_11target_archE1030ELNS1_3gpuE2ELNS1_3repE0EEENS1_30default_config_static_selectorELNS0_4arch9wavefront6targetE1EEEvSK_.uses_flat_scratch, 0
	.set _ZN7rocprim17ROCPRIM_400000_NS6detail17trampoline_kernelINS0_14default_configENS1_22reduce_config_selectorIyEEZNS1_11reduce_implILb1ES3_N6thrust23THRUST_200600_302600_NS6detail15normal_iteratorINS8_10device_ptrIyEEEEPiiNS8_4plusIiEEEE10hipError_tPvRmT1_T2_T3_mT4_P12ihipStream_tbEUlT_E1_NS1_11comp_targetILNS1_3genE8ELNS1_11target_archE1030ELNS1_3gpuE2ELNS1_3repE0EEENS1_30default_config_static_selectorELNS0_4arch9wavefront6targetE1EEEvSK_.has_dyn_sized_stack, 0
	.set _ZN7rocprim17ROCPRIM_400000_NS6detail17trampoline_kernelINS0_14default_configENS1_22reduce_config_selectorIyEEZNS1_11reduce_implILb1ES3_N6thrust23THRUST_200600_302600_NS6detail15normal_iteratorINS8_10device_ptrIyEEEEPiiNS8_4plusIiEEEE10hipError_tPvRmT1_T2_T3_mT4_P12ihipStream_tbEUlT_E1_NS1_11comp_targetILNS1_3genE8ELNS1_11target_archE1030ELNS1_3gpuE2ELNS1_3repE0EEENS1_30default_config_static_selectorELNS0_4arch9wavefront6targetE1EEEvSK_.has_recursion, 0
	.set _ZN7rocprim17ROCPRIM_400000_NS6detail17trampoline_kernelINS0_14default_configENS1_22reduce_config_selectorIyEEZNS1_11reduce_implILb1ES3_N6thrust23THRUST_200600_302600_NS6detail15normal_iteratorINS8_10device_ptrIyEEEEPiiNS8_4plusIiEEEE10hipError_tPvRmT1_T2_T3_mT4_P12ihipStream_tbEUlT_E1_NS1_11comp_targetILNS1_3genE8ELNS1_11target_archE1030ELNS1_3gpuE2ELNS1_3repE0EEENS1_30default_config_static_selectorELNS0_4arch9wavefront6targetE1EEEvSK_.has_indirect_call, 0
	.section	.AMDGPU.csdata,"",@progbits
; Kernel info:
; codeLenInByte = 0
; TotalNumSgprs: 6
; NumVgprs: 0
; NumAgprs: 0
; TotalNumVgprs: 0
; ScratchSize: 0
; MemoryBound: 0
; FloatMode: 240
; IeeeMode: 1
; LDSByteSize: 0 bytes/workgroup (compile time only)
; SGPRBlocks: 0
; VGPRBlocks: 0
; NumSGPRsForWavesPerEU: 6
; NumVGPRsForWavesPerEU: 1
; AccumOffset: 4
; Occupancy: 8
; WaveLimiterHint : 0
; COMPUTE_PGM_RSRC2:SCRATCH_EN: 0
; COMPUTE_PGM_RSRC2:USER_SGPR: 2
; COMPUTE_PGM_RSRC2:TRAP_HANDLER: 0
; COMPUTE_PGM_RSRC2:TGID_X_EN: 1
; COMPUTE_PGM_RSRC2:TGID_Y_EN: 0
; COMPUTE_PGM_RSRC2:TGID_Z_EN: 0
; COMPUTE_PGM_RSRC2:TIDIG_COMP_CNT: 0
; COMPUTE_PGM_RSRC3_GFX90A:ACCUM_OFFSET: 0
; COMPUTE_PGM_RSRC3_GFX90A:TG_SPLIT: 0
	.section	.text._ZN7rocprim17ROCPRIM_400000_NS6detail17trampoline_kernelINS0_14default_configENS1_22reduce_config_selectorIyEEZNS1_11reduce_implILb1ES3_N6thrust23THRUST_200600_302600_NS6detail15normal_iteratorINS8_10device_ptrIyEEEEPffNS8_4plusIfEEEE10hipError_tPvRmT1_T2_T3_mT4_P12ihipStream_tbEUlT_E0_NS1_11comp_targetILNS1_3genE0ELNS1_11target_archE4294967295ELNS1_3gpuE0ELNS1_3repE0EEENS1_30default_config_static_selectorELNS0_4arch9wavefront6targetE1EEEvSK_,"axG",@progbits,_ZN7rocprim17ROCPRIM_400000_NS6detail17trampoline_kernelINS0_14default_configENS1_22reduce_config_selectorIyEEZNS1_11reduce_implILb1ES3_N6thrust23THRUST_200600_302600_NS6detail15normal_iteratorINS8_10device_ptrIyEEEEPffNS8_4plusIfEEEE10hipError_tPvRmT1_T2_T3_mT4_P12ihipStream_tbEUlT_E0_NS1_11comp_targetILNS1_3genE0ELNS1_11target_archE4294967295ELNS1_3gpuE0ELNS1_3repE0EEENS1_30default_config_static_selectorELNS0_4arch9wavefront6targetE1EEEvSK_,comdat
	.protected	_ZN7rocprim17ROCPRIM_400000_NS6detail17trampoline_kernelINS0_14default_configENS1_22reduce_config_selectorIyEEZNS1_11reduce_implILb1ES3_N6thrust23THRUST_200600_302600_NS6detail15normal_iteratorINS8_10device_ptrIyEEEEPffNS8_4plusIfEEEE10hipError_tPvRmT1_T2_T3_mT4_P12ihipStream_tbEUlT_E0_NS1_11comp_targetILNS1_3genE0ELNS1_11target_archE4294967295ELNS1_3gpuE0ELNS1_3repE0EEENS1_30default_config_static_selectorELNS0_4arch9wavefront6targetE1EEEvSK_ ; -- Begin function _ZN7rocprim17ROCPRIM_400000_NS6detail17trampoline_kernelINS0_14default_configENS1_22reduce_config_selectorIyEEZNS1_11reduce_implILb1ES3_N6thrust23THRUST_200600_302600_NS6detail15normal_iteratorINS8_10device_ptrIyEEEEPffNS8_4plusIfEEEE10hipError_tPvRmT1_T2_T3_mT4_P12ihipStream_tbEUlT_E0_NS1_11comp_targetILNS1_3genE0ELNS1_11target_archE4294967295ELNS1_3gpuE0ELNS1_3repE0EEENS1_30default_config_static_selectorELNS0_4arch9wavefront6targetE1EEEvSK_
	.globl	_ZN7rocprim17ROCPRIM_400000_NS6detail17trampoline_kernelINS0_14default_configENS1_22reduce_config_selectorIyEEZNS1_11reduce_implILb1ES3_N6thrust23THRUST_200600_302600_NS6detail15normal_iteratorINS8_10device_ptrIyEEEEPffNS8_4plusIfEEEE10hipError_tPvRmT1_T2_T3_mT4_P12ihipStream_tbEUlT_E0_NS1_11comp_targetILNS1_3genE0ELNS1_11target_archE4294967295ELNS1_3gpuE0ELNS1_3repE0EEENS1_30default_config_static_selectorELNS0_4arch9wavefront6targetE1EEEvSK_
	.p2align	8
	.type	_ZN7rocprim17ROCPRIM_400000_NS6detail17trampoline_kernelINS0_14default_configENS1_22reduce_config_selectorIyEEZNS1_11reduce_implILb1ES3_N6thrust23THRUST_200600_302600_NS6detail15normal_iteratorINS8_10device_ptrIyEEEEPffNS8_4plusIfEEEE10hipError_tPvRmT1_T2_T3_mT4_P12ihipStream_tbEUlT_E0_NS1_11comp_targetILNS1_3genE0ELNS1_11target_archE4294967295ELNS1_3gpuE0ELNS1_3repE0EEENS1_30default_config_static_selectorELNS0_4arch9wavefront6targetE1EEEvSK_,@function
_ZN7rocprim17ROCPRIM_400000_NS6detail17trampoline_kernelINS0_14default_configENS1_22reduce_config_selectorIyEEZNS1_11reduce_implILb1ES3_N6thrust23THRUST_200600_302600_NS6detail15normal_iteratorINS8_10device_ptrIyEEEEPffNS8_4plusIfEEEE10hipError_tPvRmT1_T2_T3_mT4_P12ihipStream_tbEUlT_E0_NS1_11comp_targetILNS1_3genE0ELNS1_11target_archE4294967295ELNS1_3gpuE0ELNS1_3repE0EEENS1_30default_config_static_selectorELNS0_4arch9wavefront6targetE1EEEvSK_: ; @_ZN7rocprim17ROCPRIM_400000_NS6detail17trampoline_kernelINS0_14default_configENS1_22reduce_config_selectorIyEEZNS1_11reduce_implILb1ES3_N6thrust23THRUST_200600_302600_NS6detail15normal_iteratorINS8_10device_ptrIyEEEEPffNS8_4plusIfEEEE10hipError_tPvRmT1_T2_T3_mT4_P12ihipStream_tbEUlT_E0_NS1_11comp_targetILNS1_3genE0ELNS1_11target_archE4294967295ELNS1_3gpuE0ELNS1_3repE0EEENS1_30default_config_static_selectorELNS0_4arch9wavefront6targetE1EEEvSK_
; %bb.0:
	s_load_dwordx8 s[36:43], s[0:1], 0x0
	s_load_dwordx4 s[44:47], s[0:1], 0x20
	v_lshlrev_b32_e32 v20, 3, v0
	v_mbcnt_lo_u32_b32 v1, -1, 0
	s_waitcnt lgkmcnt(0)
	s_lshl_b64 s[4:5], s[38:39], 3
	s_add_u32 s10, s36, s4
	s_addc_u32 s11, s37, s5
	s_lshl_b32 s4, s2, 12
	s_mov_b32 s5, 0
	s_lshr_b64 s[6:7], s[40:41], 12
	s_lshl_b64 s[8:9], s[4:5], 3
	s_add_u32 s30, s10, s8
	s_mov_b32 s3, s5
	s_addc_u32 s31, s11, s9
	s_cmp_lg_u64 s[6:7], s[2:3]
	s_cbranch_scc0 .LBB369_6
; %bb.1:
	v_mov_b32_e32 v21, 0
	v_lshl_add_u64 v[2:3], s[30:31], 0, v[20:21]
	s_movk_i32 s5, 0x1000
	v_add_co_u32_e32 v4, vcc, s5, v2
	s_movk_i32 s5, 0x2000
	s_nop 0
	v_addc_co_u32_e32 v5, vcc, 0, v3, vcc
	flat_load_dwordx2 v[6:7], v[2:3]
	flat_load_dwordx2 v[8:9], v[2:3] offset:2048
	flat_load_dwordx2 v[10:11], v[4:5]
	flat_load_dwordx2 v[12:13], v[4:5] offset:2048
	v_add_co_u32_e32 v4, vcc, s5, v2
	s_movk_i32 s5, 0x3000
	s_nop 0
	v_addc_co_u32_e32 v5, vcc, 0, v3, vcc
	flat_load_dwordx2 v[14:15], v[4:5]
	flat_load_dwordx2 v[16:17], v[4:5] offset:2048
	v_add_co_u32_e32 v4, vcc, s5, v2
	s_movk_i32 s5, 0x4000
	s_nop 0
	v_addc_co_u32_e32 v5, vcc, 0, v3, vcc
	flat_load_dwordx2 v[18:19], v[4:5]
	v_add_co_u32_e32 v22, vcc, s5, v2
	s_movk_i32 s6, 0x5000
	s_nop 0
	v_addc_co_u32_e32 v23, vcc, 0, v3, vcc
	flat_load_dwordx2 v[26:27], v[22:23]
	v_add_co_u32_e32 v24, vcc, s6, v2
	flat_load_dwordx2 v[4:5], v[4:5] offset:2048
	s_movk_i32 s7, 0x6000
	flat_load_dwordx2 v[22:23], v[22:23] offset:2048
	v_addc_co_u32_e32 v25, vcc, 0, v3, vcc
	v_add_co_u32_e32 v28, vcc, s7, v2
	s_movk_i32 s8, 0x7000
	s_nop 0
	v_addc_co_u32_e32 v29, vcc, 0, v3, vcc
	v_add_co_u32_e32 v2, vcc, s8, v2
	s_waitcnt vmcnt(0) lgkmcnt(0)
	v_ffbh_u32_e32 v42, v17
	v_addc_co_u32_e32 v3, vcc, 0, v3, vcc
	flat_load_dwordx2 v[30:31], v[24:25]
	flat_load_dwordx2 v[32:33], v[24:25] offset:2048
	flat_load_dwordx2 v[34:35], v[28:29]
	flat_load_dwordx2 v[36:37], v[28:29] offset:2048
	;; [unrolled: 2-line block ×3, first 2 shown]
	v_ffbh_u32_e32 v2, v7
	v_ffbh_u32_e32 v3, v9
	v_min_u32_e32 v21, 32, v2
	v_min_u32_e32 v24, 32, v3
	v_lshlrev_b64 v[2:3], v21, v[6:7]
	v_lshlrev_b64 v[6:7], v24, v[8:9]
	v_min_u32_e32 v2, 1, v2
	v_min_u32_e32 v6, 1, v6
	v_or_b32_e32 v2, v3, v2
	v_or_b32_e32 v3, v7, v6
	v_ffbh_u32_e32 v25, v11
	v_cvt_f32_u32_e32 v2, v2
	v_cvt_f32_u32_e32 v3, v3
	v_ffbh_u32_e32 v28, v13
	v_ffbh_u32_e32 v29, v15
	v_min_u32_e32 v25, 32, v25
	v_min_u32_e32 v28, 32, v28
	;; [unrolled: 1-line block ×3, first 2 shown]
	v_lshlrev_b64 v[8:9], v25, v[10:11]
	v_sub_u32_e32 v21, 32, v21
	v_sub_u32_e32 v24, 32, v24
	v_min_u32_e32 v42, 32, v42
	v_lshlrev_b64 v[10:11], v28, v[12:13]
	v_lshlrev_b64 v[12:13], v29, v[14:15]
	v_min_u32_e32 v6, 1, v8
	v_min_u32_e32 v7, 1, v10
	;; [unrolled: 1-line block ×3, first 2 shown]
	v_or_b32_e32 v6, v9, v6
	v_ldexp_f32 v9, v2, v21
	v_ldexp_f32 v10, v3, v24
	v_lshlrev_b64 v[2:3], v42, v[16:17]
	v_or_b32_e32 v8, v13, v8
	v_min_u32_e32 v2, 1, v2
	v_cvt_f32_u32_e32 v8, v8
	v_or_b32_e32 v2, v3, v2
	v_cvt_f32_u32_e32 v2, v2
	v_sub_u32_e32 v3, 32, v29
	v_ldexp_f32 v8, v8, v3
	v_sub_u32_e32 v3, 32, v42
	v_or_b32_e32 v7, v11, v7
	v_ldexp_f32 v11, v2, v3
	v_ffbh_u32_e32 v2, v19
	v_min_u32_e32 v12, 32, v2
	v_lshlrev_b64 v[2:3], v12, v[18:19]
	v_min_u32_e32 v2, 1, v2
	v_or_b32_e32 v2, v3, v2
	v_cvt_f32_u32_e32 v13, v2
	v_ffbh_u32_e32 v2, v5
	v_min_u32_e32 v14, 32, v2
	v_lshlrev_b64 v[2:3], v14, v[4:5]
	v_min_u32_e32 v2, 1, v2
	v_or_b32_e32 v2, v3, v2
	v_cvt_f32_u32_e32 v2, v2
	v_sub_u32_e32 v3, 32, v12
	v_ldexp_f32 v4, v13, v3
	v_sub_u32_e32 v3, 32, v14
	v_ldexp_f32 v5, v2, v3
	v_ffbh_u32_e32 v2, v27
	v_min_u32_e32 v12, 32, v2
	v_lshlrev_b64 v[2:3], v12, v[26:27]
	v_min_u32_e32 v2, 1, v2
	v_or_b32_e32 v2, v3, v2
	v_cvt_f32_u32_e32 v13, v2
	v_ffbh_u32_e32 v2, v23
	v_min_u32_e32 v14, 32, v2
	v_lshlrev_b64 v[2:3], v14, v[22:23]
	v_min_u32_e32 v2, 1, v2
	v_or_b32_e32 v2, v3, v2
	v_cvt_f32_u32_e32 v2, v2
	v_sub_u32_e32 v3, 32, v12
	v_ldexp_f32 v12, v13, v3
	v_sub_u32_e32 v3, 32, v14
	v_ldexp_f32 v13, v2, v3
	v_cvt_f32_u32_e32 v6, v6
	s_waitcnt vmcnt(0) lgkmcnt(0)
	v_ffbh_u32_e32 v2, v31
	v_min_u32_e32 v14, 32, v2
	v_lshlrev_b64 v[2:3], v14, v[30:31]
	v_min_u32_e32 v2, 1, v2
	v_or_b32_e32 v2, v3, v2
	v_cvt_f32_u32_e32 v15, v2
	v_ffbh_u32_e32 v2, v33
	v_min_u32_e32 v16, 32, v2
	v_lshlrev_b64 v[2:3], v16, v[32:33]
	v_min_u32_e32 v2, 1, v2
	v_or_b32_e32 v2, v3, v2
	v_cvt_f32_u32_e32 v2, v2
	v_sub_u32_e32 v3, 32, v14
	v_ldexp_f32 v14, v15, v3
	v_sub_u32_e32 v3, 32, v16
	v_ldexp_f32 v15, v2, v3
	v_ffbh_u32_e32 v2, v35
	v_min_u32_e32 v16, 32, v2
	v_lshlrev_b64 v[2:3], v16, v[34:35]
	v_min_u32_e32 v2, 1, v2
	v_or_b32_e32 v2, v3, v2
	v_cvt_f32_u32_e32 v17, v2
	v_ffbh_u32_e32 v2, v37
	v_min_u32_e32 v18, 32, v2
	v_lshlrev_b64 v[2:3], v18, v[36:37]
	v_min_u32_e32 v2, 1, v2
	v_or_b32_e32 v2, v3, v2
	v_cvt_f32_u32_e32 v2, v2
	v_cvt_f32_u32_e32 v7, v7
	v_sub_u32_e32 v3, 32, v16
	v_ldexp_f32 v16, v17, v3
	v_sub_u32_e32 v3, 32, v18
	v_sub_u32_e32 v25, 32, v25
	v_ldexp_f32 v17, v2, v3
	v_ffbh_u32_e32 v2, v39
	v_sub_u32_e32 v28, 32, v28
	v_ldexp_f32 v6, v6, v25
	v_min_u32_e32 v18, 32, v2
	v_add_f32_e32 v9, v9, v10
	v_ldexp_f32 v7, v7, v28
	v_lshlrev_b64 v[2:3], v18, v[38:39]
	v_add_f32_e32 v6, v9, v6
	v_min_u32_e32 v2, 1, v2
	v_add_f32_e32 v6, v6, v7
	v_or_b32_e32 v2, v3, v2
	v_add_f32_e32 v6, v6, v8
	v_cvt_f32_u32_e32 v19, v2
	v_ffbh_u32_e32 v2, v41
	v_add_f32_e32 v6, v6, v11
	v_min_u32_e32 v21, 32, v2
	v_add_f32_e32 v4, v6, v4
	v_lshlrev_b64 v[2:3], v21, v[40:41]
	v_add_f32_e32 v4, v4, v5
	v_min_u32_e32 v2, 1, v2
	v_add_f32_e32 v4, v4, v12
	v_or_b32_e32 v2, v3, v2
	v_add_f32_e32 v4, v4, v13
	v_cvt_f32_u32_e32 v2, v2
	v_add_f32_e32 v4, v4, v14
	v_add_f32_e32 v4, v4, v15
	v_sub_u32_e32 v3, 32, v18
	v_add_f32_e32 v4, v4, v16
	v_ldexp_f32 v3, v19, v3
	v_sub_u32_e32 v18, 32, v21
	v_add_f32_e32 v4, v4, v17
	v_ldexp_f32 v2, v2, v18
	v_add_f32_e32 v3, v4, v3
	v_add_f32_e32 v2, v3, v2
	v_mbcnt_hi_u32_b32 v3, -1, v1
	v_lshlrev_b32_e32 v4, 2, v3
	v_add_f32_dpp v2, v2, v2 quad_perm:[1,0,3,2] row_mask:0xf bank_mask:0xf bound_ctrl:1
	v_or_b32_e32 v5, 0xfc, v4
	v_cmp_eq_u32_e32 vcc, 0, v3
	v_add_f32_dpp v2, v2, v2 quad_perm:[2,3,0,1] row_mask:0xf bank_mask:0xf bound_ctrl:1
	s_nop 1
	v_add_f32_dpp v2, v2, v2 row_ror:4 row_mask:0xf bank_mask:0xf bound_ctrl:1
	s_nop 1
	v_add_f32_dpp v2, v2, v2 row_ror:8 row_mask:0xf bank_mask:0xf bound_ctrl:1
	s_nop 1
	v_add_f32_dpp v2, v2, v2 row_bcast:15 row_mask:0xf bank_mask:0xf bound_ctrl:1
	s_nop 1
	v_add_f32_dpp v2, v2, v2 row_bcast:31 row_mask:0xf bank_mask:0xf bound_ctrl:1
	ds_bpermute_b32 v2, v5, v2
	s_and_saveexec_b64 s[6:7], vcc
	s_cbranch_execz .LBB369_3
; %bb.2:
	v_lshrrev_b32_e32 v5, 4, v0
	v_and_b32_e32 v5, 12, v5
	s_waitcnt lgkmcnt(0)
	ds_write_b32 v5, v2
.LBB369_3:
	s_or_b64 exec, exec, s[6:7]
	v_cmp_gt_u32_e32 vcc, 64, v0
	s_waitcnt lgkmcnt(0)
	s_barrier
	s_and_saveexec_b64 s[6:7], vcc
	s_cbranch_execz .LBB369_5
; %bb.4:
	v_and_b32_e32 v2, 3, v3
	v_lshlrev_b32_e32 v5, 2, v2
	ds_read_b32 v5, v5
	v_cmp_ne_u32_e32 vcc, 3, v2
	s_nop 1
	v_addc_co_u32_e32 v2, vcc, 0, v3, vcc
	v_lshlrev_b32_e32 v2, 2, v2
	s_waitcnt lgkmcnt(0)
	ds_bpermute_b32 v2, v2, v5
	v_or_b32_e32 v3, 8, v4
	s_waitcnt lgkmcnt(0)
	v_add_f32_e32 v2, v5, v2
	ds_bpermute_b32 v3, v3, v2
	s_waitcnt lgkmcnt(0)
	v_add_f32_e32 v2, v2, v3
.LBB369_5:
	s_or_b64 exec, exec, s[6:7]
	s_load_dword s33, s[0:1], 0x30
	s_branch .LBB369_44
.LBB369_6:
                                        ; implicit-def: $vgpr2
	s_load_dword s33, s[0:1], 0x30
	s_cbranch_execz .LBB369_44
; %bb.7:
	s_sub_i32 s36, s40, s4
	v_mov_b32_e32 v2, 0
	v_cmp_gt_u32_e32 vcc, s36, v0
	v_mov_b32_e32 v3, v2
	v_mov_b32_e32 v4, v2
	;; [unrolled: 1-line block ×15, first 2 shown]
	s_and_saveexec_b64 s[0:1], vcc
	s_cbranch_execz .LBB369_9
; %bb.8:
	v_mov_b32_e32 v21, v2
	v_lshl_add_u64 v[4:5], s[30:31], 0, v[20:21]
	flat_load_dwordx2 v[18:19], v[4:5]
	v_mov_b32_e32 v5, v2
	v_mov_b32_e32 v6, v2
	;; [unrolled: 1-line block ×13, first 2 shown]
	s_waitcnt vmcnt(0) lgkmcnt(0)
	v_ffbh_u32_e32 v3, v19
	v_min_u32_e32 v3, 32, v3
	v_lshlrev_b64 v[18:19], v3, v[18:19]
	v_min_u32_e32 v4, 1, v18
	v_or_b32_e32 v4, v19, v4
	v_cvt_f32_u32_e32 v4, v4
	v_sub_u32_e32 v3, 32, v3
	v_mov_b32_e32 v18, v2
	v_mov_b32_e32 v19, v2
	v_ldexp_f32 v4, v4, v3
	v_mov_b64_e32 v[2:3], v[4:5]
	v_mov_b64_e32 v[4:5], v[6:7]
	;; [unrolled: 1-line block ×8, first 2 shown]
.LBB369_9:
	s_or_b64 exec, exec, s[0:1]
	v_or_b32_e32 v18, 0x100, v0
	v_cmp_gt_u32_e32 vcc, s36, v18
	s_and_saveexec_b64 s[0:1], vcc
	s_cbranch_execz .LBB369_11
; %bb.10:
	v_mov_b32_e32 v21, 0
	v_lshl_add_u64 v[18:19], s[30:31], 0, v[20:21]
	flat_load_dwordx2 v[18:19], v[18:19] offset:2048
	s_waitcnt vmcnt(0) lgkmcnt(0)
	v_ffbh_u32_e32 v3, v19
	v_min_u32_e32 v3, 32, v3
	v_lshlrev_b64 v[18:19], v3, v[18:19]
	v_min_u32_e32 v18, 1, v18
	v_or_b32_e32 v18, v19, v18
	v_cvt_f32_u32_e32 v18, v18
	v_sub_u32_e32 v3, 32, v3
	v_ldexp_f32 v3, v18, v3
.LBB369_11:
	s_or_b64 exec, exec, s[0:1]
	v_or_b32_e32 v18, 0x200, v0
	v_cmp_gt_u32_e64 s[0:1], s36, v18
	s_and_saveexec_b64 s[4:5], s[0:1]
	s_cbranch_execz .LBB369_13
; %bb.12:
	v_lshlrev_b32_e32 v18, 3, v18
	v_mov_b32_e32 v19, 0
	v_lshl_add_u64 v[18:19], s[30:31], 0, v[18:19]
	flat_load_dwordx2 v[18:19], v[18:19]
	s_waitcnt vmcnt(0) lgkmcnt(0)
	v_ffbh_u32_e32 v4, v19
	v_min_u32_e32 v4, 32, v4
	v_lshlrev_b64 v[18:19], v4, v[18:19]
	v_min_u32_e32 v18, 1, v18
	v_or_b32_e32 v18, v19, v18
	v_cvt_f32_u32_e32 v18, v18
	v_sub_u32_e32 v4, 32, v4
	v_ldexp_f32 v4, v18, v4
.LBB369_13:
	s_or_b64 exec, exec, s[4:5]
	v_or_b32_e32 v18, 0x300, v0
	v_cmp_gt_u32_e64 s[4:5], s36, v18
	s_and_saveexec_b64 s[6:7], s[4:5]
	s_cbranch_execz .LBB369_15
; %bb.14:
	v_lshlrev_b32_e32 v18, 3, v18
	v_mov_b32_e32 v19, 0
	v_lshl_add_u64 v[18:19], s[30:31], 0, v[18:19]
	flat_load_dwordx2 v[18:19], v[18:19]
	s_waitcnt vmcnt(0) lgkmcnt(0)
	v_ffbh_u32_e32 v5, v19
	v_min_u32_e32 v5, 32, v5
	v_lshlrev_b64 v[18:19], v5, v[18:19]
	v_min_u32_e32 v18, 1, v18
	v_or_b32_e32 v18, v19, v18
	v_cvt_f32_u32_e32 v18, v18
	v_sub_u32_e32 v5, 32, v5
	v_ldexp_f32 v5, v18, v5
.LBB369_15:
	;; [unrolled: 20-line block ×14, first 2 shown]
	s_or_b64 exec, exec, s[34:35]
	v_add_f32_e32 v3, v2, v3
	v_cndmask_b32_e32 v2, v2, v3, vcc
	v_add_f32_e32 v3, v4, v2
	v_cndmask_b32_e64 v2, v2, v3, s[0:1]
	v_add_f32_e32 v3, v5, v2
	v_cndmask_b32_e64 v2, v2, v3, s[4:5]
	;; [unrolled: 2-line block ×12, first 2 shown]
	v_add_f32_e32 v3, v16, v2
	v_mbcnt_hi_u32_b32 v1, -1, v1
	v_cndmask_b32_e64 v2, v2, v3, s[26:27]
	v_and_b32_e32 v4, 63, v1
	v_add_f32_e32 v3, v17, v2
	v_cmp_ne_u32_e32 vcc, 63, v4
	v_cndmask_b32_e64 v2, v2, v3, s[28:29]
	s_min_u32 s6, s36, 0x100
	v_addc_co_u32_e32 v3, vcc, 0, v1, vcc
	v_lshlrev_b32_e32 v3, 2, v3
	ds_bpermute_b32 v3, v3, v2
	v_and_b32_e32 v5, 0xc0, v0
	v_sub_u32_e64 v5, s6, v5 clamp
	v_add_u32_e32 v6, 1, v4
	v_cmp_gt_u32_e64 s[0:1], 62, v4
	s_waitcnt lgkmcnt(0)
	v_add_f32_e32 v3, v2, v3
	v_cmp_lt_u32_e32 vcc, v6, v5
	v_cndmask_b32_e64 v6, 0, 2, s[0:1]
	v_add_lshl_u32 v6, v6, v1, 2
	v_cndmask_b32_e32 v3, v2, v3, vcc
	ds_bpermute_b32 v6, v6, v3
	v_add_u32_e32 v7, 2, v4
	v_cmp_lt_u32_e64 s[0:1], v7, v5
	v_add_u32_e32 v7, 4, v4
	s_waitcnt lgkmcnt(0)
	v_add_f32_e32 v6, v3, v6
	v_cndmask_b32_e64 v3, v3, v6, s[0:1]
	v_cmp_gt_u32_e64 s[0:1], 60, v4
	s_nop 1
	v_cndmask_b32_e64 v6, 0, 4, s[0:1]
	v_add_lshl_u32 v6, v6, v1, 2
	ds_bpermute_b32 v6, v6, v3
	v_cmp_lt_u32_e64 s[0:1], v7, v5
	v_add_u32_e32 v7, 8, v4
	s_waitcnt lgkmcnt(0)
	v_add_f32_e32 v6, v3, v6
	v_cndmask_b32_e64 v3, v3, v6, s[0:1]
	v_cmp_gt_u32_e64 s[0:1], 56, v4
	s_nop 1
	v_cndmask_b32_e64 v6, 0, 8, s[0:1]
	v_add_lshl_u32 v6, v6, v1, 2
	ds_bpermute_b32 v6, v6, v3
	v_cmp_lt_u32_e64 s[0:1], v7, v5
	v_add_u32_e32 v7, 16, v4
	s_waitcnt lgkmcnt(0)
	v_add_f32_e32 v6, v3, v6
	v_cndmask_b32_e64 v3, v3, v6, s[0:1]
	v_cmp_gt_u32_e64 s[0:1], 48, v4
	v_add_u32_e32 v4, 32, v4
	s_nop 0
	v_cndmask_b32_e64 v6, 0, 16, s[0:1]
	v_add_lshl_u32 v6, v6, v1, 2
	ds_bpermute_b32 v6, v6, v3
	v_cmp_lt_u32_e64 s[0:1], v7, v5
	s_waitcnt lgkmcnt(0)
	v_add_f32_e32 v6, v3, v6
	v_cndmask_b32_e64 v6, v3, v6, s[0:1]
	v_lshlrev_b32_e32 v3, 2, v1
	v_or_b32_e32 v7, 0x80, v3
	ds_bpermute_b32 v7, v7, v6
	v_cmp_lt_u32_e64 s[0:1], v4, v5
	s_waitcnt lgkmcnt(0)
	v_add_f32_e32 v7, v6, v7
	v_cndmask_b32_e64 v4, v6, v7, s[0:1]
	v_cndmask_b32_e32 v2, v2, v4, vcc
	v_cmp_eq_u32_e32 vcc, 0, v1
	s_and_saveexec_b64 s[0:1], vcc
; %bb.40:
	v_lshrrev_b32_e32 v4, 4, v0
	v_and_b32_e32 v4, 12, v4
	ds_write_b32 v4, v2 offset:16
; %bb.41:
	s_or_b64 exec, exec, s[0:1]
	v_cmp_gt_u32_e32 vcc, 4, v0
	s_waitcnt lgkmcnt(0)
	s_barrier
	s_and_saveexec_b64 s[4:5], vcc
	s_cbranch_execz .LBB369_43
; %bb.42:
	ds_read_b32 v2, v3 offset:16
	v_and_b32_e32 v4, 3, v1
	v_cmp_ne_u32_e32 vcc, 3, v4
	s_add_i32 s6, s6, 63
	s_lshr_b32 s0, s6, 6
	v_addc_co_u32_e32 v1, vcc, 0, v1, vcc
	v_lshlrev_b32_e32 v1, 2, v1
	s_waitcnt lgkmcnt(0)
	ds_bpermute_b32 v1, v1, v2
	v_add_u32_e32 v5, 1, v4
	v_cmp_gt_u32_e32 vcc, s0, v5
	v_or_b32_e32 v3, 8, v3
	v_add_u32_e32 v4, 2, v4
	s_waitcnt lgkmcnt(0)
	v_add_f32_e32 v1, v2, v1
	v_cndmask_b32_e32 v1, v2, v1, vcc
	ds_bpermute_b32 v3, v3, v1
	v_cmp_gt_u32_e64 s[0:1], s0, v4
	s_waitcnt lgkmcnt(0)
	v_add_f32_e32 v3, v1, v3
	v_cndmask_b32_e64 v1, v1, v3, s[0:1]
	v_cndmask_b32_e32 v2, v2, v1, vcc
.LBB369_43:
	s_or_b64 exec, exec, s[4:5]
.LBB369_44:
	v_cmp_eq_u32_e32 vcc, 0, v0
	s_and_saveexec_b64 s[0:1], vcc
	s_cbranch_execnz .LBB369_46
; %bb.45:
	s_endpgm
.LBB369_46:
	s_mul_i32 s0, s46, s45
	s_mul_hi_u32 s1, s46, s44
	s_add_i32 s0, s1, s0
	s_mul_i32 s1, s47, s44
	s_add_i32 s1, s0, s1
	s_mul_i32 s0, s46, s44
	s_lshl_b64 s[0:1], s[0:1], 2
	s_add_u32 s4, s42, s0
	s_addc_u32 s5, s43, s1
	s_cmp_eq_u64 s[40:41], 0
	s_cselect_b64 vcc, -1, 0
	s_lshl_b64 s[0:1], s[2:3], 2
	s_waitcnt lgkmcnt(0)
	v_mov_b32_e32 v0, s33
	s_add_u32 s0, s4, s0
	v_cndmask_b32_e32 v0, v2, v0, vcc
	s_addc_u32 s1, s5, s1
	v_mov_b32_e32 v1, 0
	global_store_dword v1, v0, s[0:1]
	s_endpgm
	.section	.rodata,"a",@progbits
	.p2align	6, 0x0
	.amdhsa_kernel _ZN7rocprim17ROCPRIM_400000_NS6detail17trampoline_kernelINS0_14default_configENS1_22reduce_config_selectorIyEEZNS1_11reduce_implILb1ES3_N6thrust23THRUST_200600_302600_NS6detail15normal_iteratorINS8_10device_ptrIyEEEEPffNS8_4plusIfEEEE10hipError_tPvRmT1_T2_T3_mT4_P12ihipStream_tbEUlT_E0_NS1_11comp_targetILNS1_3genE0ELNS1_11target_archE4294967295ELNS1_3gpuE0ELNS1_3repE0EEENS1_30default_config_static_selectorELNS0_4arch9wavefront6targetE1EEEvSK_
		.amdhsa_group_segment_fixed_size 32
		.amdhsa_private_segment_fixed_size 0
		.amdhsa_kernarg_size 56
		.amdhsa_user_sgpr_count 2
		.amdhsa_user_sgpr_dispatch_ptr 0
		.amdhsa_user_sgpr_queue_ptr 0
		.amdhsa_user_sgpr_kernarg_segment_ptr 1
		.amdhsa_user_sgpr_dispatch_id 0
		.amdhsa_user_sgpr_kernarg_preload_length 0
		.amdhsa_user_sgpr_kernarg_preload_offset 0
		.amdhsa_user_sgpr_private_segment_size 0
		.amdhsa_uses_dynamic_stack 0
		.amdhsa_enable_private_segment 0
		.amdhsa_system_sgpr_workgroup_id_x 1
		.amdhsa_system_sgpr_workgroup_id_y 0
		.amdhsa_system_sgpr_workgroup_id_z 0
		.amdhsa_system_sgpr_workgroup_info 0
		.amdhsa_system_vgpr_workitem_id 0
		.amdhsa_next_free_vgpr 43
		.amdhsa_next_free_sgpr 48
		.amdhsa_accum_offset 44
		.amdhsa_reserve_vcc 1
		.amdhsa_float_round_mode_32 0
		.amdhsa_float_round_mode_16_64 0
		.amdhsa_float_denorm_mode_32 3
		.amdhsa_float_denorm_mode_16_64 3
		.amdhsa_dx10_clamp 1
		.amdhsa_ieee_mode 1
		.amdhsa_fp16_overflow 0
		.amdhsa_tg_split 0
		.amdhsa_exception_fp_ieee_invalid_op 0
		.amdhsa_exception_fp_denorm_src 0
		.amdhsa_exception_fp_ieee_div_zero 0
		.amdhsa_exception_fp_ieee_overflow 0
		.amdhsa_exception_fp_ieee_underflow 0
		.amdhsa_exception_fp_ieee_inexact 0
		.amdhsa_exception_int_div_zero 0
	.end_amdhsa_kernel
	.section	.text._ZN7rocprim17ROCPRIM_400000_NS6detail17trampoline_kernelINS0_14default_configENS1_22reduce_config_selectorIyEEZNS1_11reduce_implILb1ES3_N6thrust23THRUST_200600_302600_NS6detail15normal_iteratorINS8_10device_ptrIyEEEEPffNS8_4plusIfEEEE10hipError_tPvRmT1_T2_T3_mT4_P12ihipStream_tbEUlT_E0_NS1_11comp_targetILNS1_3genE0ELNS1_11target_archE4294967295ELNS1_3gpuE0ELNS1_3repE0EEENS1_30default_config_static_selectorELNS0_4arch9wavefront6targetE1EEEvSK_,"axG",@progbits,_ZN7rocprim17ROCPRIM_400000_NS6detail17trampoline_kernelINS0_14default_configENS1_22reduce_config_selectorIyEEZNS1_11reduce_implILb1ES3_N6thrust23THRUST_200600_302600_NS6detail15normal_iteratorINS8_10device_ptrIyEEEEPffNS8_4plusIfEEEE10hipError_tPvRmT1_T2_T3_mT4_P12ihipStream_tbEUlT_E0_NS1_11comp_targetILNS1_3genE0ELNS1_11target_archE4294967295ELNS1_3gpuE0ELNS1_3repE0EEENS1_30default_config_static_selectorELNS0_4arch9wavefront6targetE1EEEvSK_,comdat
.Lfunc_end369:
	.size	_ZN7rocprim17ROCPRIM_400000_NS6detail17trampoline_kernelINS0_14default_configENS1_22reduce_config_selectorIyEEZNS1_11reduce_implILb1ES3_N6thrust23THRUST_200600_302600_NS6detail15normal_iteratorINS8_10device_ptrIyEEEEPffNS8_4plusIfEEEE10hipError_tPvRmT1_T2_T3_mT4_P12ihipStream_tbEUlT_E0_NS1_11comp_targetILNS1_3genE0ELNS1_11target_archE4294967295ELNS1_3gpuE0ELNS1_3repE0EEENS1_30default_config_static_selectorELNS0_4arch9wavefront6targetE1EEEvSK_, .Lfunc_end369-_ZN7rocprim17ROCPRIM_400000_NS6detail17trampoline_kernelINS0_14default_configENS1_22reduce_config_selectorIyEEZNS1_11reduce_implILb1ES3_N6thrust23THRUST_200600_302600_NS6detail15normal_iteratorINS8_10device_ptrIyEEEEPffNS8_4plusIfEEEE10hipError_tPvRmT1_T2_T3_mT4_P12ihipStream_tbEUlT_E0_NS1_11comp_targetILNS1_3genE0ELNS1_11target_archE4294967295ELNS1_3gpuE0ELNS1_3repE0EEENS1_30default_config_static_selectorELNS0_4arch9wavefront6targetE1EEEvSK_
                                        ; -- End function
	.set _ZN7rocprim17ROCPRIM_400000_NS6detail17trampoline_kernelINS0_14default_configENS1_22reduce_config_selectorIyEEZNS1_11reduce_implILb1ES3_N6thrust23THRUST_200600_302600_NS6detail15normal_iteratorINS8_10device_ptrIyEEEEPffNS8_4plusIfEEEE10hipError_tPvRmT1_T2_T3_mT4_P12ihipStream_tbEUlT_E0_NS1_11comp_targetILNS1_3genE0ELNS1_11target_archE4294967295ELNS1_3gpuE0ELNS1_3repE0EEENS1_30default_config_static_selectorELNS0_4arch9wavefront6targetE1EEEvSK_.num_vgpr, 43
	.set _ZN7rocprim17ROCPRIM_400000_NS6detail17trampoline_kernelINS0_14default_configENS1_22reduce_config_selectorIyEEZNS1_11reduce_implILb1ES3_N6thrust23THRUST_200600_302600_NS6detail15normal_iteratorINS8_10device_ptrIyEEEEPffNS8_4plusIfEEEE10hipError_tPvRmT1_T2_T3_mT4_P12ihipStream_tbEUlT_E0_NS1_11comp_targetILNS1_3genE0ELNS1_11target_archE4294967295ELNS1_3gpuE0ELNS1_3repE0EEENS1_30default_config_static_selectorELNS0_4arch9wavefront6targetE1EEEvSK_.num_agpr, 0
	.set _ZN7rocprim17ROCPRIM_400000_NS6detail17trampoline_kernelINS0_14default_configENS1_22reduce_config_selectorIyEEZNS1_11reduce_implILb1ES3_N6thrust23THRUST_200600_302600_NS6detail15normal_iteratorINS8_10device_ptrIyEEEEPffNS8_4plusIfEEEE10hipError_tPvRmT1_T2_T3_mT4_P12ihipStream_tbEUlT_E0_NS1_11comp_targetILNS1_3genE0ELNS1_11target_archE4294967295ELNS1_3gpuE0ELNS1_3repE0EEENS1_30default_config_static_selectorELNS0_4arch9wavefront6targetE1EEEvSK_.numbered_sgpr, 48
	.set _ZN7rocprim17ROCPRIM_400000_NS6detail17trampoline_kernelINS0_14default_configENS1_22reduce_config_selectorIyEEZNS1_11reduce_implILb1ES3_N6thrust23THRUST_200600_302600_NS6detail15normal_iteratorINS8_10device_ptrIyEEEEPffNS8_4plusIfEEEE10hipError_tPvRmT1_T2_T3_mT4_P12ihipStream_tbEUlT_E0_NS1_11comp_targetILNS1_3genE0ELNS1_11target_archE4294967295ELNS1_3gpuE0ELNS1_3repE0EEENS1_30default_config_static_selectorELNS0_4arch9wavefront6targetE1EEEvSK_.num_named_barrier, 0
	.set _ZN7rocprim17ROCPRIM_400000_NS6detail17trampoline_kernelINS0_14default_configENS1_22reduce_config_selectorIyEEZNS1_11reduce_implILb1ES3_N6thrust23THRUST_200600_302600_NS6detail15normal_iteratorINS8_10device_ptrIyEEEEPffNS8_4plusIfEEEE10hipError_tPvRmT1_T2_T3_mT4_P12ihipStream_tbEUlT_E0_NS1_11comp_targetILNS1_3genE0ELNS1_11target_archE4294967295ELNS1_3gpuE0ELNS1_3repE0EEENS1_30default_config_static_selectorELNS0_4arch9wavefront6targetE1EEEvSK_.private_seg_size, 0
	.set _ZN7rocprim17ROCPRIM_400000_NS6detail17trampoline_kernelINS0_14default_configENS1_22reduce_config_selectorIyEEZNS1_11reduce_implILb1ES3_N6thrust23THRUST_200600_302600_NS6detail15normal_iteratorINS8_10device_ptrIyEEEEPffNS8_4plusIfEEEE10hipError_tPvRmT1_T2_T3_mT4_P12ihipStream_tbEUlT_E0_NS1_11comp_targetILNS1_3genE0ELNS1_11target_archE4294967295ELNS1_3gpuE0ELNS1_3repE0EEENS1_30default_config_static_selectorELNS0_4arch9wavefront6targetE1EEEvSK_.uses_vcc, 1
	.set _ZN7rocprim17ROCPRIM_400000_NS6detail17trampoline_kernelINS0_14default_configENS1_22reduce_config_selectorIyEEZNS1_11reduce_implILb1ES3_N6thrust23THRUST_200600_302600_NS6detail15normal_iteratorINS8_10device_ptrIyEEEEPffNS8_4plusIfEEEE10hipError_tPvRmT1_T2_T3_mT4_P12ihipStream_tbEUlT_E0_NS1_11comp_targetILNS1_3genE0ELNS1_11target_archE4294967295ELNS1_3gpuE0ELNS1_3repE0EEENS1_30default_config_static_selectorELNS0_4arch9wavefront6targetE1EEEvSK_.uses_flat_scratch, 0
	.set _ZN7rocprim17ROCPRIM_400000_NS6detail17trampoline_kernelINS0_14default_configENS1_22reduce_config_selectorIyEEZNS1_11reduce_implILb1ES3_N6thrust23THRUST_200600_302600_NS6detail15normal_iteratorINS8_10device_ptrIyEEEEPffNS8_4plusIfEEEE10hipError_tPvRmT1_T2_T3_mT4_P12ihipStream_tbEUlT_E0_NS1_11comp_targetILNS1_3genE0ELNS1_11target_archE4294967295ELNS1_3gpuE0ELNS1_3repE0EEENS1_30default_config_static_selectorELNS0_4arch9wavefront6targetE1EEEvSK_.has_dyn_sized_stack, 0
	.set _ZN7rocprim17ROCPRIM_400000_NS6detail17trampoline_kernelINS0_14default_configENS1_22reduce_config_selectorIyEEZNS1_11reduce_implILb1ES3_N6thrust23THRUST_200600_302600_NS6detail15normal_iteratorINS8_10device_ptrIyEEEEPffNS8_4plusIfEEEE10hipError_tPvRmT1_T2_T3_mT4_P12ihipStream_tbEUlT_E0_NS1_11comp_targetILNS1_3genE0ELNS1_11target_archE4294967295ELNS1_3gpuE0ELNS1_3repE0EEENS1_30default_config_static_selectorELNS0_4arch9wavefront6targetE1EEEvSK_.has_recursion, 0
	.set _ZN7rocprim17ROCPRIM_400000_NS6detail17trampoline_kernelINS0_14default_configENS1_22reduce_config_selectorIyEEZNS1_11reduce_implILb1ES3_N6thrust23THRUST_200600_302600_NS6detail15normal_iteratorINS8_10device_ptrIyEEEEPffNS8_4plusIfEEEE10hipError_tPvRmT1_T2_T3_mT4_P12ihipStream_tbEUlT_E0_NS1_11comp_targetILNS1_3genE0ELNS1_11target_archE4294967295ELNS1_3gpuE0ELNS1_3repE0EEENS1_30default_config_static_selectorELNS0_4arch9wavefront6targetE1EEEvSK_.has_indirect_call, 0
	.section	.AMDGPU.csdata,"",@progbits
; Kernel info:
; codeLenInByte = 3768
; TotalNumSgprs: 54
; NumVgprs: 43
; NumAgprs: 0
; TotalNumVgprs: 43
; ScratchSize: 0
; MemoryBound: 0
; FloatMode: 240
; IeeeMode: 1
; LDSByteSize: 32 bytes/workgroup (compile time only)
; SGPRBlocks: 6
; VGPRBlocks: 5
; NumSGPRsForWavesPerEU: 54
; NumVGPRsForWavesPerEU: 43
; AccumOffset: 44
; Occupancy: 8
; WaveLimiterHint : 1
; COMPUTE_PGM_RSRC2:SCRATCH_EN: 0
; COMPUTE_PGM_RSRC2:USER_SGPR: 2
; COMPUTE_PGM_RSRC2:TRAP_HANDLER: 0
; COMPUTE_PGM_RSRC2:TGID_X_EN: 1
; COMPUTE_PGM_RSRC2:TGID_Y_EN: 0
; COMPUTE_PGM_RSRC2:TGID_Z_EN: 0
; COMPUTE_PGM_RSRC2:TIDIG_COMP_CNT: 0
; COMPUTE_PGM_RSRC3_GFX90A:ACCUM_OFFSET: 10
; COMPUTE_PGM_RSRC3_GFX90A:TG_SPLIT: 0
	.section	.text._ZN7rocprim17ROCPRIM_400000_NS6detail17trampoline_kernelINS0_14default_configENS1_22reduce_config_selectorIyEEZNS1_11reduce_implILb1ES3_N6thrust23THRUST_200600_302600_NS6detail15normal_iteratorINS8_10device_ptrIyEEEEPffNS8_4plusIfEEEE10hipError_tPvRmT1_T2_T3_mT4_P12ihipStream_tbEUlT_E0_NS1_11comp_targetILNS1_3genE5ELNS1_11target_archE942ELNS1_3gpuE9ELNS1_3repE0EEENS1_30default_config_static_selectorELNS0_4arch9wavefront6targetE1EEEvSK_,"axG",@progbits,_ZN7rocprim17ROCPRIM_400000_NS6detail17trampoline_kernelINS0_14default_configENS1_22reduce_config_selectorIyEEZNS1_11reduce_implILb1ES3_N6thrust23THRUST_200600_302600_NS6detail15normal_iteratorINS8_10device_ptrIyEEEEPffNS8_4plusIfEEEE10hipError_tPvRmT1_T2_T3_mT4_P12ihipStream_tbEUlT_E0_NS1_11comp_targetILNS1_3genE5ELNS1_11target_archE942ELNS1_3gpuE9ELNS1_3repE0EEENS1_30default_config_static_selectorELNS0_4arch9wavefront6targetE1EEEvSK_,comdat
	.protected	_ZN7rocprim17ROCPRIM_400000_NS6detail17trampoline_kernelINS0_14default_configENS1_22reduce_config_selectorIyEEZNS1_11reduce_implILb1ES3_N6thrust23THRUST_200600_302600_NS6detail15normal_iteratorINS8_10device_ptrIyEEEEPffNS8_4plusIfEEEE10hipError_tPvRmT1_T2_T3_mT4_P12ihipStream_tbEUlT_E0_NS1_11comp_targetILNS1_3genE5ELNS1_11target_archE942ELNS1_3gpuE9ELNS1_3repE0EEENS1_30default_config_static_selectorELNS0_4arch9wavefront6targetE1EEEvSK_ ; -- Begin function _ZN7rocprim17ROCPRIM_400000_NS6detail17trampoline_kernelINS0_14default_configENS1_22reduce_config_selectorIyEEZNS1_11reduce_implILb1ES3_N6thrust23THRUST_200600_302600_NS6detail15normal_iteratorINS8_10device_ptrIyEEEEPffNS8_4plusIfEEEE10hipError_tPvRmT1_T2_T3_mT4_P12ihipStream_tbEUlT_E0_NS1_11comp_targetILNS1_3genE5ELNS1_11target_archE942ELNS1_3gpuE9ELNS1_3repE0EEENS1_30default_config_static_selectorELNS0_4arch9wavefront6targetE1EEEvSK_
	.globl	_ZN7rocprim17ROCPRIM_400000_NS6detail17trampoline_kernelINS0_14default_configENS1_22reduce_config_selectorIyEEZNS1_11reduce_implILb1ES3_N6thrust23THRUST_200600_302600_NS6detail15normal_iteratorINS8_10device_ptrIyEEEEPffNS8_4plusIfEEEE10hipError_tPvRmT1_T2_T3_mT4_P12ihipStream_tbEUlT_E0_NS1_11comp_targetILNS1_3genE5ELNS1_11target_archE942ELNS1_3gpuE9ELNS1_3repE0EEENS1_30default_config_static_selectorELNS0_4arch9wavefront6targetE1EEEvSK_
	.p2align	8
	.type	_ZN7rocprim17ROCPRIM_400000_NS6detail17trampoline_kernelINS0_14default_configENS1_22reduce_config_selectorIyEEZNS1_11reduce_implILb1ES3_N6thrust23THRUST_200600_302600_NS6detail15normal_iteratorINS8_10device_ptrIyEEEEPffNS8_4plusIfEEEE10hipError_tPvRmT1_T2_T3_mT4_P12ihipStream_tbEUlT_E0_NS1_11comp_targetILNS1_3genE5ELNS1_11target_archE942ELNS1_3gpuE9ELNS1_3repE0EEENS1_30default_config_static_selectorELNS0_4arch9wavefront6targetE1EEEvSK_,@function
_ZN7rocprim17ROCPRIM_400000_NS6detail17trampoline_kernelINS0_14default_configENS1_22reduce_config_selectorIyEEZNS1_11reduce_implILb1ES3_N6thrust23THRUST_200600_302600_NS6detail15normal_iteratorINS8_10device_ptrIyEEEEPffNS8_4plusIfEEEE10hipError_tPvRmT1_T2_T3_mT4_P12ihipStream_tbEUlT_E0_NS1_11comp_targetILNS1_3genE5ELNS1_11target_archE942ELNS1_3gpuE9ELNS1_3repE0EEENS1_30default_config_static_selectorELNS0_4arch9wavefront6targetE1EEEvSK_: ; @_ZN7rocprim17ROCPRIM_400000_NS6detail17trampoline_kernelINS0_14default_configENS1_22reduce_config_selectorIyEEZNS1_11reduce_implILb1ES3_N6thrust23THRUST_200600_302600_NS6detail15normal_iteratorINS8_10device_ptrIyEEEEPffNS8_4plusIfEEEE10hipError_tPvRmT1_T2_T3_mT4_P12ihipStream_tbEUlT_E0_NS1_11comp_targetILNS1_3genE5ELNS1_11target_archE942ELNS1_3gpuE9ELNS1_3repE0EEENS1_30default_config_static_selectorELNS0_4arch9wavefront6targetE1EEEvSK_
; %bb.0:
	.section	.rodata,"a",@progbits
	.p2align	6, 0x0
	.amdhsa_kernel _ZN7rocprim17ROCPRIM_400000_NS6detail17trampoline_kernelINS0_14default_configENS1_22reduce_config_selectorIyEEZNS1_11reduce_implILb1ES3_N6thrust23THRUST_200600_302600_NS6detail15normal_iteratorINS8_10device_ptrIyEEEEPffNS8_4plusIfEEEE10hipError_tPvRmT1_T2_T3_mT4_P12ihipStream_tbEUlT_E0_NS1_11comp_targetILNS1_3genE5ELNS1_11target_archE942ELNS1_3gpuE9ELNS1_3repE0EEENS1_30default_config_static_selectorELNS0_4arch9wavefront6targetE1EEEvSK_
		.amdhsa_group_segment_fixed_size 0
		.amdhsa_private_segment_fixed_size 0
		.amdhsa_kernarg_size 56
		.amdhsa_user_sgpr_count 2
		.amdhsa_user_sgpr_dispatch_ptr 0
		.amdhsa_user_sgpr_queue_ptr 0
		.amdhsa_user_sgpr_kernarg_segment_ptr 1
		.amdhsa_user_sgpr_dispatch_id 0
		.amdhsa_user_sgpr_kernarg_preload_length 0
		.amdhsa_user_sgpr_kernarg_preload_offset 0
		.amdhsa_user_sgpr_private_segment_size 0
		.amdhsa_uses_dynamic_stack 0
		.amdhsa_enable_private_segment 0
		.amdhsa_system_sgpr_workgroup_id_x 1
		.amdhsa_system_sgpr_workgroup_id_y 0
		.amdhsa_system_sgpr_workgroup_id_z 0
		.amdhsa_system_sgpr_workgroup_info 0
		.amdhsa_system_vgpr_workitem_id 0
		.amdhsa_next_free_vgpr 1
		.amdhsa_next_free_sgpr 0
		.amdhsa_accum_offset 4
		.amdhsa_reserve_vcc 0
		.amdhsa_float_round_mode_32 0
		.amdhsa_float_round_mode_16_64 0
		.amdhsa_float_denorm_mode_32 3
		.amdhsa_float_denorm_mode_16_64 3
		.amdhsa_dx10_clamp 1
		.amdhsa_ieee_mode 1
		.amdhsa_fp16_overflow 0
		.amdhsa_tg_split 0
		.amdhsa_exception_fp_ieee_invalid_op 0
		.amdhsa_exception_fp_denorm_src 0
		.amdhsa_exception_fp_ieee_div_zero 0
		.amdhsa_exception_fp_ieee_overflow 0
		.amdhsa_exception_fp_ieee_underflow 0
		.amdhsa_exception_fp_ieee_inexact 0
		.amdhsa_exception_int_div_zero 0
	.end_amdhsa_kernel
	.section	.text._ZN7rocprim17ROCPRIM_400000_NS6detail17trampoline_kernelINS0_14default_configENS1_22reduce_config_selectorIyEEZNS1_11reduce_implILb1ES3_N6thrust23THRUST_200600_302600_NS6detail15normal_iteratorINS8_10device_ptrIyEEEEPffNS8_4plusIfEEEE10hipError_tPvRmT1_T2_T3_mT4_P12ihipStream_tbEUlT_E0_NS1_11comp_targetILNS1_3genE5ELNS1_11target_archE942ELNS1_3gpuE9ELNS1_3repE0EEENS1_30default_config_static_selectorELNS0_4arch9wavefront6targetE1EEEvSK_,"axG",@progbits,_ZN7rocprim17ROCPRIM_400000_NS6detail17trampoline_kernelINS0_14default_configENS1_22reduce_config_selectorIyEEZNS1_11reduce_implILb1ES3_N6thrust23THRUST_200600_302600_NS6detail15normal_iteratorINS8_10device_ptrIyEEEEPffNS8_4plusIfEEEE10hipError_tPvRmT1_T2_T3_mT4_P12ihipStream_tbEUlT_E0_NS1_11comp_targetILNS1_3genE5ELNS1_11target_archE942ELNS1_3gpuE9ELNS1_3repE0EEENS1_30default_config_static_selectorELNS0_4arch9wavefront6targetE1EEEvSK_,comdat
.Lfunc_end370:
	.size	_ZN7rocprim17ROCPRIM_400000_NS6detail17trampoline_kernelINS0_14default_configENS1_22reduce_config_selectorIyEEZNS1_11reduce_implILb1ES3_N6thrust23THRUST_200600_302600_NS6detail15normal_iteratorINS8_10device_ptrIyEEEEPffNS8_4plusIfEEEE10hipError_tPvRmT1_T2_T3_mT4_P12ihipStream_tbEUlT_E0_NS1_11comp_targetILNS1_3genE5ELNS1_11target_archE942ELNS1_3gpuE9ELNS1_3repE0EEENS1_30default_config_static_selectorELNS0_4arch9wavefront6targetE1EEEvSK_, .Lfunc_end370-_ZN7rocprim17ROCPRIM_400000_NS6detail17trampoline_kernelINS0_14default_configENS1_22reduce_config_selectorIyEEZNS1_11reduce_implILb1ES3_N6thrust23THRUST_200600_302600_NS6detail15normal_iteratorINS8_10device_ptrIyEEEEPffNS8_4plusIfEEEE10hipError_tPvRmT1_T2_T3_mT4_P12ihipStream_tbEUlT_E0_NS1_11comp_targetILNS1_3genE5ELNS1_11target_archE942ELNS1_3gpuE9ELNS1_3repE0EEENS1_30default_config_static_selectorELNS0_4arch9wavefront6targetE1EEEvSK_
                                        ; -- End function
	.set _ZN7rocprim17ROCPRIM_400000_NS6detail17trampoline_kernelINS0_14default_configENS1_22reduce_config_selectorIyEEZNS1_11reduce_implILb1ES3_N6thrust23THRUST_200600_302600_NS6detail15normal_iteratorINS8_10device_ptrIyEEEEPffNS8_4plusIfEEEE10hipError_tPvRmT1_T2_T3_mT4_P12ihipStream_tbEUlT_E0_NS1_11comp_targetILNS1_3genE5ELNS1_11target_archE942ELNS1_3gpuE9ELNS1_3repE0EEENS1_30default_config_static_selectorELNS0_4arch9wavefront6targetE1EEEvSK_.num_vgpr, 0
	.set _ZN7rocprim17ROCPRIM_400000_NS6detail17trampoline_kernelINS0_14default_configENS1_22reduce_config_selectorIyEEZNS1_11reduce_implILb1ES3_N6thrust23THRUST_200600_302600_NS6detail15normal_iteratorINS8_10device_ptrIyEEEEPffNS8_4plusIfEEEE10hipError_tPvRmT1_T2_T3_mT4_P12ihipStream_tbEUlT_E0_NS1_11comp_targetILNS1_3genE5ELNS1_11target_archE942ELNS1_3gpuE9ELNS1_3repE0EEENS1_30default_config_static_selectorELNS0_4arch9wavefront6targetE1EEEvSK_.num_agpr, 0
	.set _ZN7rocprim17ROCPRIM_400000_NS6detail17trampoline_kernelINS0_14default_configENS1_22reduce_config_selectorIyEEZNS1_11reduce_implILb1ES3_N6thrust23THRUST_200600_302600_NS6detail15normal_iteratorINS8_10device_ptrIyEEEEPffNS8_4plusIfEEEE10hipError_tPvRmT1_T2_T3_mT4_P12ihipStream_tbEUlT_E0_NS1_11comp_targetILNS1_3genE5ELNS1_11target_archE942ELNS1_3gpuE9ELNS1_3repE0EEENS1_30default_config_static_selectorELNS0_4arch9wavefront6targetE1EEEvSK_.numbered_sgpr, 0
	.set _ZN7rocprim17ROCPRIM_400000_NS6detail17trampoline_kernelINS0_14default_configENS1_22reduce_config_selectorIyEEZNS1_11reduce_implILb1ES3_N6thrust23THRUST_200600_302600_NS6detail15normal_iteratorINS8_10device_ptrIyEEEEPffNS8_4plusIfEEEE10hipError_tPvRmT1_T2_T3_mT4_P12ihipStream_tbEUlT_E0_NS1_11comp_targetILNS1_3genE5ELNS1_11target_archE942ELNS1_3gpuE9ELNS1_3repE0EEENS1_30default_config_static_selectorELNS0_4arch9wavefront6targetE1EEEvSK_.num_named_barrier, 0
	.set _ZN7rocprim17ROCPRIM_400000_NS6detail17trampoline_kernelINS0_14default_configENS1_22reduce_config_selectorIyEEZNS1_11reduce_implILb1ES3_N6thrust23THRUST_200600_302600_NS6detail15normal_iteratorINS8_10device_ptrIyEEEEPffNS8_4plusIfEEEE10hipError_tPvRmT1_T2_T3_mT4_P12ihipStream_tbEUlT_E0_NS1_11comp_targetILNS1_3genE5ELNS1_11target_archE942ELNS1_3gpuE9ELNS1_3repE0EEENS1_30default_config_static_selectorELNS0_4arch9wavefront6targetE1EEEvSK_.private_seg_size, 0
	.set _ZN7rocprim17ROCPRIM_400000_NS6detail17trampoline_kernelINS0_14default_configENS1_22reduce_config_selectorIyEEZNS1_11reduce_implILb1ES3_N6thrust23THRUST_200600_302600_NS6detail15normal_iteratorINS8_10device_ptrIyEEEEPffNS8_4plusIfEEEE10hipError_tPvRmT1_T2_T3_mT4_P12ihipStream_tbEUlT_E0_NS1_11comp_targetILNS1_3genE5ELNS1_11target_archE942ELNS1_3gpuE9ELNS1_3repE0EEENS1_30default_config_static_selectorELNS0_4arch9wavefront6targetE1EEEvSK_.uses_vcc, 0
	.set _ZN7rocprim17ROCPRIM_400000_NS6detail17trampoline_kernelINS0_14default_configENS1_22reduce_config_selectorIyEEZNS1_11reduce_implILb1ES3_N6thrust23THRUST_200600_302600_NS6detail15normal_iteratorINS8_10device_ptrIyEEEEPffNS8_4plusIfEEEE10hipError_tPvRmT1_T2_T3_mT4_P12ihipStream_tbEUlT_E0_NS1_11comp_targetILNS1_3genE5ELNS1_11target_archE942ELNS1_3gpuE9ELNS1_3repE0EEENS1_30default_config_static_selectorELNS0_4arch9wavefront6targetE1EEEvSK_.uses_flat_scratch, 0
	.set _ZN7rocprim17ROCPRIM_400000_NS6detail17trampoline_kernelINS0_14default_configENS1_22reduce_config_selectorIyEEZNS1_11reduce_implILb1ES3_N6thrust23THRUST_200600_302600_NS6detail15normal_iteratorINS8_10device_ptrIyEEEEPffNS8_4plusIfEEEE10hipError_tPvRmT1_T2_T3_mT4_P12ihipStream_tbEUlT_E0_NS1_11comp_targetILNS1_3genE5ELNS1_11target_archE942ELNS1_3gpuE9ELNS1_3repE0EEENS1_30default_config_static_selectorELNS0_4arch9wavefront6targetE1EEEvSK_.has_dyn_sized_stack, 0
	.set _ZN7rocprim17ROCPRIM_400000_NS6detail17trampoline_kernelINS0_14default_configENS1_22reduce_config_selectorIyEEZNS1_11reduce_implILb1ES3_N6thrust23THRUST_200600_302600_NS6detail15normal_iteratorINS8_10device_ptrIyEEEEPffNS8_4plusIfEEEE10hipError_tPvRmT1_T2_T3_mT4_P12ihipStream_tbEUlT_E0_NS1_11comp_targetILNS1_3genE5ELNS1_11target_archE942ELNS1_3gpuE9ELNS1_3repE0EEENS1_30default_config_static_selectorELNS0_4arch9wavefront6targetE1EEEvSK_.has_recursion, 0
	.set _ZN7rocprim17ROCPRIM_400000_NS6detail17trampoline_kernelINS0_14default_configENS1_22reduce_config_selectorIyEEZNS1_11reduce_implILb1ES3_N6thrust23THRUST_200600_302600_NS6detail15normal_iteratorINS8_10device_ptrIyEEEEPffNS8_4plusIfEEEE10hipError_tPvRmT1_T2_T3_mT4_P12ihipStream_tbEUlT_E0_NS1_11comp_targetILNS1_3genE5ELNS1_11target_archE942ELNS1_3gpuE9ELNS1_3repE0EEENS1_30default_config_static_selectorELNS0_4arch9wavefront6targetE1EEEvSK_.has_indirect_call, 0
	.section	.AMDGPU.csdata,"",@progbits
; Kernel info:
; codeLenInByte = 0
; TotalNumSgprs: 6
; NumVgprs: 0
; NumAgprs: 0
; TotalNumVgprs: 0
; ScratchSize: 0
; MemoryBound: 0
; FloatMode: 240
; IeeeMode: 1
; LDSByteSize: 0 bytes/workgroup (compile time only)
; SGPRBlocks: 0
; VGPRBlocks: 0
; NumSGPRsForWavesPerEU: 6
; NumVGPRsForWavesPerEU: 1
; AccumOffset: 4
; Occupancy: 8
; WaveLimiterHint : 0
; COMPUTE_PGM_RSRC2:SCRATCH_EN: 0
; COMPUTE_PGM_RSRC2:USER_SGPR: 2
; COMPUTE_PGM_RSRC2:TRAP_HANDLER: 0
; COMPUTE_PGM_RSRC2:TGID_X_EN: 1
; COMPUTE_PGM_RSRC2:TGID_Y_EN: 0
; COMPUTE_PGM_RSRC2:TGID_Z_EN: 0
; COMPUTE_PGM_RSRC2:TIDIG_COMP_CNT: 0
; COMPUTE_PGM_RSRC3_GFX90A:ACCUM_OFFSET: 0
; COMPUTE_PGM_RSRC3_GFX90A:TG_SPLIT: 0
	.section	.text._ZN7rocprim17ROCPRIM_400000_NS6detail17trampoline_kernelINS0_14default_configENS1_22reduce_config_selectorIyEEZNS1_11reduce_implILb1ES3_N6thrust23THRUST_200600_302600_NS6detail15normal_iteratorINS8_10device_ptrIyEEEEPffNS8_4plusIfEEEE10hipError_tPvRmT1_T2_T3_mT4_P12ihipStream_tbEUlT_E0_NS1_11comp_targetILNS1_3genE4ELNS1_11target_archE910ELNS1_3gpuE8ELNS1_3repE0EEENS1_30default_config_static_selectorELNS0_4arch9wavefront6targetE1EEEvSK_,"axG",@progbits,_ZN7rocprim17ROCPRIM_400000_NS6detail17trampoline_kernelINS0_14default_configENS1_22reduce_config_selectorIyEEZNS1_11reduce_implILb1ES3_N6thrust23THRUST_200600_302600_NS6detail15normal_iteratorINS8_10device_ptrIyEEEEPffNS8_4plusIfEEEE10hipError_tPvRmT1_T2_T3_mT4_P12ihipStream_tbEUlT_E0_NS1_11comp_targetILNS1_3genE4ELNS1_11target_archE910ELNS1_3gpuE8ELNS1_3repE0EEENS1_30default_config_static_selectorELNS0_4arch9wavefront6targetE1EEEvSK_,comdat
	.protected	_ZN7rocprim17ROCPRIM_400000_NS6detail17trampoline_kernelINS0_14default_configENS1_22reduce_config_selectorIyEEZNS1_11reduce_implILb1ES3_N6thrust23THRUST_200600_302600_NS6detail15normal_iteratorINS8_10device_ptrIyEEEEPffNS8_4plusIfEEEE10hipError_tPvRmT1_T2_T3_mT4_P12ihipStream_tbEUlT_E0_NS1_11comp_targetILNS1_3genE4ELNS1_11target_archE910ELNS1_3gpuE8ELNS1_3repE0EEENS1_30default_config_static_selectorELNS0_4arch9wavefront6targetE1EEEvSK_ ; -- Begin function _ZN7rocprim17ROCPRIM_400000_NS6detail17trampoline_kernelINS0_14default_configENS1_22reduce_config_selectorIyEEZNS1_11reduce_implILb1ES3_N6thrust23THRUST_200600_302600_NS6detail15normal_iteratorINS8_10device_ptrIyEEEEPffNS8_4plusIfEEEE10hipError_tPvRmT1_T2_T3_mT4_P12ihipStream_tbEUlT_E0_NS1_11comp_targetILNS1_3genE4ELNS1_11target_archE910ELNS1_3gpuE8ELNS1_3repE0EEENS1_30default_config_static_selectorELNS0_4arch9wavefront6targetE1EEEvSK_
	.globl	_ZN7rocprim17ROCPRIM_400000_NS6detail17trampoline_kernelINS0_14default_configENS1_22reduce_config_selectorIyEEZNS1_11reduce_implILb1ES3_N6thrust23THRUST_200600_302600_NS6detail15normal_iteratorINS8_10device_ptrIyEEEEPffNS8_4plusIfEEEE10hipError_tPvRmT1_T2_T3_mT4_P12ihipStream_tbEUlT_E0_NS1_11comp_targetILNS1_3genE4ELNS1_11target_archE910ELNS1_3gpuE8ELNS1_3repE0EEENS1_30default_config_static_selectorELNS0_4arch9wavefront6targetE1EEEvSK_
	.p2align	8
	.type	_ZN7rocprim17ROCPRIM_400000_NS6detail17trampoline_kernelINS0_14default_configENS1_22reduce_config_selectorIyEEZNS1_11reduce_implILb1ES3_N6thrust23THRUST_200600_302600_NS6detail15normal_iteratorINS8_10device_ptrIyEEEEPffNS8_4plusIfEEEE10hipError_tPvRmT1_T2_T3_mT4_P12ihipStream_tbEUlT_E0_NS1_11comp_targetILNS1_3genE4ELNS1_11target_archE910ELNS1_3gpuE8ELNS1_3repE0EEENS1_30default_config_static_selectorELNS0_4arch9wavefront6targetE1EEEvSK_,@function
_ZN7rocprim17ROCPRIM_400000_NS6detail17trampoline_kernelINS0_14default_configENS1_22reduce_config_selectorIyEEZNS1_11reduce_implILb1ES3_N6thrust23THRUST_200600_302600_NS6detail15normal_iteratorINS8_10device_ptrIyEEEEPffNS8_4plusIfEEEE10hipError_tPvRmT1_T2_T3_mT4_P12ihipStream_tbEUlT_E0_NS1_11comp_targetILNS1_3genE4ELNS1_11target_archE910ELNS1_3gpuE8ELNS1_3repE0EEENS1_30default_config_static_selectorELNS0_4arch9wavefront6targetE1EEEvSK_: ; @_ZN7rocprim17ROCPRIM_400000_NS6detail17trampoline_kernelINS0_14default_configENS1_22reduce_config_selectorIyEEZNS1_11reduce_implILb1ES3_N6thrust23THRUST_200600_302600_NS6detail15normal_iteratorINS8_10device_ptrIyEEEEPffNS8_4plusIfEEEE10hipError_tPvRmT1_T2_T3_mT4_P12ihipStream_tbEUlT_E0_NS1_11comp_targetILNS1_3genE4ELNS1_11target_archE910ELNS1_3gpuE8ELNS1_3repE0EEENS1_30default_config_static_selectorELNS0_4arch9wavefront6targetE1EEEvSK_
; %bb.0:
	.section	.rodata,"a",@progbits
	.p2align	6, 0x0
	.amdhsa_kernel _ZN7rocprim17ROCPRIM_400000_NS6detail17trampoline_kernelINS0_14default_configENS1_22reduce_config_selectorIyEEZNS1_11reduce_implILb1ES3_N6thrust23THRUST_200600_302600_NS6detail15normal_iteratorINS8_10device_ptrIyEEEEPffNS8_4plusIfEEEE10hipError_tPvRmT1_T2_T3_mT4_P12ihipStream_tbEUlT_E0_NS1_11comp_targetILNS1_3genE4ELNS1_11target_archE910ELNS1_3gpuE8ELNS1_3repE0EEENS1_30default_config_static_selectorELNS0_4arch9wavefront6targetE1EEEvSK_
		.amdhsa_group_segment_fixed_size 0
		.amdhsa_private_segment_fixed_size 0
		.amdhsa_kernarg_size 56
		.amdhsa_user_sgpr_count 2
		.amdhsa_user_sgpr_dispatch_ptr 0
		.amdhsa_user_sgpr_queue_ptr 0
		.amdhsa_user_sgpr_kernarg_segment_ptr 1
		.amdhsa_user_sgpr_dispatch_id 0
		.amdhsa_user_sgpr_kernarg_preload_length 0
		.amdhsa_user_sgpr_kernarg_preload_offset 0
		.amdhsa_user_sgpr_private_segment_size 0
		.amdhsa_uses_dynamic_stack 0
		.amdhsa_enable_private_segment 0
		.amdhsa_system_sgpr_workgroup_id_x 1
		.amdhsa_system_sgpr_workgroup_id_y 0
		.amdhsa_system_sgpr_workgroup_id_z 0
		.amdhsa_system_sgpr_workgroup_info 0
		.amdhsa_system_vgpr_workitem_id 0
		.amdhsa_next_free_vgpr 1
		.amdhsa_next_free_sgpr 0
		.amdhsa_accum_offset 4
		.amdhsa_reserve_vcc 0
		.amdhsa_float_round_mode_32 0
		.amdhsa_float_round_mode_16_64 0
		.amdhsa_float_denorm_mode_32 3
		.amdhsa_float_denorm_mode_16_64 3
		.amdhsa_dx10_clamp 1
		.amdhsa_ieee_mode 1
		.amdhsa_fp16_overflow 0
		.amdhsa_tg_split 0
		.amdhsa_exception_fp_ieee_invalid_op 0
		.amdhsa_exception_fp_denorm_src 0
		.amdhsa_exception_fp_ieee_div_zero 0
		.amdhsa_exception_fp_ieee_overflow 0
		.amdhsa_exception_fp_ieee_underflow 0
		.amdhsa_exception_fp_ieee_inexact 0
		.amdhsa_exception_int_div_zero 0
	.end_amdhsa_kernel
	.section	.text._ZN7rocprim17ROCPRIM_400000_NS6detail17trampoline_kernelINS0_14default_configENS1_22reduce_config_selectorIyEEZNS1_11reduce_implILb1ES3_N6thrust23THRUST_200600_302600_NS6detail15normal_iteratorINS8_10device_ptrIyEEEEPffNS8_4plusIfEEEE10hipError_tPvRmT1_T2_T3_mT4_P12ihipStream_tbEUlT_E0_NS1_11comp_targetILNS1_3genE4ELNS1_11target_archE910ELNS1_3gpuE8ELNS1_3repE0EEENS1_30default_config_static_selectorELNS0_4arch9wavefront6targetE1EEEvSK_,"axG",@progbits,_ZN7rocprim17ROCPRIM_400000_NS6detail17trampoline_kernelINS0_14default_configENS1_22reduce_config_selectorIyEEZNS1_11reduce_implILb1ES3_N6thrust23THRUST_200600_302600_NS6detail15normal_iteratorINS8_10device_ptrIyEEEEPffNS8_4plusIfEEEE10hipError_tPvRmT1_T2_T3_mT4_P12ihipStream_tbEUlT_E0_NS1_11comp_targetILNS1_3genE4ELNS1_11target_archE910ELNS1_3gpuE8ELNS1_3repE0EEENS1_30default_config_static_selectorELNS0_4arch9wavefront6targetE1EEEvSK_,comdat
.Lfunc_end371:
	.size	_ZN7rocprim17ROCPRIM_400000_NS6detail17trampoline_kernelINS0_14default_configENS1_22reduce_config_selectorIyEEZNS1_11reduce_implILb1ES3_N6thrust23THRUST_200600_302600_NS6detail15normal_iteratorINS8_10device_ptrIyEEEEPffNS8_4plusIfEEEE10hipError_tPvRmT1_T2_T3_mT4_P12ihipStream_tbEUlT_E0_NS1_11comp_targetILNS1_3genE4ELNS1_11target_archE910ELNS1_3gpuE8ELNS1_3repE0EEENS1_30default_config_static_selectorELNS0_4arch9wavefront6targetE1EEEvSK_, .Lfunc_end371-_ZN7rocprim17ROCPRIM_400000_NS6detail17trampoline_kernelINS0_14default_configENS1_22reduce_config_selectorIyEEZNS1_11reduce_implILb1ES3_N6thrust23THRUST_200600_302600_NS6detail15normal_iteratorINS8_10device_ptrIyEEEEPffNS8_4plusIfEEEE10hipError_tPvRmT1_T2_T3_mT4_P12ihipStream_tbEUlT_E0_NS1_11comp_targetILNS1_3genE4ELNS1_11target_archE910ELNS1_3gpuE8ELNS1_3repE0EEENS1_30default_config_static_selectorELNS0_4arch9wavefront6targetE1EEEvSK_
                                        ; -- End function
	.set _ZN7rocprim17ROCPRIM_400000_NS6detail17trampoline_kernelINS0_14default_configENS1_22reduce_config_selectorIyEEZNS1_11reduce_implILb1ES3_N6thrust23THRUST_200600_302600_NS6detail15normal_iteratorINS8_10device_ptrIyEEEEPffNS8_4plusIfEEEE10hipError_tPvRmT1_T2_T3_mT4_P12ihipStream_tbEUlT_E0_NS1_11comp_targetILNS1_3genE4ELNS1_11target_archE910ELNS1_3gpuE8ELNS1_3repE0EEENS1_30default_config_static_selectorELNS0_4arch9wavefront6targetE1EEEvSK_.num_vgpr, 0
	.set _ZN7rocprim17ROCPRIM_400000_NS6detail17trampoline_kernelINS0_14default_configENS1_22reduce_config_selectorIyEEZNS1_11reduce_implILb1ES3_N6thrust23THRUST_200600_302600_NS6detail15normal_iteratorINS8_10device_ptrIyEEEEPffNS8_4plusIfEEEE10hipError_tPvRmT1_T2_T3_mT4_P12ihipStream_tbEUlT_E0_NS1_11comp_targetILNS1_3genE4ELNS1_11target_archE910ELNS1_3gpuE8ELNS1_3repE0EEENS1_30default_config_static_selectorELNS0_4arch9wavefront6targetE1EEEvSK_.num_agpr, 0
	.set _ZN7rocprim17ROCPRIM_400000_NS6detail17trampoline_kernelINS0_14default_configENS1_22reduce_config_selectorIyEEZNS1_11reduce_implILb1ES3_N6thrust23THRUST_200600_302600_NS6detail15normal_iteratorINS8_10device_ptrIyEEEEPffNS8_4plusIfEEEE10hipError_tPvRmT1_T2_T3_mT4_P12ihipStream_tbEUlT_E0_NS1_11comp_targetILNS1_3genE4ELNS1_11target_archE910ELNS1_3gpuE8ELNS1_3repE0EEENS1_30default_config_static_selectorELNS0_4arch9wavefront6targetE1EEEvSK_.numbered_sgpr, 0
	.set _ZN7rocprim17ROCPRIM_400000_NS6detail17trampoline_kernelINS0_14default_configENS1_22reduce_config_selectorIyEEZNS1_11reduce_implILb1ES3_N6thrust23THRUST_200600_302600_NS6detail15normal_iteratorINS8_10device_ptrIyEEEEPffNS8_4plusIfEEEE10hipError_tPvRmT1_T2_T3_mT4_P12ihipStream_tbEUlT_E0_NS1_11comp_targetILNS1_3genE4ELNS1_11target_archE910ELNS1_3gpuE8ELNS1_3repE0EEENS1_30default_config_static_selectorELNS0_4arch9wavefront6targetE1EEEvSK_.num_named_barrier, 0
	.set _ZN7rocprim17ROCPRIM_400000_NS6detail17trampoline_kernelINS0_14default_configENS1_22reduce_config_selectorIyEEZNS1_11reduce_implILb1ES3_N6thrust23THRUST_200600_302600_NS6detail15normal_iteratorINS8_10device_ptrIyEEEEPffNS8_4plusIfEEEE10hipError_tPvRmT1_T2_T3_mT4_P12ihipStream_tbEUlT_E0_NS1_11comp_targetILNS1_3genE4ELNS1_11target_archE910ELNS1_3gpuE8ELNS1_3repE0EEENS1_30default_config_static_selectorELNS0_4arch9wavefront6targetE1EEEvSK_.private_seg_size, 0
	.set _ZN7rocprim17ROCPRIM_400000_NS6detail17trampoline_kernelINS0_14default_configENS1_22reduce_config_selectorIyEEZNS1_11reduce_implILb1ES3_N6thrust23THRUST_200600_302600_NS6detail15normal_iteratorINS8_10device_ptrIyEEEEPffNS8_4plusIfEEEE10hipError_tPvRmT1_T2_T3_mT4_P12ihipStream_tbEUlT_E0_NS1_11comp_targetILNS1_3genE4ELNS1_11target_archE910ELNS1_3gpuE8ELNS1_3repE0EEENS1_30default_config_static_selectorELNS0_4arch9wavefront6targetE1EEEvSK_.uses_vcc, 0
	.set _ZN7rocprim17ROCPRIM_400000_NS6detail17trampoline_kernelINS0_14default_configENS1_22reduce_config_selectorIyEEZNS1_11reduce_implILb1ES3_N6thrust23THRUST_200600_302600_NS6detail15normal_iteratorINS8_10device_ptrIyEEEEPffNS8_4plusIfEEEE10hipError_tPvRmT1_T2_T3_mT4_P12ihipStream_tbEUlT_E0_NS1_11comp_targetILNS1_3genE4ELNS1_11target_archE910ELNS1_3gpuE8ELNS1_3repE0EEENS1_30default_config_static_selectorELNS0_4arch9wavefront6targetE1EEEvSK_.uses_flat_scratch, 0
	.set _ZN7rocprim17ROCPRIM_400000_NS6detail17trampoline_kernelINS0_14default_configENS1_22reduce_config_selectorIyEEZNS1_11reduce_implILb1ES3_N6thrust23THRUST_200600_302600_NS6detail15normal_iteratorINS8_10device_ptrIyEEEEPffNS8_4plusIfEEEE10hipError_tPvRmT1_T2_T3_mT4_P12ihipStream_tbEUlT_E0_NS1_11comp_targetILNS1_3genE4ELNS1_11target_archE910ELNS1_3gpuE8ELNS1_3repE0EEENS1_30default_config_static_selectorELNS0_4arch9wavefront6targetE1EEEvSK_.has_dyn_sized_stack, 0
	.set _ZN7rocprim17ROCPRIM_400000_NS6detail17trampoline_kernelINS0_14default_configENS1_22reduce_config_selectorIyEEZNS1_11reduce_implILb1ES3_N6thrust23THRUST_200600_302600_NS6detail15normal_iteratorINS8_10device_ptrIyEEEEPffNS8_4plusIfEEEE10hipError_tPvRmT1_T2_T3_mT4_P12ihipStream_tbEUlT_E0_NS1_11comp_targetILNS1_3genE4ELNS1_11target_archE910ELNS1_3gpuE8ELNS1_3repE0EEENS1_30default_config_static_selectorELNS0_4arch9wavefront6targetE1EEEvSK_.has_recursion, 0
	.set _ZN7rocprim17ROCPRIM_400000_NS6detail17trampoline_kernelINS0_14default_configENS1_22reduce_config_selectorIyEEZNS1_11reduce_implILb1ES3_N6thrust23THRUST_200600_302600_NS6detail15normal_iteratorINS8_10device_ptrIyEEEEPffNS8_4plusIfEEEE10hipError_tPvRmT1_T2_T3_mT4_P12ihipStream_tbEUlT_E0_NS1_11comp_targetILNS1_3genE4ELNS1_11target_archE910ELNS1_3gpuE8ELNS1_3repE0EEENS1_30default_config_static_selectorELNS0_4arch9wavefront6targetE1EEEvSK_.has_indirect_call, 0
	.section	.AMDGPU.csdata,"",@progbits
; Kernel info:
; codeLenInByte = 0
; TotalNumSgprs: 6
; NumVgprs: 0
; NumAgprs: 0
; TotalNumVgprs: 0
; ScratchSize: 0
; MemoryBound: 0
; FloatMode: 240
; IeeeMode: 1
; LDSByteSize: 0 bytes/workgroup (compile time only)
; SGPRBlocks: 0
; VGPRBlocks: 0
; NumSGPRsForWavesPerEU: 6
; NumVGPRsForWavesPerEU: 1
; AccumOffset: 4
; Occupancy: 8
; WaveLimiterHint : 0
; COMPUTE_PGM_RSRC2:SCRATCH_EN: 0
; COMPUTE_PGM_RSRC2:USER_SGPR: 2
; COMPUTE_PGM_RSRC2:TRAP_HANDLER: 0
; COMPUTE_PGM_RSRC2:TGID_X_EN: 1
; COMPUTE_PGM_RSRC2:TGID_Y_EN: 0
; COMPUTE_PGM_RSRC2:TGID_Z_EN: 0
; COMPUTE_PGM_RSRC2:TIDIG_COMP_CNT: 0
; COMPUTE_PGM_RSRC3_GFX90A:ACCUM_OFFSET: 0
; COMPUTE_PGM_RSRC3_GFX90A:TG_SPLIT: 0
	.section	.text._ZN7rocprim17ROCPRIM_400000_NS6detail17trampoline_kernelINS0_14default_configENS1_22reduce_config_selectorIyEEZNS1_11reduce_implILb1ES3_N6thrust23THRUST_200600_302600_NS6detail15normal_iteratorINS8_10device_ptrIyEEEEPffNS8_4plusIfEEEE10hipError_tPvRmT1_T2_T3_mT4_P12ihipStream_tbEUlT_E0_NS1_11comp_targetILNS1_3genE3ELNS1_11target_archE908ELNS1_3gpuE7ELNS1_3repE0EEENS1_30default_config_static_selectorELNS0_4arch9wavefront6targetE1EEEvSK_,"axG",@progbits,_ZN7rocprim17ROCPRIM_400000_NS6detail17trampoline_kernelINS0_14default_configENS1_22reduce_config_selectorIyEEZNS1_11reduce_implILb1ES3_N6thrust23THRUST_200600_302600_NS6detail15normal_iteratorINS8_10device_ptrIyEEEEPffNS8_4plusIfEEEE10hipError_tPvRmT1_T2_T3_mT4_P12ihipStream_tbEUlT_E0_NS1_11comp_targetILNS1_3genE3ELNS1_11target_archE908ELNS1_3gpuE7ELNS1_3repE0EEENS1_30default_config_static_selectorELNS0_4arch9wavefront6targetE1EEEvSK_,comdat
	.protected	_ZN7rocprim17ROCPRIM_400000_NS6detail17trampoline_kernelINS0_14default_configENS1_22reduce_config_selectorIyEEZNS1_11reduce_implILb1ES3_N6thrust23THRUST_200600_302600_NS6detail15normal_iteratorINS8_10device_ptrIyEEEEPffNS8_4plusIfEEEE10hipError_tPvRmT1_T2_T3_mT4_P12ihipStream_tbEUlT_E0_NS1_11comp_targetILNS1_3genE3ELNS1_11target_archE908ELNS1_3gpuE7ELNS1_3repE0EEENS1_30default_config_static_selectorELNS0_4arch9wavefront6targetE1EEEvSK_ ; -- Begin function _ZN7rocprim17ROCPRIM_400000_NS6detail17trampoline_kernelINS0_14default_configENS1_22reduce_config_selectorIyEEZNS1_11reduce_implILb1ES3_N6thrust23THRUST_200600_302600_NS6detail15normal_iteratorINS8_10device_ptrIyEEEEPffNS8_4plusIfEEEE10hipError_tPvRmT1_T2_T3_mT4_P12ihipStream_tbEUlT_E0_NS1_11comp_targetILNS1_3genE3ELNS1_11target_archE908ELNS1_3gpuE7ELNS1_3repE0EEENS1_30default_config_static_selectorELNS0_4arch9wavefront6targetE1EEEvSK_
	.globl	_ZN7rocprim17ROCPRIM_400000_NS6detail17trampoline_kernelINS0_14default_configENS1_22reduce_config_selectorIyEEZNS1_11reduce_implILb1ES3_N6thrust23THRUST_200600_302600_NS6detail15normal_iteratorINS8_10device_ptrIyEEEEPffNS8_4plusIfEEEE10hipError_tPvRmT1_T2_T3_mT4_P12ihipStream_tbEUlT_E0_NS1_11comp_targetILNS1_3genE3ELNS1_11target_archE908ELNS1_3gpuE7ELNS1_3repE0EEENS1_30default_config_static_selectorELNS0_4arch9wavefront6targetE1EEEvSK_
	.p2align	8
	.type	_ZN7rocprim17ROCPRIM_400000_NS6detail17trampoline_kernelINS0_14default_configENS1_22reduce_config_selectorIyEEZNS1_11reduce_implILb1ES3_N6thrust23THRUST_200600_302600_NS6detail15normal_iteratorINS8_10device_ptrIyEEEEPffNS8_4plusIfEEEE10hipError_tPvRmT1_T2_T3_mT4_P12ihipStream_tbEUlT_E0_NS1_11comp_targetILNS1_3genE3ELNS1_11target_archE908ELNS1_3gpuE7ELNS1_3repE0EEENS1_30default_config_static_selectorELNS0_4arch9wavefront6targetE1EEEvSK_,@function
_ZN7rocprim17ROCPRIM_400000_NS6detail17trampoline_kernelINS0_14default_configENS1_22reduce_config_selectorIyEEZNS1_11reduce_implILb1ES3_N6thrust23THRUST_200600_302600_NS6detail15normal_iteratorINS8_10device_ptrIyEEEEPffNS8_4plusIfEEEE10hipError_tPvRmT1_T2_T3_mT4_P12ihipStream_tbEUlT_E0_NS1_11comp_targetILNS1_3genE3ELNS1_11target_archE908ELNS1_3gpuE7ELNS1_3repE0EEENS1_30default_config_static_selectorELNS0_4arch9wavefront6targetE1EEEvSK_: ; @_ZN7rocprim17ROCPRIM_400000_NS6detail17trampoline_kernelINS0_14default_configENS1_22reduce_config_selectorIyEEZNS1_11reduce_implILb1ES3_N6thrust23THRUST_200600_302600_NS6detail15normal_iteratorINS8_10device_ptrIyEEEEPffNS8_4plusIfEEEE10hipError_tPvRmT1_T2_T3_mT4_P12ihipStream_tbEUlT_E0_NS1_11comp_targetILNS1_3genE3ELNS1_11target_archE908ELNS1_3gpuE7ELNS1_3repE0EEENS1_30default_config_static_selectorELNS0_4arch9wavefront6targetE1EEEvSK_
; %bb.0:
	.section	.rodata,"a",@progbits
	.p2align	6, 0x0
	.amdhsa_kernel _ZN7rocprim17ROCPRIM_400000_NS6detail17trampoline_kernelINS0_14default_configENS1_22reduce_config_selectorIyEEZNS1_11reduce_implILb1ES3_N6thrust23THRUST_200600_302600_NS6detail15normal_iteratorINS8_10device_ptrIyEEEEPffNS8_4plusIfEEEE10hipError_tPvRmT1_T2_T3_mT4_P12ihipStream_tbEUlT_E0_NS1_11comp_targetILNS1_3genE3ELNS1_11target_archE908ELNS1_3gpuE7ELNS1_3repE0EEENS1_30default_config_static_selectorELNS0_4arch9wavefront6targetE1EEEvSK_
		.amdhsa_group_segment_fixed_size 0
		.amdhsa_private_segment_fixed_size 0
		.amdhsa_kernarg_size 56
		.amdhsa_user_sgpr_count 2
		.amdhsa_user_sgpr_dispatch_ptr 0
		.amdhsa_user_sgpr_queue_ptr 0
		.amdhsa_user_sgpr_kernarg_segment_ptr 1
		.amdhsa_user_sgpr_dispatch_id 0
		.amdhsa_user_sgpr_kernarg_preload_length 0
		.amdhsa_user_sgpr_kernarg_preload_offset 0
		.amdhsa_user_sgpr_private_segment_size 0
		.amdhsa_uses_dynamic_stack 0
		.amdhsa_enable_private_segment 0
		.amdhsa_system_sgpr_workgroup_id_x 1
		.amdhsa_system_sgpr_workgroup_id_y 0
		.amdhsa_system_sgpr_workgroup_id_z 0
		.amdhsa_system_sgpr_workgroup_info 0
		.amdhsa_system_vgpr_workitem_id 0
		.amdhsa_next_free_vgpr 1
		.amdhsa_next_free_sgpr 0
		.amdhsa_accum_offset 4
		.amdhsa_reserve_vcc 0
		.amdhsa_float_round_mode_32 0
		.amdhsa_float_round_mode_16_64 0
		.amdhsa_float_denorm_mode_32 3
		.amdhsa_float_denorm_mode_16_64 3
		.amdhsa_dx10_clamp 1
		.amdhsa_ieee_mode 1
		.amdhsa_fp16_overflow 0
		.amdhsa_tg_split 0
		.amdhsa_exception_fp_ieee_invalid_op 0
		.amdhsa_exception_fp_denorm_src 0
		.amdhsa_exception_fp_ieee_div_zero 0
		.amdhsa_exception_fp_ieee_overflow 0
		.amdhsa_exception_fp_ieee_underflow 0
		.amdhsa_exception_fp_ieee_inexact 0
		.amdhsa_exception_int_div_zero 0
	.end_amdhsa_kernel
	.section	.text._ZN7rocprim17ROCPRIM_400000_NS6detail17trampoline_kernelINS0_14default_configENS1_22reduce_config_selectorIyEEZNS1_11reduce_implILb1ES3_N6thrust23THRUST_200600_302600_NS6detail15normal_iteratorINS8_10device_ptrIyEEEEPffNS8_4plusIfEEEE10hipError_tPvRmT1_T2_T3_mT4_P12ihipStream_tbEUlT_E0_NS1_11comp_targetILNS1_3genE3ELNS1_11target_archE908ELNS1_3gpuE7ELNS1_3repE0EEENS1_30default_config_static_selectorELNS0_4arch9wavefront6targetE1EEEvSK_,"axG",@progbits,_ZN7rocprim17ROCPRIM_400000_NS6detail17trampoline_kernelINS0_14default_configENS1_22reduce_config_selectorIyEEZNS1_11reduce_implILb1ES3_N6thrust23THRUST_200600_302600_NS6detail15normal_iteratorINS8_10device_ptrIyEEEEPffNS8_4plusIfEEEE10hipError_tPvRmT1_T2_T3_mT4_P12ihipStream_tbEUlT_E0_NS1_11comp_targetILNS1_3genE3ELNS1_11target_archE908ELNS1_3gpuE7ELNS1_3repE0EEENS1_30default_config_static_selectorELNS0_4arch9wavefront6targetE1EEEvSK_,comdat
.Lfunc_end372:
	.size	_ZN7rocprim17ROCPRIM_400000_NS6detail17trampoline_kernelINS0_14default_configENS1_22reduce_config_selectorIyEEZNS1_11reduce_implILb1ES3_N6thrust23THRUST_200600_302600_NS6detail15normal_iteratorINS8_10device_ptrIyEEEEPffNS8_4plusIfEEEE10hipError_tPvRmT1_T2_T3_mT4_P12ihipStream_tbEUlT_E0_NS1_11comp_targetILNS1_3genE3ELNS1_11target_archE908ELNS1_3gpuE7ELNS1_3repE0EEENS1_30default_config_static_selectorELNS0_4arch9wavefront6targetE1EEEvSK_, .Lfunc_end372-_ZN7rocprim17ROCPRIM_400000_NS6detail17trampoline_kernelINS0_14default_configENS1_22reduce_config_selectorIyEEZNS1_11reduce_implILb1ES3_N6thrust23THRUST_200600_302600_NS6detail15normal_iteratorINS8_10device_ptrIyEEEEPffNS8_4plusIfEEEE10hipError_tPvRmT1_T2_T3_mT4_P12ihipStream_tbEUlT_E0_NS1_11comp_targetILNS1_3genE3ELNS1_11target_archE908ELNS1_3gpuE7ELNS1_3repE0EEENS1_30default_config_static_selectorELNS0_4arch9wavefront6targetE1EEEvSK_
                                        ; -- End function
	.set _ZN7rocprim17ROCPRIM_400000_NS6detail17trampoline_kernelINS0_14default_configENS1_22reduce_config_selectorIyEEZNS1_11reduce_implILb1ES3_N6thrust23THRUST_200600_302600_NS6detail15normal_iteratorINS8_10device_ptrIyEEEEPffNS8_4plusIfEEEE10hipError_tPvRmT1_T2_T3_mT4_P12ihipStream_tbEUlT_E0_NS1_11comp_targetILNS1_3genE3ELNS1_11target_archE908ELNS1_3gpuE7ELNS1_3repE0EEENS1_30default_config_static_selectorELNS0_4arch9wavefront6targetE1EEEvSK_.num_vgpr, 0
	.set _ZN7rocprim17ROCPRIM_400000_NS6detail17trampoline_kernelINS0_14default_configENS1_22reduce_config_selectorIyEEZNS1_11reduce_implILb1ES3_N6thrust23THRUST_200600_302600_NS6detail15normal_iteratorINS8_10device_ptrIyEEEEPffNS8_4plusIfEEEE10hipError_tPvRmT1_T2_T3_mT4_P12ihipStream_tbEUlT_E0_NS1_11comp_targetILNS1_3genE3ELNS1_11target_archE908ELNS1_3gpuE7ELNS1_3repE0EEENS1_30default_config_static_selectorELNS0_4arch9wavefront6targetE1EEEvSK_.num_agpr, 0
	.set _ZN7rocprim17ROCPRIM_400000_NS6detail17trampoline_kernelINS0_14default_configENS1_22reduce_config_selectorIyEEZNS1_11reduce_implILb1ES3_N6thrust23THRUST_200600_302600_NS6detail15normal_iteratorINS8_10device_ptrIyEEEEPffNS8_4plusIfEEEE10hipError_tPvRmT1_T2_T3_mT4_P12ihipStream_tbEUlT_E0_NS1_11comp_targetILNS1_3genE3ELNS1_11target_archE908ELNS1_3gpuE7ELNS1_3repE0EEENS1_30default_config_static_selectorELNS0_4arch9wavefront6targetE1EEEvSK_.numbered_sgpr, 0
	.set _ZN7rocprim17ROCPRIM_400000_NS6detail17trampoline_kernelINS0_14default_configENS1_22reduce_config_selectorIyEEZNS1_11reduce_implILb1ES3_N6thrust23THRUST_200600_302600_NS6detail15normal_iteratorINS8_10device_ptrIyEEEEPffNS8_4plusIfEEEE10hipError_tPvRmT1_T2_T3_mT4_P12ihipStream_tbEUlT_E0_NS1_11comp_targetILNS1_3genE3ELNS1_11target_archE908ELNS1_3gpuE7ELNS1_3repE0EEENS1_30default_config_static_selectorELNS0_4arch9wavefront6targetE1EEEvSK_.num_named_barrier, 0
	.set _ZN7rocprim17ROCPRIM_400000_NS6detail17trampoline_kernelINS0_14default_configENS1_22reduce_config_selectorIyEEZNS1_11reduce_implILb1ES3_N6thrust23THRUST_200600_302600_NS6detail15normal_iteratorINS8_10device_ptrIyEEEEPffNS8_4plusIfEEEE10hipError_tPvRmT1_T2_T3_mT4_P12ihipStream_tbEUlT_E0_NS1_11comp_targetILNS1_3genE3ELNS1_11target_archE908ELNS1_3gpuE7ELNS1_3repE0EEENS1_30default_config_static_selectorELNS0_4arch9wavefront6targetE1EEEvSK_.private_seg_size, 0
	.set _ZN7rocprim17ROCPRIM_400000_NS6detail17trampoline_kernelINS0_14default_configENS1_22reduce_config_selectorIyEEZNS1_11reduce_implILb1ES3_N6thrust23THRUST_200600_302600_NS6detail15normal_iteratorINS8_10device_ptrIyEEEEPffNS8_4plusIfEEEE10hipError_tPvRmT1_T2_T3_mT4_P12ihipStream_tbEUlT_E0_NS1_11comp_targetILNS1_3genE3ELNS1_11target_archE908ELNS1_3gpuE7ELNS1_3repE0EEENS1_30default_config_static_selectorELNS0_4arch9wavefront6targetE1EEEvSK_.uses_vcc, 0
	.set _ZN7rocprim17ROCPRIM_400000_NS6detail17trampoline_kernelINS0_14default_configENS1_22reduce_config_selectorIyEEZNS1_11reduce_implILb1ES3_N6thrust23THRUST_200600_302600_NS6detail15normal_iteratorINS8_10device_ptrIyEEEEPffNS8_4plusIfEEEE10hipError_tPvRmT1_T2_T3_mT4_P12ihipStream_tbEUlT_E0_NS1_11comp_targetILNS1_3genE3ELNS1_11target_archE908ELNS1_3gpuE7ELNS1_3repE0EEENS1_30default_config_static_selectorELNS0_4arch9wavefront6targetE1EEEvSK_.uses_flat_scratch, 0
	.set _ZN7rocprim17ROCPRIM_400000_NS6detail17trampoline_kernelINS0_14default_configENS1_22reduce_config_selectorIyEEZNS1_11reduce_implILb1ES3_N6thrust23THRUST_200600_302600_NS6detail15normal_iteratorINS8_10device_ptrIyEEEEPffNS8_4plusIfEEEE10hipError_tPvRmT1_T2_T3_mT4_P12ihipStream_tbEUlT_E0_NS1_11comp_targetILNS1_3genE3ELNS1_11target_archE908ELNS1_3gpuE7ELNS1_3repE0EEENS1_30default_config_static_selectorELNS0_4arch9wavefront6targetE1EEEvSK_.has_dyn_sized_stack, 0
	.set _ZN7rocprim17ROCPRIM_400000_NS6detail17trampoline_kernelINS0_14default_configENS1_22reduce_config_selectorIyEEZNS1_11reduce_implILb1ES3_N6thrust23THRUST_200600_302600_NS6detail15normal_iteratorINS8_10device_ptrIyEEEEPffNS8_4plusIfEEEE10hipError_tPvRmT1_T2_T3_mT4_P12ihipStream_tbEUlT_E0_NS1_11comp_targetILNS1_3genE3ELNS1_11target_archE908ELNS1_3gpuE7ELNS1_3repE0EEENS1_30default_config_static_selectorELNS0_4arch9wavefront6targetE1EEEvSK_.has_recursion, 0
	.set _ZN7rocprim17ROCPRIM_400000_NS6detail17trampoline_kernelINS0_14default_configENS1_22reduce_config_selectorIyEEZNS1_11reduce_implILb1ES3_N6thrust23THRUST_200600_302600_NS6detail15normal_iteratorINS8_10device_ptrIyEEEEPffNS8_4plusIfEEEE10hipError_tPvRmT1_T2_T3_mT4_P12ihipStream_tbEUlT_E0_NS1_11comp_targetILNS1_3genE3ELNS1_11target_archE908ELNS1_3gpuE7ELNS1_3repE0EEENS1_30default_config_static_selectorELNS0_4arch9wavefront6targetE1EEEvSK_.has_indirect_call, 0
	.section	.AMDGPU.csdata,"",@progbits
; Kernel info:
; codeLenInByte = 0
; TotalNumSgprs: 6
; NumVgprs: 0
; NumAgprs: 0
; TotalNumVgprs: 0
; ScratchSize: 0
; MemoryBound: 0
; FloatMode: 240
; IeeeMode: 1
; LDSByteSize: 0 bytes/workgroup (compile time only)
; SGPRBlocks: 0
; VGPRBlocks: 0
; NumSGPRsForWavesPerEU: 6
; NumVGPRsForWavesPerEU: 1
; AccumOffset: 4
; Occupancy: 8
; WaveLimiterHint : 0
; COMPUTE_PGM_RSRC2:SCRATCH_EN: 0
; COMPUTE_PGM_RSRC2:USER_SGPR: 2
; COMPUTE_PGM_RSRC2:TRAP_HANDLER: 0
; COMPUTE_PGM_RSRC2:TGID_X_EN: 1
; COMPUTE_PGM_RSRC2:TGID_Y_EN: 0
; COMPUTE_PGM_RSRC2:TGID_Z_EN: 0
; COMPUTE_PGM_RSRC2:TIDIG_COMP_CNT: 0
; COMPUTE_PGM_RSRC3_GFX90A:ACCUM_OFFSET: 0
; COMPUTE_PGM_RSRC3_GFX90A:TG_SPLIT: 0
	.section	.text._ZN7rocprim17ROCPRIM_400000_NS6detail17trampoline_kernelINS0_14default_configENS1_22reduce_config_selectorIyEEZNS1_11reduce_implILb1ES3_N6thrust23THRUST_200600_302600_NS6detail15normal_iteratorINS8_10device_ptrIyEEEEPffNS8_4plusIfEEEE10hipError_tPvRmT1_T2_T3_mT4_P12ihipStream_tbEUlT_E0_NS1_11comp_targetILNS1_3genE2ELNS1_11target_archE906ELNS1_3gpuE6ELNS1_3repE0EEENS1_30default_config_static_selectorELNS0_4arch9wavefront6targetE1EEEvSK_,"axG",@progbits,_ZN7rocprim17ROCPRIM_400000_NS6detail17trampoline_kernelINS0_14default_configENS1_22reduce_config_selectorIyEEZNS1_11reduce_implILb1ES3_N6thrust23THRUST_200600_302600_NS6detail15normal_iteratorINS8_10device_ptrIyEEEEPffNS8_4plusIfEEEE10hipError_tPvRmT1_T2_T3_mT4_P12ihipStream_tbEUlT_E0_NS1_11comp_targetILNS1_3genE2ELNS1_11target_archE906ELNS1_3gpuE6ELNS1_3repE0EEENS1_30default_config_static_selectorELNS0_4arch9wavefront6targetE1EEEvSK_,comdat
	.protected	_ZN7rocprim17ROCPRIM_400000_NS6detail17trampoline_kernelINS0_14default_configENS1_22reduce_config_selectorIyEEZNS1_11reduce_implILb1ES3_N6thrust23THRUST_200600_302600_NS6detail15normal_iteratorINS8_10device_ptrIyEEEEPffNS8_4plusIfEEEE10hipError_tPvRmT1_T2_T3_mT4_P12ihipStream_tbEUlT_E0_NS1_11comp_targetILNS1_3genE2ELNS1_11target_archE906ELNS1_3gpuE6ELNS1_3repE0EEENS1_30default_config_static_selectorELNS0_4arch9wavefront6targetE1EEEvSK_ ; -- Begin function _ZN7rocprim17ROCPRIM_400000_NS6detail17trampoline_kernelINS0_14default_configENS1_22reduce_config_selectorIyEEZNS1_11reduce_implILb1ES3_N6thrust23THRUST_200600_302600_NS6detail15normal_iteratorINS8_10device_ptrIyEEEEPffNS8_4plusIfEEEE10hipError_tPvRmT1_T2_T3_mT4_P12ihipStream_tbEUlT_E0_NS1_11comp_targetILNS1_3genE2ELNS1_11target_archE906ELNS1_3gpuE6ELNS1_3repE0EEENS1_30default_config_static_selectorELNS0_4arch9wavefront6targetE1EEEvSK_
	.globl	_ZN7rocprim17ROCPRIM_400000_NS6detail17trampoline_kernelINS0_14default_configENS1_22reduce_config_selectorIyEEZNS1_11reduce_implILb1ES3_N6thrust23THRUST_200600_302600_NS6detail15normal_iteratorINS8_10device_ptrIyEEEEPffNS8_4plusIfEEEE10hipError_tPvRmT1_T2_T3_mT4_P12ihipStream_tbEUlT_E0_NS1_11comp_targetILNS1_3genE2ELNS1_11target_archE906ELNS1_3gpuE6ELNS1_3repE0EEENS1_30default_config_static_selectorELNS0_4arch9wavefront6targetE1EEEvSK_
	.p2align	8
	.type	_ZN7rocprim17ROCPRIM_400000_NS6detail17trampoline_kernelINS0_14default_configENS1_22reduce_config_selectorIyEEZNS1_11reduce_implILb1ES3_N6thrust23THRUST_200600_302600_NS6detail15normal_iteratorINS8_10device_ptrIyEEEEPffNS8_4plusIfEEEE10hipError_tPvRmT1_T2_T3_mT4_P12ihipStream_tbEUlT_E0_NS1_11comp_targetILNS1_3genE2ELNS1_11target_archE906ELNS1_3gpuE6ELNS1_3repE0EEENS1_30default_config_static_selectorELNS0_4arch9wavefront6targetE1EEEvSK_,@function
_ZN7rocprim17ROCPRIM_400000_NS6detail17trampoline_kernelINS0_14default_configENS1_22reduce_config_selectorIyEEZNS1_11reduce_implILb1ES3_N6thrust23THRUST_200600_302600_NS6detail15normal_iteratorINS8_10device_ptrIyEEEEPffNS8_4plusIfEEEE10hipError_tPvRmT1_T2_T3_mT4_P12ihipStream_tbEUlT_E0_NS1_11comp_targetILNS1_3genE2ELNS1_11target_archE906ELNS1_3gpuE6ELNS1_3repE0EEENS1_30default_config_static_selectorELNS0_4arch9wavefront6targetE1EEEvSK_: ; @_ZN7rocprim17ROCPRIM_400000_NS6detail17trampoline_kernelINS0_14default_configENS1_22reduce_config_selectorIyEEZNS1_11reduce_implILb1ES3_N6thrust23THRUST_200600_302600_NS6detail15normal_iteratorINS8_10device_ptrIyEEEEPffNS8_4plusIfEEEE10hipError_tPvRmT1_T2_T3_mT4_P12ihipStream_tbEUlT_E0_NS1_11comp_targetILNS1_3genE2ELNS1_11target_archE906ELNS1_3gpuE6ELNS1_3repE0EEENS1_30default_config_static_selectorELNS0_4arch9wavefront6targetE1EEEvSK_
; %bb.0:
	.section	.rodata,"a",@progbits
	.p2align	6, 0x0
	.amdhsa_kernel _ZN7rocprim17ROCPRIM_400000_NS6detail17trampoline_kernelINS0_14default_configENS1_22reduce_config_selectorIyEEZNS1_11reduce_implILb1ES3_N6thrust23THRUST_200600_302600_NS6detail15normal_iteratorINS8_10device_ptrIyEEEEPffNS8_4plusIfEEEE10hipError_tPvRmT1_T2_T3_mT4_P12ihipStream_tbEUlT_E0_NS1_11comp_targetILNS1_3genE2ELNS1_11target_archE906ELNS1_3gpuE6ELNS1_3repE0EEENS1_30default_config_static_selectorELNS0_4arch9wavefront6targetE1EEEvSK_
		.amdhsa_group_segment_fixed_size 0
		.amdhsa_private_segment_fixed_size 0
		.amdhsa_kernarg_size 56
		.amdhsa_user_sgpr_count 2
		.amdhsa_user_sgpr_dispatch_ptr 0
		.amdhsa_user_sgpr_queue_ptr 0
		.amdhsa_user_sgpr_kernarg_segment_ptr 1
		.amdhsa_user_sgpr_dispatch_id 0
		.amdhsa_user_sgpr_kernarg_preload_length 0
		.amdhsa_user_sgpr_kernarg_preload_offset 0
		.amdhsa_user_sgpr_private_segment_size 0
		.amdhsa_uses_dynamic_stack 0
		.amdhsa_enable_private_segment 0
		.amdhsa_system_sgpr_workgroup_id_x 1
		.amdhsa_system_sgpr_workgroup_id_y 0
		.amdhsa_system_sgpr_workgroup_id_z 0
		.amdhsa_system_sgpr_workgroup_info 0
		.amdhsa_system_vgpr_workitem_id 0
		.amdhsa_next_free_vgpr 1
		.amdhsa_next_free_sgpr 0
		.amdhsa_accum_offset 4
		.amdhsa_reserve_vcc 0
		.amdhsa_float_round_mode_32 0
		.amdhsa_float_round_mode_16_64 0
		.amdhsa_float_denorm_mode_32 3
		.amdhsa_float_denorm_mode_16_64 3
		.amdhsa_dx10_clamp 1
		.amdhsa_ieee_mode 1
		.amdhsa_fp16_overflow 0
		.amdhsa_tg_split 0
		.amdhsa_exception_fp_ieee_invalid_op 0
		.amdhsa_exception_fp_denorm_src 0
		.amdhsa_exception_fp_ieee_div_zero 0
		.amdhsa_exception_fp_ieee_overflow 0
		.amdhsa_exception_fp_ieee_underflow 0
		.amdhsa_exception_fp_ieee_inexact 0
		.amdhsa_exception_int_div_zero 0
	.end_amdhsa_kernel
	.section	.text._ZN7rocprim17ROCPRIM_400000_NS6detail17trampoline_kernelINS0_14default_configENS1_22reduce_config_selectorIyEEZNS1_11reduce_implILb1ES3_N6thrust23THRUST_200600_302600_NS6detail15normal_iteratorINS8_10device_ptrIyEEEEPffNS8_4plusIfEEEE10hipError_tPvRmT1_T2_T3_mT4_P12ihipStream_tbEUlT_E0_NS1_11comp_targetILNS1_3genE2ELNS1_11target_archE906ELNS1_3gpuE6ELNS1_3repE0EEENS1_30default_config_static_selectorELNS0_4arch9wavefront6targetE1EEEvSK_,"axG",@progbits,_ZN7rocprim17ROCPRIM_400000_NS6detail17trampoline_kernelINS0_14default_configENS1_22reduce_config_selectorIyEEZNS1_11reduce_implILb1ES3_N6thrust23THRUST_200600_302600_NS6detail15normal_iteratorINS8_10device_ptrIyEEEEPffNS8_4plusIfEEEE10hipError_tPvRmT1_T2_T3_mT4_P12ihipStream_tbEUlT_E0_NS1_11comp_targetILNS1_3genE2ELNS1_11target_archE906ELNS1_3gpuE6ELNS1_3repE0EEENS1_30default_config_static_selectorELNS0_4arch9wavefront6targetE1EEEvSK_,comdat
.Lfunc_end373:
	.size	_ZN7rocprim17ROCPRIM_400000_NS6detail17trampoline_kernelINS0_14default_configENS1_22reduce_config_selectorIyEEZNS1_11reduce_implILb1ES3_N6thrust23THRUST_200600_302600_NS6detail15normal_iteratorINS8_10device_ptrIyEEEEPffNS8_4plusIfEEEE10hipError_tPvRmT1_T2_T3_mT4_P12ihipStream_tbEUlT_E0_NS1_11comp_targetILNS1_3genE2ELNS1_11target_archE906ELNS1_3gpuE6ELNS1_3repE0EEENS1_30default_config_static_selectorELNS0_4arch9wavefront6targetE1EEEvSK_, .Lfunc_end373-_ZN7rocprim17ROCPRIM_400000_NS6detail17trampoline_kernelINS0_14default_configENS1_22reduce_config_selectorIyEEZNS1_11reduce_implILb1ES3_N6thrust23THRUST_200600_302600_NS6detail15normal_iteratorINS8_10device_ptrIyEEEEPffNS8_4plusIfEEEE10hipError_tPvRmT1_T2_T3_mT4_P12ihipStream_tbEUlT_E0_NS1_11comp_targetILNS1_3genE2ELNS1_11target_archE906ELNS1_3gpuE6ELNS1_3repE0EEENS1_30default_config_static_selectorELNS0_4arch9wavefront6targetE1EEEvSK_
                                        ; -- End function
	.set _ZN7rocprim17ROCPRIM_400000_NS6detail17trampoline_kernelINS0_14default_configENS1_22reduce_config_selectorIyEEZNS1_11reduce_implILb1ES3_N6thrust23THRUST_200600_302600_NS6detail15normal_iteratorINS8_10device_ptrIyEEEEPffNS8_4plusIfEEEE10hipError_tPvRmT1_T2_T3_mT4_P12ihipStream_tbEUlT_E0_NS1_11comp_targetILNS1_3genE2ELNS1_11target_archE906ELNS1_3gpuE6ELNS1_3repE0EEENS1_30default_config_static_selectorELNS0_4arch9wavefront6targetE1EEEvSK_.num_vgpr, 0
	.set _ZN7rocprim17ROCPRIM_400000_NS6detail17trampoline_kernelINS0_14default_configENS1_22reduce_config_selectorIyEEZNS1_11reduce_implILb1ES3_N6thrust23THRUST_200600_302600_NS6detail15normal_iteratorINS8_10device_ptrIyEEEEPffNS8_4plusIfEEEE10hipError_tPvRmT1_T2_T3_mT4_P12ihipStream_tbEUlT_E0_NS1_11comp_targetILNS1_3genE2ELNS1_11target_archE906ELNS1_3gpuE6ELNS1_3repE0EEENS1_30default_config_static_selectorELNS0_4arch9wavefront6targetE1EEEvSK_.num_agpr, 0
	.set _ZN7rocprim17ROCPRIM_400000_NS6detail17trampoline_kernelINS0_14default_configENS1_22reduce_config_selectorIyEEZNS1_11reduce_implILb1ES3_N6thrust23THRUST_200600_302600_NS6detail15normal_iteratorINS8_10device_ptrIyEEEEPffNS8_4plusIfEEEE10hipError_tPvRmT1_T2_T3_mT4_P12ihipStream_tbEUlT_E0_NS1_11comp_targetILNS1_3genE2ELNS1_11target_archE906ELNS1_3gpuE6ELNS1_3repE0EEENS1_30default_config_static_selectorELNS0_4arch9wavefront6targetE1EEEvSK_.numbered_sgpr, 0
	.set _ZN7rocprim17ROCPRIM_400000_NS6detail17trampoline_kernelINS0_14default_configENS1_22reduce_config_selectorIyEEZNS1_11reduce_implILb1ES3_N6thrust23THRUST_200600_302600_NS6detail15normal_iteratorINS8_10device_ptrIyEEEEPffNS8_4plusIfEEEE10hipError_tPvRmT1_T2_T3_mT4_P12ihipStream_tbEUlT_E0_NS1_11comp_targetILNS1_3genE2ELNS1_11target_archE906ELNS1_3gpuE6ELNS1_3repE0EEENS1_30default_config_static_selectorELNS0_4arch9wavefront6targetE1EEEvSK_.num_named_barrier, 0
	.set _ZN7rocprim17ROCPRIM_400000_NS6detail17trampoline_kernelINS0_14default_configENS1_22reduce_config_selectorIyEEZNS1_11reduce_implILb1ES3_N6thrust23THRUST_200600_302600_NS6detail15normal_iteratorINS8_10device_ptrIyEEEEPffNS8_4plusIfEEEE10hipError_tPvRmT1_T2_T3_mT4_P12ihipStream_tbEUlT_E0_NS1_11comp_targetILNS1_3genE2ELNS1_11target_archE906ELNS1_3gpuE6ELNS1_3repE0EEENS1_30default_config_static_selectorELNS0_4arch9wavefront6targetE1EEEvSK_.private_seg_size, 0
	.set _ZN7rocprim17ROCPRIM_400000_NS6detail17trampoline_kernelINS0_14default_configENS1_22reduce_config_selectorIyEEZNS1_11reduce_implILb1ES3_N6thrust23THRUST_200600_302600_NS6detail15normal_iteratorINS8_10device_ptrIyEEEEPffNS8_4plusIfEEEE10hipError_tPvRmT1_T2_T3_mT4_P12ihipStream_tbEUlT_E0_NS1_11comp_targetILNS1_3genE2ELNS1_11target_archE906ELNS1_3gpuE6ELNS1_3repE0EEENS1_30default_config_static_selectorELNS0_4arch9wavefront6targetE1EEEvSK_.uses_vcc, 0
	.set _ZN7rocprim17ROCPRIM_400000_NS6detail17trampoline_kernelINS0_14default_configENS1_22reduce_config_selectorIyEEZNS1_11reduce_implILb1ES3_N6thrust23THRUST_200600_302600_NS6detail15normal_iteratorINS8_10device_ptrIyEEEEPffNS8_4plusIfEEEE10hipError_tPvRmT1_T2_T3_mT4_P12ihipStream_tbEUlT_E0_NS1_11comp_targetILNS1_3genE2ELNS1_11target_archE906ELNS1_3gpuE6ELNS1_3repE0EEENS1_30default_config_static_selectorELNS0_4arch9wavefront6targetE1EEEvSK_.uses_flat_scratch, 0
	.set _ZN7rocprim17ROCPRIM_400000_NS6detail17trampoline_kernelINS0_14default_configENS1_22reduce_config_selectorIyEEZNS1_11reduce_implILb1ES3_N6thrust23THRUST_200600_302600_NS6detail15normal_iteratorINS8_10device_ptrIyEEEEPffNS8_4plusIfEEEE10hipError_tPvRmT1_T2_T3_mT4_P12ihipStream_tbEUlT_E0_NS1_11comp_targetILNS1_3genE2ELNS1_11target_archE906ELNS1_3gpuE6ELNS1_3repE0EEENS1_30default_config_static_selectorELNS0_4arch9wavefront6targetE1EEEvSK_.has_dyn_sized_stack, 0
	.set _ZN7rocprim17ROCPRIM_400000_NS6detail17trampoline_kernelINS0_14default_configENS1_22reduce_config_selectorIyEEZNS1_11reduce_implILb1ES3_N6thrust23THRUST_200600_302600_NS6detail15normal_iteratorINS8_10device_ptrIyEEEEPffNS8_4plusIfEEEE10hipError_tPvRmT1_T2_T3_mT4_P12ihipStream_tbEUlT_E0_NS1_11comp_targetILNS1_3genE2ELNS1_11target_archE906ELNS1_3gpuE6ELNS1_3repE0EEENS1_30default_config_static_selectorELNS0_4arch9wavefront6targetE1EEEvSK_.has_recursion, 0
	.set _ZN7rocprim17ROCPRIM_400000_NS6detail17trampoline_kernelINS0_14default_configENS1_22reduce_config_selectorIyEEZNS1_11reduce_implILb1ES3_N6thrust23THRUST_200600_302600_NS6detail15normal_iteratorINS8_10device_ptrIyEEEEPffNS8_4plusIfEEEE10hipError_tPvRmT1_T2_T3_mT4_P12ihipStream_tbEUlT_E0_NS1_11comp_targetILNS1_3genE2ELNS1_11target_archE906ELNS1_3gpuE6ELNS1_3repE0EEENS1_30default_config_static_selectorELNS0_4arch9wavefront6targetE1EEEvSK_.has_indirect_call, 0
	.section	.AMDGPU.csdata,"",@progbits
; Kernel info:
; codeLenInByte = 0
; TotalNumSgprs: 6
; NumVgprs: 0
; NumAgprs: 0
; TotalNumVgprs: 0
; ScratchSize: 0
; MemoryBound: 0
; FloatMode: 240
; IeeeMode: 1
; LDSByteSize: 0 bytes/workgroup (compile time only)
; SGPRBlocks: 0
; VGPRBlocks: 0
; NumSGPRsForWavesPerEU: 6
; NumVGPRsForWavesPerEU: 1
; AccumOffset: 4
; Occupancy: 8
; WaveLimiterHint : 0
; COMPUTE_PGM_RSRC2:SCRATCH_EN: 0
; COMPUTE_PGM_RSRC2:USER_SGPR: 2
; COMPUTE_PGM_RSRC2:TRAP_HANDLER: 0
; COMPUTE_PGM_RSRC2:TGID_X_EN: 1
; COMPUTE_PGM_RSRC2:TGID_Y_EN: 0
; COMPUTE_PGM_RSRC2:TGID_Z_EN: 0
; COMPUTE_PGM_RSRC2:TIDIG_COMP_CNT: 0
; COMPUTE_PGM_RSRC3_GFX90A:ACCUM_OFFSET: 0
; COMPUTE_PGM_RSRC3_GFX90A:TG_SPLIT: 0
	.section	.text._ZN7rocprim17ROCPRIM_400000_NS6detail17trampoline_kernelINS0_14default_configENS1_22reduce_config_selectorIyEEZNS1_11reduce_implILb1ES3_N6thrust23THRUST_200600_302600_NS6detail15normal_iteratorINS8_10device_ptrIyEEEEPffNS8_4plusIfEEEE10hipError_tPvRmT1_T2_T3_mT4_P12ihipStream_tbEUlT_E0_NS1_11comp_targetILNS1_3genE10ELNS1_11target_archE1201ELNS1_3gpuE5ELNS1_3repE0EEENS1_30default_config_static_selectorELNS0_4arch9wavefront6targetE1EEEvSK_,"axG",@progbits,_ZN7rocprim17ROCPRIM_400000_NS6detail17trampoline_kernelINS0_14default_configENS1_22reduce_config_selectorIyEEZNS1_11reduce_implILb1ES3_N6thrust23THRUST_200600_302600_NS6detail15normal_iteratorINS8_10device_ptrIyEEEEPffNS8_4plusIfEEEE10hipError_tPvRmT1_T2_T3_mT4_P12ihipStream_tbEUlT_E0_NS1_11comp_targetILNS1_3genE10ELNS1_11target_archE1201ELNS1_3gpuE5ELNS1_3repE0EEENS1_30default_config_static_selectorELNS0_4arch9wavefront6targetE1EEEvSK_,comdat
	.protected	_ZN7rocprim17ROCPRIM_400000_NS6detail17trampoline_kernelINS0_14default_configENS1_22reduce_config_selectorIyEEZNS1_11reduce_implILb1ES3_N6thrust23THRUST_200600_302600_NS6detail15normal_iteratorINS8_10device_ptrIyEEEEPffNS8_4plusIfEEEE10hipError_tPvRmT1_T2_T3_mT4_P12ihipStream_tbEUlT_E0_NS1_11comp_targetILNS1_3genE10ELNS1_11target_archE1201ELNS1_3gpuE5ELNS1_3repE0EEENS1_30default_config_static_selectorELNS0_4arch9wavefront6targetE1EEEvSK_ ; -- Begin function _ZN7rocprim17ROCPRIM_400000_NS6detail17trampoline_kernelINS0_14default_configENS1_22reduce_config_selectorIyEEZNS1_11reduce_implILb1ES3_N6thrust23THRUST_200600_302600_NS6detail15normal_iteratorINS8_10device_ptrIyEEEEPffNS8_4plusIfEEEE10hipError_tPvRmT1_T2_T3_mT4_P12ihipStream_tbEUlT_E0_NS1_11comp_targetILNS1_3genE10ELNS1_11target_archE1201ELNS1_3gpuE5ELNS1_3repE0EEENS1_30default_config_static_selectorELNS0_4arch9wavefront6targetE1EEEvSK_
	.globl	_ZN7rocprim17ROCPRIM_400000_NS6detail17trampoline_kernelINS0_14default_configENS1_22reduce_config_selectorIyEEZNS1_11reduce_implILb1ES3_N6thrust23THRUST_200600_302600_NS6detail15normal_iteratorINS8_10device_ptrIyEEEEPffNS8_4plusIfEEEE10hipError_tPvRmT1_T2_T3_mT4_P12ihipStream_tbEUlT_E0_NS1_11comp_targetILNS1_3genE10ELNS1_11target_archE1201ELNS1_3gpuE5ELNS1_3repE0EEENS1_30default_config_static_selectorELNS0_4arch9wavefront6targetE1EEEvSK_
	.p2align	8
	.type	_ZN7rocprim17ROCPRIM_400000_NS6detail17trampoline_kernelINS0_14default_configENS1_22reduce_config_selectorIyEEZNS1_11reduce_implILb1ES3_N6thrust23THRUST_200600_302600_NS6detail15normal_iteratorINS8_10device_ptrIyEEEEPffNS8_4plusIfEEEE10hipError_tPvRmT1_T2_T3_mT4_P12ihipStream_tbEUlT_E0_NS1_11comp_targetILNS1_3genE10ELNS1_11target_archE1201ELNS1_3gpuE5ELNS1_3repE0EEENS1_30default_config_static_selectorELNS0_4arch9wavefront6targetE1EEEvSK_,@function
_ZN7rocprim17ROCPRIM_400000_NS6detail17trampoline_kernelINS0_14default_configENS1_22reduce_config_selectorIyEEZNS1_11reduce_implILb1ES3_N6thrust23THRUST_200600_302600_NS6detail15normal_iteratorINS8_10device_ptrIyEEEEPffNS8_4plusIfEEEE10hipError_tPvRmT1_T2_T3_mT4_P12ihipStream_tbEUlT_E0_NS1_11comp_targetILNS1_3genE10ELNS1_11target_archE1201ELNS1_3gpuE5ELNS1_3repE0EEENS1_30default_config_static_selectorELNS0_4arch9wavefront6targetE1EEEvSK_: ; @_ZN7rocprim17ROCPRIM_400000_NS6detail17trampoline_kernelINS0_14default_configENS1_22reduce_config_selectorIyEEZNS1_11reduce_implILb1ES3_N6thrust23THRUST_200600_302600_NS6detail15normal_iteratorINS8_10device_ptrIyEEEEPffNS8_4plusIfEEEE10hipError_tPvRmT1_T2_T3_mT4_P12ihipStream_tbEUlT_E0_NS1_11comp_targetILNS1_3genE10ELNS1_11target_archE1201ELNS1_3gpuE5ELNS1_3repE0EEENS1_30default_config_static_selectorELNS0_4arch9wavefront6targetE1EEEvSK_
; %bb.0:
	.section	.rodata,"a",@progbits
	.p2align	6, 0x0
	.amdhsa_kernel _ZN7rocprim17ROCPRIM_400000_NS6detail17trampoline_kernelINS0_14default_configENS1_22reduce_config_selectorIyEEZNS1_11reduce_implILb1ES3_N6thrust23THRUST_200600_302600_NS6detail15normal_iteratorINS8_10device_ptrIyEEEEPffNS8_4plusIfEEEE10hipError_tPvRmT1_T2_T3_mT4_P12ihipStream_tbEUlT_E0_NS1_11comp_targetILNS1_3genE10ELNS1_11target_archE1201ELNS1_3gpuE5ELNS1_3repE0EEENS1_30default_config_static_selectorELNS0_4arch9wavefront6targetE1EEEvSK_
		.amdhsa_group_segment_fixed_size 0
		.amdhsa_private_segment_fixed_size 0
		.amdhsa_kernarg_size 56
		.amdhsa_user_sgpr_count 2
		.amdhsa_user_sgpr_dispatch_ptr 0
		.amdhsa_user_sgpr_queue_ptr 0
		.amdhsa_user_sgpr_kernarg_segment_ptr 1
		.amdhsa_user_sgpr_dispatch_id 0
		.amdhsa_user_sgpr_kernarg_preload_length 0
		.amdhsa_user_sgpr_kernarg_preload_offset 0
		.amdhsa_user_sgpr_private_segment_size 0
		.amdhsa_uses_dynamic_stack 0
		.amdhsa_enable_private_segment 0
		.amdhsa_system_sgpr_workgroup_id_x 1
		.amdhsa_system_sgpr_workgroup_id_y 0
		.amdhsa_system_sgpr_workgroup_id_z 0
		.amdhsa_system_sgpr_workgroup_info 0
		.amdhsa_system_vgpr_workitem_id 0
		.amdhsa_next_free_vgpr 1
		.amdhsa_next_free_sgpr 0
		.amdhsa_accum_offset 4
		.amdhsa_reserve_vcc 0
		.amdhsa_float_round_mode_32 0
		.amdhsa_float_round_mode_16_64 0
		.amdhsa_float_denorm_mode_32 3
		.amdhsa_float_denorm_mode_16_64 3
		.amdhsa_dx10_clamp 1
		.amdhsa_ieee_mode 1
		.amdhsa_fp16_overflow 0
		.amdhsa_tg_split 0
		.amdhsa_exception_fp_ieee_invalid_op 0
		.amdhsa_exception_fp_denorm_src 0
		.amdhsa_exception_fp_ieee_div_zero 0
		.amdhsa_exception_fp_ieee_overflow 0
		.amdhsa_exception_fp_ieee_underflow 0
		.amdhsa_exception_fp_ieee_inexact 0
		.amdhsa_exception_int_div_zero 0
	.end_amdhsa_kernel
	.section	.text._ZN7rocprim17ROCPRIM_400000_NS6detail17trampoline_kernelINS0_14default_configENS1_22reduce_config_selectorIyEEZNS1_11reduce_implILb1ES3_N6thrust23THRUST_200600_302600_NS6detail15normal_iteratorINS8_10device_ptrIyEEEEPffNS8_4plusIfEEEE10hipError_tPvRmT1_T2_T3_mT4_P12ihipStream_tbEUlT_E0_NS1_11comp_targetILNS1_3genE10ELNS1_11target_archE1201ELNS1_3gpuE5ELNS1_3repE0EEENS1_30default_config_static_selectorELNS0_4arch9wavefront6targetE1EEEvSK_,"axG",@progbits,_ZN7rocprim17ROCPRIM_400000_NS6detail17trampoline_kernelINS0_14default_configENS1_22reduce_config_selectorIyEEZNS1_11reduce_implILb1ES3_N6thrust23THRUST_200600_302600_NS6detail15normal_iteratorINS8_10device_ptrIyEEEEPffNS8_4plusIfEEEE10hipError_tPvRmT1_T2_T3_mT4_P12ihipStream_tbEUlT_E0_NS1_11comp_targetILNS1_3genE10ELNS1_11target_archE1201ELNS1_3gpuE5ELNS1_3repE0EEENS1_30default_config_static_selectorELNS0_4arch9wavefront6targetE1EEEvSK_,comdat
.Lfunc_end374:
	.size	_ZN7rocprim17ROCPRIM_400000_NS6detail17trampoline_kernelINS0_14default_configENS1_22reduce_config_selectorIyEEZNS1_11reduce_implILb1ES3_N6thrust23THRUST_200600_302600_NS6detail15normal_iteratorINS8_10device_ptrIyEEEEPffNS8_4plusIfEEEE10hipError_tPvRmT1_T2_T3_mT4_P12ihipStream_tbEUlT_E0_NS1_11comp_targetILNS1_3genE10ELNS1_11target_archE1201ELNS1_3gpuE5ELNS1_3repE0EEENS1_30default_config_static_selectorELNS0_4arch9wavefront6targetE1EEEvSK_, .Lfunc_end374-_ZN7rocprim17ROCPRIM_400000_NS6detail17trampoline_kernelINS0_14default_configENS1_22reduce_config_selectorIyEEZNS1_11reduce_implILb1ES3_N6thrust23THRUST_200600_302600_NS6detail15normal_iteratorINS8_10device_ptrIyEEEEPffNS8_4plusIfEEEE10hipError_tPvRmT1_T2_T3_mT4_P12ihipStream_tbEUlT_E0_NS1_11comp_targetILNS1_3genE10ELNS1_11target_archE1201ELNS1_3gpuE5ELNS1_3repE0EEENS1_30default_config_static_selectorELNS0_4arch9wavefront6targetE1EEEvSK_
                                        ; -- End function
	.set _ZN7rocprim17ROCPRIM_400000_NS6detail17trampoline_kernelINS0_14default_configENS1_22reduce_config_selectorIyEEZNS1_11reduce_implILb1ES3_N6thrust23THRUST_200600_302600_NS6detail15normal_iteratorINS8_10device_ptrIyEEEEPffNS8_4plusIfEEEE10hipError_tPvRmT1_T2_T3_mT4_P12ihipStream_tbEUlT_E0_NS1_11comp_targetILNS1_3genE10ELNS1_11target_archE1201ELNS1_3gpuE5ELNS1_3repE0EEENS1_30default_config_static_selectorELNS0_4arch9wavefront6targetE1EEEvSK_.num_vgpr, 0
	.set _ZN7rocprim17ROCPRIM_400000_NS6detail17trampoline_kernelINS0_14default_configENS1_22reduce_config_selectorIyEEZNS1_11reduce_implILb1ES3_N6thrust23THRUST_200600_302600_NS6detail15normal_iteratorINS8_10device_ptrIyEEEEPffNS8_4plusIfEEEE10hipError_tPvRmT1_T2_T3_mT4_P12ihipStream_tbEUlT_E0_NS1_11comp_targetILNS1_3genE10ELNS1_11target_archE1201ELNS1_3gpuE5ELNS1_3repE0EEENS1_30default_config_static_selectorELNS0_4arch9wavefront6targetE1EEEvSK_.num_agpr, 0
	.set _ZN7rocprim17ROCPRIM_400000_NS6detail17trampoline_kernelINS0_14default_configENS1_22reduce_config_selectorIyEEZNS1_11reduce_implILb1ES3_N6thrust23THRUST_200600_302600_NS6detail15normal_iteratorINS8_10device_ptrIyEEEEPffNS8_4plusIfEEEE10hipError_tPvRmT1_T2_T3_mT4_P12ihipStream_tbEUlT_E0_NS1_11comp_targetILNS1_3genE10ELNS1_11target_archE1201ELNS1_3gpuE5ELNS1_3repE0EEENS1_30default_config_static_selectorELNS0_4arch9wavefront6targetE1EEEvSK_.numbered_sgpr, 0
	.set _ZN7rocprim17ROCPRIM_400000_NS6detail17trampoline_kernelINS0_14default_configENS1_22reduce_config_selectorIyEEZNS1_11reduce_implILb1ES3_N6thrust23THRUST_200600_302600_NS6detail15normal_iteratorINS8_10device_ptrIyEEEEPffNS8_4plusIfEEEE10hipError_tPvRmT1_T2_T3_mT4_P12ihipStream_tbEUlT_E0_NS1_11comp_targetILNS1_3genE10ELNS1_11target_archE1201ELNS1_3gpuE5ELNS1_3repE0EEENS1_30default_config_static_selectorELNS0_4arch9wavefront6targetE1EEEvSK_.num_named_barrier, 0
	.set _ZN7rocprim17ROCPRIM_400000_NS6detail17trampoline_kernelINS0_14default_configENS1_22reduce_config_selectorIyEEZNS1_11reduce_implILb1ES3_N6thrust23THRUST_200600_302600_NS6detail15normal_iteratorINS8_10device_ptrIyEEEEPffNS8_4plusIfEEEE10hipError_tPvRmT1_T2_T3_mT4_P12ihipStream_tbEUlT_E0_NS1_11comp_targetILNS1_3genE10ELNS1_11target_archE1201ELNS1_3gpuE5ELNS1_3repE0EEENS1_30default_config_static_selectorELNS0_4arch9wavefront6targetE1EEEvSK_.private_seg_size, 0
	.set _ZN7rocprim17ROCPRIM_400000_NS6detail17trampoline_kernelINS0_14default_configENS1_22reduce_config_selectorIyEEZNS1_11reduce_implILb1ES3_N6thrust23THRUST_200600_302600_NS6detail15normal_iteratorINS8_10device_ptrIyEEEEPffNS8_4plusIfEEEE10hipError_tPvRmT1_T2_T3_mT4_P12ihipStream_tbEUlT_E0_NS1_11comp_targetILNS1_3genE10ELNS1_11target_archE1201ELNS1_3gpuE5ELNS1_3repE0EEENS1_30default_config_static_selectorELNS0_4arch9wavefront6targetE1EEEvSK_.uses_vcc, 0
	.set _ZN7rocprim17ROCPRIM_400000_NS6detail17trampoline_kernelINS0_14default_configENS1_22reduce_config_selectorIyEEZNS1_11reduce_implILb1ES3_N6thrust23THRUST_200600_302600_NS6detail15normal_iteratorINS8_10device_ptrIyEEEEPffNS8_4plusIfEEEE10hipError_tPvRmT1_T2_T3_mT4_P12ihipStream_tbEUlT_E0_NS1_11comp_targetILNS1_3genE10ELNS1_11target_archE1201ELNS1_3gpuE5ELNS1_3repE0EEENS1_30default_config_static_selectorELNS0_4arch9wavefront6targetE1EEEvSK_.uses_flat_scratch, 0
	.set _ZN7rocprim17ROCPRIM_400000_NS6detail17trampoline_kernelINS0_14default_configENS1_22reduce_config_selectorIyEEZNS1_11reduce_implILb1ES3_N6thrust23THRUST_200600_302600_NS6detail15normal_iteratorINS8_10device_ptrIyEEEEPffNS8_4plusIfEEEE10hipError_tPvRmT1_T2_T3_mT4_P12ihipStream_tbEUlT_E0_NS1_11comp_targetILNS1_3genE10ELNS1_11target_archE1201ELNS1_3gpuE5ELNS1_3repE0EEENS1_30default_config_static_selectorELNS0_4arch9wavefront6targetE1EEEvSK_.has_dyn_sized_stack, 0
	.set _ZN7rocprim17ROCPRIM_400000_NS6detail17trampoline_kernelINS0_14default_configENS1_22reduce_config_selectorIyEEZNS1_11reduce_implILb1ES3_N6thrust23THRUST_200600_302600_NS6detail15normal_iteratorINS8_10device_ptrIyEEEEPffNS8_4plusIfEEEE10hipError_tPvRmT1_T2_T3_mT4_P12ihipStream_tbEUlT_E0_NS1_11comp_targetILNS1_3genE10ELNS1_11target_archE1201ELNS1_3gpuE5ELNS1_3repE0EEENS1_30default_config_static_selectorELNS0_4arch9wavefront6targetE1EEEvSK_.has_recursion, 0
	.set _ZN7rocprim17ROCPRIM_400000_NS6detail17trampoline_kernelINS0_14default_configENS1_22reduce_config_selectorIyEEZNS1_11reduce_implILb1ES3_N6thrust23THRUST_200600_302600_NS6detail15normal_iteratorINS8_10device_ptrIyEEEEPffNS8_4plusIfEEEE10hipError_tPvRmT1_T2_T3_mT4_P12ihipStream_tbEUlT_E0_NS1_11comp_targetILNS1_3genE10ELNS1_11target_archE1201ELNS1_3gpuE5ELNS1_3repE0EEENS1_30default_config_static_selectorELNS0_4arch9wavefront6targetE1EEEvSK_.has_indirect_call, 0
	.section	.AMDGPU.csdata,"",@progbits
; Kernel info:
; codeLenInByte = 0
; TotalNumSgprs: 6
; NumVgprs: 0
; NumAgprs: 0
; TotalNumVgprs: 0
; ScratchSize: 0
; MemoryBound: 0
; FloatMode: 240
; IeeeMode: 1
; LDSByteSize: 0 bytes/workgroup (compile time only)
; SGPRBlocks: 0
; VGPRBlocks: 0
; NumSGPRsForWavesPerEU: 6
; NumVGPRsForWavesPerEU: 1
; AccumOffset: 4
; Occupancy: 8
; WaveLimiterHint : 0
; COMPUTE_PGM_RSRC2:SCRATCH_EN: 0
; COMPUTE_PGM_RSRC2:USER_SGPR: 2
; COMPUTE_PGM_RSRC2:TRAP_HANDLER: 0
; COMPUTE_PGM_RSRC2:TGID_X_EN: 1
; COMPUTE_PGM_RSRC2:TGID_Y_EN: 0
; COMPUTE_PGM_RSRC2:TGID_Z_EN: 0
; COMPUTE_PGM_RSRC2:TIDIG_COMP_CNT: 0
; COMPUTE_PGM_RSRC3_GFX90A:ACCUM_OFFSET: 0
; COMPUTE_PGM_RSRC3_GFX90A:TG_SPLIT: 0
	.section	.text._ZN7rocprim17ROCPRIM_400000_NS6detail17trampoline_kernelINS0_14default_configENS1_22reduce_config_selectorIyEEZNS1_11reduce_implILb1ES3_N6thrust23THRUST_200600_302600_NS6detail15normal_iteratorINS8_10device_ptrIyEEEEPffNS8_4plusIfEEEE10hipError_tPvRmT1_T2_T3_mT4_P12ihipStream_tbEUlT_E0_NS1_11comp_targetILNS1_3genE10ELNS1_11target_archE1200ELNS1_3gpuE4ELNS1_3repE0EEENS1_30default_config_static_selectorELNS0_4arch9wavefront6targetE1EEEvSK_,"axG",@progbits,_ZN7rocprim17ROCPRIM_400000_NS6detail17trampoline_kernelINS0_14default_configENS1_22reduce_config_selectorIyEEZNS1_11reduce_implILb1ES3_N6thrust23THRUST_200600_302600_NS6detail15normal_iteratorINS8_10device_ptrIyEEEEPffNS8_4plusIfEEEE10hipError_tPvRmT1_T2_T3_mT4_P12ihipStream_tbEUlT_E0_NS1_11comp_targetILNS1_3genE10ELNS1_11target_archE1200ELNS1_3gpuE4ELNS1_3repE0EEENS1_30default_config_static_selectorELNS0_4arch9wavefront6targetE1EEEvSK_,comdat
	.protected	_ZN7rocprim17ROCPRIM_400000_NS6detail17trampoline_kernelINS0_14default_configENS1_22reduce_config_selectorIyEEZNS1_11reduce_implILb1ES3_N6thrust23THRUST_200600_302600_NS6detail15normal_iteratorINS8_10device_ptrIyEEEEPffNS8_4plusIfEEEE10hipError_tPvRmT1_T2_T3_mT4_P12ihipStream_tbEUlT_E0_NS1_11comp_targetILNS1_3genE10ELNS1_11target_archE1200ELNS1_3gpuE4ELNS1_3repE0EEENS1_30default_config_static_selectorELNS0_4arch9wavefront6targetE1EEEvSK_ ; -- Begin function _ZN7rocprim17ROCPRIM_400000_NS6detail17trampoline_kernelINS0_14default_configENS1_22reduce_config_selectorIyEEZNS1_11reduce_implILb1ES3_N6thrust23THRUST_200600_302600_NS6detail15normal_iteratorINS8_10device_ptrIyEEEEPffNS8_4plusIfEEEE10hipError_tPvRmT1_T2_T3_mT4_P12ihipStream_tbEUlT_E0_NS1_11comp_targetILNS1_3genE10ELNS1_11target_archE1200ELNS1_3gpuE4ELNS1_3repE0EEENS1_30default_config_static_selectorELNS0_4arch9wavefront6targetE1EEEvSK_
	.globl	_ZN7rocprim17ROCPRIM_400000_NS6detail17trampoline_kernelINS0_14default_configENS1_22reduce_config_selectorIyEEZNS1_11reduce_implILb1ES3_N6thrust23THRUST_200600_302600_NS6detail15normal_iteratorINS8_10device_ptrIyEEEEPffNS8_4plusIfEEEE10hipError_tPvRmT1_T2_T3_mT4_P12ihipStream_tbEUlT_E0_NS1_11comp_targetILNS1_3genE10ELNS1_11target_archE1200ELNS1_3gpuE4ELNS1_3repE0EEENS1_30default_config_static_selectorELNS0_4arch9wavefront6targetE1EEEvSK_
	.p2align	8
	.type	_ZN7rocprim17ROCPRIM_400000_NS6detail17trampoline_kernelINS0_14default_configENS1_22reduce_config_selectorIyEEZNS1_11reduce_implILb1ES3_N6thrust23THRUST_200600_302600_NS6detail15normal_iteratorINS8_10device_ptrIyEEEEPffNS8_4plusIfEEEE10hipError_tPvRmT1_T2_T3_mT4_P12ihipStream_tbEUlT_E0_NS1_11comp_targetILNS1_3genE10ELNS1_11target_archE1200ELNS1_3gpuE4ELNS1_3repE0EEENS1_30default_config_static_selectorELNS0_4arch9wavefront6targetE1EEEvSK_,@function
_ZN7rocprim17ROCPRIM_400000_NS6detail17trampoline_kernelINS0_14default_configENS1_22reduce_config_selectorIyEEZNS1_11reduce_implILb1ES3_N6thrust23THRUST_200600_302600_NS6detail15normal_iteratorINS8_10device_ptrIyEEEEPffNS8_4plusIfEEEE10hipError_tPvRmT1_T2_T3_mT4_P12ihipStream_tbEUlT_E0_NS1_11comp_targetILNS1_3genE10ELNS1_11target_archE1200ELNS1_3gpuE4ELNS1_3repE0EEENS1_30default_config_static_selectorELNS0_4arch9wavefront6targetE1EEEvSK_: ; @_ZN7rocprim17ROCPRIM_400000_NS6detail17trampoline_kernelINS0_14default_configENS1_22reduce_config_selectorIyEEZNS1_11reduce_implILb1ES3_N6thrust23THRUST_200600_302600_NS6detail15normal_iteratorINS8_10device_ptrIyEEEEPffNS8_4plusIfEEEE10hipError_tPvRmT1_T2_T3_mT4_P12ihipStream_tbEUlT_E0_NS1_11comp_targetILNS1_3genE10ELNS1_11target_archE1200ELNS1_3gpuE4ELNS1_3repE0EEENS1_30default_config_static_selectorELNS0_4arch9wavefront6targetE1EEEvSK_
; %bb.0:
	.section	.rodata,"a",@progbits
	.p2align	6, 0x0
	.amdhsa_kernel _ZN7rocprim17ROCPRIM_400000_NS6detail17trampoline_kernelINS0_14default_configENS1_22reduce_config_selectorIyEEZNS1_11reduce_implILb1ES3_N6thrust23THRUST_200600_302600_NS6detail15normal_iteratorINS8_10device_ptrIyEEEEPffNS8_4plusIfEEEE10hipError_tPvRmT1_T2_T3_mT4_P12ihipStream_tbEUlT_E0_NS1_11comp_targetILNS1_3genE10ELNS1_11target_archE1200ELNS1_3gpuE4ELNS1_3repE0EEENS1_30default_config_static_selectorELNS0_4arch9wavefront6targetE1EEEvSK_
		.amdhsa_group_segment_fixed_size 0
		.amdhsa_private_segment_fixed_size 0
		.amdhsa_kernarg_size 56
		.amdhsa_user_sgpr_count 2
		.amdhsa_user_sgpr_dispatch_ptr 0
		.amdhsa_user_sgpr_queue_ptr 0
		.amdhsa_user_sgpr_kernarg_segment_ptr 1
		.amdhsa_user_sgpr_dispatch_id 0
		.amdhsa_user_sgpr_kernarg_preload_length 0
		.amdhsa_user_sgpr_kernarg_preload_offset 0
		.amdhsa_user_sgpr_private_segment_size 0
		.amdhsa_uses_dynamic_stack 0
		.amdhsa_enable_private_segment 0
		.amdhsa_system_sgpr_workgroup_id_x 1
		.amdhsa_system_sgpr_workgroup_id_y 0
		.amdhsa_system_sgpr_workgroup_id_z 0
		.amdhsa_system_sgpr_workgroup_info 0
		.amdhsa_system_vgpr_workitem_id 0
		.amdhsa_next_free_vgpr 1
		.amdhsa_next_free_sgpr 0
		.amdhsa_accum_offset 4
		.amdhsa_reserve_vcc 0
		.amdhsa_float_round_mode_32 0
		.amdhsa_float_round_mode_16_64 0
		.amdhsa_float_denorm_mode_32 3
		.amdhsa_float_denorm_mode_16_64 3
		.amdhsa_dx10_clamp 1
		.amdhsa_ieee_mode 1
		.amdhsa_fp16_overflow 0
		.amdhsa_tg_split 0
		.amdhsa_exception_fp_ieee_invalid_op 0
		.amdhsa_exception_fp_denorm_src 0
		.amdhsa_exception_fp_ieee_div_zero 0
		.amdhsa_exception_fp_ieee_overflow 0
		.amdhsa_exception_fp_ieee_underflow 0
		.amdhsa_exception_fp_ieee_inexact 0
		.amdhsa_exception_int_div_zero 0
	.end_amdhsa_kernel
	.section	.text._ZN7rocprim17ROCPRIM_400000_NS6detail17trampoline_kernelINS0_14default_configENS1_22reduce_config_selectorIyEEZNS1_11reduce_implILb1ES3_N6thrust23THRUST_200600_302600_NS6detail15normal_iteratorINS8_10device_ptrIyEEEEPffNS8_4plusIfEEEE10hipError_tPvRmT1_T2_T3_mT4_P12ihipStream_tbEUlT_E0_NS1_11comp_targetILNS1_3genE10ELNS1_11target_archE1200ELNS1_3gpuE4ELNS1_3repE0EEENS1_30default_config_static_selectorELNS0_4arch9wavefront6targetE1EEEvSK_,"axG",@progbits,_ZN7rocprim17ROCPRIM_400000_NS6detail17trampoline_kernelINS0_14default_configENS1_22reduce_config_selectorIyEEZNS1_11reduce_implILb1ES3_N6thrust23THRUST_200600_302600_NS6detail15normal_iteratorINS8_10device_ptrIyEEEEPffNS8_4plusIfEEEE10hipError_tPvRmT1_T2_T3_mT4_P12ihipStream_tbEUlT_E0_NS1_11comp_targetILNS1_3genE10ELNS1_11target_archE1200ELNS1_3gpuE4ELNS1_3repE0EEENS1_30default_config_static_selectorELNS0_4arch9wavefront6targetE1EEEvSK_,comdat
.Lfunc_end375:
	.size	_ZN7rocprim17ROCPRIM_400000_NS6detail17trampoline_kernelINS0_14default_configENS1_22reduce_config_selectorIyEEZNS1_11reduce_implILb1ES3_N6thrust23THRUST_200600_302600_NS6detail15normal_iteratorINS8_10device_ptrIyEEEEPffNS8_4plusIfEEEE10hipError_tPvRmT1_T2_T3_mT4_P12ihipStream_tbEUlT_E0_NS1_11comp_targetILNS1_3genE10ELNS1_11target_archE1200ELNS1_3gpuE4ELNS1_3repE0EEENS1_30default_config_static_selectorELNS0_4arch9wavefront6targetE1EEEvSK_, .Lfunc_end375-_ZN7rocprim17ROCPRIM_400000_NS6detail17trampoline_kernelINS0_14default_configENS1_22reduce_config_selectorIyEEZNS1_11reduce_implILb1ES3_N6thrust23THRUST_200600_302600_NS6detail15normal_iteratorINS8_10device_ptrIyEEEEPffNS8_4plusIfEEEE10hipError_tPvRmT1_T2_T3_mT4_P12ihipStream_tbEUlT_E0_NS1_11comp_targetILNS1_3genE10ELNS1_11target_archE1200ELNS1_3gpuE4ELNS1_3repE0EEENS1_30default_config_static_selectorELNS0_4arch9wavefront6targetE1EEEvSK_
                                        ; -- End function
	.set _ZN7rocprim17ROCPRIM_400000_NS6detail17trampoline_kernelINS0_14default_configENS1_22reduce_config_selectorIyEEZNS1_11reduce_implILb1ES3_N6thrust23THRUST_200600_302600_NS6detail15normal_iteratorINS8_10device_ptrIyEEEEPffNS8_4plusIfEEEE10hipError_tPvRmT1_T2_T3_mT4_P12ihipStream_tbEUlT_E0_NS1_11comp_targetILNS1_3genE10ELNS1_11target_archE1200ELNS1_3gpuE4ELNS1_3repE0EEENS1_30default_config_static_selectorELNS0_4arch9wavefront6targetE1EEEvSK_.num_vgpr, 0
	.set _ZN7rocprim17ROCPRIM_400000_NS6detail17trampoline_kernelINS0_14default_configENS1_22reduce_config_selectorIyEEZNS1_11reduce_implILb1ES3_N6thrust23THRUST_200600_302600_NS6detail15normal_iteratorINS8_10device_ptrIyEEEEPffNS8_4plusIfEEEE10hipError_tPvRmT1_T2_T3_mT4_P12ihipStream_tbEUlT_E0_NS1_11comp_targetILNS1_3genE10ELNS1_11target_archE1200ELNS1_3gpuE4ELNS1_3repE0EEENS1_30default_config_static_selectorELNS0_4arch9wavefront6targetE1EEEvSK_.num_agpr, 0
	.set _ZN7rocprim17ROCPRIM_400000_NS6detail17trampoline_kernelINS0_14default_configENS1_22reduce_config_selectorIyEEZNS1_11reduce_implILb1ES3_N6thrust23THRUST_200600_302600_NS6detail15normal_iteratorINS8_10device_ptrIyEEEEPffNS8_4plusIfEEEE10hipError_tPvRmT1_T2_T3_mT4_P12ihipStream_tbEUlT_E0_NS1_11comp_targetILNS1_3genE10ELNS1_11target_archE1200ELNS1_3gpuE4ELNS1_3repE0EEENS1_30default_config_static_selectorELNS0_4arch9wavefront6targetE1EEEvSK_.numbered_sgpr, 0
	.set _ZN7rocprim17ROCPRIM_400000_NS6detail17trampoline_kernelINS0_14default_configENS1_22reduce_config_selectorIyEEZNS1_11reduce_implILb1ES3_N6thrust23THRUST_200600_302600_NS6detail15normal_iteratorINS8_10device_ptrIyEEEEPffNS8_4plusIfEEEE10hipError_tPvRmT1_T2_T3_mT4_P12ihipStream_tbEUlT_E0_NS1_11comp_targetILNS1_3genE10ELNS1_11target_archE1200ELNS1_3gpuE4ELNS1_3repE0EEENS1_30default_config_static_selectorELNS0_4arch9wavefront6targetE1EEEvSK_.num_named_barrier, 0
	.set _ZN7rocprim17ROCPRIM_400000_NS6detail17trampoline_kernelINS0_14default_configENS1_22reduce_config_selectorIyEEZNS1_11reduce_implILb1ES3_N6thrust23THRUST_200600_302600_NS6detail15normal_iteratorINS8_10device_ptrIyEEEEPffNS8_4plusIfEEEE10hipError_tPvRmT1_T2_T3_mT4_P12ihipStream_tbEUlT_E0_NS1_11comp_targetILNS1_3genE10ELNS1_11target_archE1200ELNS1_3gpuE4ELNS1_3repE0EEENS1_30default_config_static_selectorELNS0_4arch9wavefront6targetE1EEEvSK_.private_seg_size, 0
	.set _ZN7rocprim17ROCPRIM_400000_NS6detail17trampoline_kernelINS0_14default_configENS1_22reduce_config_selectorIyEEZNS1_11reduce_implILb1ES3_N6thrust23THRUST_200600_302600_NS6detail15normal_iteratorINS8_10device_ptrIyEEEEPffNS8_4plusIfEEEE10hipError_tPvRmT1_T2_T3_mT4_P12ihipStream_tbEUlT_E0_NS1_11comp_targetILNS1_3genE10ELNS1_11target_archE1200ELNS1_3gpuE4ELNS1_3repE0EEENS1_30default_config_static_selectorELNS0_4arch9wavefront6targetE1EEEvSK_.uses_vcc, 0
	.set _ZN7rocprim17ROCPRIM_400000_NS6detail17trampoline_kernelINS0_14default_configENS1_22reduce_config_selectorIyEEZNS1_11reduce_implILb1ES3_N6thrust23THRUST_200600_302600_NS6detail15normal_iteratorINS8_10device_ptrIyEEEEPffNS8_4plusIfEEEE10hipError_tPvRmT1_T2_T3_mT4_P12ihipStream_tbEUlT_E0_NS1_11comp_targetILNS1_3genE10ELNS1_11target_archE1200ELNS1_3gpuE4ELNS1_3repE0EEENS1_30default_config_static_selectorELNS0_4arch9wavefront6targetE1EEEvSK_.uses_flat_scratch, 0
	.set _ZN7rocprim17ROCPRIM_400000_NS6detail17trampoline_kernelINS0_14default_configENS1_22reduce_config_selectorIyEEZNS1_11reduce_implILb1ES3_N6thrust23THRUST_200600_302600_NS6detail15normal_iteratorINS8_10device_ptrIyEEEEPffNS8_4plusIfEEEE10hipError_tPvRmT1_T2_T3_mT4_P12ihipStream_tbEUlT_E0_NS1_11comp_targetILNS1_3genE10ELNS1_11target_archE1200ELNS1_3gpuE4ELNS1_3repE0EEENS1_30default_config_static_selectorELNS0_4arch9wavefront6targetE1EEEvSK_.has_dyn_sized_stack, 0
	.set _ZN7rocprim17ROCPRIM_400000_NS6detail17trampoline_kernelINS0_14default_configENS1_22reduce_config_selectorIyEEZNS1_11reduce_implILb1ES3_N6thrust23THRUST_200600_302600_NS6detail15normal_iteratorINS8_10device_ptrIyEEEEPffNS8_4plusIfEEEE10hipError_tPvRmT1_T2_T3_mT4_P12ihipStream_tbEUlT_E0_NS1_11comp_targetILNS1_3genE10ELNS1_11target_archE1200ELNS1_3gpuE4ELNS1_3repE0EEENS1_30default_config_static_selectorELNS0_4arch9wavefront6targetE1EEEvSK_.has_recursion, 0
	.set _ZN7rocprim17ROCPRIM_400000_NS6detail17trampoline_kernelINS0_14default_configENS1_22reduce_config_selectorIyEEZNS1_11reduce_implILb1ES3_N6thrust23THRUST_200600_302600_NS6detail15normal_iteratorINS8_10device_ptrIyEEEEPffNS8_4plusIfEEEE10hipError_tPvRmT1_T2_T3_mT4_P12ihipStream_tbEUlT_E0_NS1_11comp_targetILNS1_3genE10ELNS1_11target_archE1200ELNS1_3gpuE4ELNS1_3repE0EEENS1_30default_config_static_selectorELNS0_4arch9wavefront6targetE1EEEvSK_.has_indirect_call, 0
	.section	.AMDGPU.csdata,"",@progbits
; Kernel info:
; codeLenInByte = 0
; TotalNumSgprs: 6
; NumVgprs: 0
; NumAgprs: 0
; TotalNumVgprs: 0
; ScratchSize: 0
; MemoryBound: 0
; FloatMode: 240
; IeeeMode: 1
; LDSByteSize: 0 bytes/workgroup (compile time only)
; SGPRBlocks: 0
; VGPRBlocks: 0
; NumSGPRsForWavesPerEU: 6
; NumVGPRsForWavesPerEU: 1
; AccumOffset: 4
; Occupancy: 8
; WaveLimiterHint : 0
; COMPUTE_PGM_RSRC2:SCRATCH_EN: 0
; COMPUTE_PGM_RSRC2:USER_SGPR: 2
; COMPUTE_PGM_RSRC2:TRAP_HANDLER: 0
; COMPUTE_PGM_RSRC2:TGID_X_EN: 1
; COMPUTE_PGM_RSRC2:TGID_Y_EN: 0
; COMPUTE_PGM_RSRC2:TGID_Z_EN: 0
; COMPUTE_PGM_RSRC2:TIDIG_COMP_CNT: 0
; COMPUTE_PGM_RSRC3_GFX90A:ACCUM_OFFSET: 0
; COMPUTE_PGM_RSRC3_GFX90A:TG_SPLIT: 0
	.section	.text._ZN7rocprim17ROCPRIM_400000_NS6detail17trampoline_kernelINS0_14default_configENS1_22reduce_config_selectorIyEEZNS1_11reduce_implILb1ES3_N6thrust23THRUST_200600_302600_NS6detail15normal_iteratorINS8_10device_ptrIyEEEEPffNS8_4plusIfEEEE10hipError_tPvRmT1_T2_T3_mT4_P12ihipStream_tbEUlT_E0_NS1_11comp_targetILNS1_3genE9ELNS1_11target_archE1100ELNS1_3gpuE3ELNS1_3repE0EEENS1_30default_config_static_selectorELNS0_4arch9wavefront6targetE1EEEvSK_,"axG",@progbits,_ZN7rocprim17ROCPRIM_400000_NS6detail17trampoline_kernelINS0_14default_configENS1_22reduce_config_selectorIyEEZNS1_11reduce_implILb1ES3_N6thrust23THRUST_200600_302600_NS6detail15normal_iteratorINS8_10device_ptrIyEEEEPffNS8_4plusIfEEEE10hipError_tPvRmT1_T2_T3_mT4_P12ihipStream_tbEUlT_E0_NS1_11comp_targetILNS1_3genE9ELNS1_11target_archE1100ELNS1_3gpuE3ELNS1_3repE0EEENS1_30default_config_static_selectorELNS0_4arch9wavefront6targetE1EEEvSK_,comdat
	.protected	_ZN7rocprim17ROCPRIM_400000_NS6detail17trampoline_kernelINS0_14default_configENS1_22reduce_config_selectorIyEEZNS1_11reduce_implILb1ES3_N6thrust23THRUST_200600_302600_NS6detail15normal_iteratorINS8_10device_ptrIyEEEEPffNS8_4plusIfEEEE10hipError_tPvRmT1_T2_T3_mT4_P12ihipStream_tbEUlT_E0_NS1_11comp_targetILNS1_3genE9ELNS1_11target_archE1100ELNS1_3gpuE3ELNS1_3repE0EEENS1_30default_config_static_selectorELNS0_4arch9wavefront6targetE1EEEvSK_ ; -- Begin function _ZN7rocprim17ROCPRIM_400000_NS6detail17trampoline_kernelINS0_14default_configENS1_22reduce_config_selectorIyEEZNS1_11reduce_implILb1ES3_N6thrust23THRUST_200600_302600_NS6detail15normal_iteratorINS8_10device_ptrIyEEEEPffNS8_4plusIfEEEE10hipError_tPvRmT1_T2_T3_mT4_P12ihipStream_tbEUlT_E0_NS1_11comp_targetILNS1_3genE9ELNS1_11target_archE1100ELNS1_3gpuE3ELNS1_3repE0EEENS1_30default_config_static_selectorELNS0_4arch9wavefront6targetE1EEEvSK_
	.globl	_ZN7rocprim17ROCPRIM_400000_NS6detail17trampoline_kernelINS0_14default_configENS1_22reduce_config_selectorIyEEZNS1_11reduce_implILb1ES3_N6thrust23THRUST_200600_302600_NS6detail15normal_iteratorINS8_10device_ptrIyEEEEPffNS8_4plusIfEEEE10hipError_tPvRmT1_T2_T3_mT4_P12ihipStream_tbEUlT_E0_NS1_11comp_targetILNS1_3genE9ELNS1_11target_archE1100ELNS1_3gpuE3ELNS1_3repE0EEENS1_30default_config_static_selectorELNS0_4arch9wavefront6targetE1EEEvSK_
	.p2align	8
	.type	_ZN7rocprim17ROCPRIM_400000_NS6detail17trampoline_kernelINS0_14default_configENS1_22reduce_config_selectorIyEEZNS1_11reduce_implILb1ES3_N6thrust23THRUST_200600_302600_NS6detail15normal_iteratorINS8_10device_ptrIyEEEEPffNS8_4plusIfEEEE10hipError_tPvRmT1_T2_T3_mT4_P12ihipStream_tbEUlT_E0_NS1_11comp_targetILNS1_3genE9ELNS1_11target_archE1100ELNS1_3gpuE3ELNS1_3repE0EEENS1_30default_config_static_selectorELNS0_4arch9wavefront6targetE1EEEvSK_,@function
_ZN7rocprim17ROCPRIM_400000_NS6detail17trampoline_kernelINS0_14default_configENS1_22reduce_config_selectorIyEEZNS1_11reduce_implILb1ES3_N6thrust23THRUST_200600_302600_NS6detail15normal_iteratorINS8_10device_ptrIyEEEEPffNS8_4plusIfEEEE10hipError_tPvRmT1_T2_T3_mT4_P12ihipStream_tbEUlT_E0_NS1_11comp_targetILNS1_3genE9ELNS1_11target_archE1100ELNS1_3gpuE3ELNS1_3repE0EEENS1_30default_config_static_selectorELNS0_4arch9wavefront6targetE1EEEvSK_: ; @_ZN7rocprim17ROCPRIM_400000_NS6detail17trampoline_kernelINS0_14default_configENS1_22reduce_config_selectorIyEEZNS1_11reduce_implILb1ES3_N6thrust23THRUST_200600_302600_NS6detail15normal_iteratorINS8_10device_ptrIyEEEEPffNS8_4plusIfEEEE10hipError_tPvRmT1_T2_T3_mT4_P12ihipStream_tbEUlT_E0_NS1_11comp_targetILNS1_3genE9ELNS1_11target_archE1100ELNS1_3gpuE3ELNS1_3repE0EEENS1_30default_config_static_selectorELNS0_4arch9wavefront6targetE1EEEvSK_
; %bb.0:
	.section	.rodata,"a",@progbits
	.p2align	6, 0x0
	.amdhsa_kernel _ZN7rocprim17ROCPRIM_400000_NS6detail17trampoline_kernelINS0_14default_configENS1_22reduce_config_selectorIyEEZNS1_11reduce_implILb1ES3_N6thrust23THRUST_200600_302600_NS6detail15normal_iteratorINS8_10device_ptrIyEEEEPffNS8_4plusIfEEEE10hipError_tPvRmT1_T2_T3_mT4_P12ihipStream_tbEUlT_E0_NS1_11comp_targetILNS1_3genE9ELNS1_11target_archE1100ELNS1_3gpuE3ELNS1_3repE0EEENS1_30default_config_static_selectorELNS0_4arch9wavefront6targetE1EEEvSK_
		.amdhsa_group_segment_fixed_size 0
		.amdhsa_private_segment_fixed_size 0
		.amdhsa_kernarg_size 56
		.amdhsa_user_sgpr_count 2
		.amdhsa_user_sgpr_dispatch_ptr 0
		.amdhsa_user_sgpr_queue_ptr 0
		.amdhsa_user_sgpr_kernarg_segment_ptr 1
		.amdhsa_user_sgpr_dispatch_id 0
		.amdhsa_user_sgpr_kernarg_preload_length 0
		.amdhsa_user_sgpr_kernarg_preload_offset 0
		.amdhsa_user_sgpr_private_segment_size 0
		.amdhsa_uses_dynamic_stack 0
		.amdhsa_enable_private_segment 0
		.amdhsa_system_sgpr_workgroup_id_x 1
		.amdhsa_system_sgpr_workgroup_id_y 0
		.amdhsa_system_sgpr_workgroup_id_z 0
		.amdhsa_system_sgpr_workgroup_info 0
		.amdhsa_system_vgpr_workitem_id 0
		.amdhsa_next_free_vgpr 1
		.amdhsa_next_free_sgpr 0
		.amdhsa_accum_offset 4
		.amdhsa_reserve_vcc 0
		.amdhsa_float_round_mode_32 0
		.amdhsa_float_round_mode_16_64 0
		.amdhsa_float_denorm_mode_32 3
		.amdhsa_float_denorm_mode_16_64 3
		.amdhsa_dx10_clamp 1
		.amdhsa_ieee_mode 1
		.amdhsa_fp16_overflow 0
		.amdhsa_tg_split 0
		.amdhsa_exception_fp_ieee_invalid_op 0
		.amdhsa_exception_fp_denorm_src 0
		.amdhsa_exception_fp_ieee_div_zero 0
		.amdhsa_exception_fp_ieee_overflow 0
		.amdhsa_exception_fp_ieee_underflow 0
		.amdhsa_exception_fp_ieee_inexact 0
		.amdhsa_exception_int_div_zero 0
	.end_amdhsa_kernel
	.section	.text._ZN7rocprim17ROCPRIM_400000_NS6detail17trampoline_kernelINS0_14default_configENS1_22reduce_config_selectorIyEEZNS1_11reduce_implILb1ES3_N6thrust23THRUST_200600_302600_NS6detail15normal_iteratorINS8_10device_ptrIyEEEEPffNS8_4plusIfEEEE10hipError_tPvRmT1_T2_T3_mT4_P12ihipStream_tbEUlT_E0_NS1_11comp_targetILNS1_3genE9ELNS1_11target_archE1100ELNS1_3gpuE3ELNS1_3repE0EEENS1_30default_config_static_selectorELNS0_4arch9wavefront6targetE1EEEvSK_,"axG",@progbits,_ZN7rocprim17ROCPRIM_400000_NS6detail17trampoline_kernelINS0_14default_configENS1_22reduce_config_selectorIyEEZNS1_11reduce_implILb1ES3_N6thrust23THRUST_200600_302600_NS6detail15normal_iteratorINS8_10device_ptrIyEEEEPffNS8_4plusIfEEEE10hipError_tPvRmT1_T2_T3_mT4_P12ihipStream_tbEUlT_E0_NS1_11comp_targetILNS1_3genE9ELNS1_11target_archE1100ELNS1_3gpuE3ELNS1_3repE0EEENS1_30default_config_static_selectorELNS0_4arch9wavefront6targetE1EEEvSK_,comdat
.Lfunc_end376:
	.size	_ZN7rocprim17ROCPRIM_400000_NS6detail17trampoline_kernelINS0_14default_configENS1_22reduce_config_selectorIyEEZNS1_11reduce_implILb1ES3_N6thrust23THRUST_200600_302600_NS6detail15normal_iteratorINS8_10device_ptrIyEEEEPffNS8_4plusIfEEEE10hipError_tPvRmT1_T2_T3_mT4_P12ihipStream_tbEUlT_E0_NS1_11comp_targetILNS1_3genE9ELNS1_11target_archE1100ELNS1_3gpuE3ELNS1_3repE0EEENS1_30default_config_static_selectorELNS0_4arch9wavefront6targetE1EEEvSK_, .Lfunc_end376-_ZN7rocprim17ROCPRIM_400000_NS6detail17trampoline_kernelINS0_14default_configENS1_22reduce_config_selectorIyEEZNS1_11reduce_implILb1ES3_N6thrust23THRUST_200600_302600_NS6detail15normal_iteratorINS8_10device_ptrIyEEEEPffNS8_4plusIfEEEE10hipError_tPvRmT1_T2_T3_mT4_P12ihipStream_tbEUlT_E0_NS1_11comp_targetILNS1_3genE9ELNS1_11target_archE1100ELNS1_3gpuE3ELNS1_3repE0EEENS1_30default_config_static_selectorELNS0_4arch9wavefront6targetE1EEEvSK_
                                        ; -- End function
	.set _ZN7rocprim17ROCPRIM_400000_NS6detail17trampoline_kernelINS0_14default_configENS1_22reduce_config_selectorIyEEZNS1_11reduce_implILb1ES3_N6thrust23THRUST_200600_302600_NS6detail15normal_iteratorINS8_10device_ptrIyEEEEPffNS8_4plusIfEEEE10hipError_tPvRmT1_T2_T3_mT4_P12ihipStream_tbEUlT_E0_NS1_11comp_targetILNS1_3genE9ELNS1_11target_archE1100ELNS1_3gpuE3ELNS1_3repE0EEENS1_30default_config_static_selectorELNS0_4arch9wavefront6targetE1EEEvSK_.num_vgpr, 0
	.set _ZN7rocprim17ROCPRIM_400000_NS6detail17trampoline_kernelINS0_14default_configENS1_22reduce_config_selectorIyEEZNS1_11reduce_implILb1ES3_N6thrust23THRUST_200600_302600_NS6detail15normal_iteratorINS8_10device_ptrIyEEEEPffNS8_4plusIfEEEE10hipError_tPvRmT1_T2_T3_mT4_P12ihipStream_tbEUlT_E0_NS1_11comp_targetILNS1_3genE9ELNS1_11target_archE1100ELNS1_3gpuE3ELNS1_3repE0EEENS1_30default_config_static_selectorELNS0_4arch9wavefront6targetE1EEEvSK_.num_agpr, 0
	.set _ZN7rocprim17ROCPRIM_400000_NS6detail17trampoline_kernelINS0_14default_configENS1_22reduce_config_selectorIyEEZNS1_11reduce_implILb1ES3_N6thrust23THRUST_200600_302600_NS6detail15normal_iteratorINS8_10device_ptrIyEEEEPffNS8_4plusIfEEEE10hipError_tPvRmT1_T2_T3_mT4_P12ihipStream_tbEUlT_E0_NS1_11comp_targetILNS1_3genE9ELNS1_11target_archE1100ELNS1_3gpuE3ELNS1_3repE0EEENS1_30default_config_static_selectorELNS0_4arch9wavefront6targetE1EEEvSK_.numbered_sgpr, 0
	.set _ZN7rocprim17ROCPRIM_400000_NS6detail17trampoline_kernelINS0_14default_configENS1_22reduce_config_selectorIyEEZNS1_11reduce_implILb1ES3_N6thrust23THRUST_200600_302600_NS6detail15normal_iteratorINS8_10device_ptrIyEEEEPffNS8_4plusIfEEEE10hipError_tPvRmT1_T2_T3_mT4_P12ihipStream_tbEUlT_E0_NS1_11comp_targetILNS1_3genE9ELNS1_11target_archE1100ELNS1_3gpuE3ELNS1_3repE0EEENS1_30default_config_static_selectorELNS0_4arch9wavefront6targetE1EEEvSK_.num_named_barrier, 0
	.set _ZN7rocprim17ROCPRIM_400000_NS6detail17trampoline_kernelINS0_14default_configENS1_22reduce_config_selectorIyEEZNS1_11reduce_implILb1ES3_N6thrust23THRUST_200600_302600_NS6detail15normal_iteratorINS8_10device_ptrIyEEEEPffNS8_4plusIfEEEE10hipError_tPvRmT1_T2_T3_mT4_P12ihipStream_tbEUlT_E0_NS1_11comp_targetILNS1_3genE9ELNS1_11target_archE1100ELNS1_3gpuE3ELNS1_3repE0EEENS1_30default_config_static_selectorELNS0_4arch9wavefront6targetE1EEEvSK_.private_seg_size, 0
	.set _ZN7rocprim17ROCPRIM_400000_NS6detail17trampoline_kernelINS0_14default_configENS1_22reduce_config_selectorIyEEZNS1_11reduce_implILb1ES3_N6thrust23THRUST_200600_302600_NS6detail15normal_iteratorINS8_10device_ptrIyEEEEPffNS8_4plusIfEEEE10hipError_tPvRmT1_T2_T3_mT4_P12ihipStream_tbEUlT_E0_NS1_11comp_targetILNS1_3genE9ELNS1_11target_archE1100ELNS1_3gpuE3ELNS1_3repE0EEENS1_30default_config_static_selectorELNS0_4arch9wavefront6targetE1EEEvSK_.uses_vcc, 0
	.set _ZN7rocprim17ROCPRIM_400000_NS6detail17trampoline_kernelINS0_14default_configENS1_22reduce_config_selectorIyEEZNS1_11reduce_implILb1ES3_N6thrust23THRUST_200600_302600_NS6detail15normal_iteratorINS8_10device_ptrIyEEEEPffNS8_4plusIfEEEE10hipError_tPvRmT1_T2_T3_mT4_P12ihipStream_tbEUlT_E0_NS1_11comp_targetILNS1_3genE9ELNS1_11target_archE1100ELNS1_3gpuE3ELNS1_3repE0EEENS1_30default_config_static_selectorELNS0_4arch9wavefront6targetE1EEEvSK_.uses_flat_scratch, 0
	.set _ZN7rocprim17ROCPRIM_400000_NS6detail17trampoline_kernelINS0_14default_configENS1_22reduce_config_selectorIyEEZNS1_11reduce_implILb1ES3_N6thrust23THRUST_200600_302600_NS6detail15normal_iteratorINS8_10device_ptrIyEEEEPffNS8_4plusIfEEEE10hipError_tPvRmT1_T2_T3_mT4_P12ihipStream_tbEUlT_E0_NS1_11comp_targetILNS1_3genE9ELNS1_11target_archE1100ELNS1_3gpuE3ELNS1_3repE0EEENS1_30default_config_static_selectorELNS0_4arch9wavefront6targetE1EEEvSK_.has_dyn_sized_stack, 0
	.set _ZN7rocprim17ROCPRIM_400000_NS6detail17trampoline_kernelINS0_14default_configENS1_22reduce_config_selectorIyEEZNS1_11reduce_implILb1ES3_N6thrust23THRUST_200600_302600_NS6detail15normal_iteratorINS8_10device_ptrIyEEEEPffNS8_4plusIfEEEE10hipError_tPvRmT1_T2_T3_mT4_P12ihipStream_tbEUlT_E0_NS1_11comp_targetILNS1_3genE9ELNS1_11target_archE1100ELNS1_3gpuE3ELNS1_3repE0EEENS1_30default_config_static_selectorELNS0_4arch9wavefront6targetE1EEEvSK_.has_recursion, 0
	.set _ZN7rocprim17ROCPRIM_400000_NS6detail17trampoline_kernelINS0_14default_configENS1_22reduce_config_selectorIyEEZNS1_11reduce_implILb1ES3_N6thrust23THRUST_200600_302600_NS6detail15normal_iteratorINS8_10device_ptrIyEEEEPffNS8_4plusIfEEEE10hipError_tPvRmT1_T2_T3_mT4_P12ihipStream_tbEUlT_E0_NS1_11comp_targetILNS1_3genE9ELNS1_11target_archE1100ELNS1_3gpuE3ELNS1_3repE0EEENS1_30default_config_static_selectorELNS0_4arch9wavefront6targetE1EEEvSK_.has_indirect_call, 0
	.section	.AMDGPU.csdata,"",@progbits
; Kernel info:
; codeLenInByte = 0
; TotalNumSgprs: 6
; NumVgprs: 0
; NumAgprs: 0
; TotalNumVgprs: 0
; ScratchSize: 0
; MemoryBound: 0
; FloatMode: 240
; IeeeMode: 1
; LDSByteSize: 0 bytes/workgroup (compile time only)
; SGPRBlocks: 0
; VGPRBlocks: 0
; NumSGPRsForWavesPerEU: 6
; NumVGPRsForWavesPerEU: 1
; AccumOffset: 4
; Occupancy: 8
; WaveLimiterHint : 0
; COMPUTE_PGM_RSRC2:SCRATCH_EN: 0
; COMPUTE_PGM_RSRC2:USER_SGPR: 2
; COMPUTE_PGM_RSRC2:TRAP_HANDLER: 0
; COMPUTE_PGM_RSRC2:TGID_X_EN: 1
; COMPUTE_PGM_RSRC2:TGID_Y_EN: 0
; COMPUTE_PGM_RSRC2:TGID_Z_EN: 0
; COMPUTE_PGM_RSRC2:TIDIG_COMP_CNT: 0
; COMPUTE_PGM_RSRC3_GFX90A:ACCUM_OFFSET: 0
; COMPUTE_PGM_RSRC3_GFX90A:TG_SPLIT: 0
	.section	.text._ZN7rocprim17ROCPRIM_400000_NS6detail17trampoline_kernelINS0_14default_configENS1_22reduce_config_selectorIyEEZNS1_11reduce_implILb1ES3_N6thrust23THRUST_200600_302600_NS6detail15normal_iteratorINS8_10device_ptrIyEEEEPffNS8_4plusIfEEEE10hipError_tPvRmT1_T2_T3_mT4_P12ihipStream_tbEUlT_E0_NS1_11comp_targetILNS1_3genE8ELNS1_11target_archE1030ELNS1_3gpuE2ELNS1_3repE0EEENS1_30default_config_static_selectorELNS0_4arch9wavefront6targetE1EEEvSK_,"axG",@progbits,_ZN7rocprim17ROCPRIM_400000_NS6detail17trampoline_kernelINS0_14default_configENS1_22reduce_config_selectorIyEEZNS1_11reduce_implILb1ES3_N6thrust23THRUST_200600_302600_NS6detail15normal_iteratorINS8_10device_ptrIyEEEEPffNS8_4plusIfEEEE10hipError_tPvRmT1_T2_T3_mT4_P12ihipStream_tbEUlT_E0_NS1_11comp_targetILNS1_3genE8ELNS1_11target_archE1030ELNS1_3gpuE2ELNS1_3repE0EEENS1_30default_config_static_selectorELNS0_4arch9wavefront6targetE1EEEvSK_,comdat
	.protected	_ZN7rocprim17ROCPRIM_400000_NS6detail17trampoline_kernelINS0_14default_configENS1_22reduce_config_selectorIyEEZNS1_11reduce_implILb1ES3_N6thrust23THRUST_200600_302600_NS6detail15normal_iteratorINS8_10device_ptrIyEEEEPffNS8_4plusIfEEEE10hipError_tPvRmT1_T2_T3_mT4_P12ihipStream_tbEUlT_E0_NS1_11comp_targetILNS1_3genE8ELNS1_11target_archE1030ELNS1_3gpuE2ELNS1_3repE0EEENS1_30default_config_static_selectorELNS0_4arch9wavefront6targetE1EEEvSK_ ; -- Begin function _ZN7rocprim17ROCPRIM_400000_NS6detail17trampoline_kernelINS0_14default_configENS1_22reduce_config_selectorIyEEZNS1_11reduce_implILb1ES3_N6thrust23THRUST_200600_302600_NS6detail15normal_iteratorINS8_10device_ptrIyEEEEPffNS8_4plusIfEEEE10hipError_tPvRmT1_T2_T3_mT4_P12ihipStream_tbEUlT_E0_NS1_11comp_targetILNS1_3genE8ELNS1_11target_archE1030ELNS1_3gpuE2ELNS1_3repE0EEENS1_30default_config_static_selectorELNS0_4arch9wavefront6targetE1EEEvSK_
	.globl	_ZN7rocprim17ROCPRIM_400000_NS6detail17trampoline_kernelINS0_14default_configENS1_22reduce_config_selectorIyEEZNS1_11reduce_implILb1ES3_N6thrust23THRUST_200600_302600_NS6detail15normal_iteratorINS8_10device_ptrIyEEEEPffNS8_4plusIfEEEE10hipError_tPvRmT1_T2_T3_mT4_P12ihipStream_tbEUlT_E0_NS1_11comp_targetILNS1_3genE8ELNS1_11target_archE1030ELNS1_3gpuE2ELNS1_3repE0EEENS1_30default_config_static_selectorELNS0_4arch9wavefront6targetE1EEEvSK_
	.p2align	8
	.type	_ZN7rocprim17ROCPRIM_400000_NS6detail17trampoline_kernelINS0_14default_configENS1_22reduce_config_selectorIyEEZNS1_11reduce_implILb1ES3_N6thrust23THRUST_200600_302600_NS6detail15normal_iteratorINS8_10device_ptrIyEEEEPffNS8_4plusIfEEEE10hipError_tPvRmT1_T2_T3_mT4_P12ihipStream_tbEUlT_E0_NS1_11comp_targetILNS1_3genE8ELNS1_11target_archE1030ELNS1_3gpuE2ELNS1_3repE0EEENS1_30default_config_static_selectorELNS0_4arch9wavefront6targetE1EEEvSK_,@function
_ZN7rocprim17ROCPRIM_400000_NS6detail17trampoline_kernelINS0_14default_configENS1_22reduce_config_selectorIyEEZNS1_11reduce_implILb1ES3_N6thrust23THRUST_200600_302600_NS6detail15normal_iteratorINS8_10device_ptrIyEEEEPffNS8_4plusIfEEEE10hipError_tPvRmT1_T2_T3_mT4_P12ihipStream_tbEUlT_E0_NS1_11comp_targetILNS1_3genE8ELNS1_11target_archE1030ELNS1_3gpuE2ELNS1_3repE0EEENS1_30default_config_static_selectorELNS0_4arch9wavefront6targetE1EEEvSK_: ; @_ZN7rocprim17ROCPRIM_400000_NS6detail17trampoline_kernelINS0_14default_configENS1_22reduce_config_selectorIyEEZNS1_11reduce_implILb1ES3_N6thrust23THRUST_200600_302600_NS6detail15normal_iteratorINS8_10device_ptrIyEEEEPffNS8_4plusIfEEEE10hipError_tPvRmT1_T2_T3_mT4_P12ihipStream_tbEUlT_E0_NS1_11comp_targetILNS1_3genE8ELNS1_11target_archE1030ELNS1_3gpuE2ELNS1_3repE0EEENS1_30default_config_static_selectorELNS0_4arch9wavefront6targetE1EEEvSK_
; %bb.0:
	.section	.rodata,"a",@progbits
	.p2align	6, 0x0
	.amdhsa_kernel _ZN7rocprim17ROCPRIM_400000_NS6detail17trampoline_kernelINS0_14default_configENS1_22reduce_config_selectorIyEEZNS1_11reduce_implILb1ES3_N6thrust23THRUST_200600_302600_NS6detail15normal_iteratorINS8_10device_ptrIyEEEEPffNS8_4plusIfEEEE10hipError_tPvRmT1_T2_T3_mT4_P12ihipStream_tbEUlT_E0_NS1_11comp_targetILNS1_3genE8ELNS1_11target_archE1030ELNS1_3gpuE2ELNS1_3repE0EEENS1_30default_config_static_selectorELNS0_4arch9wavefront6targetE1EEEvSK_
		.amdhsa_group_segment_fixed_size 0
		.amdhsa_private_segment_fixed_size 0
		.amdhsa_kernarg_size 56
		.amdhsa_user_sgpr_count 2
		.amdhsa_user_sgpr_dispatch_ptr 0
		.amdhsa_user_sgpr_queue_ptr 0
		.amdhsa_user_sgpr_kernarg_segment_ptr 1
		.amdhsa_user_sgpr_dispatch_id 0
		.amdhsa_user_sgpr_kernarg_preload_length 0
		.amdhsa_user_sgpr_kernarg_preload_offset 0
		.amdhsa_user_sgpr_private_segment_size 0
		.amdhsa_uses_dynamic_stack 0
		.amdhsa_enable_private_segment 0
		.amdhsa_system_sgpr_workgroup_id_x 1
		.amdhsa_system_sgpr_workgroup_id_y 0
		.amdhsa_system_sgpr_workgroup_id_z 0
		.amdhsa_system_sgpr_workgroup_info 0
		.amdhsa_system_vgpr_workitem_id 0
		.amdhsa_next_free_vgpr 1
		.amdhsa_next_free_sgpr 0
		.amdhsa_accum_offset 4
		.amdhsa_reserve_vcc 0
		.amdhsa_float_round_mode_32 0
		.amdhsa_float_round_mode_16_64 0
		.amdhsa_float_denorm_mode_32 3
		.amdhsa_float_denorm_mode_16_64 3
		.amdhsa_dx10_clamp 1
		.amdhsa_ieee_mode 1
		.amdhsa_fp16_overflow 0
		.amdhsa_tg_split 0
		.amdhsa_exception_fp_ieee_invalid_op 0
		.amdhsa_exception_fp_denorm_src 0
		.amdhsa_exception_fp_ieee_div_zero 0
		.amdhsa_exception_fp_ieee_overflow 0
		.amdhsa_exception_fp_ieee_underflow 0
		.amdhsa_exception_fp_ieee_inexact 0
		.amdhsa_exception_int_div_zero 0
	.end_amdhsa_kernel
	.section	.text._ZN7rocprim17ROCPRIM_400000_NS6detail17trampoline_kernelINS0_14default_configENS1_22reduce_config_selectorIyEEZNS1_11reduce_implILb1ES3_N6thrust23THRUST_200600_302600_NS6detail15normal_iteratorINS8_10device_ptrIyEEEEPffNS8_4plusIfEEEE10hipError_tPvRmT1_T2_T3_mT4_P12ihipStream_tbEUlT_E0_NS1_11comp_targetILNS1_3genE8ELNS1_11target_archE1030ELNS1_3gpuE2ELNS1_3repE0EEENS1_30default_config_static_selectorELNS0_4arch9wavefront6targetE1EEEvSK_,"axG",@progbits,_ZN7rocprim17ROCPRIM_400000_NS6detail17trampoline_kernelINS0_14default_configENS1_22reduce_config_selectorIyEEZNS1_11reduce_implILb1ES3_N6thrust23THRUST_200600_302600_NS6detail15normal_iteratorINS8_10device_ptrIyEEEEPffNS8_4plusIfEEEE10hipError_tPvRmT1_T2_T3_mT4_P12ihipStream_tbEUlT_E0_NS1_11comp_targetILNS1_3genE8ELNS1_11target_archE1030ELNS1_3gpuE2ELNS1_3repE0EEENS1_30default_config_static_selectorELNS0_4arch9wavefront6targetE1EEEvSK_,comdat
.Lfunc_end377:
	.size	_ZN7rocprim17ROCPRIM_400000_NS6detail17trampoline_kernelINS0_14default_configENS1_22reduce_config_selectorIyEEZNS1_11reduce_implILb1ES3_N6thrust23THRUST_200600_302600_NS6detail15normal_iteratorINS8_10device_ptrIyEEEEPffNS8_4plusIfEEEE10hipError_tPvRmT1_T2_T3_mT4_P12ihipStream_tbEUlT_E0_NS1_11comp_targetILNS1_3genE8ELNS1_11target_archE1030ELNS1_3gpuE2ELNS1_3repE0EEENS1_30default_config_static_selectorELNS0_4arch9wavefront6targetE1EEEvSK_, .Lfunc_end377-_ZN7rocprim17ROCPRIM_400000_NS6detail17trampoline_kernelINS0_14default_configENS1_22reduce_config_selectorIyEEZNS1_11reduce_implILb1ES3_N6thrust23THRUST_200600_302600_NS6detail15normal_iteratorINS8_10device_ptrIyEEEEPffNS8_4plusIfEEEE10hipError_tPvRmT1_T2_T3_mT4_P12ihipStream_tbEUlT_E0_NS1_11comp_targetILNS1_3genE8ELNS1_11target_archE1030ELNS1_3gpuE2ELNS1_3repE0EEENS1_30default_config_static_selectorELNS0_4arch9wavefront6targetE1EEEvSK_
                                        ; -- End function
	.set _ZN7rocprim17ROCPRIM_400000_NS6detail17trampoline_kernelINS0_14default_configENS1_22reduce_config_selectorIyEEZNS1_11reduce_implILb1ES3_N6thrust23THRUST_200600_302600_NS6detail15normal_iteratorINS8_10device_ptrIyEEEEPffNS8_4plusIfEEEE10hipError_tPvRmT1_T2_T3_mT4_P12ihipStream_tbEUlT_E0_NS1_11comp_targetILNS1_3genE8ELNS1_11target_archE1030ELNS1_3gpuE2ELNS1_3repE0EEENS1_30default_config_static_selectorELNS0_4arch9wavefront6targetE1EEEvSK_.num_vgpr, 0
	.set _ZN7rocprim17ROCPRIM_400000_NS6detail17trampoline_kernelINS0_14default_configENS1_22reduce_config_selectorIyEEZNS1_11reduce_implILb1ES3_N6thrust23THRUST_200600_302600_NS6detail15normal_iteratorINS8_10device_ptrIyEEEEPffNS8_4plusIfEEEE10hipError_tPvRmT1_T2_T3_mT4_P12ihipStream_tbEUlT_E0_NS1_11comp_targetILNS1_3genE8ELNS1_11target_archE1030ELNS1_3gpuE2ELNS1_3repE0EEENS1_30default_config_static_selectorELNS0_4arch9wavefront6targetE1EEEvSK_.num_agpr, 0
	.set _ZN7rocprim17ROCPRIM_400000_NS6detail17trampoline_kernelINS0_14default_configENS1_22reduce_config_selectorIyEEZNS1_11reduce_implILb1ES3_N6thrust23THRUST_200600_302600_NS6detail15normal_iteratorINS8_10device_ptrIyEEEEPffNS8_4plusIfEEEE10hipError_tPvRmT1_T2_T3_mT4_P12ihipStream_tbEUlT_E0_NS1_11comp_targetILNS1_3genE8ELNS1_11target_archE1030ELNS1_3gpuE2ELNS1_3repE0EEENS1_30default_config_static_selectorELNS0_4arch9wavefront6targetE1EEEvSK_.numbered_sgpr, 0
	.set _ZN7rocprim17ROCPRIM_400000_NS6detail17trampoline_kernelINS0_14default_configENS1_22reduce_config_selectorIyEEZNS1_11reduce_implILb1ES3_N6thrust23THRUST_200600_302600_NS6detail15normal_iteratorINS8_10device_ptrIyEEEEPffNS8_4plusIfEEEE10hipError_tPvRmT1_T2_T3_mT4_P12ihipStream_tbEUlT_E0_NS1_11comp_targetILNS1_3genE8ELNS1_11target_archE1030ELNS1_3gpuE2ELNS1_3repE0EEENS1_30default_config_static_selectorELNS0_4arch9wavefront6targetE1EEEvSK_.num_named_barrier, 0
	.set _ZN7rocprim17ROCPRIM_400000_NS6detail17trampoline_kernelINS0_14default_configENS1_22reduce_config_selectorIyEEZNS1_11reduce_implILb1ES3_N6thrust23THRUST_200600_302600_NS6detail15normal_iteratorINS8_10device_ptrIyEEEEPffNS8_4plusIfEEEE10hipError_tPvRmT1_T2_T3_mT4_P12ihipStream_tbEUlT_E0_NS1_11comp_targetILNS1_3genE8ELNS1_11target_archE1030ELNS1_3gpuE2ELNS1_3repE0EEENS1_30default_config_static_selectorELNS0_4arch9wavefront6targetE1EEEvSK_.private_seg_size, 0
	.set _ZN7rocprim17ROCPRIM_400000_NS6detail17trampoline_kernelINS0_14default_configENS1_22reduce_config_selectorIyEEZNS1_11reduce_implILb1ES3_N6thrust23THRUST_200600_302600_NS6detail15normal_iteratorINS8_10device_ptrIyEEEEPffNS8_4plusIfEEEE10hipError_tPvRmT1_T2_T3_mT4_P12ihipStream_tbEUlT_E0_NS1_11comp_targetILNS1_3genE8ELNS1_11target_archE1030ELNS1_3gpuE2ELNS1_3repE0EEENS1_30default_config_static_selectorELNS0_4arch9wavefront6targetE1EEEvSK_.uses_vcc, 0
	.set _ZN7rocprim17ROCPRIM_400000_NS6detail17trampoline_kernelINS0_14default_configENS1_22reduce_config_selectorIyEEZNS1_11reduce_implILb1ES3_N6thrust23THRUST_200600_302600_NS6detail15normal_iteratorINS8_10device_ptrIyEEEEPffNS8_4plusIfEEEE10hipError_tPvRmT1_T2_T3_mT4_P12ihipStream_tbEUlT_E0_NS1_11comp_targetILNS1_3genE8ELNS1_11target_archE1030ELNS1_3gpuE2ELNS1_3repE0EEENS1_30default_config_static_selectorELNS0_4arch9wavefront6targetE1EEEvSK_.uses_flat_scratch, 0
	.set _ZN7rocprim17ROCPRIM_400000_NS6detail17trampoline_kernelINS0_14default_configENS1_22reduce_config_selectorIyEEZNS1_11reduce_implILb1ES3_N6thrust23THRUST_200600_302600_NS6detail15normal_iteratorINS8_10device_ptrIyEEEEPffNS8_4plusIfEEEE10hipError_tPvRmT1_T2_T3_mT4_P12ihipStream_tbEUlT_E0_NS1_11comp_targetILNS1_3genE8ELNS1_11target_archE1030ELNS1_3gpuE2ELNS1_3repE0EEENS1_30default_config_static_selectorELNS0_4arch9wavefront6targetE1EEEvSK_.has_dyn_sized_stack, 0
	.set _ZN7rocprim17ROCPRIM_400000_NS6detail17trampoline_kernelINS0_14default_configENS1_22reduce_config_selectorIyEEZNS1_11reduce_implILb1ES3_N6thrust23THRUST_200600_302600_NS6detail15normal_iteratorINS8_10device_ptrIyEEEEPffNS8_4plusIfEEEE10hipError_tPvRmT1_T2_T3_mT4_P12ihipStream_tbEUlT_E0_NS1_11comp_targetILNS1_3genE8ELNS1_11target_archE1030ELNS1_3gpuE2ELNS1_3repE0EEENS1_30default_config_static_selectorELNS0_4arch9wavefront6targetE1EEEvSK_.has_recursion, 0
	.set _ZN7rocprim17ROCPRIM_400000_NS6detail17trampoline_kernelINS0_14default_configENS1_22reduce_config_selectorIyEEZNS1_11reduce_implILb1ES3_N6thrust23THRUST_200600_302600_NS6detail15normal_iteratorINS8_10device_ptrIyEEEEPffNS8_4plusIfEEEE10hipError_tPvRmT1_T2_T3_mT4_P12ihipStream_tbEUlT_E0_NS1_11comp_targetILNS1_3genE8ELNS1_11target_archE1030ELNS1_3gpuE2ELNS1_3repE0EEENS1_30default_config_static_selectorELNS0_4arch9wavefront6targetE1EEEvSK_.has_indirect_call, 0
	.section	.AMDGPU.csdata,"",@progbits
; Kernel info:
; codeLenInByte = 0
; TotalNumSgprs: 6
; NumVgprs: 0
; NumAgprs: 0
; TotalNumVgprs: 0
; ScratchSize: 0
; MemoryBound: 0
; FloatMode: 240
; IeeeMode: 1
; LDSByteSize: 0 bytes/workgroup (compile time only)
; SGPRBlocks: 0
; VGPRBlocks: 0
; NumSGPRsForWavesPerEU: 6
; NumVGPRsForWavesPerEU: 1
; AccumOffset: 4
; Occupancy: 8
; WaveLimiterHint : 0
; COMPUTE_PGM_RSRC2:SCRATCH_EN: 0
; COMPUTE_PGM_RSRC2:USER_SGPR: 2
; COMPUTE_PGM_RSRC2:TRAP_HANDLER: 0
; COMPUTE_PGM_RSRC2:TGID_X_EN: 1
; COMPUTE_PGM_RSRC2:TGID_Y_EN: 0
; COMPUTE_PGM_RSRC2:TGID_Z_EN: 0
; COMPUTE_PGM_RSRC2:TIDIG_COMP_CNT: 0
; COMPUTE_PGM_RSRC3_GFX90A:ACCUM_OFFSET: 0
; COMPUTE_PGM_RSRC3_GFX90A:TG_SPLIT: 0
	.section	.text._ZN7rocprim17ROCPRIM_400000_NS6detail17trampoline_kernelINS0_14default_configENS1_22reduce_config_selectorIyEEZNS1_11reduce_implILb1ES3_N6thrust23THRUST_200600_302600_NS6detail15normal_iteratorINS8_10device_ptrIyEEEEPffNS8_4plusIfEEEE10hipError_tPvRmT1_T2_T3_mT4_P12ihipStream_tbEUlT_E1_NS1_11comp_targetILNS1_3genE0ELNS1_11target_archE4294967295ELNS1_3gpuE0ELNS1_3repE0EEENS1_30default_config_static_selectorELNS0_4arch9wavefront6targetE1EEEvSK_,"axG",@progbits,_ZN7rocprim17ROCPRIM_400000_NS6detail17trampoline_kernelINS0_14default_configENS1_22reduce_config_selectorIyEEZNS1_11reduce_implILb1ES3_N6thrust23THRUST_200600_302600_NS6detail15normal_iteratorINS8_10device_ptrIyEEEEPffNS8_4plusIfEEEE10hipError_tPvRmT1_T2_T3_mT4_P12ihipStream_tbEUlT_E1_NS1_11comp_targetILNS1_3genE0ELNS1_11target_archE4294967295ELNS1_3gpuE0ELNS1_3repE0EEENS1_30default_config_static_selectorELNS0_4arch9wavefront6targetE1EEEvSK_,comdat
	.protected	_ZN7rocprim17ROCPRIM_400000_NS6detail17trampoline_kernelINS0_14default_configENS1_22reduce_config_selectorIyEEZNS1_11reduce_implILb1ES3_N6thrust23THRUST_200600_302600_NS6detail15normal_iteratorINS8_10device_ptrIyEEEEPffNS8_4plusIfEEEE10hipError_tPvRmT1_T2_T3_mT4_P12ihipStream_tbEUlT_E1_NS1_11comp_targetILNS1_3genE0ELNS1_11target_archE4294967295ELNS1_3gpuE0ELNS1_3repE0EEENS1_30default_config_static_selectorELNS0_4arch9wavefront6targetE1EEEvSK_ ; -- Begin function _ZN7rocprim17ROCPRIM_400000_NS6detail17trampoline_kernelINS0_14default_configENS1_22reduce_config_selectorIyEEZNS1_11reduce_implILb1ES3_N6thrust23THRUST_200600_302600_NS6detail15normal_iteratorINS8_10device_ptrIyEEEEPffNS8_4plusIfEEEE10hipError_tPvRmT1_T2_T3_mT4_P12ihipStream_tbEUlT_E1_NS1_11comp_targetILNS1_3genE0ELNS1_11target_archE4294967295ELNS1_3gpuE0ELNS1_3repE0EEENS1_30default_config_static_selectorELNS0_4arch9wavefront6targetE1EEEvSK_
	.globl	_ZN7rocprim17ROCPRIM_400000_NS6detail17trampoline_kernelINS0_14default_configENS1_22reduce_config_selectorIyEEZNS1_11reduce_implILb1ES3_N6thrust23THRUST_200600_302600_NS6detail15normal_iteratorINS8_10device_ptrIyEEEEPffNS8_4plusIfEEEE10hipError_tPvRmT1_T2_T3_mT4_P12ihipStream_tbEUlT_E1_NS1_11comp_targetILNS1_3genE0ELNS1_11target_archE4294967295ELNS1_3gpuE0ELNS1_3repE0EEENS1_30default_config_static_selectorELNS0_4arch9wavefront6targetE1EEEvSK_
	.p2align	8
	.type	_ZN7rocprim17ROCPRIM_400000_NS6detail17trampoline_kernelINS0_14default_configENS1_22reduce_config_selectorIyEEZNS1_11reduce_implILb1ES3_N6thrust23THRUST_200600_302600_NS6detail15normal_iteratorINS8_10device_ptrIyEEEEPffNS8_4plusIfEEEE10hipError_tPvRmT1_T2_T3_mT4_P12ihipStream_tbEUlT_E1_NS1_11comp_targetILNS1_3genE0ELNS1_11target_archE4294967295ELNS1_3gpuE0ELNS1_3repE0EEENS1_30default_config_static_selectorELNS0_4arch9wavefront6targetE1EEEvSK_,@function
_ZN7rocprim17ROCPRIM_400000_NS6detail17trampoline_kernelINS0_14default_configENS1_22reduce_config_selectorIyEEZNS1_11reduce_implILb1ES3_N6thrust23THRUST_200600_302600_NS6detail15normal_iteratorINS8_10device_ptrIyEEEEPffNS8_4plusIfEEEE10hipError_tPvRmT1_T2_T3_mT4_P12ihipStream_tbEUlT_E1_NS1_11comp_targetILNS1_3genE0ELNS1_11target_archE4294967295ELNS1_3gpuE0ELNS1_3repE0EEENS1_30default_config_static_selectorELNS0_4arch9wavefront6targetE1EEEvSK_: ; @_ZN7rocprim17ROCPRIM_400000_NS6detail17trampoline_kernelINS0_14default_configENS1_22reduce_config_selectorIyEEZNS1_11reduce_implILb1ES3_N6thrust23THRUST_200600_302600_NS6detail15normal_iteratorINS8_10device_ptrIyEEEEPffNS8_4plusIfEEEE10hipError_tPvRmT1_T2_T3_mT4_P12ihipStream_tbEUlT_E1_NS1_11comp_targetILNS1_3genE0ELNS1_11target_archE4294967295ELNS1_3gpuE0ELNS1_3repE0EEENS1_30default_config_static_selectorELNS0_4arch9wavefront6targetE1EEEvSK_
; %bb.0:
	s_load_dword s33, s[0:1], 0x4
	s_load_dwordx4 s[36:39], s[0:1], 0x8
	s_waitcnt lgkmcnt(0)
	s_cmp_lt_i32 s33, 4
	s_cbranch_scc1 .LBB378_11
; %bb.1:
	s_cmp_gt_i32 s33, 7
	s_cbranch_scc0 .LBB378_12
; %bb.2:
	s_cmp_gt_i32 s33, 15
	s_cbranch_scc0 .LBB378_13
; %bb.3:
	s_cmp_eq_u32 s33, 16
	s_mov_b64 s[34:35], 0
	s_cbranch_scc0 .LBB378_14
; %bb.4:
	s_mov_b32 s3, 0
	s_lshl_b32 s4, s2, 12
	s_mov_b32 s5, s3
	s_lshr_b64 s[6:7], s[38:39], 12
	s_lshl_b64 s[8:9], s[4:5], 3
	s_add_u32 s40, s36, s8
	s_addc_u32 s41, s37, s9
	s_cmp_lg_u64 s[6:7], s[2:3]
	s_cbranch_scc0 .LBB378_23
; %bb.5:
	v_lshlrev_b32_e32 v2, 3, v0
	v_mov_b32_e32 v3, 0
	v_lshl_add_u64 v[4:5], s[40:41], 0, v[2:3]
	global_load_dwordx2 v[6:7], v2, s[40:41]
	global_load_dwordx2 v[8:9], v2, s[40:41] offset:2048
	s_movk_i32 s5, 0x1000
	v_add_co_u32_e32 v2, vcc, s5, v4
	s_movk_i32 s5, 0x2000
	s_nop 0
	v_addc_co_u32_e32 v3, vcc, 0, v5, vcc
	v_add_co_u32_e32 v10, vcc, s5, v4
	s_movk_i32 s5, 0x4000
	s_nop 0
	v_addc_co_u32_e32 v11, vcc, 0, v5, vcc
	global_load_dwordx2 v[12:13], v[10:11], off offset:-4096
	global_load_dwordx2 v[14:15], v[2:3], off offset:2048
	global_load_dwordx2 v[16:17], v[10:11], off
	global_load_dwordx2 v[18:19], v[10:11], off offset:2048
	v_add_co_u32_e32 v2, vcc, s5, v4
	s_movk_i32 s5, 0x3000
	s_nop 0
	v_addc_co_u32_e32 v3, vcc, 0, v5, vcc
	global_load_dwordx2 v[10:11], v[2:3], off offset:-4096
	global_load_dwordx2 v[24:25], v[2:3], off
	v_add_co_u32_e32 v20, vcc, s5, v4
	global_load_dwordx2 v[2:3], v[2:3], off offset:2048
	s_nop 0
	v_addc_co_u32_e32 v21, vcc, 0, v5, vcc
	global_load_dwordx2 v[20:21], v[20:21], off offset:2048
	s_movk_i32 s5, 0x5000
	v_add_co_u32_e32 v22, vcc, s5, v4
	s_movk_i32 s6, 0x6000
	s_nop 0
	v_addc_co_u32_e32 v23, vcc, 0, v5, vcc
	v_add_co_u32_e32 v26, vcc, s6, v4
	s_movk_i32 s7, 0x7000
	s_nop 0
	v_addc_co_u32_e32 v27, vcc, 0, v5, vcc
	v_add_co_u32_e32 v4, vcc, s7, v4
	s_waitcnt vmcnt(9)
	v_ffbh_u32_e32 v1, v7
	v_addc_co_u32_e32 v5, vcc, 0, v5, vcc
	global_load_dwordx2 v[28:29], v[26:27], off offset:-4096
	global_load_dwordx2 v[30:31], v[26:27], off
	global_load_dwordx2 v[32:33], v[26:27], off offset:2048
	global_load_dwordx2 v[34:35], v[22:23], off offset:2048
	global_load_dwordx2 v[36:37], v[4:5], off
	global_load_dwordx2 v[38:39], v[4:5], off offset:2048
	s_waitcnt vmcnt(14)
	v_ffbh_u32_e32 v4, v9
	v_min_u32_e32 v1, 32, v1
	v_min_u32_e32 v22, 32, v4
	v_lshlrev_b64 v[4:5], v1, v[6:7]
	v_lshlrev_b64 v[6:7], v22, v[8:9]
	v_min_u32_e32 v4, 1, v4
	s_waitcnt vmcnt(13)
	v_ffbh_u32_e32 v8, v13
	s_waitcnt vmcnt(12)
	v_ffbh_u32_e32 v9, v15
	v_min_u32_e32 v8, 32, v8
	v_min_u32_e32 v6, 1, v6
	;; [unrolled: 1-line block ×3, first 2 shown]
	v_or_b32_e32 v27, v5, v4
	v_lshlrev_b64 v[4:5], v8, v[12:13]
	v_or_b32_e32 v40, v7, v6
	v_lshlrev_b64 v[6:7], v9, v[14:15]
	v_min_u32_e32 v4, 1, v4
	v_min_u32_e32 v6, 1, v6
	v_or_b32_e32 v4, v5, v4
	s_waitcnt vmcnt(11)
	v_ffbh_u32_e32 v23, v17
	v_or_b32_e32 v5, v7, v6
	v_cvt_f32_u32_e32 v4, v4
	v_min_u32_e32 v23, 32, v23
	v_cvt_f32_u32_e32 v5, v5
	v_sub_u32_e32 v12, 32, v8
	v_sub_u32_e32 v13, 32, v9
	v_lshlrev_b64 v[8:9], v23, v[16:17]
	s_waitcnt vmcnt(10)
	v_ffbh_u32_e32 v26, v19
	v_min_u32_e32 v8, 1, v8
	v_or_b32_e32 v6, v9, v8
	v_ldexp_f32 v8, v4, v12
	v_min_u32_e32 v12, 32, v26
	v_ldexp_f32 v9, v5, v13
	v_lshlrev_b64 v[4:5], v12, v[18:19]
	v_min_u32_e32 v4, 1, v4
	v_cvt_f32_u32_e32 v6, v6
	v_or_b32_e32 v4, v5, v4
	v_cvt_f32_u32_e32 v4, v4
	v_sub_u32_e32 v5, 32, v23
	v_ldexp_f32 v6, v6, v5
	v_sub_u32_e32 v5, 32, v12
	v_ldexp_f32 v12, v4, v5
	s_waitcnt vmcnt(9)
	v_ffbh_u32_e32 v4, v11
	v_min_u32_e32 v13, 32, v4
	v_lshlrev_b64 v[4:5], v13, v[10:11]
	v_min_u32_e32 v4, 1, v4
	v_or_b32_e32 v4, v5, v4
	v_cvt_f32_u32_e32 v10, v4
	s_waitcnt vmcnt(6)
	v_ffbh_u32_e32 v4, v21
	v_min_u32_e32 v11, 32, v4
	v_lshlrev_b64 v[4:5], v11, v[20:21]
	v_min_u32_e32 v4, 1, v4
	v_or_b32_e32 v4, v5, v4
	v_cvt_f32_u32_e32 v4, v4
	v_sub_u32_e32 v5, 32, v13
	v_ldexp_f32 v10, v10, v5
	v_sub_u32_e32 v5, 32, v11
	v_ldexp_f32 v11, v4, v5
	v_ffbh_u32_e32 v4, v25
	v_min_u32_e32 v13, 32, v4
	v_lshlrev_b64 v[4:5], v13, v[24:25]
	v_min_u32_e32 v4, 1, v4
	v_or_b32_e32 v4, v5, v4
	v_ffbh_u32_e32 v5, v3
	v_min_u32_e32 v5, 32, v5
	v_lshlrev_b64 v[2:3], v5, v[2:3]
	v_min_u32_e32 v2, 1, v2
	v_cvt_f32_u32_e32 v4, v4
	v_or_b32_e32 v2, v3, v2
	v_cvt_f32_u32_e32 v2, v2
	v_sub_u32_e32 v3, 32, v13
	v_ldexp_f32 v4, v4, v3
	v_sub_u32_e32 v3, 32, v5
	v_ldexp_f32 v5, v2, v3
	v_cvt_f32_u32_e32 v14, v27
	s_waitcnt vmcnt(5)
	v_ffbh_u32_e32 v2, v29
	v_min_u32_e32 v13, 32, v2
	v_cvt_f32_u32_e32 v15, v40
	v_lshlrev_b64 v[2:3], v13, v[28:29]
	v_min_u32_e32 v2, 1, v2
	v_sub_u32_e32 v1, 32, v1
	v_or_b32_e32 v2, v3, v2
	v_sub_u32_e32 v22, 32, v22
	v_ldexp_f32 v1, v14, v1
	v_cvt_f32_u32_e32 v14, v2
	s_waitcnt vmcnt(2)
	v_ffbh_u32_e32 v2, v35
	v_ldexp_f32 v7, v15, v22
	v_min_u32_e32 v15, 32, v2
	v_lshlrev_b64 v[2:3], v15, v[34:35]
	v_min_u32_e32 v2, 1, v2
	v_or_b32_e32 v2, v3, v2
	v_cvt_f32_u32_e32 v2, v2
	v_sub_u32_e32 v3, 32, v13
	v_ldexp_f32 v13, v14, v3
	v_sub_u32_e32 v3, 32, v15
	v_ldexp_f32 v14, v2, v3
	v_ffbh_u32_e32 v2, v31
	v_min_u32_e32 v15, 32, v2
	v_lshlrev_b64 v[2:3], v15, v[30:31]
	v_min_u32_e32 v2, 1, v2
	v_or_b32_e32 v2, v3, v2
	v_cvt_f32_u32_e32 v16, v2
	v_ffbh_u32_e32 v2, v33
	v_min_u32_e32 v17, 32, v2
	v_lshlrev_b64 v[2:3], v17, v[32:33]
	v_min_u32_e32 v2, 1, v2
	v_or_b32_e32 v2, v3, v2
	v_cvt_f32_u32_e32 v2, v2
	v_sub_u32_e32 v3, 32, v15
	v_ldexp_f32 v15, v16, v3
	v_sub_u32_e32 v3, 32, v17
	v_ldexp_f32 v16, v2, v3
	s_waitcnt vmcnt(1)
	v_ffbh_u32_e32 v2, v37
	v_min_u32_e32 v17, 32, v2
	v_add_f32_e32 v1, v1, v7
	v_lshlrev_b64 v[2:3], v17, v[36:37]
	v_add_f32_e32 v1, v1, v8
	v_min_u32_e32 v2, 1, v2
	v_add_f32_e32 v1, v1, v9
	v_or_b32_e32 v2, v3, v2
	v_add_f32_e32 v1, v1, v6
	v_cvt_f32_u32_e32 v18, v2
	s_waitcnt vmcnt(0)
	v_ffbh_u32_e32 v2, v39
	v_add_f32_e32 v1, v1, v12
	v_min_u32_e32 v19, 32, v2
	v_add_f32_e32 v1, v1, v10
	v_lshlrev_b64 v[2:3], v19, v[38:39]
	v_add_f32_e32 v1, v1, v11
	v_min_u32_e32 v2, 1, v2
	v_add_f32_e32 v1, v1, v4
	v_or_b32_e32 v2, v3, v2
	v_add_f32_e32 v1, v1, v5
	v_cvt_f32_u32_e32 v2, v2
	v_add_f32_e32 v1, v1, v13
	v_add_f32_e32 v1, v1, v14
	v_sub_u32_e32 v3, 32, v17
	v_add_f32_e32 v1, v1, v15
	v_ldexp_f32 v3, v18, v3
	v_sub_u32_e32 v17, 32, v19
	v_add_f32_e32 v1, v1, v16
	v_ldexp_f32 v2, v2, v17
	v_add_f32_e32 v1, v1, v3
	v_add_f32_e32 v1, v1, v2
	v_mbcnt_lo_u32_b32 v2, -1, 0
	v_mbcnt_hi_u32_b32 v2, -1, v2
	v_add_f32_dpp v1, v1, v1 quad_perm:[1,0,3,2] row_mask:0xf bank_mask:0xf bound_ctrl:1
	v_lshlrev_b32_e32 v3, 2, v2
	v_or_b32_e32 v4, 0xfc, v3
	v_add_f32_dpp v1, v1, v1 quad_perm:[2,3,0,1] row_mask:0xf bank_mask:0xf bound_ctrl:1
	v_cmp_eq_u32_e32 vcc, 0, v2
	s_nop 0
	v_add_f32_dpp v1, v1, v1 row_ror:4 row_mask:0xf bank_mask:0xf bound_ctrl:1
	s_nop 1
	v_add_f32_dpp v1, v1, v1 row_ror:8 row_mask:0xf bank_mask:0xf bound_ctrl:1
	s_nop 1
	v_add_f32_dpp v1, v1, v1 row_bcast:15 row_mask:0xf bank_mask:0xf bound_ctrl:1
	s_nop 1
	v_add_f32_dpp v1, v1, v1 row_bcast:31 row_mask:0xf bank_mask:0xf bound_ctrl:1
	ds_bpermute_b32 v1, v4, v1
	s_and_saveexec_b64 s[6:7], vcc
	s_cbranch_execz .LBB378_7
; %bb.6:
	v_lshrrev_b32_e32 v4, 4, v0
	v_and_b32_e32 v4, 12, v4
	s_waitcnt lgkmcnt(0)
	ds_write_b32 v4, v1
.LBB378_7:
	s_or_b64 exec, exec, s[6:7]
	v_cmp_gt_u32_e32 vcc, 64, v0
	s_waitcnt lgkmcnt(0)
	s_barrier
	s_and_saveexec_b64 s[6:7], vcc
	s_cbranch_execz .LBB378_9
; %bb.8:
	v_and_b32_e32 v1, 3, v2
	v_lshlrev_b32_e32 v4, 2, v1
	ds_read_b32 v4, v4
	v_cmp_ne_u32_e32 vcc, 3, v1
	s_nop 1
	v_addc_co_u32_e32 v1, vcc, 0, v2, vcc
	v_lshlrev_b32_e32 v1, 2, v1
	s_waitcnt lgkmcnt(0)
	ds_bpermute_b32 v1, v1, v4
	v_or_b32_e32 v2, 8, v3
	s_waitcnt lgkmcnt(0)
	v_add_f32_e32 v1, v4, v1
	ds_bpermute_b32 v2, v2, v1
	s_waitcnt lgkmcnt(0)
	v_add_f32_e32 v1, v1, v2
.LBB378_9:
	s_or_b64 exec, exec, s[6:7]
.LBB378_10:
	v_cmp_eq_u32_e64 s[4:5], 0, v0
	s_and_b64 vcc, exec, s[34:35]
	s_cbranch_vccnz .LBB378_15
	s_branch .LBB378_61
.LBB378_11:
	s_mov_b64 s[4:5], 0
                                        ; implicit-def: $vgpr1
	s_cbranch_execnz .LBB378_110
	s_branch .LBB378_140
.LBB378_12:
	s_mov_b64 s[4:5], 0
                                        ; implicit-def: $vgpr1
	s_cbranch_execnz .LBB378_86
	s_branch .LBB378_94
.LBB378_13:
	s_mov_b64 s[34:35], -1
.LBB378_14:
	s_mov_b64 s[4:5], 0
                                        ; implicit-def: $vgpr1
	s_and_b64 vcc, exec, s[34:35]
	s_cbranch_vccz .LBB378_61
.LBB378_15:
	s_cmp_eq_u32 s33, 8
	s_cbranch_scc0 .LBB378_22
; %bb.16:
	s_mov_b32 s3, 0
	s_lshl_b32 s4, s2, 11
	s_mov_b32 s5, s3
	s_lshr_b64 s[6:7], s[38:39], 11
	s_lshl_b64 s[8:9], s[4:5], 3
	s_add_u32 s16, s36, s8
	s_addc_u32 s17, s37, s9
	s_cmp_lg_u64 s[6:7], s[2:3]
	s_cbranch_scc0 .LBB378_62
; %bb.17:
	v_lshlrev_b32_e32 v2, 3, v0
	v_mov_b32_e32 v3, 0
	v_lshl_add_u64 v[4:5], s[16:17], 0, v[2:3]
	s_movk_i32 s5, 0x1000
	global_load_dwordx2 v[6:7], v2, s[16:17]
	global_load_dwordx2 v[8:9], v2, s[16:17] offset:2048
	v_add_co_u32_e32 v2, vcc, s5, v4
	s_movk_i32 s5, 0x2000
	s_nop 0
	v_addc_co_u32_e32 v3, vcc, 0, v5, vcc
	v_add_co_u32_e32 v10, vcc, s5, v4
	s_movk_i32 s5, 0x3000
	s_nop 0
	v_addc_co_u32_e32 v11, vcc, 0, v5, vcc
	global_load_dwordx2 v[12:13], v[2:3], off offset:2048
	global_load_dwordx2 v[14:15], v[10:11], off offset:-4096
	global_load_dwordx2 v[16:17], v[10:11], off
	global_load_dwordx2 v[18:19], v[10:11], off offset:2048
	v_add_co_u32_e32 v2, vcc, s5, v4
	v_mbcnt_lo_u32_b32 v1, -1, 0
	s_nop 0
	v_addc_co_u32_e32 v3, vcc, 0, v5, vcc
	global_load_dwordx2 v[4:5], v[2:3], off
	global_load_dwordx2 v[10:11], v[2:3], off offset:2048
	v_mbcnt_hi_u32_b32 v2, -1, v1
	v_cmp_eq_u32_e32 vcc, 0, v2
	s_waitcnt vmcnt(7)
	v_ffbh_u32_e32 v1, v7
	s_waitcnt vmcnt(6)
	v_ffbh_u32_e32 v3, v9
	v_min_u32_e32 v1, 32, v1
	v_min_u32_e32 v3, 32, v3
	v_lshlrev_b64 v[6:7], v1, v[6:7]
	v_lshlrev_b64 v[8:9], v3, v[8:9]
	v_min_u32_e32 v6, 1, v6
	v_min_u32_e32 v8, 1, v8
	v_or_b32_e32 v26, v7, v6
	s_waitcnt vmcnt(5)
	v_ffbh_u32_e32 v21, v13
	s_waitcnt vmcnt(4)
	v_ffbh_u32_e32 v20, v15
	v_min_u32_e32 v20, 32, v20
	s_waitcnt vmcnt(3)
	v_ffbh_u32_e32 v22, v17
	s_waitcnt vmcnt(2)
	v_ffbh_u32_e32 v23, v19
	v_min_u32_e32 v21, 32, v21
	v_lshlrev_b64 v[6:7], v20, v[14:15]
	v_min_u32_e32 v22, 32, v22
	v_min_u32_e32 v23, 32, v23
	v_or_b32_e32 v27, v9, v8
	v_lshlrev_b64 v[8:9], v21, v[12:13]
	v_min_u32_e32 v6, 1, v6
	s_waitcnt vmcnt(1)
	v_ffbh_u32_e32 v24, v5
	v_lshlrev_b64 v[12:13], v22, v[16:17]
	v_sub_u32_e32 v16, 32, v22
	v_lshlrev_b64 v[14:15], v23, v[18:19]
	v_sub_u32_e32 v17, 32, v23
	v_cvt_f32_u32_e32 v22, v26
	v_cvt_f32_u32_e32 v23, v27
	v_min_u32_e32 v8, 1, v8
	v_or_b32_e32 v6, v7, v6
	s_waitcnt vmcnt(0)
	v_ffbh_u32_e32 v25, v11
	v_min_u32_e32 v24, 32, v24
	v_min_u32_e32 v12, 1, v12
	v_or_b32_e32 v7, v9, v8
	v_cvt_f32_u32_e32 v6, v6
	v_min_u32_e32 v25, 32, v25
	v_lshlrev_b64 v[4:5], v24, v[4:5]
	v_min_u32_e32 v14, 1, v14
	v_or_b32_e32 v8, v13, v12
	v_cvt_f32_u32_e32 v7, v7
	v_sub_u32_e32 v1, 32, v1
	v_sub_u32_e32 v3, 32, v3
	v_lshlrev_b64 v[10:11], v25, v[10:11]
	v_min_u32_e32 v4, 1, v4
	v_or_b32_e32 v9, v15, v14
	v_cvt_f32_u32_e32 v8, v8
	v_sub_u32_e32 v20, 32, v20
	v_min_u32_e32 v10, 1, v10
	v_or_b32_e32 v4, v5, v4
	v_cvt_f32_u32_e32 v9, v9
	v_ldexp_f32 v1, v22, v1
	v_ldexp_f32 v3, v23, v3
	v_sub_u32_e32 v21, 32, v21
	v_or_b32_e32 v5, v11, v10
	v_cvt_f32_u32_e32 v4, v4
	v_add_f32_e32 v1, v1, v3
	v_ldexp_f32 v3, v6, v20
	v_cvt_f32_u32_e32 v5, v5
	v_ldexp_f32 v6, v7, v21
	v_add_f32_e32 v1, v1, v3
	v_ldexp_f32 v7, v8, v16
	v_add_f32_e32 v1, v1, v6
	v_sub_u32_e32 v18, 32, v24
	v_ldexp_f32 v8, v9, v17
	v_add_f32_e32 v1, v1, v7
	v_sub_u32_e32 v19, 32, v25
	v_ldexp_f32 v4, v4, v18
	v_add_f32_e32 v1, v1, v8
	v_ldexp_f32 v5, v5, v19
	v_add_f32_e32 v1, v1, v4
	v_add_f32_e32 v1, v1, v5
	v_lshlrev_b32_e32 v3, 2, v2
	v_or_b32_e32 v4, 0xfc, v3
	v_add_f32_dpp v1, v1, v1 quad_perm:[1,0,3,2] row_mask:0xf bank_mask:0xf bound_ctrl:1
	s_nop 1
	v_add_f32_dpp v1, v1, v1 quad_perm:[2,3,0,1] row_mask:0xf bank_mask:0xf bound_ctrl:1
	s_nop 1
	v_add_f32_dpp v1, v1, v1 row_ror:4 row_mask:0xf bank_mask:0xf bound_ctrl:1
	s_nop 1
	v_add_f32_dpp v1, v1, v1 row_ror:8 row_mask:0xf bank_mask:0xf bound_ctrl:1
	s_nop 1
	v_add_f32_dpp v1, v1, v1 row_bcast:15 row_mask:0xf bank_mask:0xf bound_ctrl:1
	s_nop 1
	v_add_f32_dpp v1, v1, v1 row_bcast:31 row_mask:0xf bank_mask:0xf bound_ctrl:1
	ds_bpermute_b32 v1, v4, v1
	s_and_saveexec_b64 s[6:7], vcc
	s_cbranch_execz .LBB378_19
; %bb.18:
	v_lshrrev_b32_e32 v4, 4, v0
	v_and_b32_e32 v4, 12, v4
	s_waitcnt lgkmcnt(0)
	ds_write_b32 v4, v1 offset:64
.LBB378_19:
	s_or_b64 exec, exec, s[6:7]
	v_cmp_gt_u32_e32 vcc, 64, v0
	s_waitcnt lgkmcnt(0)
	s_barrier
	s_and_saveexec_b64 s[6:7], vcc
	s_cbranch_execz .LBB378_21
; %bb.20:
	v_and_b32_e32 v1, 3, v2
	v_lshlrev_b32_e32 v4, 2, v1
	ds_read_b32 v4, v4 offset:64
	v_cmp_ne_u32_e32 vcc, 3, v1
	s_nop 1
	v_addc_co_u32_e32 v1, vcc, 0, v2, vcc
	v_lshlrev_b32_e32 v1, 2, v1
	s_waitcnt lgkmcnt(0)
	ds_bpermute_b32 v1, v1, v4
	v_or_b32_e32 v2, 8, v3
	s_waitcnt lgkmcnt(0)
	v_add_f32_e32 v1, v4, v1
	ds_bpermute_b32 v2, v2, v1
	s_waitcnt lgkmcnt(0)
	v_add_f32_e32 v1, v1, v2
.LBB378_21:
	s_or_b64 exec, exec, s[6:7]
	s_mov_b64 s[6:7], 0
	s_branch .LBB378_63
.LBB378_22:
                                        ; implicit-def: $vgpr1
	s_branch .LBB378_94
.LBB378_23:
                                        ; implicit-def: $vgpr1
	s_cbranch_execz .LBB378_10
; %bb.24:
	s_sub_i32 s44, s38, s4
	v_mov_b32_e32 v2, 0
	v_cmp_gt_u32_e32 vcc, s44, v0
	v_mov_b32_e32 v3, v2
	v_mov_b32_e32 v4, v2
	;; [unrolled: 1-line block ×15, first 2 shown]
	s_and_saveexec_b64 s[4:5], vcc
	s_cbranch_execz .LBB378_26
; %bb.25:
	v_lshlrev_b32_e32 v1, 3, v0
	global_load_dwordx2 v[18:19], v1, s[40:41]
	v_mov_b32_e32 v5, v2
	v_mov_b32_e32 v6, v2
	;; [unrolled: 1-line block ×13, first 2 shown]
	s_waitcnt vmcnt(0)
	v_ffbh_u32_e32 v1, v19
	v_min_u32_e32 v1, 32, v1
	v_lshlrev_b64 v[18:19], v1, v[18:19]
	v_min_u32_e32 v3, 1, v18
	v_or_b32_e32 v3, v19, v3
	v_cvt_f32_u32_e32 v3, v3
	v_sub_u32_e32 v1, 32, v1
	v_mov_b32_e32 v18, v2
	v_mov_b32_e32 v19, v2
	v_ldexp_f32 v4, v3, v1
	v_mov_b64_e32 v[2:3], v[4:5]
	v_mov_b64_e32 v[4:5], v[6:7]
	;; [unrolled: 1-line block ×8, first 2 shown]
.LBB378_26:
	s_or_b64 exec, exec, s[4:5]
	v_or_b32_e32 v1, 0x100, v0
	v_cmp_gt_u32_e32 vcc, s44, v1
	s_and_saveexec_b64 s[4:5], vcc
	s_cbranch_execz .LBB378_28
; %bb.27:
	v_lshlrev_b32_e32 v1, 3, v0
	global_load_dwordx2 v[18:19], v1, s[40:41] offset:2048
	s_waitcnt vmcnt(0)
	v_ffbh_u32_e32 v1, v19
	v_min_u32_e32 v1, 32, v1
	v_lshlrev_b64 v[18:19], v1, v[18:19]
	v_min_u32_e32 v3, 1, v18
	v_or_b32_e32 v3, v19, v3
	v_cvt_f32_u32_e32 v3, v3
	v_sub_u32_e32 v1, 32, v1
	v_ldexp_f32 v3, v3, v1
.LBB378_28:
	s_or_b64 exec, exec, s[4:5]
	v_or_b32_e32 v1, 0x200, v0
	v_cmp_gt_u32_e64 s[4:5], s44, v1
	s_and_saveexec_b64 s[6:7], s[4:5]
	s_cbranch_execz .LBB378_30
; %bb.29:
	v_lshlrev_b32_e32 v1, 3, v1
	global_load_dwordx2 v[18:19], v1, s[40:41]
	s_waitcnt vmcnt(0)
	v_ffbh_u32_e32 v1, v19
	v_min_u32_e32 v1, 32, v1
	v_lshlrev_b64 v[18:19], v1, v[18:19]
	v_min_u32_e32 v4, 1, v18
	v_or_b32_e32 v4, v19, v4
	v_cvt_f32_u32_e32 v4, v4
	v_sub_u32_e32 v1, 32, v1
	v_ldexp_f32 v4, v4, v1
.LBB378_30:
	s_or_b64 exec, exec, s[6:7]
	v_or_b32_e32 v1, 0x300, v0
	v_cmp_gt_u32_e64 s[6:7], s44, v1
	s_and_saveexec_b64 s[8:9], s[6:7]
	s_cbranch_execz .LBB378_32
; %bb.31:
	v_lshlrev_b32_e32 v1, 3, v1
	global_load_dwordx2 v[18:19], v1, s[40:41]
	s_waitcnt vmcnt(0)
	v_ffbh_u32_e32 v1, v19
	v_min_u32_e32 v1, 32, v1
	v_lshlrev_b64 v[18:19], v1, v[18:19]
	v_min_u32_e32 v5, 1, v18
	v_or_b32_e32 v5, v19, v5
	v_cvt_f32_u32_e32 v5, v5
	v_sub_u32_e32 v1, 32, v1
	v_ldexp_f32 v5, v5, v1
.LBB378_32:
	;; [unrolled: 18-line block ×14, first 2 shown]
	s_or_b64 exec, exec, s[42:43]
	v_add_f32_e32 v1, v2, v3
	v_cndmask_b32_e32 v1, v2, v1, vcc
	v_add_f32_e32 v2, v4, v1
	v_cndmask_b32_e64 v1, v1, v2, s[4:5]
	v_add_f32_e32 v2, v5, v1
	v_cndmask_b32_e64 v1, v1, v2, s[6:7]
	v_add_f32_e32 v2, v6, v1
	v_cndmask_b32_e64 v1, v1, v2, s[8:9]
	v_add_f32_e32 v2, v7, v1
	v_cndmask_b32_e64 v1, v1, v2, s[10:11]
	v_add_f32_e32 v2, v8, v1
	v_cndmask_b32_e64 v1, v1, v2, s[12:13]
	v_add_f32_e32 v2, v9, v1
	v_cndmask_b32_e64 v1, v1, v2, s[14:15]
	v_add_f32_e32 v2, v10, v1
	v_cndmask_b32_e64 v1, v1, v2, s[16:17]
	v_add_f32_e32 v2, v11, v1
	v_cndmask_b32_e64 v1, v1, v2, s[18:19]
	v_add_f32_e32 v2, v12, v1
	v_cndmask_b32_e64 v1, v1, v2, s[20:21]
	v_add_f32_e32 v2, v13, v1
	v_cndmask_b32_e64 v1, v1, v2, s[22:23]
	v_add_f32_e32 v2, v14, v1
	v_cndmask_b32_e64 v1, v1, v2, s[24:25]
	v_add_f32_e32 v2, v15, v1
	v_cndmask_b32_e64 v1, v1, v2, s[26:27]
	v_add_f32_e32 v2, v16, v1
	v_cndmask_b32_e64 v1, v1, v2, s[28:29]
	v_add_f32_e32 v2, v17, v1
	v_cndmask_b32_e64 v1, v1, v2, s[30:31]
	v_mbcnt_lo_u32_b32 v2, -1, 0
	v_mbcnt_hi_u32_b32 v2, -1, v2
	v_and_b32_e32 v4, 63, v2
	v_cmp_ne_u32_e32 vcc, 63, v4
	s_min_u32 s8, s44, 0x100
	v_and_b32_e32 v5, 0xc0, v0
	v_addc_co_u32_e32 v3, vcc, 0, v2, vcc
	v_lshlrev_b32_e32 v3, 2, v3
	ds_bpermute_b32 v3, v3, v1
	v_sub_u32_e64 v5, s8, v5 clamp
	v_add_u32_e32 v6, 1, v4
	v_cmp_gt_u32_e64 s[4:5], 62, v4
	v_cmp_lt_u32_e32 vcc, v6, v5
	s_waitcnt lgkmcnt(0)
	v_add_f32_e32 v3, v1, v3
	v_cndmask_b32_e64 v6, 0, 2, s[4:5]
	v_cndmask_b32_e32 v3, v1, v3, vcc
	v_add_lshl_u32 v6, v6, v2, 2
	ds_bpermute_b32 v6, v6, v3
	v_add_u32_e32 v7, 2, v4
	v_cmp_lt_u32_e64 s[4:5], v7, v5
	v_add_u32_e32 v7, 4, v4
	s_waitcnt lgkmcnt(0)
	v_add_f32_e32 v6, v3, v6
	v_cndmask_b32_e64 v3, v3, v6, s[4:5]
	v_cmp_gt_u32_e64 s[4:5], 60, v4
	s_nop 1
	v_cndmask_b32_e64 v6, 0, 4, s[4:5]
	v_add_lshl_u32 v6, v6, v2, 2
	ds_bpermute_b32 v6, v6, v3
	v_cmp_lt_u32_e64 s[4:5], v7, v5
	v_add_u32_e32 v7, 8, v4
	s_waitcnt lgkmcnt(0)
	v_add_f32_e32 v6, v3, v6
	v_cndmask_b32_e64 v3, v3, v6, s[4:5]
	v_cmp_gt_u32_e64 s[4:5], 56, v4
	s_nop 1
	v_cndmask_b32_e64 v6, 0, 8, s[4:5]
	v_add_lshl_u32 v6, v6, v2, 2
	ds_bpermute_b32 v6, v6, v3
	v_cmp_lt_u32_e64 s[4:5], v7, v5
	v_add_u32_e32 v7, 16, v4
	s_waitcnt lgkmcnt(0)
	v_add_f32_e32 v6, v3, v6
	v_cndmask_b32_e64 v3, v3, v6, s[4:5]
	v_cmp_gt_u32_e64 s[4:5], 48, v4
	v_add_u32_e32 v4, 32, v4
	s_nop 0
	v_cndmask_b32_e64 v6, 0, 16, s[4:5]
	v_add_lshl_u32 v6, v6, v2, 2
	ds_bpermute_b32 v6, v6, v3
	v_cmp_lt_u32_e64 s[4:5], v7, v5
	s_waitcnt lgkmcnt(0)
	v_add_f32_e32 v6, v3, v6
	v_cndmask_b32_e64 v6, v3, v6, s[4:5]
	v_lshlrev_b32_e32 v3, 2, v2
	v_or_b32_e32 v7, 0x80, v3
	ds_bpermute_b32 v7, v7, v6
	v_cmp_lt_u32_e64 s[4:5], v4, v5
	s_waitcnt lgkmcnt(0)
	v_add_f32_e32 v7, v6, v7
	v_cndmask_b32_e64 v4, v6, v7, s[4:5]
	v_cndmask_b32_e32 v1, v1, v4, vcc
	v_cmp_eq_u32_e32 vcc, 0, v2
	s_and_saveexec_b64 s[4:5], vcc
; %bb.57:
	v_lshrrev_b32_e32 v4, 4, v0
	v_and_b32_e32 v4, 12, v4
	ds_write_b32 v4, v1 offset:80
; %bb.58:
	s_or_b64 exec, exec, s[4:5]
	v_cmp_gt_u32_e32 vcc, 4, v0
	s_waitcnt lgkmcnt(0)
	s_barrier
	s_and_saveexec_b64 s[6:7], vcc
	s_cbranch_execz .LBB378_60
; %bb.59:
	ds_read_b32 v1, v3 offset:80
	v_and_b32_e32 v4, 3, v2
	v_cmp_ne_u32_e32 vcc, 3, v4
	s_add_i32 s8, s8, 63
	s_lshr_b32 s4, s8, 6
	v_addc_co_u32_e32 v2, vcc, 0, v2, vcc
	v_lshlrev_b32_e32 v2, 2, v2
	s_waitcnt lgkmcnt(0)
	ds_bpermute_b32 v2, v2, v1
	v_add_u32_e32 v5, 1, v4
	v_cmp_gt_u32_e32 vcc, s4, v5
	v_or_b32_e32 v3, 8, v3
	v_add_u32_e32 v4, 2, v4
	s_waitcnt lgkmcnt(0)
	v_add_f32_e32 v2, v1, v2
	v_cndmask_b32_e32 v2, v1, v2, vcc
	ds_bpermute_b32 v3, v3, v2
	v_cmp_gt_u32_e64 s[4:5], s4, v4
	s_waitcnt lgkmcnt(0)
	v_add_f32_e32 v3, v2, v3
	v_cndmask_b32_e64 v2, v2, v3, s[4:5]
	v_cndmask_b32_e32 v1, v1, v2, vcc
.LBB378_60:
	s_or_b64 exec, exec, s[6:7]
	v_cmp_eq_u32_e64 s[4:5], 0, v0
	s_and_b64 vcc, exec, s[34:35]
	s_cbranch_vccnz .LBB378_15
.LBB378_61:
	s_branch .LBB378_94
.LBB378_62:
	s_mov_b64 s[6:7], -1
                                        ; implicit-def: $vgpr1
.LBB378_63:
	s_and_b64 vcc, exec, s[6:7]
	s_cbranch_vccz .LBB378_85
; %bb.64:
	s_sub_i32 s20, s38, s4
	v_mov_b32_e32 v2, 0
	v_cmp_gt_u32_e32 vcc, s20, v0
	v_mov_b32_e32 v3, v2
	v_mov_b32_e32 v4, v2
	;; [unrolled: 1-line block ×7, first 2 shown]
	s_and_saveexec_b64 s[4:5], vcc
	s_cbranch_execz .LBB378_66
; %bb.65:
	v_lshlrev_b32_e32 v1, 3, v0
	global_load_dwordx2 v[10:11], v1, s[16:17]
	v_mov_b32_e32 v5, v2
	v_mov_b32_e32 v6, v2
	;; [unrolled: 1-line block ×5, first 2 shown]
	s_waitcnt vmcnt(0)
	v_ffbh_u32_e32 v1, v11
	v_min_u32_e32 v1, 32, v1
	v_lshlrev_b64 v[10:11], v1, v[10:11]
	v_min_u32_e32 v3, 1, v10
	v_or_b32_e32 v3, v11, v3
	v_cvt_f32_u32_e32 v3, v3
	v_sub_u32_e32 v1, 32, v1
	v_mov_b32_e32 v10, v2
	v_mov_b32_e32 v11, v2
	v_ldexp_f32 v4, v3, v1
	v_mov_b64_e32 v[2:3], v[4:5]
	v_mov_b64_e32 v[4:5], v[6:7]
	;; [unrolled: 1-line block ×4, first 2 shown]
.LBB378_66:
	s_or_b64 exec, exec, s[4:5]
	v_or_b32_e32 v1, 0x100, v0
	v_cmp_gt_u32_e32 vcc, s20, v1
	s_and_saveexec_b64 s[4:5], vcc
	s_cbranch_execz .LBB378_68
; %bb.67:
	v_lshlrev_b32_e32 v1, 3, v0
	global_load_dwordx2 v[10:11], v1, s[16:17] offset:2048
	s_waitcnt vmcnt(0)
	v_ffbh_u32_e32 v1, v11
	v_min_u32_e32 v1, 32, v1
	v_lshlrev_b64 v[10:11], v1, v[10:11]
	v_min_u32_e32 v3, 1, v10
	v_or_b32_e32 v3, v11, v3
	v_cvt_f32_u32_e32 v3, v3
	v_sub_u32_e32 v1, 32, v1
	v_ldexp_f32 v3, v3, v1
.LBB378_68:
	s_or_b64 exec, exec, s[4:5]
	v_or_b32_e32 v1, 0x200, v0
	v_cmp_gt_u32_e64 s[4:5], s20, v1
	s_and_saveexec_b64 s[6:7], s[4:5]
	s_cbranch_execz .LBB378_70
; %bb.69:
	v_lshlrev_b32_e32 v1, 3, v1
	global_load_dwordx2 v[10:11], v1, s[16:17]
	s_waitcnt vmcnt(0)
	v_ffbh_u32_e32 v1, v11
	v_min_u32_e32 v1, 32, v1
	v_lshlrev_b64 v[10:11], v1, v[10:11]
	v_min_u32_e32 v4, 1, v10
	v_or_b32_e32 v4, v11, v4
	v_cvt_f32_u32_e32 v4, v4
	v_sub_u32_e32 v1, 32, v1
	v_ldexp_f32 v4, v4, v1
.LBB378_70:
	s_or_b64 exec, exec, s[6:7]
	v_or_b32_e32 v1, 0x300, v0
	v_cmp_gt_u32_e64 s[6:7], s20, v1
	s_and_saveexec_b64 s[8:9], s[6:7]
	s_cbranch_execz .LBB378_72
; %bb.71:
	v_lshlrev_b32_e32 v1, 3, v1
	global_load_dwordx2 v[10:11], v1, s[16:17]
	s_waitcnt vmcnt(0)
	v_ffbh_u32_e32 v1, v11
	v_min_u32_e32 v1, 32, v1
	v_lshlrev_b64 v[10:11], v1, v[10:11]
	v_min_u32_e32 v5, 1, v10
	v_or_b32_e32 v5, v11, v5
	v_cvt_f32_u32_e32 v5, v5
	v_sub_u32_e32 v1, 32, v1
	v_ldexp_f32 v5, v5, v1
.LBB378_72:
	s_or_b64 exec, exec, s[8:9]
	v_or_b32_e32 v1, 0x400, v0
	v_cmp_gt_u32_e64 s[8:9], s20, v1
	s_and_saveexec_b64 s[10:11], s[8:9]
	s_cbranch_execz .LBB378_74
; %bb.73:
	v_lshlrev_b32_e32 v1, 3, v1
	global_load_dwordx2 v[10:11], v1, s[16:17]
	s_waitcnt vmcnt(0)
	v_ffbh_u32_e32 v1, v11
	v_min_u32_e32 v1, 32, v1
	v_lshlrev_b64 v[10:11], v1, v[10:11]
	v_min_u32_e32 v6, 1, v10
	v_or_b32_e32 v6, v11, v6
	v_cvt_f32_u32_e32 v6, v6
	v_sub_u32_e32 v1, 32, v1
	v_ldexp_f32 v6, v6, v1
.LBB378_74:
	s_or_b64 exec, exec, s[10:11]
	v_or_b32_e32 v1, 0x500, v0
	v_cmp_gt_u32_e64 s[10:11], s20, v1
	s_and_saveexec_b64 s[12:13], s[10:11]
	s_cbranch_execz .LBB378_76
; %bb.75:
	v_lshlrev_b32_e32 v1, 3, v1
	global_load_dwordx2 v[10:11], v1, s[16:17]
	s_waitcnt vmcnt(0)
	v_ffbh_u32_e32 v1, v11
	v_min_u32_e32 v1, 32, v1
	v_lshlrev_b64 v[10:11], v1, v[10:11]
	v_min_u32_e32 v7, 1, v10
	v_or_b32_e32 v7, v11, v7
	v_cvt_f32_u32_e32 v7, v7
	v_sub_u32_e32 v1, 32, v1
	v_ldexp_f32 v7, v7, v1
.LBB378_76:
	s_or_b64 exec, exec, s[12:13]
	v_or_b32_e32 v1, 0x600, v0
	v_cmp_gt_u32_e64 s[12:13], s20, v1
	s_and_saveexec_b64 s[14:15], s[12:13]
	s_cbranch_execz .LBB378_78
; %bb.77:
	v_lshlrev_b32_e32 v1, 3, v1
	global_load_dwordx2 v[10:11], v1, s[16:17]
	s_waitcnt vmcnt(0)
	v_ffbh_u32_e32 v1, v11
	v_min_u32_e32 v1, 32, v1
	v_lshlrev_b64 v[10:11], v1, v[10:11]
	v_min_u32_e32 v8, 1, v10
	v_or_b32_e32 v8, v11, v8
	v_cvt_f32_u32_e32 v8, v8
	v_sub_u32_e32 v1, 32, v1
	v_ldexp_f32 v8, v8, v1
.LBB378_78:
	s_or_b64 exec, exec, s[14:15]
	v_or_b32_e32 v1, 0x700, v0
	v_cmp_gt_u32_e64 s[14:15], s20, v1
	s_and_saveexec_b64 s[18:19], s[14:15]
	s_cbranch_execz .LBB378_80
; %bb.79:
	v_lshlrev_b32_e32 v1, 3, v1
	global_load_dwordx2 v[10:11], v1, s[16:17]
	s_waitcnt vmcnt(0)
	v_ffbh_u32_e32 v1, v11
	v_min_u32_e32 v1, 32, v1
	v_lshlrev_b64 v[10:11], v1, v[10:11]
	v_min_u32_e32 v9, 1, v10
	v_or_b32_e32 v9, v11, v9
	v_cvt_f32_u32_e32 v9, v9
	v_sub_u32_e32 v1, 32, v1
	v_ldexp_f32 v9, v9, v1
.LBB378_80:
	s_or_b64 exec, exec, s[18:19]
	v_add_f32_e32 v1, v2, v3
	v_cndmask_b32_e32 v1, v2, v1, vcc
	v_add_f32_e32 v2, v4, v1
	v_cndmask_b32_e64 v1, v1, v2, s[4:5]
	v_add_f32_e32 v2, v5, v1
	v_cndmask_b32_e64 v1, v1, v2, s[6:7]
	;; [unrolled: 2-line block ×6, first 2 shown]
	v_mbcnt_lo_u32_b32 v2, -1, 0
	v_mbcnt_hi_u32_b32 v2, -1, v2
	v_and_b32_e32 v4, 63, v2
	v_cmp_ne_u32_e32 vcc, 63, v4
	s_min_u32 s8, s20, 0x100
	v_and_b32_e32 v5, 0xc0, v0
	v_addc_co_u32_e32 v3, vcc, 0, v2, vcc
	v_lshlrev_b32_e32 v3, 2, v3
	ds_bpermute_b32 v3, v3, v1
	v_sub_u32_e64 v5, s8, v5 clamp
	v_add_u32_e32 v6, 1, v4
	v_cmp_gt_u32_e64 s[4:5], 62, v4
	v_cmp_lt_u32_e32 vcc, v6, v5
	s_waitcnt lgkmcnt(0)
	v_add_f32_e32 v3, v1, v3
	v_cndmask_b32_e64 v6, 0, 2, s[4:5]
	v_cndmask_b32_e32 v3, v1, v3, vcc
	v_add_lshl_u32 v6, v6, v2, 2
	ds_bpermute_b32 v6, v6, v3
	v_add_u32_e32 v7, 2, v4
	v_cmp_lt_u32_e64 s[4:5], v7, v5
	v_add_u32_e32 v7, 4, v4
	s_waitcnt lgkmcnt(0)
	v_add_f32_e32 v6, v3, v6
	v_cndmask_b32_e64 v3, v3, v6, s[4:5]
	v_cmp_gt_u32_e64 s[4:5], 60, v4
	s_nop 1
	v_cndmask_b32_e64 v6, 0, 4, s[4:5]
	v_add_lshl_u32 v6, v6, v2, 2
	ds_bpermute_b32 v6, v6, v3
	v_cmp_lt_u32_e64 s[4:5], v7, v5
	v_add_u32_e32 v7, 8, v4
	s_waitcnt lgkmcnt(0)
	v_add_f32_e32 v6, v3, v6
	v_cndmask_b32_e64 v3, v3, v6, s[4:5]
	v_cmp_gt_u32_e64 s[4:5], 56, v4
	s_nop 1
	v_cndmask_b32_e64 v6, 0, 8, s[4:5]
	v_add_lshl_u32 v6, v6, v2, 2
	ds_bpermute_b32 v6, v6, v3
	v_cmp_lt_u32_e64 s[4:5], v7, v5
	v_add_u32_e32 v7, 16, v4
	s_waitcnt lgkmcnt(0)
	v_add_f32_e32 v6, v3, v6
	v_cndmask_b32_e64 v3, v3, v6, s[4:5]
	v_cmp_gt_u32_e64 s[4:5], 48, v4
	v_add_u32_e32 v4, 32, v4
	s_nop 0
	v_cndmask_b32_e64 v6, 0, 16, s[4:5]
	v_add_lshl_u32 v6, v6, v2, 2
	ds_bpermute_b32 v6, v6, v3
	v_cmp_lt_u32_e64 s[4:5], v7, v5
	s_waitcnt lgkmcnt(0)
	v_add_f32_e32 v6, v3, v6
	v_cndmask_b32_e64 v6, v3, v6, s[4:5]
	v_lshlrev_b32_e32 v3, 2, v2
	v_or_b32_e32 v7, 0x80, v3
	ds_bpermute_b32 v7, v7, v6
	v_cmp_lt_u32_e64 s[4:5], v4, v5
	s_waitcnt lgkmcnt(0)
	v_add_f32_e32 v7, v6, v7
	v_cndmask_b32_e64 v4, v6, v7, s[4:5]
	v_cndmask_b32_e32 v1, v1, v4, vcc
	v_cmp_eq_u32_e32 vcc, 0, v2
	s_and_saveexec_b64 s[4:5], vcc
; %bb.81:
	v_lshrrev_b32_e32 v4, 4, v0
	v_and_b32_e32 v4, 12, v4
	ds_write_b32 v4, v1 offset:80
; %bb.82:
	s_or_b64 exec, exec, s[4:5]
	v_cmp_gt_u32_e32 vcc, 4, v0
	s_waitcnt lgkmcnt(0)
	s_barrier
	s_and_saveexec_b64 s[6:7], vcc
	s_cbranch_execz .LBB378_84
; %bb.83:
	ds_read_b32 v1, v3 offset:80
	v_and_b32_e32 v4, 3, v2
	v_cmp_ne_u32_e32 vcc, 3, v4
	s_add_i32 s8, s8, 63
	s_lshr_b32 s4, s8, 6
	v_addc_co_u32_e32 v2, vcc, 0, v2, vcc
	v_lshlrev_b32_e32 v2, 2, v2
	s_waitcnt lgkmcnt(0)
	ds_bpermute_b32 v2, v2, v1
	v_add_u32_e32 v5, 1, v4
	v_cmp_gt_u32_e32 vcc, s4, v5
	v_or_b32_e32 v3, 8, v3
	v_add_u32_e32 v4, 2, v4
	s_waitcnt lgkmcnt(0)
	v_add_f32_e32 v2, v1, v2
	v_cndmask_b32_e32 v2, v1, v2, vcc
	ds_bpermute_b32 v3, v3, v2
	v_cmp_gt_u32_e64 s[4:5], s4, v4
	s_waitcnt lgkmcnt(0)
	v_add_f32_e32 v3, v2, v3
	v_cndmask_b32_e64 v2, v2, v3, s[4:5]
	v_cndmask_b32_e32 v1, v1, v2, vcc
.LBB378_84:
	s_or_b64 exec, exec, s[6:7]
.LBB378_85:
	v_cmp_eq_u32_e64 s[4:5], 0, v0
	s_branch .LBB378_94
.LBB378_86:
	s_cmp_eq_u32 s33, 4
	s_cbranch_scc0 .LBB378_93
; %bb.87:
	s_mov_b32 s3, 0
	s_lshl_b32 s4, s2, 10
	s_mov_b32 s5, s3
	s_lshr_b64 s[6:7], s[38:39], 10
	s_lshl_b64 s[8:9], s[4:5], 3
	s_add_u32 s8, s36, s8
	s_addc_u32 s9, s37, s9
	s_cmp_lg_u64 s[6:7], s[2:3]
	s_cbranch_scc0 .LBB378_95
; %bb.88:
	v_lshlrev_b32_e32 v2, 3, v0
	v_mov_b32_e32 v3, 0
	global_load_dwordx2 v[4:5], v2, s[8:9]
	global_load_dwordx2 v[6:7], v2, s[8:9] offset:2048
	v_lshl_add_u64 v[2:3], s[8:9], 0, v[2:3]
	s_movk_i32 s5, 0x1000
	v_add_co_u32_e32 v2, vcc, s5, v2
	v_mbcnt_lo_u32_b32 v1, -1, 0
	s_nop 0
	v_addc_co_u32_e32 v3, vcc, 0, v3, vcc
	global_load_dwordx2 v[8:9], v[2:3], off
	global_load_dwordx2 v[10:11], v[2:3], off offset:2048
	v_mbcnt_hi_u32_b32 v2, -1, v1
	v_lshlrev_b32_e32 v3, 2, v2
	v_cmp_eq_u32_e32 vcc, 0, v2
	s_waitcnt vmcnt(3)
	v_ffbh_u32_e32 v1, v5
	s_waitcnt vmcnt(2)
	v_ffbh_u32_e32 v12, v7
	v_min_u32_e32 v1, 32, v1
	v_min_u32_e32 v12, 32, v12
	v_lshlrev_b64 v[4:5], v1, v[4:5]
	v_lshlrev_b64 v[6:7], v12, v[6:7]
	v_min_u32_e32 v4, 1, v4
	v_min_u32_e32 v6, 1, v6
	s_waitcnt vmcnt(1)
	v_ffbh_u32_e32 v13, v9
	s_waitcnt vmcnt(0)
	v_ffbh_u32_e32 v14, v11
	v_min_u32_e32 v13, 32, v13
	v_min_u32_e32 v14, 32, v14
	v_or_b32_e32 v15, v5, v4
	v_lshlrev_b64 v[4:5], v13, v[8:9]
	v_or_b32_e32 v16, v7, v6
	v_lshlrev_b64 v[6:7], v14, v[10:11]
	v_min_u32_e32 v4, 1, v4
	v_cvt_f32_u32_e32 v10, v15
	v_cvt_f32_u32_e32 v11, v16
	v_min_u32_e32 v6, 1, v6
	v_or_b32_e32 v4, v5, v4
	v_or_b32_e32 v5, v7, v6
	v_cvt_f32_u32_e32 v4, v4
	v_cvt_f32_u32_e32 v5, v5
	v_sub_u32_e32 v1, 32, v1
	v_sub_u32_e32 v12, 32, v12
	;; [unrolled: 1-line block ×3, first 2 shown]
	v_ldexp_f32 v1, v10, v1
	v_ldexp_f32 v6, v11, v12
	v_sub_u32_e32 v9, 32, v14
	v_add_f32_e32 v1, v1, v6
	v_ldexp_f32 v4, v4, v8
	v_ldexp_f32 v5, v5, v9
	v_add_f32_e32 v1, v1, v4
	v_add_f32_e32 v1, v1, v5
	v_or_b32_e32 v4, 0xfc, v3
	s_nop 0
	v_add_f32_dpp v1, v1, v1 quad_perm:[1,0,3,2] row_mask:0xf bank_mask:0xf bound_ctrl:1
	s_nop 1
	v_add_f32_dpp v1, v1, v1 quad_perm:[2,3,0,1] row_mask:0xf bank_mask:0xf bound_ctrl:1
	s_nop 1
	v_add_f32_dpp v1, v1, v1 row_ror:4 row_mask:0xf bank_mask:0xf bound_ctrl:1
	s_nop 1
	v_add_f32_dpp v1, v1, v1 row_ror:8 row_mask:0xf bank_mask:0xf bound_ctrl:1
	s_nop 1
	v_add_f32_dpp v1, v1, v1 row_bcast:15 row_mask:0xf bank_mask:0xf bound_ctrl:1
	s_nop 1
	v_add_f32_dpp v1, v1, v1 row_bcast:31 row_mask:0xf bank_mask:0xf bound_ctrl:1
	ds_bpermute_b32 v1, v4, v1
	s_and_saveexec_b64 s[6:7], vcc
	s_cbranch_execz .LBB378_90
; %bb.89:
	v_lshrrev_b32_e32 v4, 4, v0
	v_and_b32_e32 v4, 12, v4
	s_waitcnt lgkmcnt(0)
	ds_write_b32 v4, v1 offset:48
.LBB378_90:
	s_or_b64 exec, exec, s[6:7]
	v_cmp_gt_u32_e32 vcc, 64, v0
	s_waitcnt lgkmcnt(0)
	s_barrier
	s_and_saveexec_b64 s[6:7], vcc
	s_cbranch_execz .LBB378_92
; %bb.91:
	v_and_b32_e32 v1, 3, v2
	v_lshlrev_b32_e32 v4, 2, v1
	ds_read_b32 v4, v4 offset:48
	v_cmp_ne_u32_e32 vcc, 3, v1
	s_nop 1
	v_addc_co_u32_e32 v1, vcc, 0, v2, vcc
	v_lshlrev_b32_e32 v1, 2, v1
	s_waitcnt lgkmcnt(0)
	ds_bpermute_b32 v1, v1, v4
	v_or_b32_e32 v2, 8, v3
	s_waitcnt lgkmcnt(0)
	v_add_f32_e32 v1, v4, v1
	ds_bpermute_b32 v2, v2, v1
	s_waitcnt lgkmcnt(0)
	v_add_f32_e32 v1, v1, v2
.LBB378_92:
	s_or_b64 exec, exec, s[6:7]
	s_branch .LBB378_109
.LBB378_93:
                                        ; implicit-def: $vgpr1
.LBB378_94:
	s_branch .LBB378_140
.LBB378_95:
                                        ; implicit-def: $vgpr1
	s_cbranch_execz .LBB378_109
; %bb.96:
	s_sub_i32 s12, s38, s4
	v_mov_b32_e32 v2, 0
	v_cmp_gt_u32_e32 vcc, s12, v0
	v_mov_b32_e32 v3, v2
	v_mov_b32_e32 v4, v2
	;; [unrolled: 1-line block ×3, first 2 shown]
	s_and_saveexec_b64 s[4:5], vcc
	s_cbranch_execz .LBB378_98
; %bb.97:
	v_lshlrev_b32_e32 v1, 3, v0
	global_load_dwordx2 v[4:5], v1, s[8:9]
	v_mov_b32_e32 v6, v2
	v_mov_b32_e32 v7, v2
	s_waitcnt vmcnt(0)
	v_ffbh_u32_e32 v1, v5
	v_min_u32_e32 v1, 32, v1
	v_lshlrev_b64 v[4:5], v1, v[4:5]
	v_min_u32_e32 v3, 1, v4
	v_or_b32_e32 v3, v5, v3
	v_cvt_f32_u32_e32 v3, v3
	v_sub_u32_e32 v1, 32, v1
	v_mov_b32_e32 v5, v2
	v_ldexp_f32 v4, v3, v1
	v_mov_b64_e32 v[2:3], v[4:5]
	v_mov_b64_e32 v[4:5], v[6:7]
.LBB378_98:
	s_or_b64 exec, exec, s[4:5]
	v_or_b32_e32 v1, 0x100, v0
	v_cmp_gt_u32_e32 vcc, s12, v1
	s_and_saveexec_b64 s[4:5], vcc
	s_cbranch_execz .LBB378_100
; %bb.99:
	v_lshlrev_b32_e32 v1, 3, v0
	global_load_dwordx2 v[6:7], v1, s[8:9] offset:2048
	s_waitcnt vmcnt(0)
	v_ffbh_u32_e32 v1, v7
	v_min_u32_e32 v1, 32, v1
	v_lshlrev_b64 v[6:7], v1, v[6:7]
	v_min_u32_e32 v3, 1, v6
	v_or_b32_e32 v3, v7, v3
	v_cvt_f32_u32_e32 v3, v3
	v_sub_u32_e32 v1, 32, v1
	v_ldexp_f32 v3, v3, v1
.LBB378_100:
	s_or_b64 exec, exec, s[4:5]
	v_or_b32_e32 v1, 0x200, v0
	v_cmp_gt_u32_e64 s[4:5], s12, v1
	s_and_saveexec_b64 s[6:7], s[4:5]
	s_cbranch_execz .LBB378_102
; %bb.101:
	v_lshlrev_b32_e32 v1, 3, v1
	global_load_dwordx2 v[6:7], v1, s[8:9]
	s_waitcnt vmcnt(0)
	v_ffbh_u32_e32 v1, v7
	v_min_u32_e32 v1, 32, v1
	v_lshlrev_b64 v[6:7], v1, v[6:7]
	v_min_u32_e32 v4, 1, v6
	v_or_b32_e32 v4, v7, v4
	v_cvt_f32_u32_e32 v4, v4
	v_sub_u32_e32 v1, 32, v1
	v_ldexp_f32 v4, v4, v1
.LBB378_102:
	s_or_b64 exec, exec, s[6:7]
	v_or_b32_e32 v1, 0x300, v0
	v_cmp_gt_u32_e64 s[6:7], s12, v1
	s_and_saveexec_b64 s[10:11], s[6:7]
	s_cbranch_execz .LBB378_104
; %bb.103:
	v_lshlrev_b32_e32 v1, 3, v1
	global_load_dwordx2 v[6:7], v1, s[8:9]
	s_waitcnt vmcnt(0)
	v_ffbh_u32_e32 v1, v7
	v_min_u32_e32 v1, 32, v1
	v_lshlrev_b64 v[6:7], v1, v[6:7]
	v_min_u32_e32 v5, 1, v6
	v_or_b32_e32 v5, v7, v5
	v_cvt_f32_u32_e32 v5, v5
	v_sub_u32_e32 v1, 32, v1
	v_ldexp_f32 v5, v5, v1
.LBB378_104:
	s_or_b64 exec, exec, s[10:11]
	v_add_f32_e32 v1, v2, v3
	v_cndmask_b32_e32 v1, v2, v1, vcc
	v_add_f32_e32 v2, v4, v1
	v_cndmask_b32_e64 v1, v1, v2, s[4:5]
	v_add_f32_e32 v2, v5, v1
	v_cndmask_b32_e64 v1, v1, v2, s[6:7]
	v_mbcnt_lo_u32_b32 v2, -1, 0
	v_mbcnt_hi_u32_b32 v2, -1, v2
	v_and_b32_e32 v4, 63, v2
	v_cmp_ne_u32_e32 vcc, 63, v4
	s_min_u32 s8, s12, 0x100
	v_and_b32_e32 v5, 0xc0, v0
	v_addc_co_u32_e32 v3, vcc, 0, v2, vcc
	v_lshlrev_b32_e32 v3, 2, v3
	ds_bpermute_b32 v3, v3, v1
	v_sub_u32_e64 v5, s8, v5 clamp
	v_add_u32_e32 v6, 1, v4
	v_cmp_gt_u32_e64 s[4:5], 62, v4
	v_cmp_lt_u32_e32 vcc, v6, v5
	s_waitcnt lgkmcnt(0)
	v_add_f32_e32 v3, v1, v3
	v_cndmask_b32_e64 v6, 0, 2, s[4:5]
	v_cndmask_b32_e32 v3, v1, v3, vcc
	v_add_lshl_u32 v6, v6, v2, 2
	ds_bpermute_b32 v6, v6, v3
	v_add_u32_e32 v7, 2, v4
	v_cmp_lt_u32_e64 s[4:5], v7, v5
	v_add_u32_e32 v7, 4, v4
	s_waitcnt lgkmcnt(0)
	v_add_f32_e32 v6, v3, v6
	v_cndmask_b32_e64 v3, v3, v6, s[4:5]
	v_cmp_gt_u32_e64 s[4:5], 60, v4
	s_nop 1
	v_cndmask_b32_e64 v6, 0, 4, s[4:5]
	v_add_lshl_u32 v6, v6, v2, 2
	ds_bpermute_b32 v6, v6, v3
	v_cmp_lt_u32_e64 s[4:5], v7, v5
	v_add_u32_e32 v7, 8, v4
	s_waitcnt lgkmcnt(0)
	v_add_f32_e32 v6, v3, v6
	v_cndmask_b32_e64 v3, v3, v6, s[4:5]
	v_cmp_gt_u32_e64 s[4:5], 56, v4
	s_nop 1
	v_cndmask_b32_e64 v6, 0, 8, s[4:5]
	v_add_lshl_u32 v6, v6, v2, 2
	ds_bpermute_b32 v6, v6, v3
	v_cmp_lt_u32_e64 s[4:5], v7, v5
	v_add_u32_e32 v7, 16, v4
	s_waitcnt lgkmcnt(0)
	v_add_f32_e32 v6, v3, v6
	v_cndmask_b32_e64 v3, v3, v6, s[4:5]
	v_cmp_gt_u32_e64 s[4:5], 48, v4
	v_add_u32_e32 v4, 32, v4
	s_nop 0
	v_cndmask_b32_e64 v6, 0, 16, s[4:5]
	v_add_lshl_u32 v6, v6, v2, 2
	ds_bpermute_b32 v6, v6, v3
	v_cmp_lt_u32_e64 s[4:5], v7, v5
	s_waitcnt lgkmcnt(0)
	v_add_f32_e32 v6, v3, v6
	v_cndmask_b32_e64 v6, v3, v6, s[4:5]
	v_lshlrev_b32_e32 v3, 2, v2
	v_or_b32_e32 v7, 0x80, v3
	ds_bpermute_b32 v7, v7, v6
	v_cmp_lt_u32_e64 s[4:5], v4, v5
	s_waitcnt lgkmcnt(0)
	v_add_f32_e32 v7, v6, v7
	v_cndmask_b32_e64 v4, v6, v7, s[4:5]
	v_cndmask_b32_e32 v1, v1, v4, vcc
	v_cmp_eq_u32_e32 vcc, 0, v2
	s_and_saveexec_b64 s[4:5], vcc
; %bb.105:
	v_lshrrev_b32_e32 v4, 4, v0
	v_and_b32_e32 v4, 12, v4
	ds_write_b32 v4, v1 offset:80
; %bb.106:
	s_or_b64 exec, exec, s[4:5]
	v_cmp_gt_u32_e32 vcc, 4, v0
	s_waitcnt lgkmcnt(0)
	s_barrier
	s_and_saveexec_b64 s[6:7], vcc
	s_cbranch_execz .LBB378_108
; %bb.107:
	ds_read_b32 v1, v3 offset:80
	v_and_b32_e32 v4, 3, v2
	v_cmp_ne_u32_e32 vcc, 3, v4
	s_add_i32 s8, s8, 63
	s_lshr_b32 s4, s8, 6
	v_addc_co_u32_e32 v2, vcc, 0, v2, vcc
	v_lshlrev_b32_e32 v2, 2, v2
	s_waitcnt lgkmcnt(0)
	ds_bpermute_b32 v2, v2, v1
	v_add_u32_e32 v5, 1, v4
	v_cmp_gt_u32_e32 vcc, s4, v5
	v_or_b32_e32 v3, 8, v3
	v_add_u32_e32 v4, 2, v4
	s_waitcnt lgkmcnt(0)
	v_add_f32_e32 v2, v1, v2
	v_cndmask_b32_e32 v2, v1, v2, vcc
	ds_bpermute_b32 v3, v3, v2
	v_cmp_gt_u32_e64 s[4:5], s4, v4
	s_waitcnt lgkmcnt(0)
	v_add_f32_e32 v3, v2, v3
	v_cndmask_b32_e64 v2, v2, v3, s[4:5]
	v_cndmask_b32_e32 v1, v1, v2, vcc
.LBB378_108:
	s_or_b64 exec, exec, s[6:7]
.LBB378_109:
	v_cmp_eq_u32_e64 s[4:5], 0, v0
	s_branch .LBB378_140
.LBB378_110:
	s_cmp_gt_i32 s33, 1
	s_cbranch_scc0 .LBB378_118
; %bb.111:
	s_cmp_eq_u32 s33, 2
	s_cbranch_scc0 .LBB378_119
; %bb.112:
	s_mov_b32 s3, 0
	s_lshl_b32 s6, s2, 9
	s_mov_b32 s7, s3
	s_lshr_b64 s[8:9], s[38:39], 9
	s_lshl_b64 s[4:5], s[6:7], 3
	s_add_u32 s4, s36, s4
	s_addc_u32 s5, s37, s5
	s_cmp_lg_u64 s[8:9], s[2:3]
	s_cbranch_scc0 .LBB378_120
; %bb.113:
	v_lshlrev_b32_e32 v1, 3, v0
	global_load_dwordx2 v[4:5], v1, s[4:5]
	global_load_dwordx2 v[6:7], v1, s[4:5] offset:2048
	v_mbcnt_lo_u32_b32 v1, -1, 0
	v_mbcnt_hi_u32_b32 v2, -1, v1
	v_lshlrev_b32_e32 v3, 2, v2
	v_cmp_eq_u32_e32 vcc, 0, v2
	s_waitcnt vmcnt(1)
	v_ffbh_u32_e32 v1, v5
	s_waitcnt vmcnt(0)
	v_ffbh_u32_e32 v8, v7
	v_min_u32_e32 v1, 32, v1
	v_min_u32_e32 v8, 32, v8
	v_lshlrev_b64 v[4:5], v1, v[4:5]
	v_lshlrev_b64 v[6:7], v8, v[6:7]
	v_min_u32_e32 v4, 1, v4
	v_min_u32_e32 v6, 1, v6
	v_or_b32_e32 v4, v5, v4
	v_or_b32_e32 v5, v7, v6
	v_cvt_f32_u32_e32 v4, v4
	v_cvt_f32_u32_e32 v5, v5
	v_sub_u32_e32 v1, 32, v1
	v_sub_u32_e32 v6, 32, v8
	v_ldexp_f32 v1, v4, v1
	v_ldexp_f32 v4, v5, v6
	v_add_f32_e32 v1, v1, v4
	v_or_b32_e32 v4, 0xfc, v3
	s_nop 0
	v_add_f32_dpp v1, v1, v1 quad_perm:[1,0,3,2] row_mask:0xf bank_mask:0xf bound_ctrl:1
	s_nop 1
	v_add_f32_dpp v1, v1, v1 quad_perm:[2,3,0,1] row_mask:0xf bank_mask:0xf bound_ctrl:1
	s_nop 1
	v_add_f32_dpp v1, v1, v1 row_ror:4 row_mask:0xf bank_mask:0xf bound_ctrl:1
	s_nop 1
	v_add_f32_dpp v1, v1, v1 row_ror:8 row_mask:0xf bank_mask:0xf bound_ctrl:1
	s_nop 1
	v_add_f32_dpp v1, v1, v1 row_bcast:15 row_mask:0xf bank_mask:0xf bound_ctrl:1
	s_nop 1
	v_add_f32_dpp v1, v1, v1 row_bcast:31 row_mask:0xf bank_mask:0xf bound_ctrl:1
	ds_bpermute_b32 v1, v4, v1
	s_and_saveexec_b64 s[8:9], vcc
	s_cbranch_execz .LBB378_115
; %bb.114:
	v_lshrrev_b32_e32 v4, 4, v0
	v_and_b32_e32 v4, 12, v4
	s_waitcnt lgkmcnt(0)
	ds_write_b32 v4, v1 offset:32
.LBB378_115:
	s_or_b64 exec, exec, s[8:9]
	v_cmp_gt_u32_e32 vcc, 64, v0
	s_waitcnt lgkmcnt(0)
	s_barrier
	s_and_saveexec_b64 s[8:9], vcc
	s_cbranch_execz .LBB378_117
; %bb.116:
	v_and_b32_e32 v1, 3, v2
	v_lshlrev_b32_e32 v4, 2, v1
	ds_read_b32 v4, v4 offset:32
	v_cmp_ne_u32_e32 vcc, 3, v1
	s_nop 1
	v_addc_co_u32_e32 v1, vcc, 0, v2, vcc
	v_lshlrev_b32_e32 v1, 2, v1
	s_waitcnt lgkmcnt(0)
	ds_bpermute_b32 v1, v1, v4
	v_or_b32_e32 v2, 8, v3
	s_waitcnt lgkmcnt(0)
	v_add_f32_e32 v1, v4, v1
	ds_bpermute_b32 v2, v2, v1
	s_waitcnt lgkmcnt(0)
	v_add_f32_e32 v1, v1, v2
.LBB378_117:
	s_or_b64 exec, exec, s[8:9]
	s_branch .LBB378_130
.LBB378_118:
                                        ; implicit-def: $vgpr1
	s_cbranch_execnz .LBB378_131
	s_branch .LBB378_140
.LBB378_119:
                                        ; implicit-def: $vgpr1
	s_branch .LBB378_140
.LBB378_120:
                                        ; implicit-def: $vgpr1
	s_cbranch_execz .LBB378_130
; %bb.121:
	s_sub_i32 s8, s38, s6
	v_mov_b32_e32 v2, 0
	v_cmp_gt_u32_e32 vcc, s8, v0
	v_mov_b32_e32 v3, v2
	s_and_saveexec_b64 s[6:7], vcc
	s_cbranch_execz .LBB378_123
; %bb.122:
	v_lshlrev_b32_e32 v1, 3, v0
	global_load_dwordx2 v[4:5], v1, s[4:5]
	s_waitcnt vmcnt(0)
	v_ffbh_u32_e32 v1, v5
	v_min_u32_e32 v1, 32, v1
	v_lshlrev_b64 v[4:5], v1, v[4:5]
	v_min_u32_e32 v3, 1, v4
	v_or_b32_e32 v3, v5, v3
	v_cvt_f32_u32_e32 v3, v3
	v_sub_u32_e32 v1, 32, v1
	v_mov_b32_e32 v5, v2
	v_ldexp_f32 v4, v3, v1
	v_mov_b64_e32 v[2:3], v[4:5]
.LBB378_123:
	s_or_b64 exec, exec, s[6:7]
	v_or_b32_e32 v1, 0x100, v0
	v_cmp_gt_u32_e32 vcc, s8, v1
	s_and_saveexec_b64 s[6:7], vcc
	s_cbranch_execz .LBB378_125
; %bb.124:
	v_lshlrev_b32_e32 v1, 3, v0
	global_load_dwordx2 v[4:5], v1, s[4:5] offset:2048
	s_waitcnt vmcnt(0)
	v_ffbh_u32_e32 v1, v5
	v_min_u32_e32 v1, 32, v1
	v_lshlrev_b64 v[4:5], v1, v[4:5]
	v_min_u32_e32 v3, 1, v4
	v_or_b32_e32 v3, v5, v3
	v_cvt_f32_u32_e32 v3, v3
	v_sub_u32_e32 v1, 32, v1
	v_ldexp_f32 v3, v3, v1
.LBB378_125:
	s_or_b64 exec, exec, s[6:7]
	v_add_f32_e32 v1, v3, v2
	v_cndmask_b32_e32 v1, v2, v1, vcc
	v_mbcnt_lo_u32_b32 v2, -1, 0
	v_mbcnt_hi_u32_b32 v2, -1, v2
	v_and_b32_e32 v4, 63, v2
	v_cmp_ne_u32_e32 vcc, 63, v4
	s_min_u32 s8, s8, 0x100
	v_and_b32_e32 v5, 0xc0, v0
	v_addc_co_u32_e32 v3, vcc, 0, v2, vcc
	v_lshlrev_b32_e32 v3, 2, v3
	ds_bpermute_b32 v3, v3, v1
	v_sub_u32_e64 v5, s8, v5 clamp
	v_add_u32_e32 v6, 1, v4
	v_cmp_gt_u32_e64 s[4:5], 62, v4
	v_cmp_lt_u32_e32 vcc, v6, v5
	s_waitcnt lgkmcnt(0)
	v_add_f32_e32 v3, v1, v3
	v_cndmask_b32_e64 v6, 0, 2, s[4:5]
	v_cndmask_b32_e32 v3, v1, v3, vcc
	v_add_lshl_u32 v6, v6, v2, 2
	ds_bpermute_b32 v6, v6, v3
	v_add_u32_e32 v7, 2, v4
	v_cmp_lt_u32_e64 s[4:5], v7, v5
	v_add_u32_e32 v7, 4, v4
	s_waitcnt lgkmcnt(0)
	v_add_f32_e32 v6, v3, v6
	v_cndmask_b32_e64 v3, v3, v6, s[4:5]
	v_cmp_gt_u32_e64 s[4:5], 60, v4
	s_nop 1
	v_cndmask_b32_e64 v6, 0, 4, s[4:5]
	v_add_lshl_u32 v6, v6, v2, 2
	ds_bpermute_b32 v6, v6, v3
	v_cmp_lt_u32_e64 s[4:5], v7, v5
	v_add_u32_e32 v7, 8, v4
	s_waitcnt lgkmcnt(0)
	v_add_f32_e32 v6, v3, v6
	v_cndmask_b32_e64 v3, v3, v6, s[4:5]
	v_cmp_gt_u32_e64 s[4:5], 56, v4
	s_nop 1
	v_cndmask_b32_e64 v6, 0, 8, s[4:5]
	v_add_lshl_u32 v6, v6, v2, 2
	ds_bpermute_b32 v6, v6, v3
	v_cmp_lt_u32_e64 s[4:5], v7, v5
	v_add_u32_e32 v7, 16, v4
	s_waitcnt lgkmcnt(0)
	v_add_f32_e32 v6, v3, v6
	v_cndmask_b32_e64 v3, v3, v6, s[4:5]
	v_cmp_gt_u32_e64 s[4:5], 48, v4
	v_add_u32_e32 v4, 32, v4
	s_nop 0
	v_cndmask_b32_e64 v6, 0, 16, s[4:5]
	v_add_lshl_u32 v6, v6, v2, 2
	ds_bpermute_b32 v6, v6, v3
	v_cmp_lt_u32_e64 s[4:5], v7, v5
	s_waitcnt lgkmcnt(0)
	v_add_f32_e32 v6, v3, v6
	v_cndmask_b32_e64 v6, v3, v6, s[4:5]
	v_lshlrev_b32_e32 v3, 2, v2
	v_or_b32_e32 v7, 0x80, v3
	ds_bpermute_b32 v7, v7, v6
	v_cmp_lt_u32_e64 s[4:5], v4, v5
	s_waitcnt lgkmcnt(0)
	v_add_f32_e32 v7, v6, v7
	v_cndmask_b32_e64 v4, v6, v7, s[4:5]
	v_cndmask_b32_e32 v1, v1, v4, vcc
	v_cmp_eq_u32_e32 vcc, 0, v2
	s_and_saveexec_b64 s[4:5], vcc
; %bb.126:
	v_lshrrev_b32_e32 v4, 4, v0
	v_and_b32_e32 v4, 12, v4
	ds_write_b32 v4, v1 offset:80
; %bb.127:
	s_or_b64 exec, exec, s[4:5]
	v_cmp_gt_u32_e32 vcc, 4, v0
	s_waitcnt lgkmcnt(0)
	s_barrier
	s_and_saveexec_b64 s[6:7], vcc
	s_cbranch_execz .LBB378_129
; %bb.128:
	ds_read_b32 v1, v3 offset:80
	v_and_b32_e32 v4, 3, v2
	v_cmp_ne_u32_e32 vcc, 3, v4
	s_add_i32 s8, s8, 63
	s_lshr_b32 s4, s8, 6
	v_addc_co_u32_e32 v2, vcc, 0, v2, vcc
	v_lshlrev_b32_e32 v2, 2, v2
	s_waitcnt lgkmcnt(0)
	ds_bpermute_b32 v2, v2, v1
	v_add_u32_e32 v5, 1, v4
	v_cmp_gt_u32_e32 vcc, s4, v5
	v_or_b32_e32 v3, 8, v3
	v_add_u32_e32 v4, 2, v4
	s_waitcnt lgkmcnt(0)
	v_add_f32_e32 v2, v1, v2
	v_cndmask_b32_e32 v2, v1, v2, vcc
	ds_bpermute_b32 v3, v3, v2
	v_cmp_gt_u32_e64 s[4:5], s4, v4
	s_waitcnt lgkmcnt(0)
	v_add_f32_e32 v3, v2, v3
	v_cndmask_b32_e64 v2, v2, v3, s[4:5]
	v_cndmask_b32_e32 v1, v1, v2, vcc
.LBB378_129:
	s_or_b64 exec, exec, s[6:7]
.LBB378_130:
	v_cmp_eq_u32_e64 s[4:5], 0, v0
	s_branch .LBB378_140
.LBB378_131:
	s_cmp_eq_u32 s33, 1
	s_cbranch_scc0 .LBB378_139
; %bb.132:
	s_mov_b32 s5, 0
	s_lshl_b32 s4, s2, 8
	s_mov_b32 s3, s5
	s_lshr_b64 s[6:7], s[38:39], 8
	s_cmp_lg_u64 s[6:7], s[2:3]
	v_mbcnt_lo_u32_b32 v2, -1, 0
	s_cbranch_scc0 .LBB378_143
; %bb.133:
	s_lshl_b64 s[6:7], s[4:5], 3
	s_add_u32 s6, s36, s6
	s_addc_u32 s7, s37, s7
	v_lshlrev_b32_e32 v1, 3, v0
	global_load_dwordx2 v[4:5], v1, s[6:7]
	s_waitcnt vmcnt(0)
	v_ffbh_u32_e32 v1, v5
	v_min_u32_e32 v1, 32, v1
	v_lshlrev_b64 v[4:5], v1, v[4:5]
	v_min_u32_e32 v3, 1, v4
	v_or_b32_e32 v3, v5, v3
	v_cvt_f32_u32_e32 v5, v3
	v_sub_u32_e32 v1, 32, v1
	v_mbcnt_hi_u32_b32 v3, -1, v2
	v_lshlrev_b32_e32 v4, 2, v3
	v_ldexp_f32 v1, v5, v1
	v_or_b32_e32 v5, 0xfc, v4
	v_cmp_eq_u32_e32 vcc, 0, v3
	v_add_f32_dpp v1, v1, v1 quad_perm:[1,0,3,2] row_mask:0xf bank_mask:0xf bound_ctrl:1
	s_nop 1
	v_add_f32_dpp v1, v1, v1 quad_perm:[2,3,0,1] row_mask:0xf bank_mask:0xf bound_ctrl:1
	s_nop 1
	v_add_f32_dpp v1, v1, v1 row_ror:4 row_mask:0xf bank_mask:0xf bound_ctrl:1
	s_nop 1
	v_add_f32_dpp v1, v1, v1 row_ror:8 row_mask:0xf bank_mask:0xf bound_ctrl:1
	s_nop 1
	v_add_f32_dpp v1, v1, v1 row_bcast:15 row_mask:0xf bank_mask:0xf bound_ctrl:1
	s_nop 1
	v_add_f32_dpp v1, v1, v1 row_bcast:31 row_mask:0xf bank_mask:0xf bound_ctrl:1
	ds_bpermute_b32 v1, v5, v1
	s_and_saveexec_b64 s[6:7], vcc
	s_cbranch_execz .LBB378_135
; %bb.134:
	v_lshrrev_b32_e32 v5, 4, v0
	v_and_b32_e32 v5, 12, v5
	s_waitcnt lgkmcnt(0)
	ds_write_b32 v5, v1 offset:16
.LBB378_135:
	s_or_b64 exec, exec, s[6:7]
	v_cmp_gt_u32_e32 vcc, 64, v0
	s_waitcnt lgkmcnt(0)
	s_barrier
	s_and_saveexec_b64 s[6:7], vcc
	s_cbranch_execz .LBB378_137
; %bb.136:
	v_and_b32_e32 v1, 3, v3
	v_lshlrev_b32_e32 v5, 2, v1
	ds_read_b32 v5, v5 offset:16
	v_cmp_ne_u32_e32 vcc, 3, v1
	s_nop 1
	v_addc_co_u32_e32 v1, vcc, 0, v3, vcc
	v_lshlrev_b32_e32 v1, 2, v1
	s_waitcnt lgkmcnt(0)
	ds_bpermute_b32 v1, v1, v5
	v_or_b32_e32 v3, 8, v4
	s_waitcnt lgkmcnt(0)
	v_add_f32_e32 v1, v5, v1
	ds_bpermute_b32 v3, v3, v1
	s_waitcnt lgkmcnt(0)
	v_add_f32_e32 v1, v1, v3
.LBB378_137:
	s_or_b64 exec, exec, s[6:7]
.LBB378_138:
	v_cmp_eq_u32_e64 s[4:5], 0, v0
	s_and_saveexec_b64 s[6:7], s[4:5]
	s_cbranch_execnz .LBB378_141
	s_branch .LBB378_142
.LBB378_139:
                                        ; implicit-def: $vgpr1
                                        ; implicit-def: $sgpr2_sgpr3
.LBB378_140:
	s_and_saveexec_b64 s[6:7], s[4:5]
	s_cbranch_execz .LBB378_142
.LBB378_141:
	s_load_dwordx2 s[4:5], s[0:1], 0x18
	s_load_dword s6, s[0:1], 0x20
	s_lshl_b64 s[0:1], s[2:3], 2
	v_mov_b32_e32 v0, 0
	s_waitcnt lgkmcnt(0)
	s_add_u32 s0, s4, s0
	s_addc_u32 s1, s5, s1
	s_cmp_eq_u64 s[38:39], 0
	v_add_f32_e32 v1, s6, v1
	v_mov_b32_e32 v2, s6
	s_cselect_b64 vcc, -1, 0
	v_cndmask_b32_e32 v1, v1, v2, vcc
	global_store_dword v0, v1, s[0:1]
.LBB378_142:
	s_endpgm
.LBB378_143:
                                        ; implicit-def: $vgpr1
	s_cbranch_execz .LBB378_138
; %bb.144:
	s_sub_i32 s8, s38, s4
	v_cmp_gt_u32_e32 vcc, s8, v0
                                        ; implicit-def: $vgpr1
	s_and_saveexec_b64 s[6:7], vcc
	s_cbranch_execz .LBB378_146
; %bb.145:
	s_lshl_b64 s[4:5], s[4:5], 3
	s_add_u32 s4, s36, s4
	s_addc_u32 s5, s37, s5
	v_lshlrev_b32_e32 v1, 3, v0
	global_load_dwordx2 v[4:5], v1, s[4:5]
	s_waitcnt vmcnt(0)
	v_ffbh_u32_e32 v1, v5
	v_min_u32_e32 v1, 32, v1
	v_lshlrev_b64 v[4:5], v1, v[4:5]
	v_min_u32_e32 v3, 1, v4
	v_or_b32_e32 v3, v5, v3
	v_cvt_f32_u32_e32 v3, v3
	v_sub_u32_e32 v1, 32, v1
	v_ldexp_f32 v1, v3, v1
.LBB378_146:
	s_or_b64 exec, exec, s[6:7]
	v_mbcnt_hi_u32_b32 v2, -1, v2
	v_and_b32_e32 v4, 63, v2
	v_cmp_ne_u32_e32 vcc, 63, v4
	s_min_u32 s8, s8, 0x100
	v_and_b32_e32 v5, 0xc0, v0
	v_addc_co_u32_e32 v3, vcc, 0, v2, vcc
	v_lshlrev_b32_e32 v3, 2, v3
	ds_bpermute_b32 v3, v3, v1
	v_sub_u32_e64 v5, s8, v5 clamp
	v_add_u32_e32 v6, 1, v4
	v_cmp_gt_u32_e64 s[4:5], 62, v4
	v_cmp_lt_u32_e32 vcc, v6, v5
	s_waitcnt lgkmcnt(0)
	v_add_f32_e32 v3, v1, v3
	v_cndmask_b32_e64 v6, 0, 2, s[4:5]
	v_cndmask_b32_e32 v3, v1, v3, vcc
	v_add_lshl_u32 v6, v6, v2, 2
	ds_bpermute_b32 v6, v6, v3
	v_add_u32_e32 v7, 2, v4
	v_cmp_lt_u32_e64 s[4:5], v7, v5
	v_add_u32_e32 v7, 4, v4
	s_waitcnt lgkmcnt(0)
	v_add_f32_e32 v6, v3, v6
	v_cndmask_b32_e64 v3, v3, v6, s[4:5]
	v_cmp_gt_u32_e64 s[4:5], 60, v4
	s_nop 1
	v_cndmask_b32_e64 v6, 0, 4, s[4:5]
	v_add_lshl_u32 v6, v6, v2, 2
	ds_bpermute_b32 v6, v6, v3
	v_cmp_lt_u32_e64 s[4:5], v7, v5
	v_add_u32_e32 v7, 8, v4
	s_waitcnt lgkmcnt(0)
	v_add_f32_e32 v6, v3, v6
	v_cndmask_b32_e64 v3, v3, v6, s[4:5]
	v_cmp_gt_u32_e64 s[4:5], 56, v4
	s_nop 1
	v_cndmask_b32_e64 v6, 0, 8, s[4:5]
	v_add_lshl_u32 v6, v6, v2, 2
	ds_bpermute_b32 v6, v6, v3
	v_cmp_lt_u32_e64 s[4:5], v7, v5
	v_add_u32_e32 v7, 16, v4
	s_waitcnt lgkmcnt(0)
	v_add_f32_e32 v6, v3, v6
	v_cndmask_b32_e64 v3, v3, v6, s[4:5]
	v_cmp_gt_u32_e64 s[4:5], 48, v4
	v_add_u32_e32 v4, 32, v4
	s_nop 0
	v_cndmask_b32_e64 v6, 0, 16, s[4:5]
	v_add_lshl_u32 v6, v6, v2, 2
	ds_bpermute_b32 v6, v6, v3
	v_cmp_lt_u32_e64 s[4:5], v7, v5
	s_waitcnt lgkmcnt(0)
	v_add_f32_e32 v6, v3, v6
	v_cndmask_b32_e64 v6, v3, v6, s[4:5]
	v_lshlrev_b32_e32 v3, 2, v2
	v_or_b32_e32 v7, 0x80, v3
	ds_bpermute_b32 v7, v7, v6
	v_cmp_lt_u32_e64 s[4:5], v4, v5
	s_waitcnt lgkmcnt(0)
	v_add_f32_e32 v7, v6, v7
	v_cndmask_b32_e64 v4, v6, v7, s[4:5]
	v_cndmask_b32_e32 v1, v1, v4, vcc
	v_cmp_eq_u32_e32 vcc, 0, v2
	s_and_saveexec_b64 s[4:5], vcc
; %bb.147:
	v_lshrrev_b32_e32 v4, 4, v0
	v_and_b32_e32 v4, 12, v4
	ds_write_b32 v4, v1 offset:80
; %bb.148:
	s_or_b64 exec, exec, s[4:5]
	v_cmp_gt_u32_e32 vcc, 4, v0
	s_waitcnt lgkmcnt(0)
	s_barrier
	s_and_saveexec_b64 s[6:7], vcc
	s_cbranch_execz .LBB378_150
; %bb.149:
	ds_read_b32 v1, v3 offset:80
	v_and_b32_e32 v4, 3, v2
	v_cmp_ne_u32_e32 vcc, 3, v4
	s_add_i32 s8, s8, 63
	s_lshr_b32 s4, s8, 6
	v_addc_co_u32_e32 v2, vcc, 0, v2, vcc
	v_lshlrev_b32_e32 v2, 2, v2
	s_waitcnt lgkmcnt(0)
	ds_bpermute_b32 v2, v2, v1
	v_add_u32_e32 v5, 1, v4
	v_cmp_gt_u32_e32 vcc, s4, v5
	v_or_b32_e32 v3, 8, v3
	v_add_u32_e32 v4, 2, v4
	s_waitcnt lgkmcnt(0)
	v_add_f32_e32 v2, v1, v2
	v_cndmask_b32_e32 v2, v1, v2, vcc
	ds_bpermute_b32 v3, v3, v2
	v_cmp_gt_u32_e64 s[4:5], s4, v4
	s_waitcnt lgkmcnt(0)
	v_add_f32_e32 v3, v2, v3
	v_cndmask_b32_e64 v2, v2, v3, s[4:5]
	v_cndmask_b32_e32 v1, v1, v2, vcc
.LBB378_150:
	s_or_b64 exec, exec, s[6:7]
	v_cmp_eq_u32_e64 s[4:5], 0, v0
	s_and_saveexec_b64 s[6:7], s[4:5]
	s_cbranch_execnz .LBB378_141
	s_branch .LBB378_142
	.section	.rodata,"a",@progbits
	.p2align	6, 0x0
	.amdhsa_kernel _ZN7rocprim17ROCPRIM_400000_NS6detail17trampoline_kernelINS0_14default_configENS1_22reduce_config_selectorIyEEZNS1_11reduce_implILb1ES3_N6thrust23THRUST_200600_302600_NS6detail15normal_iteratorINS8_10device_ptrIyEEEEPffNS8_4plusIfEEEE10hipError_tPvRmT1_T2_T3_mT4_P12ihipStream_tbEUlT_E1_NS1_11comp_targetILNS1_3genE0ELNS1_11target_archE4294967295ELNS1_3gpuE0ELNS1_3repE0EEENS1_30default_config_static_selectorELNS0_4arch9wavefront6targetE1EEEvSK_
		.amdhsa_group_segment_fixed_size 96
		.amdhsa_private_segment_fixed_size 0
		.amdhsa_kernarg_size 40
		.amdhsa_user_sgpr_count 2
		.amdhsa_user_sgpr_dispatch_ptr 0
		.amdhsa_user_sgpr_queue_ptr 0
		.amdhsa_user_sgpr_kernarg_segment_ptr 1
		.amdhsa_user_sgpr_dispatch_id 0
		.amdhsa_user_sgpr_kernarg_preload_length 0
		.amdhsa_user_sgpr_kernarg_preload_offset 0
		.amdhsa_user_sgpr_private_segment_size 0
		.amdhsa_uses_dynamic_stack 0
		.amdhsa_enable_private_segment 0
		.amdhsa_system_sgpr_workgroup_id_x 1
		.amdhsa_system_sgpr_workgroup_id_y 0
		.amdhsa_system_sgpr_workgroup_id_z 0
		.amdhsa_system_sgpr_workgroup_info 0
		.amdhsa_system_vgpr_workitem_id 0
		.amdhsa_next_free_vgpr 41
		.amdhsa_next_free_sgpr 45
		.amdhsa_accum_offset 44
		.amdhsa_reserve_vcc 1
		.amdhsa_float_round_mode_32 0
		.amdhsa_float_round_mode_16_64 0
		.amdhsa_float_denorm_mode_32 3
		.amdhsa_float_denorm_mode_16_64 3
		.amdhsa_dx10_clamp 1
		.amdhsa_ieee_mode 1
		.amdhsa_fp16_overflow 0
		.amdhsa_tg_split 0
		.amdhsa_exception_fp_ieee_invalid_op 0
		.amdhsa_exception_fp_denorm_src 0
		.amdhsa_exception_fp_ieee_div_zero 0
		.amdhsa_exception_fp_ieee_overflow 0
		.amdhsa_exception_fp_ieee_underflow 0
		.amdhsa_exception_fp_ieee_inexact 0
		.amdhsa_exception_int_div_zero 0
	.end_amdhsa_kernel
	.section	.text._ZN7rocprim17ROCPRIM_400000_NS6detail17trampoline_kernelINS0_14default_configENS1_22reduce_config_selectorIyEEZNS1_11reduce_implILb1ES3_N6thrust23THRUST_200600_302600_NS6detail15normal_iteratorINS8_10device_ptrIyEEEEPffNS8_4plusIfEEEE10hipError_tPvRmT1_T2_T3_mT4_P12ihipStream_tbEUlT_E1_NS1_11comp_targetILNS1_3genE0ELNS1_11target_archE4294967295ELNS1_3gpuE0ELNS1_3repE0EEENS1_30default_config_static_selectorELNS0_4arch9wavefront6targetE1EEEvSK_,"axG",@progbits,_ZN7rocprim17ROCPRIM_400000_NS6detail17trampoline_kernelINS0_14default_configENS1_22reduce_config_selectorIyEEZNS1_11reduce_implILb1ES3_N6thrust23THRUST_200600_302600_NS6detail15normal_iteratorINS8_10device_ptrIyEEEEPffNS8_4plusIfEEEE10hipError_tPvRmT1_T2_T3_mT4_P12ihipStream_tbEUlT_E1_NS1_11comp_targetILNS1_3genE0ELNS1_11target_archE4294967295ELNS1_3gpuE0ELNS1_3repE0EEENS1_30default_config_static_selectorELNS0_4arch9wavefront6targetE1EEEvSK_,comdat
.Lfunc_end378:
	.size	_ZN7rocprim17ROCPRIM_400000_NS6detail17trampoline_kernelINS0_14default_configENS1_22reduce_config_selectorIyEEZNS1_11reduce_implILb1ES3_N6thrust23THRUST_200600_302600_NS6detail15normal_iteratorINS8_10device_ptrIyEEEEPffNS8_4plusIfEEEE10hipError_tPvRmT1_T2_T3_mT4_P12ihipStream_tbEUlT_E1_NS1_11comp_targetILNS1_3genE0ELNS1_11target_archE4294967295ELNS1_3gpuE0ELNS1_3repE0EEENS1_30default_config_static_selectorELNS0_4arch9wavefront6targetE1EEEvSK_, .Lfunc_end378-_ZN7rocprim17ROCPRIM_400000_NS6detail17trampoline_kernelINS0_14default_configENS1_22reduce_config_selectorIyEEZNS1_11reduce_implILb1ES3_N6thrust23THRUST_200600_302600_NS6detail15normal_iteratorINS8_10device_ptrIyEEEEPffNS8_4plusIfEEEE10hipError_tPvRmT1_T2_T3_mT4_P12ihipStream_tbEUlT_E1_NS1_11comp_targetILNS1_3genE0ELNS1_11target_archE4294967295ELNS1_3gpuE0ELNS1_3repE0EEENS1_30default_config_static_selectorELNS0_4arch9wavefront6targetE1EEEvSK_
                                        ; -- End function
	.set _ZN7rocprim17ROCPRIM_400000_NS6detail17trampoline_kernelINS0_14default_configENS1_22reduce_config_selectorIyEEZNS1_11reduce_implILb1ES3_N6thrust23THRUST_200600_302600_NS6detail15normal_iteratorINS8_10device_ptrIyEEEEPffNS8_4plusIfEEEE10hipError_tPvRmT1_T2_T3_mT4_P12ihipStream_tbEUlT_E1_NS1_11comp_targetILNS1_3genE0ELNS1_11target_archE4294967295ELNS1_3gpuE0ELNS1_3repE0EEENS1_30default_config_static_selectorELNS0_4arch9wavefront6targetE1EEEvSK_.num_vgpr, 41
	.set _ZN7rocprim17ROCPRIM_400000_NS6detail17trampoline_kernelINS0_14default_configENS1_22reduce_config_selectorIyEEZNS1_11reduce_implILb1ES3_N6thrust23THRUST_200600_302600_NS6detail15normal_iteratorINS8_10device_ptrIyEEEEPffNS8_4plusIfEEEE10hipError_tPvRmT1_T2_T3_mT4_P12ihipStream_tbEUlT_E1_NS1_11comp_targetILNS1_3genE0ELNS1_11target_archE4294967295ELNS1_3gpuE0ELNS1_3repE0EEENS1_30default_config_static_selectorELNS0_4arch9wavefront6targetE1EEEvSK_.num_agpr, 0
	.set _ZN7rocprim17ROCPRIM_400000_NS6detail17trampoline_kernelINS0_14default_configENS1_22reduce_config_selectorIyEEZNS1_11reduce_implILb1ES3_N6thrust23THRUST_200600_302600_NS6detail15normal_iteratorINS8_10device_ptrIyEEEEPffNS8_4plusIfEEEE10hipError_tPvRmT1_T2_T3_mT4_P12ihipStream_tbEUlT_E1_NS1_11comp_targetILNS1_3genE0ELNS1_11target_archE4294967295ELNS1_3gpuE0ELNS1_3repE0EEENS1_30default_config_static_selectorELNS0_4arch9wavefront6targetE1EEEvSK_.numbered_sgpr, 45
	.set _ZN7rocprim17ROCPRIM_400000_NS6detail17trampoline_kernelINS0_14default_configENS1_22reduce_config_selectorIyEEZNS1_11reduce_implILb1ES3_N6thrust23THRUST_200600_302600_NS6detail15normal_iteratorINS8_10device_ptrIyEEEEPffNS8_4plusIfEEEE10hipError_tPvRmT1_T2_T3_mT4_P12ihipStream_tbEUlT_E1_NS1_11comp_targetILNS1_3genE0ELNS1_11target_archE4294967295ELNS1_3gpuE0ELNS1_3repE0EEENS1_30default_config_static_selectorELNS0_4arch9wavefront6targetE1EEEvSK_.num_named_barrier, 0
	.set _ZN7rocprim17ROCPRIM_400000_NS6detail17trampoline_kernelINS0_14default_configENS1_22reduce_config_selectorIyEEZNS1_11reduce_implILb1ES3_N6thrust23THRUST_200600_302600_NS6detail15normal_iteratorINS8_10device_ptrIyEEEEPffNS8_4plusIfEEEE10hipError_tPvRmT1_T2_T3_mT4_P12ihipStream_tbEUlT_E1_NS1_11comp_targetILNS1_3genE0ELNS1_11target_archE4294967295ELNS1_3gpuE0ELNS1_3repE0EEENS1_30default_config_static_selectorELNS0_4arch9wavefront6targetE1EEEvSK_.private_seg_size, 0
	.set _ZN7rocprim17ROCPRIM_400000_NS6detail17trampoline_kernelINS0_14default_configENS1_22reduce_config_selectorIyEEZNS1_11reduce_implILb1ES3_N6thrust23THRUST_200600_302600_NS6detail15normal_iteratorINS8_10device_ptrIyEEEEPffNS8_4plusIfEEEE10hipError_tPvRmT1_T2_T3_mT4_P12ihipStream_tbEUlT_E1_NS1_11comp_targetILNS1_3genE0ELNS1_11target_archE4294967295ELNS1_3gpuE0ELNS1_3repE0EEENS1_30default_config_static_selectorELNS0_4arch9wavefront6targetE1EEEvSK_.uses_vcc, 1
	.set _ZN7rocprim17ROCPRIM_400000_NS6detail17trampoline_kernelINS0_14default_configENS1_22reduce_config_selectorIyEEZNS1_11reduce_implILb1ES3_N6thrust23THRUST_200600_302600_NS6detail15normal_iteratorINS8_10device_ptrIyEEEEPffNS8_4plusIfEEEE10hipError_tPvRmT1_T2_T3_mT4_P12ihipStream_tbEUlT_E1_NS1_11comp_targetILNS1_3genE0ELNS1_11target_archE4294967295ELNS1_3gpuE0ELNS1_3repE0EEENS1_30default_config_static_selectorELNS0_4arch9wavefront6targetE1EEEvSK_.uses_flat_scratch, 0
	.set _ZN7rocprim17ROCPRIM_400000_NS6detail17trampoline_kernelINS0_14default_configENS1_22reduce_config_selectorIyEEZNS1_11reduce_implILb1ES3_N6thrust23THRUST_200600_302600_NS6detail15normal_iteratorINS8_10device_ptrIyEEEEPffNS8_4plusIfEEEE10hipError_tPvRmT1_T2_T3_mT4_P12ihipStream_tbEUlT_E1_NS1_11comp_targetILNS1_3genE0ELNS1_11target_archE4294967295ELNS1_3gpuE0ELNS1_3repE0EEENS1_30default_config_static_selectorELNS0_4arch9wavefront6targetE1EEEvSK_.has_dyn_sized_stack, 0
	.set _ZN7rocprim17ROCPRIM_400000_NS6detail17trampoline_kernelINS0_14default_configENS1_22reduce_config_selectorIyEEZNS1_11reduce_implILb1ES3_N6thrust23THRUST_200600_302600_NS6detail15normal_iteratorINS8_10device_ptrIyEEEEPffNS8_4plusIfEEEE10hipError_tPvRmT1_T2_T3_mT4_P12ihipStream_tbEUlT_E1_NS1_11comp_targetILNS1_3genE0ELNS1_11target_archE4294967295ELNS1_3gpuE0ELNS1_3repE0EEENS1_30default_config_static_selectorELNS0_4arch9wavefront6targetE1EEEvSK_.has_recursion, 0
	.set _ZN7rocprim17ROCPRIM_400000_NS6detail17trampoline_kernelINS0_14default_configENS1_22reduce_config_selectorIyEEZNS1_11reduce_implILb1ES3_N6thrust23THRUST_200600_302600_NS6detail15normal_iteratorINS8_10device_ptrIyEEEEPffNS8_4plusIfEEEE10hipError_tPvRmT1_T2_T3_mT4_P12ihipStream_tbEUlT_E1_NS1_11comp_targetILNS1_3genE0ELNS1_11target_archE4294967295ELNS1_3gpuE0ELNS1_3repE0EEENS1_30default_config_static_selectorELNS0_4arch9wavefront6targetE1EEEvSK_.has_indirect_call, 0
	.section	.AMDGPU.csdata,"",@progbits
; Kernel info:
; codeLenInByte = 9556
; TotalNumSgprs: 51
; NumVgprs: 41
; NumAgprs: 0
; TotalNumVgprs: 41
; ScratchSize: 0
; MemoryBound: 0
; FloatMode: 240
; IeeeMode: 1
; LDSByteSize: 96 bytes/workgroup (compile time only)
; SGPRBlocks: 6
; VGPRBlocks: 5
; NumSGPRsForWavesPerEU: 51
; NumVGPRsForWavesPerEU: 41
; AccumOffset: 44
; Occupancy: 8
; WaveLimiterHint : 1
; COMPUTE_PGM_RSRC2:SCRATCH_EN: 0
; COMPUTE_PGM_RSRC2:USER_SGPR: 2
; COMPUTE_PGM_RSRC2:TRAP_HANDLER: 0
; COMPUTE_PGM_RSRC2:TGID_X_EN: 1
; COMPUTE_PGM_RSRC2:TGID_Y_EN: 0
; COMPUTE_PGM_RSRC2:TGID_Z_EN: 0
; COMPUTE_PGM_RSRC2:TIDIG_COMP_CNT: 0
; COMPUTE_PGM_RSRC3_GFX90A:ACCUM_OFFSET: 10
; COMPUTE_PGM_RSRC3_GFX90A:TG_SPLIT: 0
	.section	.text._ZN7rocprim17ROCPRIM_400000_NS6detail17trampoline_kernelINS0_14default_configENS1_22reduce_config_selectorIyEEZNS1_11reduce_implILb1ES3_N6thrust23THRUST_200600_302600_NS6detail15normal_iteratorINS8_10device_ptrIyEEEEPffNS8_4plusIfEEEE10hipError_tPvRmT1_T2_T3_mT4_P12ihipStream_tbEUlT_E1_NS1_11comp_targetILNS1_3genE5ELNS1_11target_archE942ELNS1_3gpuE9ELNS1_3repE0EEENS1_30default_config_static_selectorELNS0_4arch9wavefront6targetE1EEEvSK_,"axG",@progbits,_ZN7rocprim17ROCPRIM_400000_NS6detail17trampoline_kernelINS0_14default_configENS1_22reduce_config_selectorIyEEZNS1_11reduce_implILb1ES3_N6thrust23THRUST_200600_302600_NS6detail15normal_iteratorINS8_10device_ptrIyEEEEPffNS8_4plusIfEEEE10hipError_tPvRmT1_T2_T3_mT4_P12ihipStream_tbEUlT_E1_NS1_11comp_targetILNS1_3genE5ELNS1_11target_archE942ELNS1_3gpuE9ELNS1_3repE0EEENS1_30default_config_static_selectorELNS0_4arch9wavefront6targetE1EEEvSK_,comdat
	.protected	_ZN7rocprim17ROCPRIM_400000_NS6detail17trampoline_kernelINS0_14default_configENS1_22reduce_config_selectorIyEEZNS1_11reduce_implILb1ES3_N6thrust23THRUST_200600_302600_NS6detail15normal_iteratorINS8_10device_ptrIyEEEEPffNS8_4plusIfEEEE10hipError_tPvRmT1_T2_T3_mT4_P12ihipStream_tbEUlT_E1_NS1_11comp_targetILNS1_3genE5ELNS1_11target_archE942ELNS1_3gpuE9ELNS1_3repE0EEENS1_30default_config_static_selectorELNS0_4arch9wavefront6targetE1EEEvSK_ ; -- Begin function _ZN7rocprim17ROCPRIM_400000_NS6detail17trampoline_kernelINS0_14default_configENS1_22reduce_config_selectorIyEEZNS1_11reduce_implILb1ES3_N6thrust23THRUST_200600_302600_NS6detail15normal_iteratorINS8_10device_ptrIyEEEEPffNS8_4plusIfEEEE10hipError_tPvRmT1_T2_T3_mT4_P12ihipStream_tbEUlT_E1_NS1_11comp_targetILNS1_3genE5ELNS1_11target_archE942ELNS1_3gpuE9ELNS1_3repE0EEENS1_30default_config_static_selectorELNS0_4arch9wavefront6targetE1EEEvSK_
	.globl	_ZN7rocprim17ROCPRIM_400000_NS6detail17trampoline_kernelINS0_14default_configENS1_22reduce_config_selectorIyEEZNS1_11reduce_implILb1ES3_N6thrust23THRUST_200600_302600_NS6detail15normal_iteratorINS8_10device_ptrIyEEEEPffNS8_4plusIfEEEE10hipError_tPvRmT1_T2_T3_mT4_P12ihipStream_tbEUlT_E1_NS1_11comp_targetILNS1_3genE5ELNS1_11target_archE942ELNS1_3gpuE9ELNS1_3repE0EEENS1_30default_config_static_selectorELNS0_4arch9wavefront6targetE1EEEvSK_
	.p2align	8
	.type	_ZN7rocprim17ROCPRIM_400000_NS6detail17trampoline_kernelINS0_14default_configENS1_22reduce_config_selectorIyEEZNS1_11reduce_implILb1ES3_N6thrust23THRUST_200600_302600_NS6detail15normal_iteratorINS8_10device_ptrIyEEEEPffNS8_4plusIfEEEE10hipError_tPvRmT1_T2_T3_mT4_P12ihipStream_tbEUlT_E1_NS1_11comp_targetILNS1_3genE5ELNS1_11target_archE942ELNS1_3gpuE9ELNS1_3repE0EEENS1_30default_config_static_selectorELNS0_4arch9wavefront6targetE1EEEvSK_,@function
_ZN7rocprim17ROCPRIM_400000_NS6detail17trampoline_kernelINS0_14default_configENS1_22reduce_config_selectorIyEEZNS1_11reduce_implILb1ES3_N6thrust23THRUST_200600_302600_NS6detail15normal_iteratorINS8_10device_ptrIyEEEEPffNS8_4plusIfEEEE10hipError_tPvRmT1_T2_T3_mT4_P12ihipStream_tbEUlT_E1_NS1_11comp_targetILNS1_3genE5ELNS1_11target_archE942ELNS1_3gpuE9ELNS1_3repE0EEENS1_30default_config_static_selectorELNS0_4arch9wavefront6targetE1EEEvSK_: ; @_ZN7rocprim17ROCPRIM_400000_NS6detail17trampoline_kernelINS0_14default_configENS1_22reduce_config_selectorIyEEZNS1_11reduce_implILb1ES3_N6thrust23THRUST_200600_302600_NS6detail15normal_iteratorINS8_10device_ptrIyEEEEPffNS8_4plusIfEEEE10hipError_tPvRmT1_T2_T3_mT4_P12ihipStream_tbEUlT_E1_NS1_11comp_targetILNS1_3genE5ELNS1_11target_archE942ELNS1_3gpuE9ELNS1_3repE0EEENS1_30default_config_static_selectorELNS0_4arch9wavefront6targetE1EEEvSK_
; %bb.0:
	.section	.rodata,"a",@progbits
	.p2align	6, 0x0
	.amdhsa_kernel _ZN7rocprim17ROCPRIM_400000_NS6detail17trampoline_kernelINS0_14default_configENS1_22reduce_config_selectorIyEEZNS1_11reduce_implILb1ES3_N6thrust23THRUST_200600_302600_NS6detail15normal_iteratorINS8_10device_ptrIyEEEEPffNS8_4plusIfEEEE10hipError_tPvRmT1_T2_T3_mT4_P12ihipStream_tbEUlT_E1_NS1_11comp_targetILNS1_3genE5ELNS1_11target_archE942ELNS1_3gpuE9ELNS1_3repE0EEENS1_30default_config_static_selectorELNS0_4arch9wavefront6targetE1EEEvSK_
		.amdhsa_group_segment_fixed_size 0
		.amdhsa_private_segment_fixed_size 0
		.amdhsa_kernarg_size 40
		.amdhsa_user_sgpr_count 2
		.amdhsa_user_sgpr_dispatch_ptr 0
		.amdhsa_user_sgpr_queue_ptr 0
		.amdhsa_user_sgpr_kernarg_segment_ptr 1
		.amdhsa_user_sgpr_dispatch_id 0
		.amdhsa_user_sgpr_kernarg_preload_length 0
		.amdhsa_user_sgpr_kernarg_preload_offset 0
		.amdhsa_user_sgpr_private_segment_size 0
		.amdhsa_uses_dynamic_stack 0
		.amdhsa_enable_private_segment 0
		.amdhsa_system_sgpr_workgroup_id_x 1
		.amdhsa_system_sgpr_workgroup_id_y 0
		.amdhsa_system_sgpr_workgroup_id_z 0
		.amdhsa_system_sgpr_workgroup_info 0
		.amdhsa_system_vgpr_workitem_id 0
		.amdhsa_next_free_vgpr 1
		.amdhsa_next_free_sgpr 0
		.amdhsa_accum_offset 4
		.amdhsa_reserve_vcc 0
		.amdhsa_float_round_mode_32 0
		.amdhsa_float_round_mode_16_64 0
		.amdhsa_float_denorm_mode_32 3
		.amdhsa_float_denorm_mode_16_64 3
		.amdhsa_dx10_clamp 1
		.amdhsa_ieee_mode 1
		.amdhsa_fp16_overflow 0
		.amdhsa_tg_split 0
		.amdhsa_exception_fp_ieee_invalid_op 0
		.amdhsa_exception_fp_denorm_src 0
		.amdhsa_exception_fp_ieee_div_zero 0
		.amdhsa_exception_fp_ieee_overflow 0
		.amdhsa_exception_fp_ieee_underflow 0
		.amdhsa_exception_fp_ieee_inexact 0
		.amdhsa_exception_int_div_zero 0
	.end_amdhsa_kernel
	.section	.text._ZN7rocprim17ROCPRIM_400000_NS6detail17trampoline_kernelINS0_14default_configENS1_22reduce_config_selectorIyEEZNS1_11reduce_implILb1ES3_N6thrust23THRUST_200600_302600_NS6detail15normal_iteratorINS8_10device_ptrIyEEEEPffNS8_4plusIfEEEE10hipError_tPvRmT1_T2_T3_mT4_P12ihipStream_tbEUlT_E1_NS1_11comp_targetILNS1_3genE5ELNS1_11target_archE942ELNS1_3gpuE9ELNS1_3repE0EEENS1_30default_config_static_selectorELNS0_4arch9wavefront6targetE1EEEvSK_,"axG",@progbits,_ZN7rocprim17ROCPRIM_400000_NS6detail17trampoline_kernelINS0_14default_configENS1_22reduce_config_selectorIyEEZNS1_11reduce_implILb1ES3_N6thrust23THRUST_200600_302600_NS6detail15normal_iteratorINS8_10device_ptrIyEEEEPffNS8_4plusIfEEEE10hipError_tPvRmT1_T2_T3_mT4_P12ihipStream_tbEUlT_E1_NS1_11comp_targetILNS1_3genE5ELNS1_11target_archE942ELNS1_3gpuE9ELNS1_3repE0EEENS1_30default_config_static_selectorELNS0_4arch9wavefront6targetE1EEEvSK_,comdat
.Lfunc_end379:
	.size	_ZN7rocprim17ROCPRIM_400000_NS6detail17trampoline_kernelINS0_14default_configENS1_22reduce_config_selectorIyEEZNS1_11reduce_implILb1ES3_N6thrust23THRUST_200600_302600_NS6detail15normal_iteratorINS8_10device_ptrIyEEEEPffNS8_4plusIfEEEE10hipError_tPvRmT1_T2_T3_mT4_P12ihipStream_tbEUlT_E1_NS1_11comp_targetILNS1_3genE5ELNS1_11target_archE942ELNS1_3gpuE9ELNS1_3repE0EEENS1_30default_config_static_selectorELNS0_4arch9wavefront6targetE1EEEvSK_, .Lfunc_end379-_ZN7rocprim17ROCPRIM_400000_NS6detail17trampoline_kernelINS0_14default_configENS1_22reduce_config_selectorIyEEZNS1_11reduce_implILb1ES3_N6thrust23THRUST_200600_302600_NS6detail15normal_iteratorINS8_10device_ptrIyEEEEPffNS8_4plusIfEEEE10hipError_tPvRmT1_T2_T3_mT4_P12ihipStream_tbEUlT_E1_NS1_11comp_targetILNS1_3genE5ELNS1_11target_archE942ELNS1_3gpuE9ELNS1_3repE0EEENS1_30default_config_static_selectorELNS0_4arch9wavefront6targetE1EEEvSK_
                                        ; -- End function
	.set _ZN7rocprim17ROCPRIM_400000_NS6detail17trampoline_kernelINS0_14default_configENS1_22reduce_config_selectorIyEEZNS1_11reduce_implILb1ES3_N6thrust23THRUST_200600_302600_NS6detail15normal_iteratorINS8_10device_ptrIyEEEEPffNS8_4plusIfEEEE10hipError_tPvRmT1_T2_T3_mT4_P12ihipStream_tbEUlT_E1_NS1_11comp_targetILNS1_3genE5ELNS1_11target_archE942ELNS1_3gpuE9ELNS1_3repE0EEENS1_30default_config_static_selectorELNS0_4arch9wavefront6targetE1EEEvSK_.num_vgpr, 0
	.set _ZN7rocprim17ROCPRIM_400000_NS6detail17trampoline_kernelINS0_14default_configENS1_22reduce_config_selectorIyEEZNS1_11reduce_implILb1ES3_N6thrust23THRUST_200600_302600_NS6detail15normal_iteratorINS8_10device_ptrIyEEEEPffNS8_4plusIfEEEE10hipError_tPvRmT1_T2_T3_mT4_P12ihipStream_tbEUlT_E1_NS1_11comp_targetILNS1_3genE5ELNS1_11target_archE942ELNS1_3gpuE9ELNS1_3repE0EEENS1_30default_config_static_selectorELNS0_4arch9wavefront6targetE1EEEvSK_.num_agpr, 0
	.set _ZN7rocprim17ROCPRIM_400000_NS6detail17trampoline_kernelINS0_14default_configENS1_22reduce_config_selectorIyEEZNS1_11reduce_implILb1ES3_N6thrust23THRUST_200600_302600_NS6detail15normal_iteratorINS8_10device_ptrIyEEEEPffNS8_4plusIfEEEE10hipError_tPvRmT1_T2_T3_mT4_P12ihipStream_tbEUlT_E1_NS1_11comp_targetILNS1_3genE5ELNS1_11target_archE942ELNS1_3gpuE9ELNS1_3repE0EEENS1_30default_config_static_selectorELNS0_4arch9wavefront6targetE1EEEvSK_.numbered_sgpr, 0
	.set _ZN7rocprim17ROCPRIM_400000_NS6detail17trampoline_kernelINS0_14default_configENS1_22reduce_config_selectorIyEEZNS1_11reduce_implILb1ES3_N6thrust23THRUST_200600_302600_NS6detail15normal_iteratorINS8_10device_ptrIyEEEEPffNS8_4plusIfEEEE10hipError_tPvRmT1_T2_T3_mT4_P12ihipStream_tbEUlT_E1_NS1_11comp_targetILNS1_3genE5ELNS1_11target_archE942ELNS1_3gpuE9ELNS1_3repE0EEENS1_30default_config_static_selectorELNS0_4arch9wavefront6targetE1EEEvSK_.num_named_barrier, 0
	.set _ZN7rocprim17ROCPRIM_400000_NS6detail17trampoline_kernelINS0_14default_configENS1_22reduce_config_selectorIyEEZNS1_11reduce_implILb1ES3_N6thrust23THRUST_200600_302600_NS6detail15normal_iteratorINS8_10device_ptrIyEEEEPffNS8_4plusIfEEEE10hipError_tPvRmT1_T2_T3_mT4_P12ihipStream_tbEUlT_E1_NS1_11comp_targetILNS1_3genE5ELNS1_11target_archE942ELNS1_3gpuE9ELNS1_3repE0EEENS1_30default_config_static_selectorELNS0_4arch9wavefront6targetE1EEEvSK_.private_seg_size, 0
	.set _ZN7rocprim17ROCPRIM_400000_NS6detail17trampoline_kernelINS0_14default_configENS1_22reduce_config_selectorIyEEZNS1_11reduce_implILb1ES3_N6thrust23THRUST_200600_302600_NS6detail15normal_iteratorINS8_10device_ptrIyEEEEPffNS8_4plusIfEEEE10hipError_tPvRmT1_T2_T3_mT4_P12ihipStream_tbEUlT_E1_NS1_11comp_targetILNS1_3genE5ELNS1_11target_archE942ELNS1_3gpuE9ELNS1_3repE0EEENS1_30default_config_static_selectorELNS0_4arch9wavefront6targetE1EEEvSK_.uses_vcc, 0
	.set _ZN7rocprim17ROCPRIM_400000_NS6detail17trampoline_kernelINS0_14default_configENS1_22reduce_config_selectorIyEEZNS1_11reduce_implILb1ES3_N6thrust23THRUST_200600_302600_NS6detail15normal_iteratorINS8_10device_ptrIyEEEEPffNS8_4plusIfEEEE10hipError_tPvRmT1_T2_T3_mT4_P12ihipStream_tbEUlT_E1_NS1_11comp_targetILNS1_3genE5ELNS1_11target_archE942ELNS1_3gpuE9ELNS1_3repE0EEENS1_30default_config_static_selectorELNS0_4arch9wavefront6targetE1EEEvSK_.uses_flat_scratch, 0
	.set _ZN7rocprim17ROCPRIM_400000_NS6detail17trampoline_kernelINS0_14default_configENS1_22reduce_config_selectorIyEEZNS1_11reduce_implILb1ES3_N6thrust23THRUST_200600_302600_NS6detail15normal_iteratorINS8_10device_ptrIyEEEEPffNS8_4plusIfEEEE10hipError_tPvRmT1_T2_T3_mT4_P12ihipStream_tbEUlT_E1_NS1_11comp_targetILNS1_3genE5ELNS1_11target_archE942ELNS1_3gpuE9ELNS1_3repE0EEENS1_30default_config_static_selectorELNS0_4arch9wavefront6targetE1EEEvSK_.has_dyn_sized_stack, 0
	.set _ZN7rocprim17ROCPRIM_400000_NS6detail17trampoline_kernelINS0_14default_configENS1_22reduce_config_selectorIyEEZNS1_11reduce_implILb1ES3_N6thrust23THRUST_200600_302600_NS6detail15normal_iteratorINS8_10device_ptrIyEEEEPffNS8_4plusIfEEEE10hipError_tPvRmT1_T2_T3_mT4_P12ihipStream_tbEUlT_E1_NS1_11comp_targetILNS1_3genE5ELNS1_11target_archE942ELNS1_3gpuE9ELNS1_3repE0EEENS1_30default_config_static_selectorELNS0_4arch9wavefront6targetE1EEEvSK_.has_recursion, 0
	.set _ZN7rocprim17ROCPRIM_400000_NS6detail17trampoline_kernelINS0_14default_configENS1_22reduce_config_selectorIyEEZNS1_11reduce_implILb1ES3_N6thrust23THRUST_200600_302600_NS6detail15normal_iteratorINS8_10device_ptrIyEEEEPffNS8_4plusIfEEEE10hipError_tPvRmT1_T2_T3_mT4_P12ihipStream_tbEUlT_E1_NS1_11comp_targetILNS1_3genE5ELNS1_11target_archE942ELNS1_3gpuE9ELNS1_3repE0EEENS1_30default_config_static_selectorELNS0_4arch9wavefront6targetE1EEEvSK_.has_indirect_call, 0
	.section	.AMDGPU.csdata,"",@progbits
; Kernel info:
; codeLenInByte = 0
; TotalNumSgprs: 6
; NumVgprs: 0
; NumAgprs: 0
; TotalNumVgprs: 0
; ScratchSize: 0
; MemoryBound: 0
; FloatMode: 240
; IeeeMode: 1
; LDSByteSize: 0 bytes/workgroup (compile time only)
; SGPRBlocks: 0
; VGPRBlocks: 0
; NumSGPRsForWavesPerEU: 6
; NumVGPRsForWavesPerEU: 1
; AccumOffset: 4
; Occupancy: 8
; WaveLimiterHint : 0
; COMPUTE_PGM_RSRC2:SCRATCH_EN: 0
; COMPUTE_PGM_RSRC2:USER_SGPR: 2
; COMPUTE_PGM_RSRC2:TRAP_HANDLER: 0
; COMPUTE_PGM_RSRC2:TGID_X_EN: 1
; COMPUTE_PGM_RSRC2:TGID_Y_EN: 0
; COMPUTE_PGM_RSRC2:TGID_Z_EN: 0
; COMPUTE_PGM_RSRC2:TIDIG_COMP_CNT: 0
; COMPUTE_PGM_RSRC3_GFX90A:ACCUM_OFFSET: 0
; COMPUTE_PGM_RSRC3_GFX90A:TG_SPLIT: 0
	.section	.text._ZN7rocprim17ROCPRIM_400000_NS6detail17trampoline_kernelINS0_14default_configENS1_22reduce_config_selectorIyEEZNS1_11reduce_implILb1ES3_N6thrust23THRUST_200600_302600_NS6detail15normal_iteratorINS8_10device_ptrIyEEEEPffNS8_4plusIfEEEE10hipError_tPvRmT1_T2_T3_mT4_P12ihipStream_tbEUlT_E1_NS1_11comp_targetILNS1_3genE4ELNS1_11target_archE910ELNS1_3gpuE8ELNS1_3repE0EEENS1_30default_config_static_selectorELNS0_4arch9wavefront6targetE1EEEvSK_,"axG",@progbits,_ZN7rocprim17ROCPRIM_400000_NS6detail17trampoline_kernelINS0_14default_configENS1_22reduce_config_selectorIyEEZNS1_11reduce_implILb1ES3_N6thrust23THRUST_200600_302600_NS6detail15normal_iteratorINS8_10device_ptrIyEEEEPffNS8_4plusIfEEEE10hipError_tPvRmT1_T2_T3_mT4_P12ihipStream_tbEUlT_E1_NS1_11comp_targetILNS1_3genE4ELNS1_11target_archE910ELNS1_3gpuE8ELNS1_3repE0EEENS1_30default_config_static_selectorELNS0_4arch9wavefront6targetE1EEEvSK_,comdat
	.protected	_ZN7rocprim17ROCPRIM_400000_NS6detail17trampoline_kernelINS0_14default_configENS1_22reduce_config_selectorIyEEZNS1_11reduce_implILb1ES3_N6thrust23THRUST_200600_302600_NS6detail15normal_iteratorINS8_10device_ptrIyEEEEPffNS8_4plusIfEEEE10hipError_tPvRmT1_T2_T3_mT4_P12ihipStream_tbEUlT_E1_NS1_11comp_targetILNS1_3genE4ELNS1_11target_archE910ELNS1_3gpuE8ELNS1_3repE0EEENS1_30default_config_static_selectorELNS0_4arch9wavefront6targetE1EEEvSK_ ; -- Begin function _ZN7rocprim17ROCPRIM_400000_NS6detail17trampoline_kernelINS0_14default_configENS1_22reduce_config_selectorIyEEZNS1_11reduce_implILb1ES3_N6thrust23THRUST_200600_302600_NS6detail15normal_iteratorINS8_10device_ptrIyEEEEPffNS8_4plusIfEEEE10hipError_tPvRmT1_T2_T3_mT4_P12ihipStream_tbEUlT_E1_NS1_11comp_targetILNS1_3genE4ELNS1_11target_archE910ELNS1_3gpuE8ELNS1_3repE0EEENS1_30default_config_static_selectorELNS0_4arch9wavefront6targetE1EEEvSK_
	.globl	_ZN7rocprim17ROCPRIM_400000_NS6detail17trampoline_kernelINS0_14default_configENS1_22reduce_config_selectorIyEEZNS1_11reduce_implILb1ES3_N6thrust23THRUST_200600_302600_NS6detail15normal_iteratorINS8_10device_ptrIyEEEEPffNS8_4plusIfEEEE10hipError_tPvRmT1_T2_T3_mT4_P12ihipStream_tbEUlT_E1_NS1_11comp_targetILNS1_3genE4ELNS1_11target_archE910ELNS1_3gpuE8ELNS1_3repE0EEENS1_30default_config_static_selectorELNS0_4arch9wavefront6targetE1EEEvSK_
	.p2align	8
	.type	_ZN7rocprim17ROCPRIM_400000_NS6detail17trampoline_kernelINS0_14default_configENS1_22reduce_config_selectorIyEEZNS1_11reduce_implILb1ES3_N6thrust23THRUST_200600_302600_NS6detail15normal_iteratorINS8_10device_ptrIyEEEEPffNS8_4plusIfEEEE10hipError_tPvRmT1_T2_T3_mT4_P12ihipStream_tbEUlT_E1_NS1_11comp_targetILNS1_3genE4ELNS1_11target_archE910ELNS1_3gpuE8ELNS1_3repE0EEENS1_30default_config_static_selectorELNS0_4arch9wavefront6targetE1EEEvSK_,@function
_ZN7rocprim17ROCPRIM_400000_NS6detail17trampoline_kernelINS0_14default_configENS1_22reduce_config_selectorIyEEZNS1_11reduce_implILb1ES3_N6thrust23THRUST_200600_302600_NS6detail15normal_iteratorINS8_10device_ptrIyEEEEPffNS8_4plusIfEEEE10hipError_tPvRmT1_T2_T3_mT4_P12ihipStream_tbEUlT_E1_NS1_11comp_targetILNS1_3genE4ELNS1_11target_archE910ELNS1_3gpuE8ELNS1_3repE0EEENS1_30default_config_static_selectorELNS0_4arch9wavefront6targetE1EEEvSK_: ; @_ZN7rocprim17ROCPRIM_400000_NS6detail17trampoline_kernelINS0_14default_configENS1_22reduce_config_selectorIyEEZNS1_11reduce_implILb1ES3_N6thrust23THRUST_200600_302600_NS6detail15normal_iteratorINS8_10device_ptrIyEEEEPffNS8_4plusIfEEEE10hipError_tPvRmT1_T2_T3_mT4_P12ihipStream_tbEUlT_E1_NS1_11comp_targetILNS1_3genE4ELNS1_11target_archE910ELNS1_3gpuE8ELNS1_3repE0EEENS1_30default_config_static_selectorELNS0_4arch9wavefront6targetE1EEEvSK_
; %bb.0:
	.section	.rodata,"a",@progbits
	.p2align	6, 0x0
	.amdhsa_kernel _ZN7rocprim17ROCPRIM_400000_NS6detail17trampoline_kernelINS0_14default_configENS1_22reduce_config_selectorIyEEZNS1_11reduce_implILb1ES3_N6thrust23THRUST_200600_302600_NS6detail15normal_iteratorINS8_10device_ptrIyEEEEPffNS8_4plusIfEEEE10hipError_tPvRmT1_T2_T3_mT4_P12ihipStream_tbEUlT_E1_NS1_11comp_targetILNS1_3genE4ELNS1_11target_archE910ELNS1_3gpuE8ELNS1_3repE0EEENS1_30default_config_static_selectorELNS0_4arch9wavefront6targetE1EEEvSK_
		.amdhsa_group_segment_fixed_size 0
		.amdhsa_private_segment_fixed_size 0
		.amdhsa_kernarg_size 40
		.amdhsa_user_sgpr_count 2
		.amdhsa_user_sgpr_dispatch_ptr 0
		.amdhsa_user_sgpr_queue_ptr 0
		.amdhsa_user_sgpr_kernarg_segment_ptr 1
		.amdhsa_user_sgpr_dispatch_id 0
		.amdhsa_user_sgpr_kernarg_preload_length 0
		.amdhsa_user_sgpr_kernarg_preload_offset 0
		.amdhsa_user_sgpr_private_segment_size 0
		.amdhsa_uses_dynamic_stack 0
		.amdhsa_enable_private_segment 0
		.amdhsa_system_sgpr_workgroup_id_x 1
		.amdhsa_system_sgpr_workgroup_id_y 0
		.amdhsa_system_sgpr_workgroup_id_z 0
		.amdhsa_system_sgpr_workgroup_info 0
		.amdhsa_system_vgpr_workitem_id 0
		.amdhsa_next_free_vgpr 1
		.amdhsa_next_free_sgpr 0
		.amdhsa_accum_offset 4
		.amdhsa_reserve_vcc 0
		.amdhsa_float_round_mode_32 0
		.amdhsa_float_round_mode_16_64 0
		.amdhsa_float_denorm_mode_32 3
		.amdhsa_float_denorm_mode_16_64 3
		.amdhsa_dx10_clamp 1
		.amdhsa_ieee_mode 1
		.amdhsa_fp16_overflow 0
		.amdhsa_tg_split 0
		.amdhsa_exception_fp_ieee_invalid_op 0
		.amdhsa_exception_fp_denorm_src 0
		.amdhsa_exception_fp_ieee_div_zero 0
		.amdhsa_exception_fp_ieee_overflow 0
		.amdhsa_exception_fp_ieee_underflow 0
		.amdhsa_exception_fp_ieee_inexact 0
		.amdhsa_exception_int_div_zero 0
	.end_amdhsa_kernel
	.section	.text._ZN7rocprim17ROCPRIM_400000_NS6detail17trampoline_kernelINS0_14default_configENS1_22reduce_config_selectorIyEEZNS1_11reduce_implILb1ES3_N6thrust23THRUST_200600_302600_NS6detail15normal_iteratorINS8_10device_ptrIyEEEEPffNS8_4plusIfEEEE10hipError_tPvRmT1_T2_T3_mT4_P12ihipStream_tbEUlT_E1_NS1_11comp_targetILNS1_3genE4ELNS1_11target_archE910ELNS1_3gpuE8ELNS1_3repE0EEENS1_30default_config_static_selectorELNS0_4arch9wavefront6targetE1EEEvSK_,"axG",@progbits,_ZN7rocprim17ROCPRIM_400000_NS6detail17trampoline_kernelINS0_14default_configENS1_22reduce_config_selectorIyEEZNS1_11reduce_implILb1ES3_N6thrust23THRUST_200600_302600_NS6detail15normal_iteratorINS8_10device_ptrIyEEEEPffNS8_4plusIfEEEE10hipError_tPvRmT1_T2_T3_mT4_P12ihipStream_tbEUlT_E1_NS1_11comp_targetILNS1_3genE4ELNS1_11target_archE910ELNS1_3gpuE8ELNS1_3repE0EEENS1_30default_config_static_selectorELNS0_4arch9wavefront6targetE1EEEvSK_,comdat
.Lfunc_end380:
	.size	_ZN7rocprim17ROCPRIM_400000_NS6detail17trampoline_kernelINS0_14default_configENS1_22reduce_config_selectorIyEEZNS1_11reduce_implILb1ES3_N6thrust23THRUST_200600_302600_NS6detail15normal_iteratorINS8_10device_ptrIyEEEEPffNS8_4plusIfEEEE10hipError_tPvRmT1_T2_T3_mT4_P12ihipStream_tbEUlT_E1_NS1_11comp_targetILNS1_3genE4ELNS1_11target_archE910ELNS1_3gpuE8ELNS1_3repE0EEENS1_30default_config_static_selectorELNS0_4arch9wavefront6targetE1EEEvSK_, .Lfunc_end380-_ZN7rocprim17ROCPRIM_400000_NS6detail17trampoline_kernelINS0_14default_configENS1_22reduce_config_selectorIyEEZNS1_11reduce_implILb1ES3_N6thrust23THRUST_200600_302600_NS6detail15normal_iteratorINS8_10device_ptrIyEEEEPffNS8_4plusIfEEEE10hipError_tPvRmT1_T2_T3_mT4_P12ihipStream_tbEUlT_E1_NS1_11comp_targetILNS1_3genE4ELNS1_11target_archE910ELNS1_3gpuE8ELNS1_3repE0EEENS1_30default_config_static_selectorELNS0_4arch9wavefront6targetE1EEEvSK_
                                        ; -- End function
	.set _ZN7rocprim17ROCPRIM_400000_NS6detail17trampoline_kernelINS0_14default_configENS1_22reduce_config_selectorIyEEZNS1_11reduce_implILb1ES3_N6thrust23THRUST_200600_302600_NS6detail15normal_iteratorINS8_10device_ptrIyEEEEPffNS8_4plusIfEEEE10hipError_tPvRmT1_T2_T3_mT4_P12ihipStream_tbEUlT_E1_NS1_11comp_targetILNS1_3genE4ELNS1_11target_archE910ELNS1_3gpuE8ELNS1_3repE0EEENS1_30default_config_static_selectorELNS0_4arch9wavefront6targetE1EEEvSK_.num_vgpr, 0
	.set _ZN7rocprim17ROCPRIM_400000_NS6detail17trampoline_kernelINS0_14default_configENS1_22reduce_config_selectorIyEEZNS1_11reduce_implILb1ES3_N6thrust23THRUST_200600_302600_NS6detail15normal_iteratorINS8_10device_ptrIyEEEEPffNS8_4plusIfEEEE10hipError_tPvRmT1_T2_T3_mT4_P12ihipStream_tbEUlT_E1_NS1_11comp_targetILNS1_3genE4ELNS1_11target_archE910ELNS1_3gpuE8ELNS1_3repE0EEENS1_30default_config_static_selectorELNS0_4arch9wavefront6targetE1EEEvSK_.num_agpr, 0
	.set _ZN7rocprim17ROCPRIM_400000_NS6detail17trampoline_kernelINS0_14default_configENS1_22reduce_config_selectorIyEEZNS1_11reduce_implILb1ES3_N6thrust23THRUST_200600_302600_NS6detail15normal_iteratorINS8_10device_ptrIyEEEEPffNS8_4plusIfEEEE10hipError_tPvRmT1_T2_T3_mT4_P12ihipStream_tbEUlT_E1_NS1_11comp_targetILNS1_3genE4ELNS1_11target_archE910ELNS1_3gpuE8ELNS1_3repE0EEENS1_30default_config_static_selectorELNS0_4arch9wavefront6targetE1EEEvSK_.numbered_sgpr, 0
	.set _ZN7rocprim17ROCPRIM_400000_NS6detail17trampoline_kernelINS0_14default_configENS1_22reduce_config_selectorIyEEZNS1_11reduce_implILb1ES3_N6thrust23THRUST_200600_302600_NS6detail15normal_iteratorINS8_10device_ptrIyEEEEPffNS8_4plusIfEEEE10hipError_tPvRmT1_T2_T3_mT4_P12ihipStream_tbEUlT_E1_NS1_11comp_targetILNS1_3genE4ELNS1_11target_archE910ELNS1_3gpuE8ELNS1_3repE0EEENS1_30default_config_static_selectorELNS0_4arch9wavefront6targetE1EEEvSK_.num_named_barrier, 0
	.set _ZN7rocprim17ROCPRIM_400000_NS6detail17trampoline_kernelINS0_14default_configENS1_22reduce_config_selectorIyEEZNS1_11reduce_implILb1ES3_N6thrust23THRUST_200600_302600_NS6detail15normal_iteratorINS8_10device_ptrIyEEEEPffNS8_4plusIfEEEE10hipError_tPvRmT1_T2_T3_mT4_P12ihipStream_tbEUlT_E1_NS1_11comp_targetILNS1_3genE4ELNS1_11target_archE910ELNS1_3gpuE8ELNS1_3repE0EEENS1_30default_config_static_selectorELNS0_4arch9wavefront6targetE1EEEvSK_.private_seg_size, 0
	.set _ZN7rocprim17ROCPRIM_400000_NS6detail17trampoline_kernelINS0_14default_configENS1_22reduce_config_selectorIyEEZNS1_11reduce_implILb1ES3_N6thrust23THRUST_200600_302600_NS6detail15normal_iteratorINS8_10device_ptrIyEEEEPffNS8_4plusIfEEEE10hipError_tPvRmT1_T2_T3_mT4_P12ihipStream_tbEUlT_E1_NS1_11comp_targetILNS1_3genE4ELNS1_11target_archE910ELNS1_3gpuE8ELNS1_3repE0EEENS1_30default_config_static_selectorELNS0_4arch9wavefront6targetE1EEEvSK_.uses_vcc, 0
	.set _ZN7rocprim17ROCPRIM_400000_NS6detail17trampoline_kernelINS0_14default_configENS1_22reduce_config_selectorIyEEZNS1_11reduce_implILb1ES3_N6thrust23THRUST_200600_302600_NS6detail15normal_iteratorINS8_10device_ptrIyEEEEPffNS8_4plusIfEEEE10hipError_tPvRmT1_T2_T3_mT4_P12ihipStream_tbEUlT_E1_NS1_11comp_targetILNS1_3genE4ELNS1_11target_archE910ELNS1_3gpuE8ELNS1_3repE0EEENS1_30default_config_static_selectorELNS0_4arch9wavefront6targetE1EEEvSK_.uses_flat_scratch, 0
	.set _ZN7rocprim17ROCPRIM_400000_NS6detail17trampoline_kernelINS0_14default_configENS1_22reduce_config_selectorIyEEZNS1_11reduce_implILb1ES3_N6thrust23THRUST_200600_302600_NS6detail15normal_iteratorINS8_10device_ptrIyEEEEPffNS8_4plusIfEEEE10hipError_tPvRmT1_T2_T3_mT4_P12ihipStream_tbEUlT_E1_NS1_11comp_targetILNS1_3genE4ELNS1_11target_archE910ELNS1_3gpuE8ELNS1_3repE0EEENS1_30default_config_static_selectorELNS0_4arch9wavefront6targetE1EEEvSK_.has_dyn_sized_stack, 0
	.set _ZN7rocprim17ROCPRIM_400000_NS6detail17trampoline_kernelINS0_14default_configENS1_22reduce_config_selectorIyEEZNS1_11reduce_implILb1ES3_N6thrust23THRUST_200600_302600_NS6detail15normal_iteratorINS8_10device_ptrIyEEEEPffNS8_4plusIfEEEE10hipError_tPvRmT1_T2_T3_mT4_P12ihipStream_tbEUlT_E1_NS1_11comp_targetILNS1_3genE4ELNS1_11target_archE910ELNS1_3gpuE8ELNS1_3repE0EEENS1_30default_config_static_selectorELNS0_4arch9wavefront6targetE1EEEvSK_.has_recursion, 0
	.set _ZN7rocprim17ROCPRIM_400000_NS6detail17trampoline_kernelINS0_14default_configENS1_22reduce_config_selectorIyEEZNS1_11reduce_implILb1ES3_N6thrust23THRUST_200600_302600_NS6detail15normal_iteratorINS8_10device_ptrIyEEEEPffNS8_4plusIfEEEE10hipError_tPvRmT1_T2_T3_mT4_P12ihipStream_tbEUlT_E1_NS1_11comp_targetILNS1_3genE4ELNS1_11target_archE910ELNS1_3gpuE8ELNS1_3repE0EEENS1_30default_config_static_selectorELNS0_4arch9wavefront6targetE1EEEvSK_.has_indirect_call, 0
	.section	.AMDGPU.csdata,"",@progbits
; Kernel info:
; codeLenInByte = 0
; TotalNumSgprs: 6
; NumVgprs: 0
; NumAgprs: 0
; TotalNumVgprs: 0
; ScratchSize: 0
; MemoryBound: 0
; FloatMode: 240
; IeeeMode: 1
; LDSByteSize: 0 bytes/workgroup (compile time only)
; SGPRBlocks: 0
; VGPRBlocks: 0
; NumSGPRsForWavesPerEU: 6
; NumVGPRsForWavesPerEU: 1
; AccumOffset: 4
; Occupancy: 8
; WaveLimiterHint : 0
; COMPUTE_PGM_RSRC2:SCRATCH_EN: 0
; COMPUTE_PGM_RSRC2:USER_SGPR: 2
; COMPUTE_PGM_RSRC2:TRAP_HANDLER: 0
; COMPUTE_PGM_RSRC2:TGID_X_EN: 1
; COMPUTE_PGM_RSRC2:TGID_Y_EN: 0
; COMPUTE_PGM_RSRC2:TGID_Z_EN: 0
; COMPUTE_PGM_RSRC2:TIDIG_COMP_CNT: 0
; COMPUTE_PGM_RSRC3_GFX90A:ACCUM_OFFSET: 0
; COMPUTE_PGM_RSRC3_GFX90A:TG_SPLIT: 0
	.section	.text._ZN7rocprim17ROCPRIM_400000_NS6detail17trampoline_kernelINS0_14default_configENS1_22reduce_config_selectorIyEEZNS1_11reduce_implILb1ES3_N6thrust23THRUST_200600_302600_NS6detail15normal_iteratorINS8_10device_ptrIyEEEEPffNS8_4plusIfEEEE10hipError_tPvRmT1_T2_T3_mT4_P12ihipStream_tbEUlT_E1_NS1_11comp_targetILNS1_3genE3ELNS1_11target_archE908ELNS1_3gpuE7ELNS1_3repE0EEENS1_30default_config_static_selectorELNS0_4arch9wavefront6targetE1EEEvSK_,"axG",@progbits,_ZN7rocprim17ROCPRIM_400000_NS6detail17trampoline_kernelINS0_14default_configENS1_22reduce_config_selectorIyEEZNS1_11reduce_implILb1ES3_N6thrust23THRUST_200600_302600_NS6detail15normal_iteratorINS8_10device_ptrIyEEEEPffNS8_4plusIfEEEE10hipError_tPvRmT1_T2_T3_mT4_P12ihipStream_tbEUlT_E1_NS1_11comp_targetILNS1_3genE3ELNS1_11target_archE908ELNS1_3gpuE7ELNS1_3repE0EEENS1_30default_config_static_selectorELNS0_4arch9wavefront6targetE1EEEvSK_,comdat
	.protected	_ZN7rocprim17ROCPRIM_400000_NS6detail17trampoline_kernelINS0_14default_configENS1_22reduce_config_selectorIyEEZNS1_11reduce_implILb1ES3_N6thrust23THRUST_200600_302600_NS6detail15normal_iteratorINS8_10device_ptrIyEEEEPffNS8_4plusIfEEEE10hipError_tPvRmT1_T2_T3_mT4_P12ihipStream_tbEUlT_E1_NS1_11comp_targetILNS1_3genE3ELNS1_11target_archE908ELNS1_3gpuE7ELNS1_3repE0EEENS1_30default_config_static_selectorELNS0_4arch9wavefront6targetE1EEEvSK_ ; -- Begin function _ZN7rocprim17ROCPRIM_400000_NS6detail17trampoline_kernelINS0_14default_configENS1_22reduce_config_selectorIyEEZNS1_11reduce_implILb1ES3_N6thrust23THRUST_200600_302600_NS6detail15normal_iteratorINS8_10device_ptrIyEEEEPffNS8_4plusIfEEEE10hipError_tPvRmT1_T2_T3_mT4_P12ihipStream_tbEUlT_E1_NS1_11comp_targetILNS1_3genE3ELNS1_11target_archE908ELNS1_3gpuE7ELNS1_3repE0EEENS1_30default_config_static_selectorELNS0_4arch9wavefront6targetE1EEEvSK_
	.globl	_ZN7rocprim17ROCPRIM_400000_NS6detail17trampoline_kernelINS0_14default_configENS1_22reduce_config_selectorIyEEZNS1_11reduce_implILb1ES3_N6thrust23THRUST_200600_302600_NS6detail15normal_iteratorINS8_10device_ptrIyEEEEPffNS8_4plusIfEEEE10hipError_tPvRmT1_T2_T3_mT4_P12ihipStream_tbEUlT_E1_NS1_11comp_targetILNS1_3genE3ELNS1_11target_archE908ELNS1_3gpuE7ELNS1_3repE0EEENS1_30default_config_static_selectorELNS0_4arch9wavefront6targetE1EEEvSK_
	.p2align	8
	.type	_ZN7rocprim17ROCPRIM_400000_NS6detail17trampoline_kernelINS0_14default_configENS1_22reduce_config_selectorIyEEZNS1_11reduce_implILb1ES3_N6thrust23THRUST_200600_302600_NS6detail15normal_iteratorINS8_10device_ptrIyEEEEPffNS8_4plusIfEEEE10hipError_tPvRmT1_T2_T3_mT4_P12ihipStream_tbEUlT_E1_NS1_11comp_targetILNS1_3genE3ELNS1_11target_archE908ELNS1_3gpuE7ELNS1_3repE0EEENS1_30default_config_static_selectorELNS0_4arch9wavefront6targetE1EEEvSK_,@function
_ZN7rocprim17ROCPRIM_400000_NS6detail17trampoline_kernelINS0_14default_configENS1_22reduce_config_selectorIyEEZNS1_11reduce_implILb1ES3_N6thrust23THRUST_200600_302600_NS6detail15normal_iteratorINS8_10device_ptrIyEEEEPffNS8_4plusIfEEEE10hipError_tPvRmT1_T2_T3_mT4_P12ihipStream_tbEUlT_E1_NS1_11comp_targetILNS1_3genE3ELNS1_11target_archE908ELNS1_3gpuE7ELNS1_3repE0EEENS1_30default_config_static_selectorELNS0_4arch9wavefront6targetE1EEEvSK_: ; @_ZN7rocprim17ROCPRIM_400000_NS6detail17trampoline_kernelINS0_14default_configENS1_22reduce_config_selectorIyEEZNS1_11reduce_implILb1ES3_N6thrust23THRUST_200600_302600_NS6detail15normal_iteratorINS8_10device_ptrIyEEEEPffNS8_4plusIfEEEE10hipError_tPvRmT1_T2_T3_mT4_P12ihipStream_tbEUlT_E1_NS1_11comp_targetILNS1_3genE3ELNS1_11target_archE908ELNS1_3gpuE7ELNS1_3repE0EEENS1_30default_config_static_selectorELNS0_4arch9wavefront6targetE1EEEvSK_
; %bb.0:
	.section	.rodata,"a",@progbits
	.p2align	6, 0x0
	.amdhsa_kernel _ZN7rocprim17ROCPRIM_400000_NS6detail17trampoline_kernelINS0_14default_configENS1_22reduce_config_selectorIyEEZNS1_11reduce_implILb1ES3_N6thrust23THRUST_200600_302600_NS6detail15normal_iteratorINS8_10device_ptrIyEEEEPffNS8_4plusIfEEEE10hipError_tPvRmT1_T2_T3_mT4_P12ihipStream_tbEUlT_E1_NS1_11comp_targetILNS1_3genE3ELNS1_11target_archE908ELNS1_3gpuE7ELNS1_3repE0EEENS1_30default_config_static_selectorELNS0_4arch9wavefront6targetE1EEEvSK_
		.amdhsa_group_segment_fixed_size 0
		.amdhsa_private_segment_fixed_size 0
		.amdhsa_kernarg_size 40
		.amdhsa_user_sgpr_count 2
		.amdhsa_user_sgpr_dispatch_ptr 0
		.amdhsa_user_sgpr_queue_ptr 0
		.amdhsa_user_sgpr_kernarg_segment_ptr 1
		.amdhsa_user_sgpr_dispatch_id 0
		.amdhsa_user_sgpr_kernarg_preload_length 0
		.amdhsa_user_sgpr_kernarg_preload_offset 0
		.amdhsa_user_sgpr_private_segment_size 0
		.amdhsa_uses_dynamic_stack 0
		.amdhsa_enable_private_segment 0
		.amdhsa_system_sgpr_workgroup_id_x 1
		.amdhsa_system_sgpr_workgroup_id_y 0
		.amdhsa_system_sgpr_workgroup_id_z 0
		.amdhsa_system_sgpr_workgroup_info 0
		.amdhsa_system_vgpr_workitem_id 0
		.amdhsa_next_free_vgpr 1
		.amdhsa_next_free_sgpr 0
		.amdhsa_accum_offset 4
		.amdhsa_reserve_vcc 0
		.amdhsa_float_round_mode_32 0
		.amdhsa_float_round_mode_16_64 0
		.amdhsa_float_denorm_mode_32 3
		.amdhsa_float_denorm_mode_16_64 3
		.amdhsa_dx10_clamp 1
		.amdhsa_ieee_mode 1
		.amdhsa_fp16_overflow 0
		.amdhsa_tg_split 0
		.amdhsa_exception_fp_ieee_invalid_op 0
		.amdhsa_exception_fp_denorm_src 0
		.amdhsa_exception_fp_ieee_div_zero 0
		.amdhsa_exception_fp_ieee_overflow 0
		.amdhsa_exception_fp_ieee_underflow 0
		.amdhsa_exception_fp_ieee_inexact 0
		.amdhsa_exception_int_div_zero 0
	.end_amdhsa_kernel
	.section	.text._ZN7rocprim17ROCPRIM_400000_NS6detail17trampoline_kernelINS0_14default_configENS1_22reduce_config_selectorIyEEZNS1_11reduce_implILb1ES3_N6thrust23THRUST_200600_302600_NS6detail15normal_iteratorINS8_10device_ptrIyEEEEPffNS8_4plusIfEEEE10hipError_tPvRmT1_T2_T3_mT4_P12ihipStream_tbEUlT_E1_NS1_11comp_targetILNS1_3genE3ELNS1_11target_archE908ELNS1_3gpuE7ELNS1_3repE0EEENS1_30default_config_static_selectorELNS0_4arch9wavefront6targetE1EEEvSK_,"axG",@progbits,_ZN7rocprim17ROCPRIM_400000_NS6detail17trampoline_kernelINS0_14default_configENS1_22reduce_config_selectorIyEEZNS1_11reduce_implILb1ES3_N6thrust23THRUST_200600_302600_NS6detail15normal_iteratorINS8_10device_ptrIyEEEEPffNS8_4plusIfEEEE10hipError_tPvRmT1_T2_T3_mT4_P12ihipStream_tbEUlT_E1_NS1_11comp_targetILNS1_3genE3ELNS1_11target_archE908ELNS1_3gpuE7ELNS1_3repE0EEENS1_30default_config_static_selectorELNS0_4arch9wavefront6targetE1EEEvSK_,comdat
.Lfunc_end381:
	.size	_ZN7rocprim17ROCPRIM_400000_NS6detail17trampoline_kernelINS0_14default_configENS1_22reduce_config_selectorIyEEZNS1_11reduce_implILb1ES3_N6thrust23THRUST_200600_302600_NS6detail15normal_iteratorINS8_10device_ptrIyEEEEPffNS8_4plusIfEEEE10hipError_tPvRmT1_T2_T3_mT4_P12ihipStream_tbEUlT_E1_NS1_11comp_targetILNS1_3genE3ELNS1_11target_archE908ELNS1_3gpuE7ELNS1_3repE0EEENS1_30default_config_static_selectorELNS0_4arch9wavefront6targetE1EEEvSK_, .Lfunc_end381-_ZN7rocprim17ROCPRIM_400000_NS6detail17trampoline_kernelINS0_14default_configENS1_22reduce_config_selectorIyEEZNS1_11reduce_implILb1ES3_N6thrust23THRUST_200600_302600_NS6detail15normal_iteratorINS8_10device_ptrIyEEEEPffNS8_4plusIfEEEE10hipError_tPvRmT1_T2_T3_mT4_P12ihipStream_tbEUlT_E1_NS1_11comp_targetILNS1_3genE3ELNS1_11target_archE908ELNS1_3gpuE7ELNS1_3repE0EEENS1_30default_config_static_selectorELNS0_4arch9wavefront6targetE1EEEvSK_
                                        ; -- End function
	.set _ZN7rocprim17ROCPRIM_400000_NS6detail17trampoline_kernelINS0_14default_configENS1_22reduce_config_selectorIyEEZNS1_11reduce_implILb1ES3_N6thrust23THRUST_200600_302600_NS6detail15normal_iteratorINS8_10device_ptrIyEEEEPffNS8_4plusIfEEEE10hipError_tPvRmT1_T2_T3_mT4_P12ihipStream_tbEUlT_E1_NS1_11comp_targetILNS1_3genE3ELNS1_11target_archE908ELNS1_3gpuE7ELNS1_3repE0EEENS1_30default_config_static_selectorELNS0_4arch9wavefront6targetE1EEEvSK_.num_vgpr, 0
	.set _ZN7rocprim17ROCPRIM_400000_NS6detail17trampoline_kernelINS0_14default_configENS1_22reduce_config_selectorIyEEZNS1_11reduce_implILb1ES3_N6thrust23THRUST_200600_302600_NS6detail15normal_iteratorINS8_10device_ptrIyEEEEPffNS8_4plusIfEEEE10hipError_tPvRmT1_T2_T3_mT4_P12ihipStream_tbEUlT_E1_NS1_11comp_targetILNS1_3genE3ELNS1_11target_archE908ELNS1_3gpuE7ELNS1_3repE0EEENS1_30default_config_static_selectorELNS0_4arch9wavefront6targetE1EEEvSK_.num_agpr, 0
	.set _ZN7rocprim17ROCPRIM_400000_NS6detail17trampoline_kernelINS0_14default_configENS1_22reduce_config_selectorIyEEZNS1_11reduce_implILb1ES3_N6thrust23THRUST_200600_302600_NS6detail15normal_iteratorINS8_10device_ptrIyEEEEPffNS8_4plusIfEEEE10hipError_tPvRmT1_T2_T3_mT4_P12ihipStream_tbEUlT_E1_NS1_11comp_targetILNS1_3genE3ELNS1_11target_archE908ELNS1_3gpuE7ELNS1_3repE0EEENS1_30default_config_static_selectorELNS0_4arch9wavefront6targetE1EEEvSK_.numbered_sgpr, 0
	.set _ZN7rocprim17ROCPRIM_400000_NS6detail17trampoline_kernelINS0_14default_configENS1_22reduce_config_selectorIyEEZNS1_11reduce_implILb1ES3_N6thrust23THRUST_200600_302600_NS6detail15normal_iteratorINS8_10device_ptrIyEEEEPffNS8_4plusIfEEEE10hipError_tPvRmT1_T2_T3_mT4_P12ihipStream_tbEUlT_E1_NS1_11comp_targetILNS1_3genE3ELNS1_11target_archE908ELNS1_3gpuE7ELNS1_3repE0EEENS1_30default_config_static_selectorELNS0_4arch9wavefront6targetE1EEEvSK_.num_named_barrier, 0
	.set _ZN7rocprim17ROCPRIM_400000_NS6detail17trampoline_kernelINS0_14default_configENS1_22reduce_config_selectorIyEEZNS1_11reduce_implILb1ES3_N6thrust23THRUST_200600_302600_NS6detail15normal_iteratorINS8_10device_ptrIyEEEEPffNS8_4plusIfEEEE10hipError_tPvRmT1_T2_T3_mT4_P12ihipStream_tbEUlT_E1_NS1_11comp_targetILNS1_3genE3ELNS1_11target_archE908ELNS1_3gpuE7ELNS1_3repE0EEENS1_30default_config_static_selectorELNS0_4arch9wavefront6targetE1EEEvSK_.private_seg_size, 0
	.set _ZN7rocprim17ROCPRIM_400000_NS6detail17trampoline_kernelINS0_14default_configENS1_22reduce_config_selectorIyEEZNS1_11reduce_implILb1ES3_N6thrust23THRUST_200600_302600_NS6detail15normal_iteratorINS8_10device_ptrIyEEEEPffNS8_4plusIfEEEE10hipError_tPvRmT1_T2_T3_mT4_P12ihipStream_tbEUlT_E1_NS1_11comp_targetILNS1_3genE3ELNS1_11target_archE908ELNS1_3gpuE7ELNS1_3repE0EEENS1_30default_config_static_selectorELNS0_4arch9wavefront6targetE1EEEvSK_.uses_vcc, 0
	.set _ZN7rocprim17ROCPRIM_400000_NS6detail17trampoline_kernelINS0_14default_configENS1_22reduce_config_selectorIyEEZNS1_11reduce_implILb1ES3_N6thrust23THRUST_200600_302600_NS6detail15normal_iteratorINS8_10device_ptrIyEEEEPffNS8_4plusIfEEEE10hipError_tPvRmT1_T2_T3_mT4_P12ihipStream_tbEUlT_E1_NS1_11comp_targetILNS1_3genE3ELNS1_11target_archE908ELNS1_3gpuE7ELNS1_3repE0EEENS1_30default_config_static_selectorELNS0_4arch9wavefront6targetE1EEEvSK_.uses_flat_scratch, 0
	.set _ZN7rocprim17ROCPRIM_400000_NS6detail17trampoline_kernelINS0_14default_configENS1_22reduce_config_selectorIyEEZNS1_11reduce_implILb1ES3_N6thrust23THRUST_200600_302600_NS6detail15normal_iteratorINS8_10device_ptrIyEEEEPffNS8_4plusIfEEEE10hipError_tPvRmT1_T2_T3_mT4_P12ihipStream_tbEUlT_E1_NS1_11comp_targetILNS1_3genE3ELNS1_11target_archE908ELNS1_3gpuE7ELNS1_3repE0EEENS1_30default_config_static_selectorELNS0_4arch9wavefront6targetE1EEEvSK_.has_dyn_sized_stack, 0
	.set _ZN7rocprim17ROCPRIM_400000_NS6detail17trampoline_kernelINS0_14default_configENS1_22reduce_config_selectorIyEEZNS1_11reduce_implILb1ES3_N6thrust23THRUST_200600_302600_NS6detail15normal_iteratorINS8_10device_ptrIyEEEEPffNS8_4plusIfEEEE10hipError_tPvRmT1_T2_T3_mT4_P12ihipStream_tbEUlT_E1_NS1_11comp_targetILNS1_3genE3ELNS1_11target_archE908ELNS1_3gpuE7ELNS1_3repE0EEENS1_30default_config_static_selectorELNS0_4arch9wavefront6targetE1EEEvSK_.has_recursion, 0
	.set _ZN7rocprim17ROCPRIM_400000_NS6detail17trampoline_kernelINS0_14default_configENS1_22reduce_config_selectorIyEEZNS1_11reduce_implILb1ES3_N6thrust23THRUST_200600_302600_NS6detail15normal_iteratorINS8_10device_ptrIyEEEEPffNS8_4plusIfEEEE10hipError_tPvRmT1_T2_T3_mT4_P12ihipStream_tbEUlT_E1_NS1_11comp_targetILNS1_3genE3ELNS1_11target_archE908ELNS1_3gpuE7ELNS1_3repE0EEENS1_30default_config_static_selectorELNS0_4arch9wavefront6targetE1EEEvSK_.has_indirect_call, 0
	.section	.AMDGPU.csdata,"",@progbits
; Kernel info:
; codeLenInByte = 0
; TotalNumSgprs: 6
; NumVgprs: 0
; NumAgprs: 0
; TotalNumVgprs: 0
; ScratchSize: 0
; MemoryBound: 0
; FloatMode: 240
; IeeeMode: 1
; LDSByteSize: 0 bytes/workgroup (compile time only)
; SGPRBlocks: 0
; VGPRBlocks: 0
; NumSGPRsForWavesPerEU: 6
; NumVGPRsForWavesPerEU: 1
; AccumOffset: 4
; Occupancy: 8
; WaveLimiterHint : 0
; COMPUTE_PGM_RSRC2:SCRATCH_EN: 0
; COMPUTE_PGM_RSRC2:USER_SGPR: 2
; COMPUTE_PGM_RSRC2:TRAP_HANDLER: 0
; COMPUTE_PGM_RSRC2:TGID_X_EN: 1
; COMPUTE_PGM_RSRC2:TGID_Y_EN: 0
; COMPUTE_PGM_RSRC2:TGID_Z_EN: 0
; COMPUTE_PGM_RSRC2:TIDIG_COMP_CNT: 0
; COMPUTE_PGM_RSRC3_GFX90A:ACCUM_OFFSET: 0
; COMPUTE_PGM_RSRC3_GFX90A:TG_SPLIT: 0
	.section	.text._ZN7rocprim17ROCPRIM_400000_NS6detail17trampoline_kernelINS0_14default_configENS1_22reduce_config_selectorIyEEZNS1_11reduce_implILb1ES3_N6thrust23THRUST_200600_302600_NS6detail15normal_iteratorINS8_10device_ptrIyEEEEPffNS8_4plusIfEEEE10hipError_tPvRmT1_T2_T3_mT4_P12ihipStream_tbEUlT_E1_NS1_11comp_targetILNS1_3genE2ELNS1_11target_archE906ELNS1_3gpuE6ELNS1_3repE0EEENS1_30default_config_static_selectorELNS0_4arch9wavefront6targetE1EEEvSK_,"axG",@progbits,_ZN7rocprim17ROCPRIM_400000_NS6detail17trampoline_kernelINS0_14default_configENS1_22reduce_config_selectorIyEEZNS1_11reduce_implILb1ES3_N6thrust23THRUST_200600_302600_NS6detail15normal_iteratorINS8_10device_ptrIyEEEEPffNS8_4plusIfEEEE10hipError_tPvRmT1_T2_T3_mT4_P12ihipStream_tbEUlT_E1_NS1_11comp_targetILNS1_3genE2ELNS1_11target_archE906ELNS1_3gpuE6ELNS1_3repE0EEENS1_30default_config_static_selectorELNS0_4arch9wavefront6targetE1EEEvSK_,comdat
	.protected	_ZN7rocprim17ROCPRIM_400000_NS6detail17trampoline_kernelINS0_14default_configENS1_22reduce_config_selectorIyEEZNS1_11reduce_implILb1ES3_N6thrust23THRUST_200600_302600_NS6detail15normal_iteratorINS8_10device_ptrIyEEEEPffNS8_4plusIfEEEE10hipError_tPvRmT1_T2_T3_mT4_P12ihipStream_tbEUlT_E1_NS1_11comp_targetILNS1_3genE2ELNS1_11target_archE906ELNS1_3gpuE6ELNS1_3repE0EEENS1_30default_config_static_selectorELNS0_4arch9wavefront6targetE1EEEvSK_ ; -- Begin function _ZN7rocprim17ROCPRIM_400000_NS6detail17trampoline_kernelINS0_14default_configENS1_22reduce_config_selectorIyEEZNS1_11reduce_implILb1ES3_N6thrust23THRUST_200600_302600_NS6detail15normal_iteratorINS8_10device_ptrIyEEEEPffNS8_4plusIfEEEE10hipError_tPvRmT1_T2_T3_mT4_P12ihipStream_tbEUlT_E1_NS1_11comp_targetILNS1_3genE2ELNS1_11target_archE906ELNS1_3gpuE6ELNS1_3repE0EEENS1_30default_config_static_selectorELNS0_4arch9wavefront6targetE1EEEvSK_
	.globl	_ZN7rocprim17ROCPRIM_400000_NS6detail17trampoline_kernelINS0_14default_configENS1_22reduce_config_selectorIyEEZNS1_11reduce_implILb1ES3_N6thrust23THRUST_200600_302600_NS6detail15normal_iteratorINS8_10device_ptrIyEEEEPffNS8_4plusIfEEEE10hipError_tPvRmT1_T2_T3_mT4_P12ihipStream_tbEUlT_E1_NS1_11comp_targetILNS1_3genE2ELNS1_11target_archE906ELNS1_3gpuE6ELNS1_3repE0EEENS1_30default_config_static_selectorELNS0_4arch9wavefront6targetE1EEEvSK_
	.p2align	8
	.type	_ZN7rocprim17ROCPRIM_400000_NS6detail17trampoline_kernelINS0_14default_configENS1_22reduce_config_selectorIyEEZNS1_11reduce_implILb1ES3_N6thrust23THRUST_200600_302600_NS6detail15normal_iteratorINS8_10device_ptrIyEEEEPffNS8_4plusIfEEEE10hipError_tPvRmT1_T2_T3_mT4_P12ihipStream_tbEUlT_E1_NS1_11comp_targetILNS1_3genE2ELNS1_11target_archE906ELNS1_3gpuE6ELNS1_3repE0EEENS1_30default_config_static_selectorELNS0_4arch9wavefront6targetE1EEEvSK_,@function
_ZN7rocprim17ROCPRIM_400000_NS6detail17trampoline_kernelINS0_14default_configENS1_22reduce_config_selectorIyEEZNS1_11reduce_implILb1ES3_N6thrust23THRUST_200600_302600_NS6detail15normal_iteratorINS8_10device_ptrIyEEEEPffNS8_4plusIfEEEE10hipError_tPvRmT1_T2_T3_mT4_P12ihipStream_tbEUlT_E1_NS1_11comp_targetILNS1_3genE2ELNS1_11target_archE906ELNS1_3gpuE6ELNS1_3repE0EEENS1_30default_config_static_selectorELNS0_4arch9wavefront6targetE1EEEvSK_: ; @_ZN7rocprim17ROCPRIM_400000_NS6detail17trampoline_kernelINS0_14default_configENS1_22reduce_config_selectorIyEEZNS1_11reduce_implILb1ES3_N6thrust23THRUST_200600_302600_NS6detail15normal_iteratorINS8_10device_ptrIyEEEEPffNS8_4plusIfEEEE10hipError_tPvRmT1_T2_T3_mT4_P12ihipStream_tbEUlT_E1_NS1_11comp_targetILNS1_3genE2ELNS1_11target_archE906ELNS1_3gpuE6ELNS1_3repE0EEENS1_30default_config_static_selectorELNS0_4arch9wavefront6targetE1EEEvSK_
; %bb.0:
	.section	.rodata,"a",@progbits
	.p2align	6, 0x0
	.amdhsa_kernel _ZN7rocprim17ROCPRIM_400000_NS6detail17trampoline_kernelINS0_14default_configENS1_22reduce_config_selectorIyEEZNS1_11reduce_implILb1ES3_N6thrust23THRUST_200600_302600_NS6detail15normal_iteratorINS8_10device_ptrIyEEEEPffNS8_4plusIfEEEE10hipError_tPvRmT1_T2_T3_mT4_P12ihipStream_tbEUlT_E1_NS1_11comp_targetILNS1_3genE2ELNS1_11target_archE906ELNS1_3gpuE6ELNS1_3repE0EEENS1_30default_config_static_selectorELNS0_4arch9wavefront6targetE1EEEvSK_
		.amdhsa_group_segment_fixed_size 0
		.amdhsa_private_segment_fixed_size 0
		.amdhsa_kernarg_size 40
		.amdhsa_user_sgpr_count 2
		.amdhsa_user_sgpr_dispatch_ptr 0
		.amdhsa_user_sgpr_queue_ptr 0
		.amdhsa_user_sgpr_kernarg_segment_ptr 1
		.amdhsa_user_sgpr_dispatch_id 0
		.amdhsa_user_sgpr_kernarg_preload_length 0
		.amdhsa_user_sgpr_kernarg_preload_offset 0
		.amdhsa_user_sgpr_private_segment_size 0
		.amdhsa_uses_dynamic_stack 0
		.amdhsa_enable_private_segment 0
		.amdhsa_system_sgpr_workgroup_id_x 1
		.amdhsa_system_sgpr_workgroup_id_y 0
		.amdhsa_system_sgpr_workgroup_id_z 0
		.amdhsa_system_sgpr_workgroup_info 0
		.amdhsa_system_vgpr_workitem_id 0
		.amdhsa_next_free_vgpr 1
		.amdhsa_next_free_sgpr 0
		.amdhsa_accum_offset 4
		.amdhsa_reserve_vcc 0
		.amdhsa_float_round_mode_32 0
		.amdhsa_float_round_mode_16_64 0
		.amdhsa_float_denorm_mode_32 3
		.amdhsa_float_denorm_mode_16_64 3
		.amdhsa_dx10_clamp 1
		.amdhsa_ieee_mode 1
		.amdhsa_fp16_overflow 0
		.amdhsa_tg_split 0
		.amdhsa_exception_fp_ieee_invalid_op 0
		.amdhsa_exception_fp_denorm_src 0
		.amdhsa_exception_fp_ieee_div_zero 0
		.amdhsa_exception_fp_ieee_overflow 0
		.amdhsa_exception_fp_ieee_underflow 0
		.amdhsa_exception_fp_ieee_inexact 0
		.amdhsa_exception_int_div_zero 0
	.end_amdhsa_kernel
	.section	.text._ZN7rocprim17ROCPRIM_400000_NS6detail17trampoline_kernelINS0_14default_configENS1_22reduce_config_selectorIyEEZNS1_11reduce_implILb1ES3_N6thrust23THRUST_200600_302600_NS6detail15normal_iteratorINS8_10device_ptrIyEEEEPffNS8_4plusIfEEEE10hipError_tPvRmT1_T2_T3_mT4_P12ihipStream_tbEUlT_E1_NS1_11comp_targetILNS1_3genE2ELNS1_11target_archE906ELNS1_3gpuE6ELNS1_3repE0EEENS1_30default_config_static_selectorELNS0_4arch9wavefront6targetE1EEEvSK_,"axG",@progbits,_ZN7rocprim17ROCPRIM_400000_NS6detail17trampoline_kernelINS0_14default_configENS1_22reduce_config_selectorIyEEZNS1_11reduce_implILb1ES3_N6thrust23THRUST_200600_302600_NS6detail15normal_iteratorINS8_10device_ptrIyEEEEPffNS8_4plusIfEEEE10hipError_tPvRmT1_T2_T3_mT4_P12ihipStream_tbEUlT_E1_NS1_11comp_targetILNS1_3genE2ELNS1_11target_archE906ELNS1_3gpuE6ELNS1_3repE0EEENS1_30default_config_static_selectorELNS0_4arch9wavefront6targetE1EEEvSK_,comdat
.Lfunc_end382:
	.size	_ZN7rocprim17ROCPRIM_400000_NS6detail17trampoline_kernelINS0_14default_configENS1_22reduce_config_selectorIyEEZNS1_11reduce_implILb1ES3_N6thrust23THRUST_200600_302600_NS6detail15normal_iteratorINS8_10device_ptrIyEEEEPffNS8_4plusIfEEEE10hipError_tPvRmT1_T2_T3_mT4_P12ihipStream_tbEUlT_E1_NS1_11comp_targetILNS1_3genE2ELNS1_11target_archE906ELNS1_3gpuE6ELNS1_3repE0EEENS1_30default_config_static_selectorELNS0_4arch9wavefront6targetE1EEEvSK_, .Lfunc_end382-_ZN7rocprim17ROCPRIM_400000_NS6detail17trampoline_kernelINS0_14default_configENS1_22reduce_config_selectorIyEEZNS1_11reduce_implILb1ES3_N6thrust23THRUST_200600_302600_NS6detail15normal_iteratorINS8_10device_ptrIyEEEEPffNS8_4plusIfEEEE10hipError_tPvRmT1_T2_T3_mT4_P12ihipStream_tbEUlT_E1_NS1_11comp_targetILNS1_3genE2ELNS1_11target_archE906ELNS1_3gpuE6ELNS1_3repE0EEENS1_30default_config_static_selectorELNS0_4arch9wavefront6targetE1EEEvSK_
                                        ; -- End function
	.set _ZN7rocprim17ROCPRIM_400000_NS6detail17trampoline_kernelINS0_14default_configENS1_22reduce_config_selectorIyEEZNS1_11reduce_implILb1ES3_N6thrust23THRUST_200600_302600_NS6detail15normal_iteratorINS8_10device_ptrIyEEEEPffNS8_4plusIfEEEE10hipError_tPvRmT1_T2_T3_mT4_P12ihipStream_tbEUlT_E1_NS1_11comp_targetILNS1_3genE2ELNS1_11target_archE906ELNS1_3gpuE6ELNS1_3repE0EEENS1_30default_config_static_selectorELNS0_4arch9wavefront6targetE1EEEvSK_.num_vgpr, 0
	.set _ZN7rocprim17ROCPRIM_400000_NS6detail17trampoline_kernelINS0_14default_configENS1_22reduce_config_selectorIyEEZNS1_11reduce_implILb1ES3_N6thrust23THRUST_200600_302600_NS6detail15normal_iteratorINS8_10device_ptrIyEEEEPffNS8_4plusIfEEEE10hipError_tPvRmT1_T2_T3_mT4_P12ihipStream_tbEUlT_E1_NS1_11comp_targetILNS1_3genE2ELNS1_11target_archE906ELNS1_3gpuE6ELNS1_3repE0EEENS1_30default_config_static_selectorELNS0_4arch9wavefront6targetE1EEEvSK_.num_agpr, 0
	.set _ZN7rocprim17ROCPRIM_400000_NS6detail17trampoline_kernelINS0_14default_configENS1_22reduce_config_selectorIyEEZNS1_11reduce_implILb1ES3_N6thrust23THRUST_200600_302600_NS6detail15normal_iteratorINS8_10device_ptrIyEEEEPffNS8_4plusIfEEEE10hipError_tPvRmT1_T2_T3_mT4_P12ihipStream_tbEUlT_E1_NS1_11comp_targetILNS1_3genE2ELNS1_11target_archE906ELNS1_3gpuE6ELNS1_3repE0EEENS1_30default_config_static_selectorELNS0_4arch9wavefront6targetE1EEEvSK_.numbered_sgpr, 0
	.set _ZN7rocprim17ROCPRIM_400000_NS6detail17trampoline_kernelINS0_14default_configENS1_22reduce_config_selectorIyEEZNS1_11reduce_implILb1ES3_N6thrust23THRUST_200600_302600_NS6detail15normal_iteratorINS8_10device_ptrIyEEEEPffNS8_4plusIfEEEE10hipError_tPvRmT1_T2_T3_mT4_P12ihipStream_tbEUlT_E1_NS1_11comp_targetILNS1_3genE2ELNS1_11target_archE906ELNS1_3gpuE6ELNS1_3repE0EEENS1_30default_config_static_selectorELNS0_4arch9wavefront6targetE1EEEvSK_.num_named_barrier, 0
	.set _ZN7rocprim17ROCPRIM_400000_NS6detail17trampoline_kernelINS0_14default_configENS1_22reduce_config_selectorIyEEZNS1_11reduce_implILb1ES3_N6thrust23THRUST_200600_302600_NS6detail15normal_iteratorINS8_10device_ptrIyEEEEPffNS8_4plusIfEEEE10hipError_tPvRmT1_T2_T3_mT4_P12ihipStream_tbEUlT_E1_NS1_11comp_targetILNS1_3genE2ELNS1_11target_archE906ELNS1_3gpuE6ELNS1_3repE0EEENS1_30default_config_static_selectorELNS0_4arch9wavefront6targetE1EEEvSK_.private_seg_size, 0
	.set _ZN7rocprim17ROCPRIM_400000_NS6detail17trampoline_kernelINS0_14default_configENS1_22reduce_config_selectorIyEEZNS1_11reduce_implILb1ES3_N6thrust23THRUST_200600_302600_NS6detail15normal_iteratorINS8_10device_ptrIyEEEEPffNS8_4plusIfEEEE10hipError_tPvRmT1_T2_T3_mT4_P12ihipStream_tbEUlT_E1_NS1_11comp_targetILNS1_3genE2ELNS1_11target_archE906ELNS1_3gpuE6ELNS1_3repE0EEENS1_30default_config_static_selectorELNS0_4arch9wavefront6targetE1EEEvSK_.uses_vcc, 0
	.set _ZN7rocprim17ROCPRIM_400000_NS6detail17trampoline_kernelINS0_14default_configENS1_22reduce_config_selectorIyEEZNS1_11reduce_implILb1ES3_N6thrust23THRUST_200600_302600_NS6detail15normal_iteratorINS8_10device_ptrIyEEEEPffNS8_4plusIfEEEE10hipError_tPvRmT1_T2_T3_mT4_P12ihipStream_tbEUlT_E1_NS1_11comp_targetILNS1_3genE2ELNS1_11target_archE906ELNS1_3gpuE6ELNS1_3repE0EEENS1_30default_config_static_selectorELNS0_4arch9wavefront6targetE1EEEvSK_.uses_flat_scratch, 0
	.set _ZN7rocprim17ROCPRIM_400000_NS6detail17trampoline_kernelINS0_14default_configENS1_22reduce_config_selectorIyEEZNS1_11reduce_implILb1ES3_N6thrust23THRUST_200600_302600_NS6detail15normal_iteratorINS8_10device_ptrIyEEEEPffNS8_4plusIfEEEE10hipError_tPvRmT1_T2_T3_mT4_P12ihipStream_tbEUlT_E1_NS1_11comp_targetILNS1_3genE2ELNS1_11target_archE906ELNS1_3gpuE6ELNS1_3repE0EEENS1_30default_config_static_selectorELNS0_4arch9wavefront6targetE1EEEvSK_.has_dyn_sized_stack, 0
	.set _ZN7rocprim17ROCPRIM_400000_NS6detail17trampoline_kernelINS0_14default_configENS1_22reduce_config_selectorIyEEZNS1_11reduce_implILb1ES3_N6thrust23THRUST_200600_302600_NS6detail15normal_iteratorINS8_10device_ptrIyEEEEPffNS8_4plusIfEEEE10hipError_tPvRmT1_T2_T3_mT4_P12ihipStream_tbEUlT_E1_NS1_11comp_targetILNS1_3genE2ELNS1_11target_archE906ELNS1_3gpuE6ELNS1_3repE0EEENS1_30default_config_static_selectorELNS0_4arch9wavefront6targetE1EEEvSK_.has_recursion, 0
	.set _ZN7rocprim17ROCPRIM_400000_NS6detail17trampoline_kernelINS0_14default_configENS1_22reduce_config_selectorIyEEZNS1_11reduce_implILb1ES3_N6thrust23THRUST_200600_302600_NS6detail15normal_iteratorINS8_10device_ptrIyEEEEPffNS8_4plusIfEEEE10hipError_tPvRmT1_T2_T3_mT4_P12ihipStream_tbEUlT_E1_NS1_11comp_targetILNS1_3genE2ELNS1_11target_archE906ELNS1_3gpuE6ELNS1_3repE0EEENS1_30default_config_static_selectorELNS0_4arch9wavefront6targetE1EEEvSK_.has_indirect_call, 0
	.section	.AMDGPU.csdata,"",@progbits
; Kernel info:
; codeLenInByte = 0
; TotalNumSgprs: 6
; NumVgprs: 0
; NumAgprs: 0
; TotalNumVgprs: 0
; ScratchSize: 0
; MemoryBound: 0
; FloatMode: 240
; IeeeMode: 1
; LDSByteSize: 0 bytes/workgroup (compile time only)
; SGPRBlocks: 0
; VGPRBlocks: 0
; NumSGPRsForWavesPerEU: 6
; NumVGPRsForWavesPerEU: 1
; AccumOffset: 4
; Occupancy: 8
; WaveLimiterHint : 0
; COMPUTE_PGM_RSRC2:SCRATCH_EN: 0
; COMPUTE_PGM_RSRC2:USER_SGPR: 2
; COMPUTE_PGM_RSRC2:TRAP_HANDLER: 0
; COMPUTE_PGM_RSRC2:TGID_X_EN: 1
; COMPUTE_PGM_RSRC2:TGID_Y_EN: 0
; COMPUTE_PGM_RSRC2:TGID_Z_EN: 0
; COMPUTE_PGM_RSRC2:TIDIG_COMP_CNT: 0
; COMPUTE_PGM_RSRC3_GFX90A:ACCUM_OFFSET: 0
; COMPUTE_PGM_RSRC3_GFX90A:TG_SPLIT: 0
	.section	.text._ZN7rocprim17ROCPRIM_400000_NS6detail17trampoline_kernelINS0_14default_configENS1_22reduce_config_selectorIyEEZNS1_11reduce_implILb1ES3_N6thrust23THRUST_200600_302600_NS6detail15normal_iteratorINS8_10device_ptrIyEEEEPffNS8_4plusIfEEEE10hipError_tPvRmT1_T2_T3_mT4_P12ihipStream_tbEUlT_E1_NS1_11comp_targetILNS1_3genE10ELNS1_11target_archE1201ELNS1_3gpuE5ELNS1_3repE0EEENS1_30default_config_static_selectorELNS0_4arch9wavefront6targetE1EEEvSK_,"axG",@progbits,_ZN7rocprim17ROCPRIM_400000_NS6detail17trampoline_kernelINS0_14default_configENS1_22reduce_config_selectorIyEEZNS1_11reduce_implILb1ES3_N6thrust23THRUST_200600_302600_NS6detail15normal_iteratorINS8_10device_ptrIyEEEEPffNS8_4plusIfEEEE10hipError_tPvRmT1_T2_T3_mT4_P12ihipStream_tbEUlT_E1_NS1_11comp_targetILNS1_3genE10ELNS1_11target_archE1201ELNS1_3gpuE5ELNS1_3repE0EEENS1_30default_config_static_selectorELNS0_4arch9wavefront6targetE1EEEvSK_,comdat
	.protected	_ZN7rocprim17ROCPRIM_400000_NS6detail17trampoline_kernelINS0_14default_configENS1_22reduce_config_selectorIyEEZNS1_11reduce_implILb1ES3_N6thrust23THRUST_200600_302600_NS6detail15normal_iteratorINS8_10device_ptrIyEEEEPffNS8_4plusIfEEEE10hipError_tPvRmT1_T2_T3_mT4_P12ihipStream_tbEUlT_E1_NS1_11comp_targetILNS1_3genE10ELNS1_11target_archE1201ELNS1_3gpuE5ELNS1_3repE0EEENS1_30default_config_static_selectorELNS0_4arch9wavefront6targetE1EEEvSK_ ; -- Begin function _ZN7rocprim17ROCPRIM_400000_NS6detail17trampoline_kernelINS0_14default_configENS1_22reduce_config_selectorIyEEZNS1_11reduce_implILb1ES3_N6thrust23THRUST_200600_302600_NS6detail15normal_iteratorINS8_10device_ptrIyEEEEPffNS8_4plusIfEEEE10hipError_tPvRmT1_T2_T3_mT4_P12ihipStream_tbEUlT_E1_NS1_11comp_targetILNS1_3genE10ELNS1_11target_archE1201ELNS1_3gpuE5ELNS1_3repE0EEENS1_30default_config_static_selectorELNS0_4arch9wavefront6targetE1EEEvSK_
	.globl	_ZN7rocprim17ROCPRIM_400000_NS6detail17trampoline_kernelINS0_14default_configENS1_22reduce_config_selectorIyEEZNS1_11reduce_implILb1ES3_N6thrust23THRUST_200600_302600_NS6detail15normal_iteratorINS8_10device_ptrIyEEEEPffNS8_4plusIfEEEE10hipError_tPvRmT1_T2_T3_mT4_P12ihipStream_tbEUlT_E1_NS1_11comp_targetILNS1_3genE10ELNS1_11target_archE1201ELNS1_3gpuE5ELNS1_3repE0EEENS1_30default_config_static_selectorELNS0_4arch9wavefront6targetE1EEEvSK_
	.p2align	8
	.type	_ZN7rocprim17ROCPRIM_400000_NS6detail17trampoline_kernelINS0_14default_configENS1_22reduce_config_selectorIyEEZNS1_11reduce_implILb1ES3_N6thrust23THRUST_200600_302600_NS6detail15normal_iteratorINS8_10device_ptrIyEEEEPffNS8_4plusIfEEEE10hipError_tPvRmT1_T2_T3_mT4_P12ihipStream_tbEUlT_E1_NS1_11comp_targetILNS1_3genE10ELNS1_11target_archE1201ELNS1_3gpuE5ELNS1_3repE0EEENS1_30default_config_static_selectorELNS0_4arch9wavefront6targetE1EEEvSK_,@function
_ZN7rocprim17ROCPRIM_400000_NS6detail17trampoline_kernelINS0_14default_configENS1_22reduce_config_selectorIyEEZNS1_11reduce_implILb1ES3_N6thrust23THRUST_200600_302600_NS6detail15normal_iteratorINS8_10device_ptrIyEEEEPffNS8_4plusIfEEEE10hipError_tPvRmT1_T2_T3_mT4_P12ihipStream_tbEUlT_E1_NS1_11comp_targetILNS1_3genE10ELNS1_11target_archE1201ELNS1_3gpuE5ELNS1_3repE0EEENS1_30default_config_static_selectorELNS0_4arch9wavefront6targetE1EEEvSK_: ; @_ZN7rocprim17ROCPRIM_400000_NS6detail17trampoline_kernelINS0_14default_configENS1_22reduce_config_selectorIyEEZNS1_11reduce_implILb1ES3_N6thrust23THRUST_200600_302600_NS6detail15normal_iteratorINS8_10device_ptrIyEEEEPffNS8_4plusIfEEEE10hipError_tPvRmT1_T2_T3_mT4_P12ihipStream_tbEUlT_E1_NS1_11comp_targetILNS1_3genE10ELNS1_11target_archE1201ELNS1_3gpuE5ELNS1_3repE0EEENS1_30default_config_static_selectorELNS0_4arch9wavefront6targetE1EEEvSK_
; %bb.0:
	.section	.rodata,"a",@progbits
	.p2align	6, 0x0
	.amdhsa_kernel _ZN7rocprim17ROCPRIM_400000_NS6detail17trampoline_kernelINS0_14default_configENS1_22reduce_config_selectorIyEEZNS1_11reduce_implILb1ES3_N6thrust23THRUST_200600_302600_NS6detail15normal_iteratorINS8_10device_ptrIyEEEEPffNS8_4plusIfEEEE10hipError_tPvRmT1_T2_T3_mT4_P12ihipStream_tbEUlT_E1_NS1_11comp_targetILNS1_3genE10ELNS1_11target_archE1201ELNS1_3gpuE5ELNS1_3repE0EEENS1_30default_config_static_selectorELNS0_4arch9wavefront6targetE1EEEvSK_
		.amdhsa_group_segment_fixed_size 0
		.amdhsa_private_segment_fixed_size 0
		.amdhsa_kernarg_size 40
		.amdhsa_user_sgpr_count 2
		.amdhsa_user_sgpr_dispatch_ptr 0
		.amdhsa_user_sgpr_queue_ptr 0
		.amdhsa_user_sgpr_kernarg_segment_ptr 1
		.amdhsa_user_sgpr_dispatch_id 0
		.amdhsa_user_sgpr_kernarg_preload_length 0
		.amdhsa_user_sgpr_kernarg_preload_offset 0
		.amdhsa_user_sgpr_private_segment_size 0
		.amdhsa_uses_dynamic_stack 0
		.amdhsa_enable_private_segment 0
		.amdhsa_system_sgpr_workgroup_id_x 1
		.amdhsa_system_sgpr_workgroup_id_y 0
		.amdhsa_system_sgpr_workgroup_id_z 0
		.amdhsa_system_sgpr_workgroup_info 0
		.amdhsa_system_vgpr_workitem_id 0
		.amdhsa_next_free_vgpr 1
		.amdhsa_next_free_sgpr 0
		.amdhsa_accum_offset 4
		.amdhsa_reserve_vcc 0
		.amdhsa_float_round_mode_32 0
		.amdhsa_float_round_mode_16_64 0
		.amdhsa_float_denorm_mode_32 3
		.amdhsa_float_denorm_mode_16_64 3
		.amdhsa_dx10_clamp 1
		.amdhsa_ieee_mode 1
		.amdhsa_fp16_overflow 0
		.amdhsa_tg_split 0
		.amdhsa_exception_fp_ieee_invalid_op 0
		.amdhsa_exception_fp_denorm_src 0
		.amdhsa_exception_fp_ieee_div_zero 0
		.amdhsa_exception_fp_ieee_overflow 0
		.amdhsa_exception_fp_ieee_underflow 0
		.amdhsa_exception_fp_ieee_inexact 0
		.amdhsa_exception_int_div_zero 0
	.end_amdhsa_kernel
	.section	.text._ZN7rocprim17ROCPRIM_400000_NS6detail17trampoline_kernelINS0_14default_configENS1_22reduce_config_selectorIyEEZNS1_11reduce_implILb1ES3_N6thrust23THRUST_200600_302600_NS6detail15normal_iteratorINS8_10device_ptrIyEEEEPffNS8_4plusIfEEEE10hipError_tPvRmT1_T2_T3_mT4_P12ihipStream_tbEUlT_E1_NS1_11comp_targetILNS1_3genE10ELNS1_11target_archE1201ELNS1_3gpuE5ELNS1_3repE0EEENS1_30default_config_static_selectorELNS0_4arch9wavefront6targetE1EEEvSK_,"axG",@progbits,_ZN7rocprim17ROCPRIM_400000_NS6detail17trampoline_kernelINS0_14default_configENS1_22reduce_config_selectorIyEEZNS1_11reduce_implILb1ES3_N6thrust23THRUST_200600_302600_NS6detail15normal_iteratorINS8_10device_ptrIyEEEEPffNS8_4plusIfEEEE10hipError_tPvRmT1_T2_T3_mT4_P12ihipStream_tbEUlT_E1_NS1_11comp_targetILNS1_3genE10ELNS1_11target_archE1201ELNS1_3gpuE5ELNS1_3repE0EEENS1_30default_config_static_selectorELNS0_4arch9wavefront6targetE1EEEvSK_,comdat
.Lfunc_end383:
	.size	_ZN7rocprim17ROCPRIM_400000_NS6detail17trampoline_kernelINS0_14default_configENS1_22reduce_config_selectorIyEEZNS1_11reduce_implILb1ES3_N6thrust23THRUST_200600_302600_NS6detail15normal_iteratorINS8_10device_ptrIyEEEEPffNS8_4plusIfEEEE10hipError_tPvRmT1_T2_T3_mT4_P12ihipStream_tbEUlT_E1_NS1_11comp_targetILNS1_3genE10ELNS1_11target_archE1201ELNS1_3gpuE5ELNS1_3repE0EEENS1_30default_config_static_selectorELNS0_4arch9wavefront6targetE1EEEvSK_, .Lfunc_end383-_ZN7rocprim17ROCPRIM_400000_NS6detail17trampoline_kernelINS0_14default_configENS1_22reduce_config_selectorIyEEZNS1_11reduce_implILb1ES3_N6thrust23THRUST_200600_302600_NS6detail15normal_iteratorINS8_10device_ptrIyEEEEPffNS8_4plusIfEEEE10hipError_tPvRmT1_T2_T3_mT4_P12ihipStream_tbEUlT_E1_NS1_11comp_targetILNS1_3genE10ELNS1_11target_archE1201ELNS1_3gpuE5ELNS1_3repE0EEENS1_30default_config_static_selectorELNS0_4arch9wavefront6targetE1EEEvSK_
                                        ; -- End function
	.set _ZN7rocprim17ROCPRIM_400000_NS6detail17trampoline_kernelINS0_14default_configENS1_22reduce_config_selectorIyEEZNS1_11reduce_implILb1ES3_N6thrust23THRUST_200600_302600_NS6detail15normal_iteratorINS8_10device_ptrIyEEEEPffNS8_4plusIfEEEE10hipError_tPvRmT1_T2_T3_mT4_P12ihipStream_tbEUlT_E1_NS1_11comp_targetILNS1_3genE10ELNS1_11target_archE1201ELNS1_3gpuE5ELNS1_3repE0EEENS1_30default_config_static_selectorELNS0_4arch9wavefront6targetE1EEEvSK_.num_vgpr, 0
	.set _ZN7rocprim17ROCPRIM_400000_NS6detail17trampoline_kernelINS0_14default_configENS1_22reduce_config_selectorIyEEZNS1_11reduce_implILb1ES3_N6thrust23THRUST_200600_302600_NS6detail15normal_iteratorINS8_10device_ptrIyEEEEPffNS8_4plusIfEEEE10hipError_tPvRmT1_T2_T3_mT4_P12ihipStream_tbEUlT_E1_NS1_11comp_targetILNS1_3genE10ELNS1_11target_archE1201ELNS1_3gpuE5ELNS1_3repE0EEENS1_30default_config_static_selectorELNS0_4arch9wavefront6targetE1EEEvSK_.num_agpr, 0
	.set _ZN7rocprim17ROCPRIM_400000_NS6detail17trampoline_kernelINS0_14default_configENS1_22reduce_config_selectorIyEEZNS1_11reduce_implILb1ES3_N6thrust23THRUST_200600_302600_NS6detail15normal_iteratorINS8_10device_ptrIyEEEEPffNS8_4plusIfEEEE10hipError_tPvRmT1_T2_T3_mT4_P12ihipStream_tbEUlT_E1_NS1_11comp_targetILNS1_3genE10ELNS1_11target_archE1201ELNS1_3gpuE5ELNS1_3repE0EEENS1_30default_config_static_selectorELNS0_4arch9wavefront6targetE1EEEvSK_.numbered_sgpr, 0
	.set _ZN7rocprim17ROCPRIM_400000_NS6detail17trampoline_kernelINS0_14default_configENS1_22reduce_config_selectorIyEEZNS1_11reduce_implILb1ES3_N6thrust23THRUST_200600_302600_NS6detail15normal_iteratorINS8_10device_ptrIyEEEEPffNS8_4plusIfEEEE10hipError_tPvRmT1_T2_T3_mT4_P12ihipStream_tbEUlT_E1_NS1_11comp_targetILNS1_3genE10ELNS1_11target_archE1201ELNS1_3gpuE5ELNS1_3repE0EEENS1_30default_config_static_selectorELNS0_4arch9wavefront6targetE1EEEvSK_.num_named_barrier, 0
	.set _ZN7rocprim17ROCPRIM_400000_NS6detail17trampoline_kernelINS0_14default_configENS1_22reduce_config_selectorIyEEZNS1_11reduce_implILb1ES3_N6thrust23THRUST_200600_302600_NS6detail15normal_iteratorINS8_10device_ptrIyEEEEPffNS8_4plusIfEEEE10hipError_tPvRmT1_T2_T3_mT4_P12ihipStream_tbEUlT_E1_NS1_11comp_targetILNS1_3genE10ELNS1_11target_archE1201ELNS1_3gpuE5ELNS1_3repE0EEENS1_30default_config_static_selectorELNS0_4arch9wavefront6targetE1EEEvSK_.private_seg_size, 0
	.set _ZN7rocprim17ROCPRIM_400000_NS6detail17trampoline_kernelINS0_14default_configENS1_22reduce_config_selectorIyEEZNS1_11reduce_implILb1ES3_N6thrust23THRUST_200600_302600_NS6detail15normal_iteratorINS8_10device_ptrIyEEEEPffNS8_4plusIfEEEE10hipError_tPvRmT1_T2_T3_mT4_P12ihipStream_tbEUlT_E1_NS1_11comp_targetILNS1_3genE10ELNS1_11target_archE1201ELNS1_3gpuE5ELNS1_3repE0EEENS1_30default_config_static_selectorELNS0_4arch9wavefront6targetE1EEEvSK_.uses_vcc, 0
	.set _ZN7rocprim17ROCPRIM_400000_NS6detail17trampoline_kernelINS0_14default_configENS1_22reduce_config_selectorIyEEZNS1_11reduce_implILb1ES3_N6thrust23THRUST_200600_302600_NS6detail15normal_iteratorINS8_10device_ptrIyEEEEPffNS8_4plusIfEEEE10hipError_tPvRmT1_T2_T3_mT4_P12ihipStream_tbEUlT_E1_NS1_11comp_targetILNS1_3genE10ELNS1_11target_archE1201ELNS1_3gpuE5ELNS1_3repE0EEENS1_30default_config_static_selectorELNS0_4arch9wavefront6targetE1EEEvSK_.uses_flat_scratch, 0
	.set _ZN7rocprim17ROCPRIM_400000_NS6detail17trampoline_kernelINS0_14default_configENS1_22reduce_config_selectorIyEEZNS1_11reduce_implILb1ES3_N6thrust23THRUST_200600_302600_NS6detail15normal_iteratorINS8_10device_ptrIyEEEEPffNS8_4plusIfEEEE10hipError_tPvRmT1_T2_T3_mT4_P12ihipStream_tbEUlT_E1_NS1_11comp_targetILNS1_3genE10ELNS1_11target_archE1201ELNS1_3gpuE5ELNS1_3repE0EEENS1_30default_config_static_selectorELNS0_4arch9wavefront6targetE1EEEvSK_.has_dyn_sized_stack, 0
	.set _ZN7rocprim17ROCPRIM_400000_NS6detail17trampoline_kernelINS0_14default_configENS1_22reduce_config_selectorIyEEZNS1_11reduce_implILb1ES3_N6thrust23THRUST_200600_302600_NS6detail15normal_iteratorINS8_10device_ptrIyEEEEPffNS8_4plusIfEEEE10hipError_tPvRmT1_T2_T3_mT4_P12ihipStream_tbEUlT_E1_NS1_11comp_targetILNS1_3genE10ELNS1_11target_archE1201ELNS1_3gpuE5ELNS1_3repE0EEENS1_30default_config_static_selectorELNS0_4arch9wavefront6targetE1EEEvSK_.has_recursion, 0
	.set _ZN7rocprim17ROCPRIM_400000_NS6detail17trampoline_kernelINS0_14default_configENS1_22reduce_config_selectorIyEEZNS1_11reduce_implILb1ES3_N6thrust23THRUST_200600_302600_NS6detail15normal_iteratorINS8_10device_ptrIyEEEEPffNS8_4plusIfEEEE10hipError_tPvRmT1_T2_T3_mT4_P12ihipStream_tbEUlT_E1_NS1_11comp_targetILNS1_3genE10ELNS1_11target_archE1201ELNS1_3gpuE5ELNS1_3repE0EEENS1_30default_config_static_selectorELNS0_4arch9wavefront6targetE1EEEvSK_.has_indirect_call, 0
	.section	.AMDGPU.csdata,"",@progbits
; Kernel info:
; codeLenInByte = 0
; TotalNumSgprs: 6
; NumVgprs: 0
; NumAgprs: 0
; TotalNumVgprs: 0
; ScratchSize: 0
; MemoryBound: 0
; FloatMode: 240
; IeeeMode: 1
; LDSByteSize: 0 bytes/workgroup (compile time only)
; SGPRBlocks: 0
; VGPRBlocks: 0
; NumSGPRsForWavesPerEU: 6
; NumVGPRsForWavesPerEU: 1
; AccumOffset: 4
; Occupancy: 8
; WaveLimiterHint : 0
; COMPUTE_PGM_RSRC2:SCRATCH_EN: 0
; COMPUTE_PGM_RSRC2:USER_SGPR: 2
; COMPUTE_PGM_RSRC2:TRAP_HANDLER: 0
; COMPUTE_PGM_RSRC2:TGID_X_EN: 1
; COMPUTE_PGM_RSRC2:TGID_Y_EN: 0
; COMPUTE_PGM_RSRC2:TGID_Z_EN: 0
; COMPUTE_PGM_RSRC2:TIDIG_COMP_CNT: 0
; COMPUTE_PGM_RSRC3_GFX90A:ACCUM_OFFSET: 0
; COMPUTE_PGM_RSRC3_GFX90A:TG_SPLIT: 0
	.section	.text._ZN7rocprim17ROCPRIM_400000_NS6detail17trampoline_kernelINS0_14default_configENS1_22reduce_config_selectorIyEEZNS1_11reduce_implILb1ES3_N6thrust23THRUST_200600_302600_NS6detail15normal_iteratorINS8_10device_ptrIyEEEEPffNS8_4plusIfEEEE10hipError_tPvRmT1_T2_T3_mT4_P12ihipStream_tbEUlT_E1_NS1_11comp_targetILNS1_3genE10ELNS1_11target_archE1200ELNS1_3gpuE4ELNS1_3repE0EEENS1_30default_config_static_selectorELNS0_4arch9wavefront6targetE1EEEvSK_,"axG",@progbits,_ZN7rocprim17ROCPRIM_400000_NS6detail17trampoline_kernelINS0_14default_configENS1_22reduce_config_selectorIyEEZNS1_11reduce_implILb1ES3_N6thrust23THRUST_200600_302600_NS6detail15normal_iteratorINS8_10device_ptrIyEEEEPffNS8_4plusIfEEEE10hipError_tPvRmT1_T2_T3_mT4_P12ihipStream_tbEUlT_E1_NS1_11comp_targetILNS1_3genE10ELNS1_11target_archE1200ELNS1_3gpuE4ELNS1_3repE0EEENS1_30default_config_static_selectorELNS0_4arch9wavefront6targetE1EEEvSK_,comdat
	.protected	_ZN7rocprim17ROCPRIM_400000_NS6detail17trampoline_kernelINS0_14default_configENS1_22reduce_config_selectorIyEEZNS1_11reduce_implILb1ES3_N6thrust23THRUST_200600_302600_NS6detail15normal_iteratorINS8_10device_ptrIyEEEEPffNS8_4plusIfEEEE10hipError_tPvRmT1_T2_T3_mT4_P12ihipStream_tbEUlT_E1_NS1_11comp_targetILNS1_3genE10ELNS1_11target_archE1200ELNS1_3gpuE4ELNS1_3repE0EEENS1_30default_config_static_selectorELNS0_4arch9wavefront6targetE1EEEvSK_ ; -- Begin function _ZN7rocprim17ROCPRIM_400000_NS6detail17trampoline_kernelINS0_14default_configENS1_22reduce_config_selectorIyEEZNS1_11reduce_implILb1ES3_N6thrust23THRUST_200600_302600_NS6detail15normal_iteratorINS8_10device_ptrIyEEEEPffNS8_4plusIfEEEE10hipError_tPvRmT1_T2_T3_mT4_P12ihipStream_tbEUlT_E1_NS1_11comp_targetILNS1_3genE10ELNS1_11target_archE1200ELNS1_3gpuE4ELNS1_3repE0EEENS1_30default_config_static_selectorELNS0_4arch9wavefront6targetE1EEEvSK_
	.globl	_ZN7rocprim17ROCPRIM_400000_NS6detail17trampoline_kernelINS0_14default_configENS1_22reduce_config_selectorIyEEZNS1_11reduce_implILb1ES3_N6thrust23THRUST_200600_302600_NS6detail15normal_iteratorINS8_10device_ptrIyEEEEPffNS8_4plusIfEEEE10hipError_tPvRmT1_T2_T3_mT4_P12ihipStream_tbEUlT_E1_NS1_11comp_targetILNS1_3genE10ELNS1_11target_archE1200ELNS1_3gpuE4ELNS1_3repE0EEENS1_30default_config_static_selectorELNS0_4arch9wavefront6targetE1EEEvSK_
	.p2align	8
	.type	_ZN7rocprim17ROCPRIM_400000_NS6detail17trampoline_kernelINS0_14default_configENS1_22reduce_config_selectorIyEEZNS1_11reduce_implILb1ES3_N6thrust23THRUST_200600_302600_NS6detail15normal_iteratorINS8_10device_ptrIyEEEEPffNS8_4plusIfEEEE10hipError_tPvRmT1_T2_T3_mT4_P12ihipStream_tbEUlT_E1_NS1_11comp_targetILNS1_3genE10ELNS1_11target_archE1200ELNS1_3gpuE4ELNS1_3repE0EEENS1_30default_config_static_selectorELNS0_4arch9wavefront6targetE1EEEvSK_,@function
_ZN7rocprim17ROCPRIM_400000_NS6detail17trampoline_kernelINS0_14default_configENS1_22reduce_config_selectorIyEEZNS1_11reduce_implILb1ES3_N6thrust23THRUST_200600_302600_NS6detail15normal_iteratorINS8_10device_ptrIyEEEEPffNS8_4plusIfEEEE10hipError_tPvRmT1_T2_T3_mT4_P12ihipStream_tbEUlT_E1_NS1_11comp_targetILNS1_3genE10ELNS1_11target_archE1200ELNS1_3gpuE4ELNS1_3repE0EEENS1_30default_config_static_selectorELNS0_4arch9wavefront6targetE1EEEvSK_: ; @_ZN7rocprim17ROCPRIM_400000_NS6detail17trampoline_kernelINS0_14default_configENS1_22reduce_config_selectorIyEEZNS1_11reduce_implILb1ES3_N6thrust23THRUST_200600_302600_NS6detail15normal_iteratorINS8_10device_ptrIyEEEEPffNS8_4plusIfEEEE10hipError_tPvRmT1_T2_T3_mT4_P12ihipStream_tbEUlT_E1_NS1_11comp_targetILNS1_3genE10ELNS1_11target_archE1200ELNS1_3gpuE4ELNS1_3repE0EEENS1_30default_config_static_selectorELNS0_4arch9wavefront6targetE1EEEvSK_
; %bb.0:
	.section	.rodata,"a",@progbits
	.p2align	6, 0x0
	.amdhsa_kernel _ZN7rocprim17ROCPRIM_400000_NS6detail17trampoline_kernelINS0_14default_configENS1_22reduce_config_selectorIyEEZNS1_11reduce_implILb1ES3_N6thrust23THRUST_200600_302600_NS6detail15normal_iteratorINS8_10device_ptrIyEEEEPffNS8_4plusIfEEEE10hipError_tPvRmT1_T2_T3_mT4_P12ihipStream_tbEUlT_E1_NS1_11comp_targetILNS1_3genE10ELNS1_11target_archE1200ELNS1_3gpuE4ELNS1_3repE0EEENS1_30default_config_static_selectorELNS0_4arch9wavefront6targetE1EEEvSK_
		.amdhsa_group_segment_fixed_size 0
		.amdhsa_private_segment_fixed_size 0
		.amdhsa_kernarg_size 40
		.amdhsa_user_sgpr_count 2
		.amdhsa_user_sgpr_dispatch_ptr 0
		.amdhsa_user_sgpr_queue_ptr 0
		.amdhsa_user_sgpr_kernarg_segment_ptr 1
		.amdhsa_user_sgpr_dispatch_id 0
		.amdhsa_user_sgpr_kernarg_preload_length 0
		.amdhsa_user_sgpr_kernarg_preload_offset 0
		.amdhsa_user_sgpr_private_segment_size 0
		.amdhsa_uses_dynamic_stack 0
		.amdhsa_enable_private_segment 0
		.amdhsa_system_sgpr_workgroup_id_x 1
		.amdhsa_system_sgpr_workgroup_id_y 0
		.amdhsa_system_sgpr_workgroup_id_z 0
		.amdhsa_system_sgpr_workgroup_info 0
		.amdhsa_system_vgpr_workitem_id 0
		.amdhsa_next_free_vgpr 1
		.amdhsa_next_free_sgpr 0
		.amdhsa_accum_offset 4
		.amdhsa_reserve_vcc 0
		.amdhsa_float_round_mode_32 0
		.amdhsa_float_round_mode_16_64 0
		.amdhsa_float_denorm_mode_32 3
		.amdhsa_float_denorm_mode_16_64 3
		.amdhsa_dx10_clamp 1
		.amdhsa_ieee_mode 1
		.amdhsa_fp16_overflow 0
		.amdhsa_tg_split 0
		.amdhsa_exception_fp_ieee_invalid_op 0
		.amdhsa_exception_fp_denorm_src 0
		.amdhsa_exception_fp_ieee_div_zero 0
		.amdhsa_exception_fp_ieee_overflow 0
		.amdhsa_exception_fp_ieee_underflow 0
		.amdhsa_exception_fp_ieee_inexact 0
		.amdhsa_exception_int_div_zero 0
	.end_amdhsa_kernel
	.section	.text._ZN7rocprim17ROCPRIM_400000_NS6detail17trampoline_kernelINS0_14default_configENS1_22reduce_config_selectorIyEEZNS1_11reduce_implILb1ES3_N6thrust23THRUST_200600_302600_NS6detail15normal_iteratorINS8_10device_ptrIyEEEEPffNS8_4plusIfEEEE10hipError_tPvRmT1_T2_T3_mT4_P12ihipStream_tbEUlT_E1_NS1_11comp_targetILNS1_3genE10ELNS1_11target_archE1200ELNS1_3gpuE4ELNS1_3repE0EEENS1_30default_config_static_selectorELNS0_4arch9wavefront6targetE1EEEvSK_,"axG",@progbits,_ZN7rocprim17ROCPRIM_400000_NS6detail17trampoline_kernelINS0_14default_configENS1_22reduce_config_selectorIyEEZNS1_11reduce_implILb1ES3_N6thrust23THRUST_200600_302600_NS6detail15normal_iteratorINS8_10device_ptrIyEEEEPffNS8_4plusIfEEEE10hipError_tPvRmT1_T2_T3_mT4_P12ihipStream_tbEUlT_E1_NS1_11comp_targetILNS1_3genE10ELNS1_11target_archE1200ELNS1_3gpuE4ELNS1_3repE0EEENS1_30default_config_static_selectorELNS0_4arch9wavefront6targetE1EEEvSK_,comdat
.Lfunc_end384:
	.size	_ZN7rocprim17ROCPRIM_400000_NS6detail17trampoline_kernelINS0_14default_configENS1_22reduce_config_selectorIyEEZNS1_11reduce_implILb1ES3_N6thrust23THRUST_200600_302600_NS6detail15normal_iteratorINS8_10device_ptrIyEEEEPffNS8_4plusIfEEEE10hipError_tPvRmT1_T2_T3_mT4_P12ihipStream_tbEUlT_E1_NS1_11comp_targetILNS1_3genE10ELNS1_11target_archE1200ELNS1_3gpuE4ELNS1_3repE0EEENS1_30default_config_static_selectorELNS0_4arch9wavefront6targetE1EEEvSK_, .Lfunc_end384-_ZN7rocprim17ROCPRIM_400000_NS6detail17trampoline_kernelINS0_14default_configENS1_22reduce_config_selectorIyEEZNS1_11reduce_implILb1ES3_N6thrust23THRUST_200600_302600_NS6detail15normal_iteratorINS8_10device_ptrIyEEEEPffNS8_4plusIfEEEE10hipError_tPvRmT1_T2_T3_mT4_P12ihipStream_tbEUlT_E1_NS1_11comp_targetILNS1_3genE10ELNS1_11target_archE1200ELNS1_3gpuE4ELNS1_3repE0EEENS1_30default_config_static_selectorELNS0_4arch9wavefront6targetE1EEEvSK_
                                        ; -- End function
	.set _ZN7rocprim17ROCPRIM_400000_NS6detail17trampoline_kernelINS0_14default_configENS1_22reduce_config_selectorIyEEZNS1_11reduce_implILb1ES3_N6thrust23THRUST_200600_302600_NS6detail15normal_iteratorINS8_10device_ptrIyEEEEPffNS8_4plusIfEEEE10hipError_tPvRmT1_T2_T3_mT4_P12ihipStream_tbEUlT_E1_NS1_11comp_targetILNS1_3genE10ELNS1_11target_archE1200ELNS1_3gpuE4ELNS1_3repE0EEENS1_30default_config_static_selectorELNS0_4arch9wavefront6targetE1EEEvSK_.num_vgpr, 0
	.set _ZN7rocprim17ROCPRIM_400000_NS6detail17trampoline_kernelINS0_14default_configENS1_22reduce_config_selectorIyEEZNS1_11reduce_implILb1ES3_N6thrust23THRUST_200600_302600_NS6detail15normal_iteratorINS8_10device_ptrIyEEEEPffNS8_4plusIfEEEE10hipError_tPvRmT1_T2_T3_mT4_P12ihipStream_tbEUlT_E1_NS1_11comp_targetILNS1_3genE10ELNS1_11target_archE1200ELNS1_3gpuE4ELNS1_3repE0EEENS1_30default_config_static_selectorELNS0_4arch9wavefront6targetE1EEEvSK_.num_agpr, 0
	.set _ZN7rocprim17ROCPRIM_400000_NS6detail17trampoline_kernelINS0_14default_configENS1_22reduce_config_selectorIyEEZNS1_11reduce_implILb1ES3_N6thrust23THRUST_200600_302600_NS6detail15normal_iteratorINS8_10device_ptrIyEEEEPffNS8_4plusIfEEEE10hipError_tPvRmT1_T2_T3_mT4_P12ihipStream_tbEUlT_E1_NS1_11comp_targetILNS1_3genE10ELNS1_11target_archE1200ELNS1_3gpuE4ELNS1_3repE0EEENS1_30default_config_static_selectorELNS0_4arch9wavefront6targetE1EEEvSK_.numbered_sgpr, 0
	.set _ZN7rocprim17ROCPRIM_400000_NS6detail17trampoline_kernelINS0_14default_configENS1_22reduce_config_selectorIyEEZNS1_11reduce_implILb1ES3_N6thrust23THRUST_200600_302600_NS6detail15normal_iteratorINS8_10device_ptrIyEEEEPffNS8_4plusIfEEEE10hipError_tPvRmT1_T2_T3_mT4_P12ihipStream_tbEUlT_E1_NS1_11comp_targetILNS1_3genE10ELNS1_11target_archE1200ELNS1_3gpuE4ELNS1_3repE0EEENS1_30default_config_static_selectorELNS0_4arch9wavefront6targetE1EEEvSK_.num_named_barrier, 0
	.set _ZN7rocprim17ROCPRIM_400000_NS6detail17trampoline_kernelINS0_14default_configENS1_22reduce_config_selectorIyEEZNS1_11reduce_implILb1ES3_N6thrust23THRUST_200600_302600_NS6detail15normal_iteratorINS8_10device_ptrIyEEEEPffNS8_4plusIfEEEE10hipError_tPvRmT1_T2_T3_mT4_P12ihipStream_tbEUlT_E1_NS1_11comp_targetILNS1_3genE10ELNS1_11target_archE1200ELNS1_3gpuE4ELNS1_3repE0EEENS1_30default_config_static_selectorELNS0_4arch9wavefront6targetE1EEEvSK_.private_seg_size, 0
	.set _ZN7rocprim17ROCPRIM_400000_NS6detail17trampoline_kernelINS0_14default_configENS1_22reduce_config_selectorIyEEZNS1_11reduce_implILb1ES3_N6thrust23THRUST_200600_302600_NS6detail15normal_iteratorINS8_10device_ptrIyEEEEPffNS8_4plusIfEEEE10hipError_tPvRmT1_T2_T3_mT4_P12ihipStream_tbEUlT_E1_NS1_11comp_targetILNS1_3genE10ELNS1_11target_archE1200ELNS1_3gpuE4ELNS1_3repE0EEENS1_30default_config_static_selectorELNS0_4arch9wavefront6targetE1EEEvSK_.uses_vcc, 0
	.set _ZN7rocprim17ROCPRIM_400000_NS6detail17trampoline_kernelINS0_14default_configENS1_22reduce_config_selectorIyEEZNS1_11reduce_implILb1ES3_N6thrust23THRUST_200600_302600_NS6detail15normal_iteratorINS8_10device_ptrIyEEEEPffNS8_4plusIfEEEE10hipError_tPvRmT1_T2_T3_mT4_P12ihipStream_tbEUlT_E1_NS1_11comp_targetILNS1_3genE10ELNS1_11target_archE1200ELNS1_3gpuE4ELNS1_3repE0EEENS1_30default_config_static_selectorELNS0_4arch9wavefront6targetE1EEEvSK_.uses_flat_scratch, 0
	.set _ZN7rocprim17ROCPRIM_400000_NS6detail17trampoline_kernelINS0_14default_configENS1_22reduce_config_selectorIyEEZNS1_11reduce_implILb1ES3_N6thrust23THRUST_200600_302600_NS6detail15normal_iteratorINS8_10device_ptrIyEEEEPffNS8_4plusIfEEEE10hipError_tPvRmT1_T2_T3_mT4_P12ihipStream_tbEUlT_E1_NS1_11comp_targetILNS1_3genE10ELNS1_11target_archE1200ELNS1_3gpuE4ELNS1_3repE0EEENS1_30default_config_static_selectorELNS0_4arch9wavefront6targetE1EEEvSK_.has_dyn_sized_stack, 0
	.set _ZN7rocprim17ROCPRIM_400000_NS6detail17trampoline_kernelINS0_14default_configENS1_22reduce_config_selectorIyEEZNS1_11reduce_implILb1ES3_N6thrust23THRUST_200600_302600_NS6detail15normal_iteratorINS8_10device_ptrIyEEEEPffNS8_4plusIfEEEE10hipError_tPvRmT1_T2_T3_mT4_P12ihipStream_tbEUlT_E1_NS1_11comp_targetILNS1_3genE10ELNS1_11target_archE1200ELNS1_3gpuE4ELNS1_3repE0EEENS1_30default_config_static_selectorELNS0_4arch9wavefront6targetE1EEEvSK_.has_recursion, 0
	.set _ZN7rocprim17ROCPRIM_400000_NS6detail17trampoline_kernelINS0_14default_configENS1_22reduce_config_selectorIyEEZNS1_11reduce_implILb1ES3_N6thrust23THRUST_200600_302600_NS6detail15normal_iteratorINS8_10device_ptrIyEEEEPffNS8_4plusIfEEEE10hipError_tPvRmT1_T2_T3_mT4_P12ihipStream_tbEUlT_E1_NS1_11comp_targetILNS1_3genE10ELNS1_11target_archE1200ELNS1_3gpuE4ELNS1_3repE0EEENS1_30default_config_static_selectorELNS0_4arch9wavefront6targetE1EEEvSK_.has_indirect_call, 0
	.section	.AMDGPU.csdata,"",@progbits
; Kernel info:
; codeLenInByte = 0
; TotalNumSgprs: 6
; NumVgprs: 0
; NumAgprs: 0
; TotalNumVgprs: 0
; ScratchSize: 0
; MemoryBound: 0
; FloatMode: 240
; IeeeMode: 1
; LDSByteSize: 0 bytes/workgroup (compile time only)
; SGPRBlocks: 0
; VGPRBlocks: 0
; NumSGPRsForWavesPerEU: 6
; NumVGPRsForWavesPerEU: 1
; AccumOffset: 4
; Occupancy: 8
; WaveLimiterHint : 0
; COMPUTE_PGM_RSRC2:SCRATCH_EN: 0
; COMPUTE_PGM_RSRC2:USER_SGPR: 2
; COMPUTE_PGM_RSRC2:TRAP_HANDLER: 0
; COMPUTE_PGM_RSRC2:TGID_X_EN: 1
; COMPUTE_PGM_RSRC2:TGID_Y_EN: 0
; COMPUTE_PGM_RSRC2:TGID_Z_EN: 0
; COMPUTE_PGM_RSRC2:TIDIG_COMP_CNT: 0
; COMPUTE_PGM_RSRC3_GFX90A:ACCUM_OFFSET: 0
; COMPUTE_PGM_RSRC3_GFX90A:TG_SPLIT: 0
	.section	.text._ZN7rocprim17ROCPRIM_400000_NS6detail17trampoline_kernelINS0_14default_configENS1_22reduce_config_selectorIyEEZNS1_11reduce_implILb1ES3_N6thrust23THRUST_200600_302600_NS6detail15normal_iteratorINS8_10device_ptrIyEEEEPffNS8_4plusIfEEEE10hipError_tPvRmT1_T2_T3_mT4_P12ihipStream_tbEUlT_E1_NS1_11comp_targetILNS1_3genE9ELNS1_11target_archE1100ELNS1_3gpuE3ELNS1_3repE0EEENS1_30default_config_static_selectorELNS0_4arch9wavefront6targetE1EEEvSK_,"axG",@progbits,_ZN7rocprim17ROCPRIM_400000_NS6detail17trampoline_kernelINS0_14default_configENS1_22reduce_config_selectorIyEEZNS1_11reduce_implILb1ES3_N6thrust23THRUST_200600_302600_NS6detail15normal_iteratorINS8_10device_ptrIyEEEEPffNS8_4plusIfEEEE10hipError_tPvRmT1_T2_T3_mT4_P12ihipStream_tbEUlT_E1_NS1_11comp_targetILNS1_3genE9ELNS1_11target_archE1100ELNS1_3gpuE3ELNS1_3repE0EEENS1_30default_config_static_selectorELNS0_4arch9wavefront6targetE1EEEvSK_,comdat
	.protected	_ZN7rocprim17ROCPRIM_400000_NS6detail17trampoline_kernelINS0_14default_configENS1_22reduce_config_selectorIyEEZNS1_11reduce_implILb1ES3_N6thrust23THRUST_200600_302600_NS6detail15normal_iteratorINS8_10device_ptrIyEEEEPffNS8_4plusIfEEEE10hipError_tPvRmT1_T2_T3_mT4_P12ihipStream_tbEUlT_E1_NS1_11comp_targetILNS1_3genE9ELNS1_11target_archE1100ELNS1_3gpuE3ELNS1_3repE0EEENS1_30default_config_static_selectorELNS0_4arch9wavefront6targetE1EEEvSK_ ; -- Begin function _ZN7rocprim17ROCPRIM_400000_NS6detail17trampoline_kernelINS0_14default_configENS1_22reduce_config_selectorIyEEZNS1_11reduce_implILb1ES3_N6thrust23THRUST_200600_302600_NS6detail15normal_iteratorINS8_10device_ptrIyEEEEPffNS8_4plusIfEEEE10hipError_tPvRmT1_T2_T3_mT4_P12ihipStream_tbEUlT_E1_NS1_11comp_targetILNS1_3genE9ELNS1_11target_archE1100ELNS1_3gpuE3ELNS1_3repE0EEENS1_30default_config_static_selectorELNS0_4arch9wavefront6targetE1EEEvSK_
	.globl	_ZN7rocprim17ROCPRIM_400000_NS6detail17trampoline_kernelINS0_14default_configENS1_22reduce_config_selectorIyEEZNS1_11reduce_implILb1ES3_N6thrust23THRUST_200600_302600_NS6detail15normal_iteratorINS8_10device_ptrIyEEEEPffNS8_4plusIfEEEE10hipError_tPvRmT1_T2_T3_mT4_P12ihipStream_tbEUlT_E1_NS1_11comp_targetILNS1_3genE9ELNS1_11target_archE1100ELNS1_3gpuE3ELNS1_3repE0EEENS1_30default_config_static_selectorELNS0_4arch9wavefront6targetE1EEEvSK_
	.p2align	8
	.type	_ZN7rocprim17ROCPRIM_400000_NS6detail17trampoline_kernelINS0_14default_configENS1_22reduce_config_selectorIyEEZNS1_11reduce_implILb1ES3_N6thrust23THRUST_200600_302600_NS6detail15normal_iteratorINS8_10device_ptrIyEEEEPffNS8_4plusIfEEEE10hipError_tPvRmT1_T2_T3_mT4_P12ihipStream_tbEUlT_E1_NS1_11comp_targetILNS1_3genE9ELNS1_11target_archE1100ELNS1_3gpuE3ELNS1_3repE0EEENS1_30default_config_static_selectorELNS0_4arch9wavefront6targetE1EEEvSK_,@function
_ZN7rocprim17ROCPRIM_400000_NS6detail17trampoline_kernelINS0_14default_configENS1_22reduce_config_selectorIyEEZNS1_11reduce_implILb1ES3_N6thrust23THRUST_200600_302600_NS6detail15normal_iteratorINS8_10device_ptrIyEEEEPffNS8_4plusIfEEEE10hipError_tPvRmT1_T2_T3_mT4_P12ihipStream_tbEUlT_E1_NS1_11comp_targetILNS1_3genE9ELNS1_11target_archE1100ELNS1_3gpuE3ELNS1_3repE0EEENS1_30default_config_static_selectorELNS0_4arch9wavefront6targetE1EEEvSK_: ; @_ZN7rocprim17ROCPRIM_400000_NS6detail17trampoline_kernelINS0_14default_configENS1_22reduce_config_selectorIyEEZNS1_11reduce_implILb1ES3_N6thrust23THRUST_200600_302600_NS6detail15normal_iteratorINS8_10device_ptrIyEEEEPffNS8_4plusIfEEEE10hipError_tPvRmT1_T2_T3_mT4_P12ihipStream_tbEUlT_E1_NS1_11comp_targetILNS1_3genE9ELNS1_11target_archE1100ELNS1_3gpuE3ELNS1_3repE0EEENS1_30default_config_static_selectorELNS0_4arch9wavefront6targetE1EEEvSK_
; %bb.0:
	.section	.rodata,"a",@progbits
	.p2align	6, 0x0
	.amdhsa_kernel _ZN7rocprim17ROCPRIM_400000_NS6detail17trampoline_kernelINS0_14default_configENS1_22reduce_config_selectorIyEEZNS1_11reduce_implILb1ES3_N6thrust23THRUST_200600_302600_NS6detail15normal_iteratorINS8_10device_ptrIyEEEEPffNS8_4plusIfEEEE10hipError_tPvRmT1_T2_T3_mT4_P12ihipStream_tbEUlT_E1_NS1_11comp_targetILNS1_3genE9ELNS1_11target_archE1100ELNS1_3gpuE3ELNS1_3repE0EEENS1_30default_config_static_selectorELNS0_4arch9wavefront6targetE1EEEvSK_
		.amdhsa_group_segment_fixed_size 0
		.amdhsa_private_segment_fixed_size 0
		.amdhsa_kernarg_size 40
		.amdhsa_user_sgpr_count 2
		.amdhsa_user_sgpr_dispatch_ptr 0
		.amdhsa_user_sgpr_queue_ptr 0
		.amdhsa_user_sgpr_kernarg_segment_ptr 1
		.amdhsa_user_sgpr_dispatch_id 0
		.amdhsa_user_sgpr_kernarg_preload_length 0
		.amdhsa_user_sgpr_kernarg_preload_offset 0
		.amdhsa_user_sgpr_private_segment_size 0
		.amdhsa_uses_dynamic_stack 0
		.amdhsa_enable_private_segment 0
		.amdhsa_system_sgpr_workgroup_id_x 1
		.amdhsa_system_sgpr_workgroup_id_y 0
		.amdhsa_system_sgpr_workgroup_id_z 0
		.amdhsa_system_sgpr_workgroup_info 0
		.amdhsa_system_vgpr_workitem_id 0
		.amdhsa_next_free_vgpr 1
		.amdhsa_next_free_sgpr 0
		.amdhsa_accum_offset 4
		.amdhsa_reserve_vcc 0
		.amdhsa_float_round_mode_32 0
		.amdhsa_float_round_mode_16_64 0
		.amdhsa_float_denorm_mode_32 3
		.amdhsa_float_denorm_mode_16_64 3
		.amdhsa_dx10_clamp 1
		.amdhsa_ieee_mode 1
		.amdhsa_fp16_overflow 0
		.amdhsa_tg_split 0
		.amdhsa_exception_fp_ieee_invalid_op 0
		.amdhsa_exception_fp_denorm_src 0
		.amdhsa_exception_fp_ieee_div_zero 0
		.amdhsa_exception_fp_ieee_overflow 0
		.amdhsa_exception_fp_ieee_underflow 0
		.amdhsa_exception_fp_ieee_inexact 0
		.amdhsa_exception_int_div_zero 0
	.end_amdhsa_kernel
	.section	.text._ZN7rocprim17ROCPRIM_400000_NS6detail17trampoline_kernelINS0_14default_configENS1_22reduce_config_selectorIyEEZNS1_11reduce_implILb1ES3_N6thrust23THRUST_200600_302600_NS6detail15normal_iteratorINS8_10device_ptrIyEEEEPffNS8_4plusIfEEEE10hipError_tPvRmT1_T2_T3_mT4_P12ihipStream_tbEUlT_E1_NS1_11comp_targetILNS1_3genE9ELNS1_11target_archE1100ELNS1_3gpuE3ELNS1_3repE0EEENS1_30default_config_static_selectorELNS0_4arch9wavefront6targetE1EEEvSK_,"axG",@progbits,_ZN7rocprim17ROCPRIM_400000_NS6detail17trampoline_kernelINS0_14default_configENS1_22reduce_config_selectorIyEEZNS1_11reduce_implILb1ES3_N6thrust23THRUST_200600_302600_NS6detail15normal_iteratorINS8_10device_ptrIyEEEEPffNS8_4plusIfEEEE10hipError_tPvRmT1_T2_T3_mT4_P12ihipStream_tbEUlT_E1_NS1_11comp_targetILNS1_3genE9ELNS1_11target_archE1100ELNS1_3gpuE3ELNS1_3repE0EEENS1_30default_config_static_selectorELNS0_4arch9wavefront6targetE1EEEvSK_,comdat
.Lfunc_end385:
	.size	_ZN7rocprim17ROCPRIM_400000_NS6detail17trampoline_kernelINS0_14default_configENS1_22reduce_config_selectorIyEEZNS1_11reduce_implILb1ES3_N6thrust23THRUST_200600_302600_NS6detail15normal_iteratorINS8_10device_ptrIyEEEEPffNS8_4plusIfEEEE10hipError_tPvRmT1_T2_T3_mT4_P12ihipStream_tbEUlT_E1_NS1_11comp_targetILNS1_3genE9ELNS1_11target_archE1100ELNS1_3gpuE3ELNS1_3repE0EEENS1_30default_config_static_selectorELNS0_4arch9wavefront6targetE1EEEvSK_, .Lfunc_end385-_ZN7rocprim17ROCPRIM_400000_NS6detail17trampoline_kernelINS0_14default_configENS1_22reduce_config_selectorIyEEZNS1_11reduce_implILb1ES3_N6thrust23THRUST_200600_302600_NS6detail15normal_iteratorINS8_10device_ptrIyEEEEPffNS8_4plusIfEEEE10hipError_tPvRmT1_T2_T3_mT4_P12ihipStream_tbEUlT_E1_NS1_11comp_targetILNS1_3genE9ELNS1_11target_archE1100ELNS1_3gpuE3ELNS1_3repE0EEENS1_30default_config_static_selectorELNS0_4arch9wavefront6targetE1EEEvSK_
                                        ; -- End function
	.set _ZN7rocprim17ROCPRIM_400000_NS6detail17trampoline_kernelINS0_14default_configENS1_22reduce_config_selectorIyEEZNS1_11reduce_implILb1ES3_N6thrust23THRUST_200600_302600_NS6detail15normal_iteratorINS8_10device_ptrIyEEEEPffNS8_4plusIfEEEE10hipError_tPvRmT1_T2_T3_mT4_P12ihipStream_tbEUlT_E1_NS1_11comp_targetILNS1_3genE9ELNS1_11target_archE1100ELNS1_3gpuE3ELNS1_3repE0EEENS1_30default_config_static_selectorELNS0_4arch9wavefront6targetE1EEEvSK_.num_vgpr, 0
	.set _ZN7rocprim17ROCPRIM_400000_NS6detail17trampoline_kernelINS0_14default_configENS1_22reduce_config_selectorIyEEZNS1_11reduce_implILb1ES3_N6thrust23THRUST_200600_302600_NS6detail15normal_iteratorINS8_10device_ptrIyEEEEPffNS8_4plusIfEEEE10hipError_tPvRmT1_T2_T3_mT4_P12ihipStream_tbEUlT_E1_NS1_11comp_targetILNS1_3genE9ELNS1_11target_archE1100ELNS1_3gpuE3ELNS1_3repE0EEENS1_30default_config_static_selectorELNS0_4arch9wavefront6targetE1EEEvSK_.num_agpr, 0
	.set _ZN7rocprim17ROCPRIM_400000_NS6detail17trampoline_kernelINS0_14default_configENS1_22reduce_config_selectorIyEEZNS1_11reduce_implILb1ES3_N6thrust23THRUST_200600_302600_NS6detail15normal_iteratorINS8_10device_ptrIyEEEEPffNS8_4plusIfEEEE10hipError_tPvRmT1_T2_T3_mT4_P12ihipStream_tbEUlT_E1_NS1_11comp_targetILNS1_3genE9ELNS1_11target_archE1100ELNS1_3gpuE3ELNS1_3repE0EEENS1_30default_config_static_selectorELNS0_4arch9wavefront6targetE1EEEvSK_.numbered_sgpr, 0
	.set _ZN7rocprim17ROCPRIM_400000_NS6detail17trampoline_kernelINS0_14default_configENS1_22reduce_config_selectorIyEEZNS1_11reduce_implILb1ES3_N6thrust23THRUST_200600_302600_NS6detail15normal_iteratorINS8_10device_ptrIyEEEEPffNS8_4plusIfEEEE10hipError_tPvRmT1_T2_T3_mT4_P12ihipStream_tbEUlT_E1_NS1_11comp_targetILNS1_3genE9ELNS1_11target_archE1100ELNS1_3gpuE3ELNS1_3repE0EEENS1_30default_config_static_selectorELNS0_4arch9wavefront6targetE1EEEvSK_.num_named_barrier, 0
	.set _ZN7rocprim17ROCPRIM_400000_NS6detail17trampoline_kernelINS0_14default_configENS1_22reduce_config_selectorIyEEZNS1_11reduce_implILb1ES3_N6thrust23THRUST_200600_302600_NS6detail15normal_iteratorINS8_10device_ptrIyEEEEPffNS8_4plusIfEEEE10hipError_tPvRmT1_T2_T3_mT4_P12ihipStream_tbEUlT_E1_NS1_11comp_targetILNS1_3genE9ELNS1_11target_archE1100ELNS1_3gpuE3ELNS1_3repE0EEENS1_30default_config_static_selectorELNS0_4arch9wavefront6targetE1EEEvSK_.private_seg_size, 0
	.set _ZN7rocprim17ROCPRIM_400000_NS6detail17trampoline_kernelINS0_14default_configENS1_22reduce_config_selectorIyEEZNS1_11reduce_implILb1ES3_N6thrust23THRUST_200600_302600_NS6detail15normal_iteratorINS8_10device_ptrIyEEEEPffNS8_4plusIfEEEE10hipError_tPvRmT1_T2_T3_mT4_P12ihipStream_tbEUlT_E1_NS1_11comp_targetILNS1_3genE9ELNS1_11target_archE1100ELNS1_3gpuE3ELNS1_3repE0EEENS1_30default_config_static_selectorELNS0_4arch9wavefront6targetE1EEEvSK_.uses_vcc, 0
	.set _ZN7rocprim17ROCPRIM_400000_NS6detail17trampoline_kernelINS0_14default_configENS1_22reduce_config_selectorIyEEZNS1_11reduce_implILb1ES3_N6thrust23THRUST_200600_302600_NS6detail15normal_iteratorINS8_10device_ptrIyEEEEPffNS8_4plusIfEEEE10hipError_tPvRmT1_T2_T3_mT4_P12ihipStream_tbEUlT_E1_NS1_11comp_targetILNS1_3genE9ELNS1_11target_archE1100ELNS1_3gpuE3ELNS1_3repE0EEENS1_30default_config_static_selectorELNS0_4arch9wavefront6targetE1EEEvSK_.uses_flat_scratch, 0
	.set _ZN7rocprim17ROCPRIM_400000_NS6detail17trampoline_kernelINS0_14default_configENS1_22reduce_config_selectorIyEEZNS1_11reduce_implILb1ES3_N6thrust23THRUST_200600_302600_NS6detail15normal_iteratorINS8_10device_ptrIyEEEEPffNS8_4plusIfEEEE10hipError_tPvRmT1_T2_T3_mT4_P12ihipStream_tbEUlT_E1_NS1_11comp_targetILNS1_3genE9ELNS1_11target_archE1100ELNS1_3gpuE3ELNS1_3repE0EEENS1_30default_config_static_selectorELNS0_4arch9wavefront6targetE1EEEvSK_.has_dyn_sized_stack, 0
	.set _ZN7rocprim17ROCPRIM_400000_NS6detail17trampoline_kernelINS0_14default_configENS1_22reduce_config_selectorIyEEZNS1_11reduce_implILb1ES3_N6thrust23THRUST_200600_302600_NS6detail15normal_iteratorINS8_10device_ptrIyEEEEPffNS8_4plusIfEEEE10hipError_tPvRmT1_T2_T3_mT4_P12ihipStream_tbEUlT_E1_NS1_11comp_targetILNS1_3genE9ELNS1_11target_archE1100ELNS1_3gpuE3ELNS1_3repE0EEENS1_30default_config_static_selectorELNS0_4arch9wavefront6targetE1EEEvSK_.has_recursion, 0
	.set _ZN7rocprim17ROCPRIM_400000_NS6detail17trampoline_kernelINS0_14default_configENS1_22reduce_config_selectorIyEEZNS1_11reduce_implILb1ES3_N6thrust23THRUST_200600_302600_NS6detail15normal_iteratorINS8_10device_ptrIyEEEEPffNS8_4plusIfEEEE10hipError_tPvRmT1_T2_T3_mT4_P12ihipStream_tbEUlT_E1_NS1_11comp_targetILNS1_3genE9ELNS1_11target_archE1100ELNS1_3gpuE3ELNS1_3repE0EEENS1_30default_config_static_selectorELNS0_4arch9wavefront6targetE1EEEvSK_.has_indirect_call, 0
	.section	.AMDGPU.csdata,"",@progbits
; Kernel info:
; codeLenInByte = 0
; TotalNumSgprs: 6
; NumVgprs: 0
; NumAgprs: 0
; TotalNumVgprs: 0
; ScratchSize: 0
; MemoryBound: 0
; FloatMode: 240
; IeeeMode: 1
; LDSByteSize: 0 bytes/workgroup (compile time only)
; SGPRBlocks: 0
; VGPRBlocks: 0
; NumSGPRsForWavesPerEU: 6
; NumVGPRsForWavesPerEU: 1
; AccumOffset: 4
; Occupancy: 8
; WaveLimiterHint : 0
; COMPUTE_PGM_RSRC2:SCRATCH_EN: 0
; COMPUTE_PGM_RSRC2:USER_SGPR: 2
; COMPUTE_PGM_RSRC2:TRAP_HANDLER: 0
; COMPUTE_PGM_RSRC2:TGID_X_EN: 1
; COMPUTE_PGM_RSRC2:TGID_Y_EN: 0
; COMPUTE_PGM_RSRC2:TGID_Z_EN: 0
; COMPUTE_PGM_RSRC2:TIDIG_COMP_CNT: 0
; COMPUTE_PGM_RSRC3_GFX90A:ACCUM_OFFSET: 0
; COMPUTE_PGM_RSRC3_GFX90A:TG_SPLIT: 0
	.section	.text._ZN7rocprim17ROCPRIM_400000_NS6detail17trampoline_kernelINS0_14default_configENS1_22reduce_config_selectorIyEEZNS1_11reduce_implILb1ES3_N6thrust23THRUST_200600_302600_NS6detail15normal_iteratorINS8_10device_ptrIyEEEEPffNS8_4plusIfEEEE10hipError_tPvRmT1_T2_T3_mT4_P12ihipStream_tbEUlT_E1_NS1_11comp_targetILNS1_3genE8ELNS1_11target_archE1030ELNS1_3gpuE2ELNS1_3repE0EEENS1_30default_config_static_selectorELNS0_4arch9wavefront6targetE1EEEvSK_,"axG",@progbits,_ZN7rocprim17ROCPRIM_400000_NS6detail17trampoline_kernelINS0_14default_configENS1_22reduce_config_selectorIyEEZNS1_11reduce_implILb1ES3_N6thrust23THRUST_200600_302600_NS6detail15normal_iteratorINS8_10device_ptrIyEEEEPffNS8_4plusIfEEEE10hipError_tPvRmT1_T2_T3_mT4_P12ihipStream_tbEUlT_E1_NS1_11comp_targetILNS1_3genE8ELNS1_11target_archE1030ELNS1_3gpuE2ELNS1_3repE0EEENS1_30default_config_static_selectorELNS0_4arch9wavefront6targetE1EEEvSK_,comdat
	.protected	_ZN7rocprim17ROCPRIM_400000_NS6detail17trampoline_kernelINS0_14default_configENS1_22reduce_config_selectorIyEEZNS1_11reduce_implILb1ES3_N6thrust23THRUST_200600_302600_NS6detail15normal_iteratorINS8_10device_ptrIyEEEEPffNS8_4plusIfEEEE10hipError_tPvRmT1_T2_T3_mT4_P12ihipStream_tbEUlT_E1_NS1_11comp_targetILNS1_3genE8ELNS1_11target_archE1030ELNS1_3gpuE2ELNS1_3repE0EEENS1_30default_config_static_selectorELNS0_4arch9wavefront6targetE1EEEvSK_ ; -- Begin function _ZN7rocprim17ROCPRIM_400000_NS6detail17trampoline_kernelINS0_14default_configENS1_22reduce_config_selectorIyEEZNS1_11reduce_implILb1ES3_N6thrust23THRUST_200600_302600_NS6detail15normal_iteratorINS8_10device_ptrIyEEEEPffNS8_4plusIfEEEE10hipError_tPvRmT1_T2_T3_mT4_P12ihipStream_tbEUlT_E1_NS1_11comp_targetILNS1_3genE8ELNS1_11target_archE1030ELNS1_3gpuE2ELNS1_3repE0EEENS1_30default_config_static_selectorELNS0_4arch9wavefront6targetE1EEEvSK_
	.globl	_ZN7rocprim17ROCPRIM_400000_NS6detail17trampoline_kernelINS0_14default_configENS1_22reduce_config_selectorIyEEZNS1_11reduce_implILb1ES3_N6thrust23THRUST_200600_302600_NS6detail15normal_iteratorINS8_10device_ptrIyEEEEPffNS8_4plusIfEEEE10hipError_tPvRmT1_T2_T3_mT4_P12ihipStream_tbEUlT_E1_NS1_11comp_targetILNS1_3genE8ELNS1_11target_archE1030ELNS1_3gpuE2ELNS1_3repE0EEENS1_30default_config_static_selectorELNS0_4arch9wavefront6targetE1EEEvSK_
	.p2align	8
	.type	_ZN7rocprim17ROCPRIM_400000_NS6detail17trampoline_kernelINS0_14default_configENS1_22reduce_config_selectorIyEEZNS1_11reduce_implILb1ES3_N6thrust23THRUST_200600_302600_NS6detail15normal_iteratorINS8_10device_ptrIyEEEEPffNS8_4plusIfEEEE10hipError_tPvRmT1_T2_T3_mT4_P12ihipStream_tbEUlT_E1_NS1_11comp_targetILNS1_3genE8ELNS1_11target_archE1030ELNS1_3gpuE2ELNS1_3repE0EEENS1_30default_config_static_selectorELNS0_4arch9wavefront6targetE1EEEvSK_,@function
_ZN7rocprim17ROCPRIM_400000_NS6detail17trampoline_kernelINS0_14default_configENS1_22reduce_config_selectorIyEEZNS1_11reduce_implILb1ES3_N6thrust23THRUST_200600_302600_NS6detail15normal_iteratorINS8_10device_ptrIyEEEEPffNS8_4plusIfEEEE10hipError_tPvRmT1_T2_T3_mT4_P12ihipStream_tbEUlT_E1_NS1_11comp_targetILNS1_3genE8ELNS1_11target_archE1030ELNS1_3gpuE2ELNS1_3repE0EEENS1_30default_config_static_selectorELNS0_4arch9wavefront6targetE1EEEvSK_: ; @_ZN7rocprim17ROCPRIM_400000_NS6detail17trampoline_kernelINS0_14default_configENS1_22reduce_config_selectorIyEEZNS1_11reduce_implILb1ES3_N6thrust23THRUST_200600_302600_NS6detail15normal_iteratorINS8_10device_ptrIyEEEEPffNS8_4plusIfEEEE10hipError_tPvRmT1_T2_T3_mT4_P12ihipStream_tbEUlT_E1_NS1_11comp_targetILNS1_3genE8ELNS1_11target_archE1030ELNS1_3gpuE2ELNS1_3repE0EEENS1_30default_config_static_selectorELNS0_4arch9wavefront6targetE1EEEvSK_
; %bb.0:
	.section	.rodata,"a",@progbits
	.p2align	6, 0x0
	.amdhsa_kernel _ZN7rocprim17ROCPRIM_400000_NS6detail17trampoline_kernelINS0_14default_configENS1_22reduce_config_selectorIyEEZNS1_11reduce_implILb1ES3_N6thrust23THRUST_200600_302600_NS6detail15normal_iteratorINS8_10device_ptrIyEEEEPffNS8_4plusIfEEEE10hipError_tPvRmT1_T2_T3_mT4_P12ihipStream_tbEUlT_E1_NS1_11comp_targetILNS1_3genE8ELNS1_11target_archE1030ELNS1_3gpuE2ELNS1_3repE0EEENS1_30default_config_static_selectorELNS0_4arch9wavefront6targetE1EEEvSK_
		.amdhsa_group_segment_fixed_size 0
		.amdhsa_private_segment_fixed_size 0
		.amdhsa_kernarg_size 40
		.amdhsa_user_sgpr_count 2
		.amdhsa_user_sgpr_dispatch_ptr 0
		.amdhsa_user_sgpr_queue_ptr 0
		.amdhsa_user_sgpr_kernarg_segment_ptr 1
		.amdhsa_user_sgpr_dispatch_id 0
		.amdhsa_user_sgpr_kernarg_preload_length 0
		.amdhsa_user_sgpr_kernarg_preload_offset 0
		.amdhsa_user_sgpr_private_segment_size 0
		.amdhsa_uses_dynamic_stack 0
		.amdhsa_enable_private_segment 0
		.amdhsa_system_sgpr_workgroup_id_x 1
		.amdhsa_system_sgpr_workgroup_id_y 0
		.amdhsa_system_sgpr_workgroup_id_z 0
		.amdhsa_system_sgpr_workgroup_info 0
		.amdhsa_system_vgpr_workitem_id 0
		.amdhsa_next_free_vgpr 1
		.amdhsa_next_free_sgpr 0
		.amdhsa_accum_offset 4
		.amdhsa_reserve_vcc 0
		.amdhsa_float_round_mode_32 0
		.amdhsa_float_round_mode_16_64 0
		.amdhsa_float_denorm_mode_32 3
		.amdhsa_float_denorm_mode_16_64 3
		.amdhsa_dx10_clamp 1
		.amdhsa_ieee_mode 1
		.amdhsa_fp16_overflow 0
		.amdhsa_tg_split 0
		.amdhsa_exception_fp_ieee_invalid_op 0
		.amdhsa_exception_fp_denorm_src 0
		.amdhsa_exception_fp_ieee_div_zero 0
		.amdhsa_exception_fp_ieee_overflow 0
		.amdhsa_exception_fp_ieee_underflow 0
		.amdhsa_exception_fp_ieee_inexact 0
		.amdhsa_exception_int_div_zero 0
	.end_amdhsa_kernel
	.section	.text._ZN7rocprim17ROCPRIM_400000_NS6detail17trampoline_kernelINS0_14default_configENS1_22reduce_config_selectorIyEEZNS1_11reduce_implILb1ES3_N6thrust23THRUST_200600_302600_NS6detail15normal_iteratorINS8_10device_ptrIyEEEEPffNS8_4plusIfEEEE10hipError_tPvRmT1_T2_T3_mT4_P12ihipStream_tbEUlT_E1_NS1_11comp_targetILNS1_3genE8ELNS1_11target_archE1030ELNS1_3gpuE2ELNS1_3repE0EEENS1_30default_config_static_selectorELNS0_4arch9wavefront6targetE1EEEvSK_,"axG",@progbits,_ZN7rocprim17ROCPRIM_400000_NS6detail17trampoline_kernelINS0_14default_configENS1_22reduce_config_selectorIyEEZNS1_11reduce_implILb1ES3_N6thrust23THRUST_200600_302600_NS6detail15normal_iteratorINS8_10device_ptrIyEEEEPffNS8_4plusIfEEEE10hipError_tPvRmT1_T2_T3_mT4_P12ihipStream_tbEUlT_E1_NS1_11comp_targetILNS1_3genE8ELNS1_11target_archE1030ELNS1_3gpuE2ELNS1_3repE0EEENS1_30default_config_static_selectorELNS0_4arch9wavefront6targetE1EEEvSK_,comdat
.Lfunc_end386:
	.size	_ZN7rocprim17ROCPRIM_400000_NS6detail17trampoline_kernelINS0_14default_configENS1_22reduce_config_selectorIyEEZNS1_11reduce_implILb1ES3_N6thrust23THRUST_200600_302600_NS6detail15normal_iteratorINS8_10device_ptrIyEEEEPffNS8_4plusIfEEEE10hipError_tPvRmT1_T2_T3_mT4_P12ihipStream_tbEUlT_E1_NS1_11comp_targetILNS1_3genE8ELNS1_11target_archE1030ELNS1_3gpuE2ELNS1_3repE0EEENS1_30default_config_static_selectorELNS0_4arch9wavefront6targetE1EEEvSK_, .Lfunc_end386-_ZN7rocprim17ROCPRIM_400000_NS6detail17trampoline_kernelINS0_14default_configENS1_22reduce_config_selectorIyEEZNS1_11reduce_implILb1ES3_N6thrust23THRUST_200600_302600_NS6detail15normal_iteratorINS8_10device_ptrIyEEEEPffNS8_4plusIfEEEE10hipError_tPvRmT1_T2_T3_mT4_P12ihipStream_tbEUlT_E1_NS1_11comp_targetILNS1_3genE8ELNS1_11target_archE1030ELNS1_3gpuE2ELNS1_3repE0EEENS1_30default_config_static_selectorELNS0_4arch9wavefront6targetE1EEEvSK_
                                        ; -- End function
	.set _ZN7rocprim17ROCPRIM_400000_NS6detail17trampoline_kernelINS0_14default_configENS1_22reduce_config_selectorIyEEZNS1_11reduce_implILb1ES3_N6thrust23THRUST_200600_302600_NS6detail15normal_iteratorINS8_10device_ptrIyEEEEPffNS8_4plusIfEEEE10hipError_tPvRmT1_T2_T3_mT4_P12ihipStream_tbEUlT_E1_NS1_11comp_targetILNS1_3genE8ELNS1_11target_archE1030ELNS1_3gpuE2ELNS1_3repE0EEENS1_30default_config_static_selectorELNS0_4arch9wavefront6targetE1EEEvSK_.num_vgpr, 0
	.set _ZN7rocprim17ROCPRIM_400000_NS6detail17trampoline_kernelINS0_14default_configENS1_22reduce_config_selectorIyEEZNS1_11reduce_implILb1ES3_N6thrust23THRUST_200600_302600_NS6detail15normal_iteratorINS8_10device_ptrIyEEEEPffNS8_4plusIfEEEE10hipError_tPvRmT1_T2_T3_mT4_P12ihipStream_tbEUlT_E1_NS1_11comp_targetILNS1_3genE8ELNS1_11target_archE1030ELNS1_3gpuE2ELNS1_3repE0EEENS1_30default_config_static_selectorELNS0_4arch9wavefront6targetE1EEEvSK_.num_agpr, 0
	.set _ZN7rocprim17ROCPRIM_400000_NS6detail17trampoline_kernelINS0_14default_configENS1_22reduce_config_selectorIyEEZNS1_11reduce_implILb1ES3_N6thrust23THRUST_200600_302600_NS6detail15normal_iteratorINS8_10device_ptrIyEEEEPffNS8_4plusIfEEEE10hipError_tPvRmT1_T2_T3_mT4_P12ihipStream_tbEUlT_E1_NS1_11comp_targetILNS1_3genE8ELNS1_11target_archE1030ELNS1_3gpuE2ELNS1_3repE0EEENS1_30default_config_static_selectorELNS0_4arch9wavefront6targetE1EEEvSK_.numbered_sgpr, 0
	.set _ZN7rocprim17ROCPRIM_400000_NS6detail17trampoline_kernelINS0_14default_configENS1_22reduce_config_selectorIyEEZNS1_11reduce_implILb1ES3_N6thrust23THRUST_200600_302600_NS6detail15normal_iteratorINS8_10device_ptrIyEEEEPffNS8_4plusIfEEEE10hipError_tPvRmT1_T2_T3_mT4_P12ihipStream_tbEUlT_E1_NS1_11comp_targetILNS1_3genE8ELNS1_11target_archE1030ELNS1_3gpuE2ELNS1_3repE0EEENS1_30default_config_static_selectorELNS0_4arch9wavefront6targetE1EEEvSK_.num_named_barrier, 0
	.set _ZN7rocprim17ROCPRIM_400000_NS6detail17trampoline_kernelINS0_14default_configENS1_22reduce_config_selectorIyEEZNS1_11reduce_implILb1ES3_N6thrust23THRUST_200600_302600_NS6detail15normal_iteratorINS8_10device_ptrIyEEEEPffNS8_4plusIfEEEE10hipError_tPvRmT1_T2_T3_mT4_P12ihipStream_tbEUlT_E1_NS1_11comp_targetILNS1_3genE8ELNS1_11target_archE1030ELNS1_3gpuE2ELNS1_3repE0EEENS1_30default_config_static_selectorELNS0_4arch9wavefront6targetE1EEEvSK_.private_seg_size, 0
	.set _ZN7rocprim17ROCPRIM_400000_NS6detail17trampoline_kernelINS0_14default_configENS1_22reduce_config_selectorIyEEZNS1_11reduce_implILb1ES3_N6thrust23THRUST_200600_302600_NS6detail15normal_iteratorINS8_10device_ptrIyEEEEPffNS8_4plusIfEEEE10hipError_tPvRmT1_T2_T3_mT4_P12ihipStream_tbEUlT_E1_NS1_11comp_targetILNS1_3genE8ELNS1_11target_archE1030ELNS1_3gpuE2ELNS1_3repE0EEENS1_30default_config_static_selectorELNS0_4arch9wavefront6targetE1EEEvSK_.uses_vcc, 0
	.set _ZN7rocprim17ROCPRIM_400000_NS6detail17trampoline_kernelINS0_14default_configENS1_22reduce_config_selectorIyEEZNS1_11reduce_implILb1ES3_N6thrust23THRUST_200600_302600_NS6detail15normal_iteratorINS8_10device_ptrIyEEEEPffNS8_4plusIfEEEE10hipError_tPvRmT1_T2_T3_mT4_P12ihipStream_tbEUlT_E1_NS1_11comp_targetILNS1_3genE8ELNS1_11target_archE1030ELNS1_3gpuE2ELNS1_3repE0EEENS1_30default_config_static_selectorELNS0_4arch9wavefront6targetE1EEEvSK_.uses_flat_scratch, 0
	.set _ZN7rocprim17ROCPRIM_400000_NS6detail17trampoline_kernelINS0_14default_configENS1_22reduce_config_selectorIyEEZNS1_11reduce_implILb1ES3_N6thrust23THRUST_200600_302600_NS6detail15normal_iteratorINS8_10device_ptrIyEEEEPffNS8_4plusIfEEEE10hipError_tPvRmT1_T2_T3_mT4_P12ihipStream_tbEUlT_E1_NS1_11comp_targetILNS1_3genE8ELNS1_11target_archE1030ELNS1_3gpuE2ELNS1_3repE0EEENS1_30default_config_static_selectorELNS0_4arch9wavefront6targetE1EEEvSK_.has_dyn_sized_stack, 0
	.set _ZN7rocprim17ROCPRIM_400000_NS6detail17trampoline_kernelINS0_14default_configENS1_22reduce_config_selectorIyEEZNS1_11reduce_implILb1ES3_N6thrust23THRUST_200600_302600_NS6detail15normal_iteratorINS8_10device_ptrIyEEEEPffNS8_4plusIfEEEE10hipError_tPvRmT1_T2_T3_mT4_P12ihipStream_tbEUlT_E1_NS1_11comp_targetILNS1_3genE8ELNS1_11target_archE1030ELNS1_3gpuE2ELNS1_3repE0EEENS1_30default_config_static_selectorELNS0_4arch9wavefront6targetE1EEEvSK_.has_recursion, 0
	.set _ZN7rocprim17ROCPRIM_400000_NS6detail17trampoline_kernelINS0_14default_configENS1_22reduce_config_selectorIyEEZNS1_11reduce_implILb1ES3_N6thrust23THRUST_200600_302600_NS6detail15normal_iteratorINS8_10device_ptrIyEEEEPffNS8_4plusIfEEEE10hipError_tPvRmT1_T2_T3_mT4_P12ihipStream_tbEUlT_E1_NS1_11comp_targetILNS1_3genE8ELNS1_11target_archE1030ELNS1_3gpuE2ELNS1_3repE0EEENS1_30default_config_static_selectorELNS0_4arch9wavefront6targetE1EEEvSK_.has_indirect_call, 0
	.section	.AMDGPU.csdata,"",@progbits
; Kernel info:
; codeLenInByte = 0
; TotalNumSgprs: 6
; NumVgprs: 0
; NumAgprs: 0
; TotalNumVgprs: 0
; ScratchSize: 0
; MemoryBound: 0
; FloatMode: 240
; IeeeMode: 1
; LDSByteSize: 0 bytes/workgroup (compile time only)
; SGPRBlocks: 0
; VGPRBlocks: 0
; NumSGPRsForWavesPerEU: 6
; NumVGPRsForWavesPerEU: 1
; AccumOffset: 4
; Occupancy: 8
; WaveLimiterHint : 0
; COMPUTE_PGM_RSRC2:SCRATCH_EN: 0
; COMPUTE_PGM_RSRC2:USER_SGPR: 2
; COMPUTE_PGM_RSRC2:TRAP_HANDLER: 0
; COMPUTE_PGM_RSRC2:TGID_X_EN: 1
; COMPUTE_PGM_RSRC2:TGID_Y_EN: 0
; COMPUTE_PGM_RSRC2:TGID_Z_EN: 0
; COMPUTE_PGM_RSRC2:TIDIG_COMP_CNT: 0
; COMPUTE_PGM_RSRC3_GFX90A:ACCUM_OFFSET: 0
; COMPUTE_PGM_RSRC3_GFX90A:TG_SPLIT: 0
	.section	.text._ZN7rocprim17ROCPRIM_400000_NS6detail17trampoline_kernelINS0_14default_configENS1_22reduce_config_selectorIjEEZNS1_11reduce_implILb1ES3_N6thrust23THRUST_200600_302600_NS6detail15normal_iteratorINS8_10device_ptrIjEEEEPiiNS8_4plusIiEEEE10hipError_tPvRmT1_T2_T3_mT4_P12ihipStream_tbEUlT_E0_NS1_11comp_targetILNS1_3genE0ELNS1_11target_archE4294967295ELNS1_3gpuE0ELNS1_3repE0EEENS1_30default_config_static_selectorELNS0_4arch9wavefront6targetE1EEEvSK_,"axG",@progbits,_ZN7rocprim17ROCPRIM_400000_NS6detail17trampoline_kernelINS0_14default_configENS1_22reduce_config_selectorIjEEZNS1_11reduce_implILb1ES3_N6thrust23THRUST_200600_302600_NS6detail15normal_iteratorINS8_10device_ptrIjEEEEPiiNS8_4plusIiEEEE10hipError_tPvRmT1_T2_T3_mT4_P12ihipStream_tbEUlT_E0_NS1_11comp_targetILNS1_3genE0ELNS1_11target_archE4294967295ELNS1_3gpuE0ELNS1_3repE0EEENS1_30default_config_static_selectorELNS0_4arch9wavefront6targetE1EEEvSK_,comdat
	.protected	_ZN7rocprim17ROCPRIM_400000_NS6detail17trampoline_kernelINS0_14default_configENS1_22reduce_config_selectorIjEEZNS1_11reduce_implILb1ES3_N6thrust23THRUST_200600_302600_NS6detail15normal_iteratorINS8_10device_ptrIjEEEEPiiNS8_4plusIiEEEE10hipError_tPvRmT1_T2_T3_mT4_P12ihipStream_tbEUlT_E0_NS1_11comp_targetILNS1_3genE0ELNS1_11target_archE4294967295ELNS1_3gpuE0ELNS1_3repE0EEENS1_30default_config_static_selectorELNS0_4arch9wavefront6targetE1EEEvSK_ ; -- Begin function _ZN7rocprim17ROCPRIM_400000_NS6detail17trampoline_kernelINS0_14default_configENS1_22reduce_config_selectorIjEEZNS1_11reduce_implILb1ES3_N6thrust23THRUST_200600_302600_NS6detail15normal_iteratorINS8_10device_ptrIjEEEEPiiNS8_4plusIiEEEE10hipError_tPvRmT1_T2_T3_mT4_P12ihipStream_tbEUlT_E0_NS1_11comp_targetILNS1_3genE0ELNS1_11target_archE4294967295ELNS1_3gpuE0ELNS1_3repE0EEENS1_30default_config_static_selectorELNS0_4arch9wavefront6targetE1EEEvSK_
	.globl	_ZN7rocprim17ROCPRIM_400000_NS6detail17trampoline_kernelINS0_14default_configENS1_22reduce_config_selectorIjEEZNS1_11reduce_implILb1ES3_N6thrust23THRUST_200600_302600_NS6detail15normal_iteratorINS8_10device_ptrIjEEEEPiiNS8_4plusIiEEEE10hipError_tPvRmT1_T2_T3_mT4_P12ihipStream_tbEUlT_E0_NS1_11comp_targetILNS1_3genE0ELNS1_11target_archE4294967295ELNS1_3gpuE0ELNS1_3repE0EEENS1_30default_config_static_selectorELNS0_4arch9wavefront6targetE1EEEvSK_
	.p2align	8
	.type	_ZN7rocprim17ROCPRIM_400000_NS6detail17trampoline_kernelINS0_14default_configENS1_22reduce_config_selectorIjEEZNS1_11reduce_implILb1ES3_N6thrust23THRUST_200600_302600_NS6detail15normal_iteratorINS8_10device_ptrIjEEEEPiiNS8_4plusIiEEEE10hipError_tPvRmT1_T2_T3_mT4_P12ihipStream_tbEUlT_E0_NS1_11comp_targetILNS1_3genE0ELNS1_11target_archE4294967295ELNS1_3gpuE0ELNS1_3repE0EEENS1_30default_config_static_selectorELNS0_4arch9wavefront6targetE1EEEvSK_,@function
_ZN7rocprim17ROCPRIM_400000_NS6detail17trampoline_kernelINS0_14default_configENS1_22reduce_config_selectorIjEEZNS1_11reduce_implILb1ES3_N6thrust23THRUST_200600_302600_NS6detail15normal_iteratorINS8_10device_ptrIjEEEEPiiNS8_4plusIiEEEE10hipError_tPvRmT1_T2_T3_mT4_P12ihipStream_tbEUlT_E0_NS1_11comp_targetILNS1_3genE0ELNS1_11target_archE4294967295ELNS1_3gpuE0ELNS1_3repE0EEENS1_30default_config_static_selectorELNS0_4arch9wavefront6targetE1EEEvSK_: ; @_ZN7rocprim17ROCPRIM_400000_NS6detail17trampoline_kernelINS0_14default_configENS1_22reduce_config_selectorIjEEZNS1_11reduce_implILb1ES3_N6thrust23THRUST_200600_302600_NS6detail15normal_iteratorINS8_10device_ptrIjEEEEPiiNS8_4plusIiEEEE10hipError_tPvRmT1_T2_T3_mT4_P12ihipStream_tbEUlT_E0_NS1_11comp_targetILNS1_3genE0ELNS1_11target_archE4294967295ELNS1_3gpuE0ELNS1_3repE0EEENS1_30default_config_static_selectorELNS0_4arch9wavefront6targetE1EEEvSK_
; %bb.0:
	s_load_dwordx8 s[4:11], s[0:1], 0x0
	s_load_dwordx4 s[12:15], s[0:1], 0x20
	v_lshlrev_b32_e32 v6, 2, v0
	v_mbcnt_lo_u32_b32 v1, -1, 0
	s_waitcnt lgkmcnt(0)
	s_lshl_b64 s[6:7], s[6:7], 2
	s_add_u32 s18, s4, s6
	s_addc_u32 s19, s5, s7
	s_lshl_b32 s4, s2, 10
	s_mov_b32 s5, 0
	s_lshr_b64 s[16:17], s[8:9], 10
	s_lshl_b64 s[6:7], s[4:5], 2
	s_add_u32 s6, s18, s6
	s_mov_b32 s3, s5
	s_addc_u32 s7, s19, s7
	s_cmp_lg_u64 s[16:17], s[2:3]
	s_cbranch_scc0 .LBB387_6
; %bb.1:
	v_mov_b32_e32 v7, 0
	v_lshl_add_u64 v[2:3], s[6:7], 0, v[6:7]
	flat_load_dword v5, v[2:3]
	flat_load_dword v7, v[2:3] offset:1024
	flat_load_dword v8, v[2:3] offset:2048
	;; [unrolled: 1-line block ×3, first 2 shown]
	v_mbcnt_hi_u32_b32 v3, -1, v1
	v_lshlrev_b32_e32 v4, 2, v3
	v_cmp_eq_u32_e32 vcc, 0, v3
	s_waitcnt vmcnt(0) lgkmcnt(0)
	v_add_u32_e32 v2, v7, v5
	v_or_b32_e32 v5, 0xfc, v4
	v_add3_u32 v2, v2, v8, v9
	s_nop 1
	v_add_u32_dpp v2, v2, v2 quad_perm:[1,0,3,2] row_mask:0xf bank_mask:0xf bound_ctrl:1
	s_nop 1
	v_add_u32_dpp v2, v2, v2 quad_perm:[2,3,0,1] row_mask:0xf bank_mask:0xf bound_ctrl:1
	s_nop 1
	v_add_u32_dpp v2, v2, v2 row_ror:4 row_mask:0xf bank_mask:0xf bound_ctrl:1
	s_nop 1
	v_add_u32_dpp v2, v2, v2 row_ror:8 row_mask:0xf bank_mask:0xf bound_ctrl:1
	s_nop 1
	v_add_u32_dpp v2, v2, v2 row_bcast:15 row_mask:0xf bank_mask:0xf bound_ctrl:1
	s_nop 1
	v_add_u32_dpp v2, v2, v2 row_bcast:31 row_mask:0xf bank_mask:0xf bound_ctrl:1
	ds_bpermute_b32 v2, v5, v2
	s_and_saveexec_b64 s[16:17], vcc
	s_cbranch_execz .LBB387_3
; %bb.2:
	v_lshrrev_b32_e32 v5, 4, v0
	v_and_b32_e32 v5, 12, v5
	s_waitcnt lgkmcnt(0)
	ds_write_b32 v5, v2
.LBB387_3:
	s_or_b64 exec, exec, s[16:17]
	v_cmp_gt_u32_e32 vcc, 64, v0
	s_waitcnt lgkmcnt(0)
	s_barrier
	s_and_saveexec_b64 s[16:17], vcc
	s_cbranch_execz .LBB387_5
; %bb.4:
	v_and_b32_e32 v2, 3, v3
	v_lshlrev_b32_e32 v5, 2, v2
	ds_read_b32 v5, v5
	v_cmp_ne_u32_e32 vcc, 3, v2
	s_nop 1
	v_addc_co_u32_e32 v2, vcc, 0, v3, vcc
	v_lshlrev_b32_e32 v2, 2, v2
	s_waitcnt lgkmcnt(0)
	ds_bpermute_b32 v2, v2, v5
	v_or_b32_e32 v3, 8, v4
	s_waitcnt lgkmcnt(0)
	v_add_u32_e32 v2, v2, v5
	ds_bpermute_b32 v3, v3, v2
	s_waitcnt lgkmcnt(0)
	v_add_u32_e32 v2, v3, v2
.LBB387_5:
	s_or_b64 exec, exec, s[16:17]
	s_load_dword s18, s[0:1], 0x30
	s_branch .LBB387_20
.LBB387_6:
                                        ; implicit-def: $vgpr2
	s_load_dword s18, s[0:1], 0x30
	s_cbranch_execz .LBB387_20
; %bb.7:
	s_sub_i32 s19, s8, s4
	v_mov_b32_e32 v2, 0
	v_cmp_gt_u32_e32 vcc, s19, v0
	v_mov_b32_e32 v3, v2
	v_mov_b32_e32 v4, v2
	;; [unrolled: 1-line block ×3, first 2 shown]
	s_and_saveexec_b64 s[0:1], vcc
	s_cbranch_execz .LBB387_9
; %bb.8:
	v_mov_b32_e32 v7, v2
	v_lshl_add_u64 v[4:5], s[6:7], 0, v[6:7]
	flat_load_dword v8, v[4:5]
	v_mov_b32_e32 v9, v2
	v_mov_b32_e32 v10, v2
	;; [unrolled: 1-line block ×3, first 2 shown]
	s_waitcnt vmcnt(0) lgkmcnt(0)
	v_mov_b64_e32 v[2:3], v[8:9]
	v_mov_b64_e32 v[4:5], v[10:11]
.LBB387_9:
	s_or_b64 exec, exec, s[0:1]
	v_or_b32_e32 v7, 0x100, v0
	v_cmp_gt_u32_e32 vcc, s19, v7
	s_and_saveexec_b64 s[0:1], vcc
	s_cbranch_execz .LBB387_11
; %bb.10:
	v_mov_b32_e32 v7, 0
	v_lshl_add_u64 v[8:9], s[6:7], 0, v[6:7]
	flat_load_dword v3, v[8:9] offset:1024
.LBB387_11:
	s_or_b64 exec, exec, s[0:1]
	v_or_b32_e32 v7, 0x200, v0
	v_cmp_gt_u32_e64 s[0:1], s19, v7
	s_and_saveexec_b64 s[4:5], s[0:1]
	s_cbranch_execz .LBB387_13
; %bb.12:
	v_mov_b32_e32 v7, 0
	v_lshl_add_u64 v[8:9], s[6:7], 0, v[6:7]
	flat_load_dword v4, v[8:9] offset:2048
.LBB387_13:
	s_or_b64 exec, exec, s[4:5]
	v_or_b32_e32 v7, 0x300, v0
	v_cmp_gt_u32_e64 s[4:5], s19, v7
	s_and_saveexec_b64 s[16:17], s[4:5]
	s_cbranch_execz .LBB387_15
; %bb.14:
	v_mov_b32_e32 v7, 0
	v_lshl_add_u64 v[6:7], s[6:7], 0, v[6:7]
	flat_load_dword v5, v[6:7] offset:3072
.LBB387_15:
	s_or_b64 exec, exec, s[16:17]
	s_waitcnt vmcnt(0) lgkmcnt(0)
	v_cndmask_b32_e32 v3, 0, v3, vcc
	v_add_u32_e32 v2, v3, v2
	v_cndmask_b32_e64 v3, 0, v4, s[0:1]
	v_cndmask_b32_e64 v4, 0, v5, s[4:5]
	v_mbcnt_hi_u32_b32 v1, -1, v1
	v_add3_u32 v2, v2, v3, v4
	v_and_b32_e32 v4, 63, v1
	v_cmp_ne_u32_e32 vcc, 63, v4
	s_min_u32 s4, s19, 0x100
	v_and_b32_e32 v5, 0xc0, v0
	v_addc_co_u32_e32 v3, vcc, 0, v1, vcc
	v_lshlrev_b32_e32 v3, 2, v3
	ds_bpermute_b32 v3, v3, v2
	v_sub_u32_e64 v5, s4, v5 clamp
	v_add_u32_e32 v6, 1, v4
	v_cmp_lt_u32_e32 vcc, v6, v5
	v_add_u32_e32 v6, 2, v4
	s_waitcnt lgkmcnt(0)
	v_cndmask_b32_e32 v3, 0, v3, vcc
	v_cmp_gt_u32_e32 vcc, 62, v4
	v_add_u32_e32 v2, v3, v2
	s_nop 0
	v_cndmask_b32_e64 v3, 0, 2, vcc
	v_add_lshl_u32 v3, v3, v1, 2
	ds_bpermute_b32 v3, v3, v2
	v_cmp_lt_u32_e32 vcc, v6, v5
	v_add_u32_e32 v6, 4, v4
	s_waitcnt lgkmcnt(0)
	v_cndmask_b32_e32 v3, 0, v3, vcc
	v_cmp_gt_u32_e32 vcc, 60, v4
	v_add_u32_e32 v2, v2, v3
	s_nop 0
	v_cndmask_b32_e64 v3, 0, 4, vcc
	v_add_lshl_u32 v3, v3, v1, 2
	ds_bpermute_b32 v3, v3, v2
	;; [unrolled: 10-line block ×3, first 2 shown]
	v_cmp_lt_u32_e32 vcc, v6, v5
	v_add_u32_e32 v6, 16, v4
	s_waitcnt lgkmcnt(0)
	v_cndmask_b32_e32 v3, 0, v3, vcc
	v_cmp_gt_u32_e32 vcc, 48, v4
	v_add_u32_e32 v2, v2, v3
	v_add_u32_e32 v4, 32, v4
	v_cndmask_b32_e64 v3, 0, 16, vcc
	v_add_lshl_u32 v3, v3, v1, 2
	ds_bpermute_b32 v3, v3, v2
	v_cmp_lt_u32_e32 vcc, v6, v5
	s_waitcnt lgkmcnt(0)
	s_nop 0
	v_cndmask_b32_e32 v3, 0, v3, vcc
	v_add_u32_e32 v2, v2, v3
	v_lshlrev_b32_e32 v3, 2, v1
	v_or_b32_e32 v6, 0x80, v3
	ds_bpermute_b32 v6, v6, v2
	v_cmp_lt_u32_e32 vcc, v4, v5
	s_waitcnt lgkmcnt(0)
	s_nop 0
	v_cndmask_b32_e32 v4, 0, v6, vcc
	v_add_u32_e32 v2, v2, v4
	v_cmp_eq_u32_e32 vcc, 0, v1
	s_and_saveexec_b64 s[0:1], vcc
; %bb.16:
	v_lshrrev_b32_e32 v4, 4, v0
	v_and_b32_e32 v4, 12, v4
	ds_write_b32 v4, v2 offset:16
; %bb.17:
	s_or_b64 exec, exec, s[0:1]
	v_cmp_gt_u32_e32 vcc, 4, v0
	s_waitcnt lgkmcnt(0)
	s_barrier
	s_and_saveexec_b64 s[0:1], vcc
	s_cbranch_execz .LBB387_19
; %bb.18:
	ds_read_b32 v2, v3 offset:16
	v_and_b32_e32 v4, 3, v1
	v_cmp_ne_u32_e32 vcc, 3, v4
	s_add_i32 s4, s4, 63
	s_lshr_b32 s4, s4, 6
	v_addc_co_u32_e32 v1, vcc, 0, v1, vcc
	v_lshlrev_b32_e32 v1, 2, v1
	s_waitcnt lgkmcnt(0)
	ds_bpermute_b32 v1, v1, v2
	v_add_u32_e32 v5, 1, v4
	v_cmp_gt_u32_e32 vcc, s4, v5
	s_waitcnt lgkmcnt(0)
	s_nop 0
	v_cndmask_b32_e32 v1, 0, v1, vcc
	v_add_u32_e32 v1, v1, v2
	v_or_b32_e32 v2, 8, v3
	ds_bpermute_b32 v2, v2, v1
	v_add_u32_e32 v3, 2, v4
	v_cmp_gt_u32_e32 vcc, s4, v3
	s_waitcnt lgkmcnt(0)
	s_nop 0
	v_cndmask_b32_e32 v2, 0, v2, vcc
	v_add_u32_e32 v2, v1, v2
.LBB387_19:
	s_or_b64 exec, exec, s[0:1]
.LBB387_20:
	v_cmp_eq_u32_e32 vcc, 0, v0
	s_and_saveexec_b64 s[0:1], vcc
	s_cbranch_execnz .LBB387_22
; %bb.21:
	s_endpgm
.LBB387_22:
	s_mul_i32 s0, s14, s13
	s_mul_hi_u32 s1, s14, s12
	s_add_i32 s0, s1, s0
	s_mul_i32 s1, s15, s12
	s_add_i32 s1, s0, s1
	s_mul_i32 s0, s14, s12
	s_lshl_b64 s[0:1], s[0:1], 2
	s_add_u32 s4, s10, s0
	s_addc_u32 s5, s11, s1
	s_cmp_eq_u64 s[8:9], 0
	s_cselect_b64 vcc, -1, 0
	s_lshl_b64 s[0:1], s[2:3], 2
	s_waitcnt lgkmcnt(0)
	v_mov_b32_e32 v0, s18
	s_add_u32 s0, s4, s0
	v_cndmask_b32_e32 v0, v2, v0, vcc
	s_addc_u32 s1, s5, s1
	v_mov_b32_e32 v1, 0
	global_store_dword v1, v0, s[0:1]
	s_endpgm
	.section	.rodata,"a",@progbits
	.p2align	6, 0x0
	.amdhsa_kernel _ZN7rocprim17ROCPRIM_400000_NS6detail17trampoline_kernelINS0_14default_configENS1_22reduce_config_selectorIjEEZNS1_11reduce_implILb1ES3_N6thrust23THRUST_200600_302600_NS6detail15normal_iteratorINS8_10device_ptrIjEEEEPiiNS8_4plusIiEEEE10hipError_tPvRmT1_T2_T3_mT4_P12ihipStream_tbEUlT_E0_NS1_11comp_targetILNS1_3genE0ELNS1_11target_archE4294967295ELNS1_3gpuE0ELNS1_3repE0EEENS1_30default_config_static_selectorELNS0_4arch9wavefront6targetE1EEEvSK_
		.amdhsa_group_segment_fixed_size 32
		.amdhsa_private_segment_fixed_size 0
		.amdhsa_kernarg_size 56
		.amdhsa_user_sgpr_count 2
		.amdhsa_user_sgpr_dispatch_ptr 0
		.amdhsa_user_sgpr_queue_ptr 0
		.amdhsa_user_sgpr_kernarg_segment_ptr 1
		.amdhsa_user_sgpr_dispatch_id 0
		.amdhsa_user_sgpr_kernarg_preload_length 0
		.amdhsa_user_sgpr_kernarg_preload_offset 0
		.amdhsa_user_sgpr_private_segment_size 0
		.amdhsa_uses_dynamic_stack 0
		.amdhsa_enable_private_segment 0
		.amdhsa_system_sgpr_workgroup_id_x 1
		.amdhsa_system_sgpr_workgroup_id_y 0
		.amdhsa_system_sgpr_workgroup_id_z 0
		.amdhsa_system_sgpr_workgroup_info 0
		.amdhsa_system_vgpr_workitem_id 0
		.amdhsa_next_free_vgpr 12
		.amdhsa_next_free_sgpr 20
		.amdhsa_accum_offset 12
		.amdhsa_reserve_vcc 1
		.amdhsa_float_round_mode_32 0
		.amdhsa_float_round_mode_16_64 0
		.amdhsa_float_denorm_mode_32 3
		.amdhsa_float_denorm_mode_16_64 3
		.amdhsa_dx10_clamp 1
		.amdhsa_ieee_mode 1
		.amdhsa_fp16_overflow 0
		.amdhsa_tg_split 0
		.amdhsa_exception_fp_ieee_invalid_op 0
		.amdhsa_exception_fp_denorm_src 0
		.amdhsa_exception_fp_ieee_div_zero 0
		.amdhsa_exception_fp_ieee_overflow 0
		.amdhsa_exception_fp_ieee_underflow 0
		.amdhsa_exception_fp_ieee_inexact 0
		.amdhsa_exception_int_div_zero 0
	.end_amdhsa_kernel
	.section	.text._ZN7rocprim17ROCPRIM_400000_NS6detail17trampoline_kernelINS0_14default_configENS1_22reduce_config_selectorIjEEZNS1_11reduce_implILb1ES3_N6thrust23THRUST_200600_302600_NS6detail15normal_iteratorINS8_10device_ptrIjEEEEPiiNS8_4plusIiEEEE10hipError_tPvRmT1_T2_T3_mT4_P12ihipStream_tbEUlT_E0_NS1_11comp_targetILNS1_3genE0ELNS1_11target_archE4294967295ELNS1_3gpuE0ELNS1_3repE0EEENS1_30default_config_static_selectorELNS0_4arch9wavefront6targetE1EEEvSK_,"axG",@progbits,_ZN7rocprim17ROCPRIM_400000_NS6detail17trampoline_kernelINS0_14default_configENS1_22reduce_config_selectorIjEEZNS1_11reduce_implILb1ES3_N6thrust23THRUST_200600_302600_NS6detail15normal_iteratorINS8_10device_ptrIjEEEEPiiNS8_4plusIiEEEE10hipError_tPvRmT1_T2_T3_mT4_P12ihipStream_tbEUlT_E0_NS1_11comp_targetILNS1_3genE0ELNS1_11target_archE4294967295ELNS1_3gpuE0ELNS1_3repE0EEENS1_30default_config_static_selectorELNS0_4arch9wavefront6targetE1EEEvSK_,comdat
.Lfunc_end387:
	.size	_ZN7rocprim17ROCPRIM_400000_NS6detail17trampoline_kernelINS0_14default_configENS1_22reduce_config_selectorIjEEZNS1_11reduce_implILb1ES3_N6thrust23THRUST_200600_302600_NS6detail15normal_iteratorINS8_10device_ptrIjEEEEPiiNS8_4plusIiEEEE10hipError_tPvRmT1_T2_T3_mT4_P12ihipStream_tbEUlT_E0_NS1_11comp_targetILNS1_3genE0ELNS1_11target_archE4294967295ELNS1_3gpuE0ELNS1_3repE0EEENS1_30default_config_static_selectorELNS0_4arch9wavefront6targetE1EEEvSK_, .Lfunc_end387-_ZN7rocprim17ROCPRIM_400000_NS6detail17trampoline_kernelINS0_14default_configENS1_22reduce_config_selectorIjEEZNS1_11reduce_implILb1ES3_N6thrust23THRUST_200600_302600_NS6detail15normal_iteratorINS8_10device_ptrIjEEEEPiiNS8_4plusIiEEEE10hipError_tPvRmT1_T2_T3_mT4_P12ihipStream_tbEUlT_E0_NS1_11comp_targetILNS1_3genE0ELNS1_11target_archE4294967295ELNS1_3gpuE0ELNS1_3repE0EEENS1_30default_config_static_selectorELNS0_4arch9wavefront6targetE1EEEvSK_
                                        ; -- End function
	.set _ZN7rocprim17ROCPRIM_400000_NS6detail17trampoline_kernelINS0_14default_configENS1_22reduce_config_selectorIjEEZNS1_11reduce_implILb1ES3_N6thrust23THRUST_200600_302600_NS6detail15normal_iteratorINS8_10device_ptrIjEEEEPiiNS8_4plusIiEEEE10hipError_tPvRmT1_T2_T3_mT4_P12ihipStream_tbEUlT_E0_NS1_11comp_targetILNS1_3genE0ELNS1_11target_archE4294967295ELNS1_3gpuE0ELNS1_3repE0EEENS1_30default_config_static_selectorELNS0_4arch9wavefront6targetE1EEEvSK_.num_vgpr, 12
	.set _ZN7rocprim17ROCPRIM_400000_NS6detail17trampoline_kernelINS0_14default_configENS1_22reduce_config_selectorIjEEZNS1_11reduce_implILb1ES3_N6thrust23THRUST_200600_302600_NS6detail15normal_iteratorINS8_10device_ptrIjEEEEPiiNS8_4plusIiEEEE10hipError_tPvRmT1_T2_T3_mT4_P12ihipStream_tbEUlT_E0_NS1_11comp_targetILNS1_3genE0ELNS1_11target_archE4294967295ELNS1_3gpuE0ELNS1_3repE0EEENS1_30default_config_static_selectorELNS0_4arch9wavefront6targetE1EEEvSK_.num_agpr, 0
	.set _ZN7rocprim17ROCPRIM_400000_NS6detail17trampoline_kernelINS0_14default_configENS1_22reduce_config_selectorIjEEZNS1_11reduce_implILb1ES3_N6thrust23THRUST_200600_302600_NS6detail15normal_iteratorINS8_10device_ptrIjEEEEPiiNS8_4plusIiEEEE10hipError_tPvRmT1_T2_T3_mT4_P12ihipStream_tbEUlT_E0_NS1_11comp_targetILNS1_3genE0ELNS1_11target_archE4294967295ELNS1_3gpuE0ELNS1_3repE0EEENS1_30default_config_static_selectorELNS0_4arch9wavefront6targetE1EEEvSK_.numbered_sgpr, 20
	.set _ZN7rocprim17ROCPRIM_400000_NS6detail17trampoline_kernelINS0_14default_configENS1_22reduce_config_selectorIjEEZNS1_11reduce_implILb1ES3_N6thrust23THRUST_200600_302600_NS6detail15normal_iteratorINS8_10device_ptrIjEEEEPiiNS8_4plusIiEEEE10hipError_tPvRmT1_T2_T3_mT4_P12ihipStream_tbEUlT_E0_NS1_11comp_targetILNS1_3genE0ELNS1_11target_archE4294967295ELNS1_3gpuE0ELNS1_3repE0EEENS1_30default_config_static_selectorELNS0_4arch9wavefront6targetE1EEEvSK_.num_named_barrier, 0
	.set _ZN7rocprim17ROCPRIM_400000_NS6detail17trampoline_kernelINS0_14default_configENS1_22reduce_config_selectorIjEEZNS1_11reduce_implILb1ES3_N6thrust23THRUST_200600_302600_NS6detail15normal_iteratorINS8_10device_ptrIjEEEEPiiNS8_4plusIiEEEE10hipError_tPvRmT1_T2_T3_mT4_P12ihipStream_tbEUlT_E0_NS1_11comp_targetILNS1_3genE0ELNS1_11target_archE4294967295ELNS1_3gpuE0ELNS1_3repE0EEENS1_30default_config_static_selectorELNS0_4arch9wavefront6targetE1EEEvSK_.private_seg_size, 0
	.set _ZN7rocprim17ROCPRIM_400000_NS6detail17trampoline_kernelINS0_14default_configENS1_22reduce_config_selectorIjEEZNS1_11reduce_implILb1ES3_N6thrust23THRUST_200600_302600_NS6detail15normal_iteratorINS8_10device_ptrIjEEEEPiiNS8_4plusIiEEEE10hipError_tPvRmT1_T2_T3_mT4_P12ihipStream_tbEUlT_E0_NS1_11comp_targetILNS1_3genE0ELNS1_11target_archE4294967295ELNS1_3gpuE0ELNS1_3repE0EEENS1_30default_config_static_selectorELNS0_4arch9wavefront6targetE1EEEvSK_.uses_vcc, 1
	.set _ZN7rocprim17ROCPRIM_400000_NS6detail17trampoline_kernelINS0_14default_configENS1_22reduce_config_selectorIjEEZNS1_11reduce_implILb1ES3_N6thrust23THRUST_200600_302600_NS6detail15normal_iteratorINS8_10device_ptrIjEEEEPiiNS8_4plusIiEEEE10hipError_tPvRmT1_T2_T3_mT4_P12ihipStream_tbEUlT_E0_NS1_11comp_targetILNS1_3genE0ELNS1_11target_archE4294967295ELNS1_3gpuE0ELNS1_3repE0EEENS1_30default_config_static_selectorELNS0_4arch9wavefront6targetE1EEEvSK_.uses_flat_scratch, 0
	.set _ZN7rocprim17ROCPRIM_400000_NS6detail17trampoline_kernelINS0_14default_configENS1_22reduce_config_selectorIjEEZNS1_11reduce_implILb1ES3_N6thrust23THRUST_200600_302600_NS6detail15normal_iteratorINS8_10device_ptrIjEEEEPiiNS8_4plusIiEEEE10hipError_tPvRmT1_T2_T3_mT4_P12ihipStream_tbEUlT_E0_NS1_11comp_targetILNS1_3genE0ELNS1_11target_archE4294967295ELNS1_3gpuE0ELNS1_3repE0EEENS1_30default_config_static_selectorELNS0_4arch9wavefront6targetE1EEEvSK_.has_dyn_sized_stack, 0
	.set _ZN7rocprim17ROCPRIM_400000_NS6detail17trampoline_kernelINS0_14default_configENS1_22reduce_config_selectorIjEEZNS1_11reduce_implILb1ES3_N6thrust23THRUST_200600_302600_NS6detail15normal_iteratorINS8_10device_ptrIjEEEEPiiNS8_4plusIiEEEE10hipError_tPvRmT1_T2_T3_mT4_P12ihipStream_tbEUlT_E0_NS1_11comp_targetILNS1_3genE0ELNS1_11target_archE4294967295ELNS1_3gpuE0ELNS1_3repE0EEENS1_30default_config_static_selectorELNS0_4arch9wavefront6targetE1EEEvSK_.has_recursion, 0
	.set _ZN7rocprim17ROCPRIM_400000_NS6detail17trampoline_kernelINS0_14default_configENS1_22reduce_config_selectorIjEEZNS1_11reduce_implILb1ES3_N6thrust23THRUST_200600_302600_NS6detail15normal_iteratorINS8_10device_ptrIjEEEEPiiNS8_4plusIiEEEE10hipError_tPvRmT1_T2_T3_mT4_P12ihipStream_tbEUlT_E0_NS1_11comp_targetILNS1_3genE0ELNS1_11target_archE4294967295ELNS1_3gpuE0ELNS1_3repE0EEENS1_30default_config_static_selectorELNS0_4arch9wavefront6targetE1EEEvSK_.has_indirect_call, 0
	.section	.AMDGPU.csdata,"",@progbits
; Kernel info:
; codeLenInByte = 1236
; TotalNumSgprs: 26
; NumVgprs: 12
; NumAgprs: 0
; TotalNumVgprs: 12
; ScratchSize: 0
; MemoryBound: 0
; FloatMode: 240
; IeeeMode: 1
; LDSByteSize: 32 bytes/workgroup (compile time only)
; SGPRBlocks: 3
; VGPRBlocks: 1
; NumSGPRsForWavesPerEU: 26
; NumVGPRsForWavesPerEU: 12
; AccumOffset: 12
; Occupancy: 8
; WaveLimiterHint : 1
; COMPUTE_PGM_RSRC2:SCRATCH_EN: 0
; COMPUTE_PGM_RSRC2:USER_SGPR: 2
; COMPUTE_PGM_RSRC2:TRAP_HANDLER: 0
; COMPUTE_PGM_RSRC2:TGID_X_EN: 1
; COMPUTE_PGM_RSRC2:TGID_Y_EN: 0
; COMPUTE_PGM_RSRC2:TGID_Z_EN: 0
; COMPUTE_PGM_RSRC2:TIDIG_COMP_CNT: 0
; COMPUTE_PGM_RSRC3_GFX90A:ACCUM_OFFSET: 2
; COMPUTE_PGM_RSRC3_GFX90A:TG_SPLIT: 0
	.section	.text._ZN7rocprim17ROCPRIM_400000_NS6detail17trampoline_kernelINS0_14default_configENS1_22reduce_config_selectorIjEEZNS1_11reduce_implILb1ES3_N6thrust23THRUST_200600_302600_NS6detail15normal_iteratorINS8_10device_ptrIjEEEEPiiNS8_4plusIiEEEE10hipError_tPvRmT1_T2_T3_mT4_P12ihipStream_tbEUlT_E0_NS1_11comp_targetILNS1_3genE5ELNS1_11target_archE942ELNS1_3gpuE9ELNS1_3repE0EEENS1_30default_config_static_selectorELNS0_4arch9wavefront6targetE1EEEvSK_,"axG",@progbits,_ZN7rocprim17ROCPRIM_400000_NS6detail17trampoline_kernelINS0_14default_configENS1_22reduce_config_selectorIjEEZNS1_11reduce_implILb1ES3_N6thrust23THRUST_200600_302600_NS6detail15normal_iteratorINS8_10device_ptrIjEEEEPiiNS8_4plusIiEEEE10hipError_tPvRmT1_T2_T3_mT4_P12ihipStream_tbEUlT_E0_NS1_11comp_targetILNS1_3genE5ELNS1_11target_archE942ELNS1_3gpuE9ELNS1_3repE0EEENS1_30default_config_static_selectorELNS0_4arch9wavefront6targetE1EEEvSK_,comdat
	.protected	_ZN7rocprim17ROCPRIM_400000_NS6detail17trampoline_kernelINS0_14default_configENS1_22reduce_config_selectorIjEEZNS1_11reduce_implILb1ES3_N6thrust23THRUST_200600_302600_NS6detail15normal_iteratorINS8_10device_ptrIjEEEEPiiNS8_4plusIiEEEE10hipError_tPvRmT1_T2_T3_mT4_P12ihipStream_tbEUlT_E0_NS1_11comp_targetILNS1_3genE5ELNS1_11target_archE942ELNS1_3gpuE9ELNS1_3repE0EEENS1_30default_config_static_selectorELNS0_4arch9wavefront6targetE1EEEvSK_ ; -- Begin function _ZN7rocprim17ROCPRIM_400000_NS6detail17trampoline_kernelINS0_14default_configENS1_22reduce_config_selectorIjEEZNS1_11reduce_implILb1ES3_N6thrust23THRUST_200600_302600_NS6detail15normal_iteratorINS8_10device_ptrIjEEEEPiiNS8_4plusIiEEEE10hipError_tPvRmT1_T2_T3_mT4_P12ihipStream_tbEUlT_E0_NS1_11comp_targetILNS1_3genE5ELNS1_11target_archE942ELNS1_3gpuE9ELNS1_3repE0EEENS1_30default_config_static_selectorELNS0_4arch9wavefront6targetE1EEEvSK_
	.globl	_ZN7rocprim17ROCPRIM_400000_NS6detail17trampoline_kernelINS0_14default_configENS1_22reduce_config_selectorIjEEZNS1_11reduce_implILb1ES3_N6thrust23THRUST_200600_302600_NS6detail15normal_iteratorINS8_10device_ptrIjEEEEPiiNS8_4plusIiEEEE10hipError_tPvRmT1_T2_T3_mT4_P12ihipStream_tbEUlT_E0_NS1_11comp_targetILNS1_3genE5ELNS1_11target_archE942ELNS1_3gpuE9ELNS1_3repE0EEENS1_30default_config_static_selectorELNS0_4arch9wavefront6targetE1EEEvSK_
	.p2align	8
	.type	_ZN7rocprim17ROCPRIM_400000_NS6detail17trampoline_kernelINS0_14default_configENS1_22reduce_config_selectorIjEEZNS1_11reduce_implILb1ES3_N6thrust23THRUST_200600_302600_NS6detail15normal_iteratorINS8_10device_ptrIjEEEEPiiNS8_4plusIiEEEE10hipError_tPvRmT1_T2_T3_mT4_P12ihipStream_tbEUlT_E0_NS1_11comp_targetILNS1_3genE5ELNS1_11target_archE942ELNS1_3gpuE9ELNS1_3repE0EEENS1_30default_config_static_selectorELNS0_4arch9wavefront6targetE1EEEvSK_,@function
_ZN7rocprim17ROCPRIM_400000_NS6detail17trampoline_kernelINS0_14default_configENS1_22reduce_config_selectorIjEEZNS1_11reduce_implILb1ES3_N6thrust23THRUST_200600_302600_NS6detail15normal_iteratorINS8_10device_ptrIjEEEEPiiNS8_4plusIiEEEE10hipError_tPvRmT1_T2_T3_mT4_P12ihipStream_tbEUlT_E0_NS1_11comp_targetILNS1_3genE5ELNS1_11target_archE942ELNS1_3gpuE9ELNS1_3repE0EEENS1_30default_config_static_selectorELNS0_4arch9wavefront6targetE1EEEvSK_: ; @_ZN7rocprim17ROCPRIM_400000_NS6detail17trampoline_kernelINS0_14default_configENS1_22reduce_config_selectorIjEEZNS1_11reduce_implILb1ES3_N6thrust23THRUST_200600_302600_NS6detail15normal_iteratorINS8_10device_ptrIjEEEEPiiNS8_4plusIiEEEE10hipError_tPvRmT1_T2_T3_mT4_P12ihipStream_tbEUlT_E0_NS1_11comp_targetILNS1_3genE5ELNS1_11target_archE942ELNS1_3gpuE9ELNS1_3repE0EEENS1_30default_config_static_selectorELNS0_4arch9wavefront6targetE1EEEvSK_
; %bb.0:
	.section	.rodata,"a",@progbits
	.p2align	6, 0x0
	.amdhsa_kernel _ZN7rocprim17ROCPRIM_400000_NS6detail17trampoline_kernelINS0_14default_configENS1_22reduce_config_selectorIjEEZNS1_11reduce_implILb1ES3_N6thrust23THRUST_200600_302600_NS6detail15normal_iteratorINS8_10device_ptrIjEEEEPiiNS8_4plusIiEEEE10hipError_tPvRmT1_T2_T3_mT4_P12ihipStream_tbEUlT_E0_NS1_11comp_targetILNS1_3genE5ELNS1_11target_archE942ELNS1_3gpuE9ELNS1_3repE0EEENS1_30default_config_static_selectorELNS0_4arch9wavefront6targetE1EEEvSK_
		.amdhsa_group_segment_fixed_size 0
		.amdhsa_private_segment_fixed_size 0
		.amdhsa_kernarg_size 56
		.amdhsa_user_sgpr_count 2
		.amdhsa_user_sgpr_dispatch_ptr 0
		.amdhsa_user_sgpr_queue_ptr 0
		.amdhsa_user_sgpr_kernarg_segment_ptr 1
		.amdhsa_user_sgpr_dispatch_id 0
		.amdhsa_user_sgpr_kernarg_preload_length 0
		.amdhsa_user_sgpr_kernarg_preload_offset 0
		.amdhsa_user_sgpr_private_segment_size 0
		.amdhsa_uses_dynamic_stack 0
		.amdhsa_enable_private_segment 0
		.amdhsa_system_sgpr_workgroup_id_x 1
		.amdhsa_system_sgpr_workgroup_id_y 0
		.amdhsa_system_sgpr_workgroup_id_z 0
		.amdhsa_system_sgpr_workgroup_info 0
		.amdhsa_system_vgpr_workitem_id 0
		.amdhsa_next_free_vgpr 1
		.amdhsa_next_free_sgpr 0
		.amdhsa_accum_offset 4
		.amdhsa_reserve_vcc 0
		.amdhsa_float_round_mode_32 0
		.amdhsa_float_round_mode_16_64 0
		.amdhsa_float_denorm_mode_32 3
		.amdhsa_float_denorm_mode_16_64 3
		.amdhsa_dx10_clamp 1
		.amdhsa_ieee_mode 1
		.amdhsa_fp16_overflow 0
		.amdhsa_tg_split 0
		.amdhsa_exception_fp_ieee_invalid_op 0
		.amdhsa_exception_fp_denorm_src 0
		.amdhsa_exception_fp_ieee_div_zero 0
		.amdhsa_exception_fp_ieee_overflow 0
		.amdhsa_exception_fp_ieee_underflow 0
		.amdhsa_exception_fp_ieee_inexact 0
		.amdhsa_exception_int_div_zero 0
	.end_amdhsa_kernel
	.section	.text._ZN7rocprim17ROCPRIM_400000_NS6detail17trampoline_kernelINS0_14default_configENS1_22reduce_config_selectorIjEEZNS1_11reduce_implILb1ES3_N6thrust23THRUST_200600_302600_NS6detail15normal_iteratorINS8_10device_ptrIjEEEEPiiNS8_4plusIiEEEE10hipError_tPvRmT1_T2_T3_mT4_P12ihipStream_tbEUlT_E0_NS1_11comp_targetILNS1_3genE5ELNS1_11target_archE942ELNS1_3gpuE9ELNS1_3repE0EEENS1_30default_config_static_selectorELNS0_4arch9wavefront6targetE1EEEvSK_,"axG",@progbits,_ZN7rocprim17ROCPRIM_400000_NS6detail17trampoline_kernelINS0_14default_configENS1_22reduce_config_selectorIjEEZNS1_11reduce_implILb1ES3_N6thrust23THRUST_200600_302600_NS6detail15normal_iteratorINS8_10device_ptrIjEEEEPiiNS8_4plusIiEEEE10hipError_tPvRmT1_T2_T3_mT4_P12ihipStream_tbEUlT_E0_NS1_11comp_targetILNS1_3genE5ELNS1_11target_archE942ELNS1_3gpuE9ELNS1_3repE0EEENS1_30default_config_static_selectorELNS0_4arch9wavefront6targetE1EEEvSK_,comdat
.Lfunc_end388:
	.size	_ZN7rocprim17ROCPRIM_400000_NS6detail17trampoline_kernelINS0_14default_configENS1_22reduce_config_selectorIjEEZNS1_11reduce_implILb1ES3_N6thrust23THRUST_200600_302600_NS6detail15normal_iteratorINS8_10device_ptrIjEEEEPiiNS8_4plusIiEEEE10hipError_tPvRmT1_T2_T3_mT4_P12ihipStream_tbEUlT_E0_NS1_11comp_targetILNS1_3genE5ELNS1_11target_archE942ELNS1_3gpuE9ELNS1_3repE0EEENS1_30default_config_static_selectorELNS0_4arch9wavefront6targetE1EEEvSK_, .Lfunc_end388-_ZN7rocprim17ROCPRIM_400000_NS6detail17trampoline_kernelINS0_14default_configENS1_22reduce_config_selectorIjEEZNS1_11reduce_implILb1ES3_N6thrust23THRUST_200600_302600_NS6detail15normal_iteratorINS8_10device_ptrIjEEEEPiiNS8_4plusIiEEEE10hipError_tPvRmT1_T2_T3_mT4_P12ihipStream_tbEUlT_E0_NS1_11comp_targetILNS1_3genE5ELNS1_11target_archE942ELNS1_3gpuE9ELNS1_3repE0EEENS1_30default_config_static_selectorELNS0_4arch9wavefront6targetE1EEEvSK_
                                        ; -- End function
	.set _ZN7rocprim17ROCPRIM_400000_NS6detail17trampoline_kernelINS0_14default_configENS1_22reduce_config_selectorIjEEZNS1_11reduce_implILb1ES3_N6thrust23THRUST_200600_302600_NS6detail15normal_iteratorINS8_10device_ptrIjEEEEPiiNS8_4plusIiEEEE10hipError_tPvRmT1_T2_T3_mT4_P12ihipStream_tbEUlT_E0_NS1_11comp_targetILNS1_3genE5ELNS1_11target_archE942ELNS1_3gpuE9ELNS1_3repE0EEENS1_30default_config_static_selectorELNS0_4arch9wavefront6targetE1EEEvSK_.num_vgpr, 0
	.set _ZN7rocprim17ROCPRIM_400000_NS6detail17trampoline_kernelINS0_14default_configENS1_22reduce_config_selectorIjEEZNS1_11reduce_implILb1ES3_N6thrust23THRUST_200600_302600_NS6detail15normal_iteratorINS8_10device_ptrIjEEEEPiiNS8_4plusIiEEEE10hipError_tPvRmT1_T2_T3_mT4_P12ihipStream_tbEUlT_E0_NS1_11comp_targetILNS1_3genE5ELNS1_11target_archE942ELNS1_3gpuE9ELNS1_3repE0EEENS1_30default_config_static_selectorELNS0_4arch9wavefront6targetE1EEEvSK_.num_agpr, 0
	.set _ZN7rocprim17ROCPRIM_400000_NS6detail17trampoline_kernelINS0_14default_configENS1_22reduce_config_selectorIjEEZNS1_11reduce_implILb1ES3_N6thrust23THRUST_200600_302600_NS6detail15normal_iteratorINS8_10device_ptrIjEEEEPiiNS8_4plusIiEEEE10hipError_tPvRmT1_T2_T3_mT4_P12ihipStream_tbEUlT_E0_NS1_11comp_targetILNS1_3genE5ELNS1_11target_archE942ELNS1_3gpuE9ELNS1_3repE0EEENS1_30default_config_static_selectorELNS0_4arch9wavefront6targetE1EEEvSK_.numbered_sgpr, 0
	.set _ZN7rocprim17ROCPRIM_400000_NS6detail17trampoline_kernelINS0_14default_configENS1_22reduce_config_selectorIjEEZNS1_11reduce_implILb1ES3_N6thrust23THRUST_200600_302600_NS6detail15normal_iteratorINS8_10device_ptrIjEEEEPiiNS8_4plusIiEEEE10hipError_tPvRmT1_T2_T3_mT4_P12ihipStream_tbEUlT_E0_NS1_11comp_targetILNS1_3genE5ELNS1_11target_archE942ELNS1_3gpuE9ELNS1_3repE0EEENS1_30default_config_static_selectorELNS0_4arch9wavefront6targetE1EEEvSK_.num_named_barrier, 0
	.set _ZN7rocprim17ROCPRIM_400000_NS6detail17trampoline_kernelINS0_14default_configENS1_22reduce_config_selectorIjEEZNS1_11reduce_implILb1ES3_N6thrust23THRUST_200600_302600_NS6detail15normal_iteratorINS8_10device_ptrIjEEEEPiiNS8_4plusIiEEEE10hipError_tPvRmT1_T2_T3_mT4_P12ihipStream_tbEUlT_E0_NS1_11comp_targetILNS1_3genE5ELNS1_11target_archE942ELNS1_3gpuE9ELNS1_3repE0EEENS1_30default_config_static_selectorELNS0_4arch9wavefront6targetE1EEEvSK_.private_seg_size, 0
	.set _ZN7rocprim17ROCPRIM_400000_NS6detail17trampoline_kernelINS0_14default_configENS1_22reduce_config_selectorIjEEZNS1_11reduce_implILb1ES3_N6thrust23THRUST_200600_302600_NS6detail15normal_iteratorINS8_10device_ptrIjEEEEPiiNS8_4plusIiEEEE10hipError_tPvRmT1_T2_T3_mT4_P12ihipStream_tbEUlT_E0_NS1_11comp_targetILNS1_3genE5ELNS1_11target_archE942ELNS1_3gpuE9ELNS1_3repE0EEENS1_30default_config_static_selectorELNS0_4arch9wavefront6targetE1EEEvSK_.uses_vcc, 0
	.set _ZN7rocprim17ROCPRIM_400000_NS6detail17trampoline_kernelINS0_14default_configENS1_22reduce_config_selectorIjEEZNS1_11reduce_implILb1ES3_N6thrust23THRUST_200600_302600_NS6detail15normal_iteratorINS8_10device_ptrIjEEEEPiiNS8_4plusIiEEEE10hipError_tPvRmT1_T2_T3_mT4_P12ihipStream_tbEUlT_E0_NS1_11comp_targetILNS1_3genE5ELNS1_11target_archE942ELNS1_3gpuE9ELNS1_3repE0EEENS1_30default_config_static_selectorELNS0_4arch9wavefront6targetE1EEEvSK_.uses_flat_scratch, 0
	.set _ZN7rocprim17ROCPRIM_400000_NS6detail17trampoline_kernelINS0_14default_configENS1_22reduce_config_selectorIjEEZNS1_11reduce_implILb1ES3_N6thrust23THRUST_200600_302600_NS6detail15normal_iteratorINS8_10device_ptrIjEEEEPiiNS8_4plusIiEEEE10hipError_tPvRmT1_T2_T3_mT4_P12ihipStream_tbEUlT_E0_NS1_11comp_targetILNS1_3genE5ELNS1_11target_archE942ELNS1_3gpuE9ELNS1_3repE0EEENS1_30default_config_static_selectorELNS0_4arch9wavefront6targetE1EEEvSK_.has_dyn_sized_stack, 0
	.set _ZN7rocprim17ROCPRIM_400000_NS6detail17trampoline_kernelINS0_14default_configENS1_22reduce_config_selectorIjEEZNS1_11reduce_implILb1ES3_N6thrust23THRUST_200600_302600_NS6detail15normal_iteratorINS8_10device_ptrIjEEEEPiiNS8_4plusIiEEEE10hipError_tPvRmT1_T2_T3_mT4_P12ihipStream_tbEUlT_E0_NS1_11comp_targetILNS1_3genE5ELNS1_11target_archE942ELNS1_3gpuE9ELNS1_3repE0EEENS1_30default_config_static_selectorELNS0_4arch9wavefront6targetE1EEEvSK_.has_recursion, 0
	.set _ZN7rocprim17ROCPRIM_400000_NS6detail17trampoline_kernelINS0_14default_configENS1_22reduce_config_selectorIjEEZNS1_11reduce_implILb1ES3_N6thrust23THRUST_200600_302600_NS6detail15normal_iteratorINS8_10device_ptrIjEEEEPiiNS8_4plusIiEEEE10hipError_tPvRmT1_T2_T3_mT4_P12ihipStream_tbEUlT_E0_NS1_11comp_targetILNS1_3genE5ELNS1_11target_archE942ELNS1_3gpuE9ELNS1_3repE0EEENS1_30default_config_static_selectorELNS0_4arch9wavefront6targetE1EEEvSK_.has_indirect_call, 0
	.section	.AMDGPU.csdata,"",@progbits
; Kernel info:
; codeLenInByte = 0
; TotalNumSgprs: 6
; NumVgprs: 0
; NumAgprs: 0
; TotalNumVgprs: 0
; ScratchSize: 0
; MemoryBound: 0
; FloatMode: 240
; IeeeMode: 1
; LDSByteSize: 0 bytes/workgroup (compile time only)
; SGPRBlocks: 0
; VGPRBlocks: 0
; NumSGPRsForWavesPerEU: 6
; NumVGPRsForWavesPerEU: 1
; AccumOffset: 4
; Occupancy: 8
; WaveLimiterHint : 0
; COMPUTE_PGM_RSRC2:SCRATCH_EN: 0
; COMPUTE_PGM_RSRC2:USER_SGPR: 2
; COMPUTE_PGM_RSRC2:TRAP_HANDLER: 0
; COMPUTE_PGM_RSRC2:TGID_X_EN: 1
; COMPUTE_PGM_RSRC2:TGID_Y_EN: 0
; COMPUTE_PGM_RSRC2:TGID_Z_EN: 0
; COMPUTE_PGM_RSRC2:TIDIG_COMP_CNT: 0
; COMPUTE_PGM_RSRC3_GFX90A:ACCUM_OFFSET: 0
; COMPUTE_PGM_RSRC3_GFX90A:TG_SPLIT: 0
	.section	.text._ZN7rocprim17ROCPRIM_400000_NS6detail17trampoline_kernelINS0_14default_configENS1_22reduce_config_selectorIjEEZNS1_11reduce_implILb1ES3_N6thrust23THRUST_200600_302600_NS6detail15normal_iteratorINS8_10device_ptrIjEEEEPiiNS8_4plusIiEEEE10hipError_tPvRmT1_T2_T3_mT4_P12ihipStream_tbEUlT_E0_NS1_11comp_targetILNS1_3genE4ELNS1_11target_archE910ELNS1_3gpuE8ELNS1_3repE0EEENS1_30default_config_static_selectorELNS0_4arch9wavefront6targetE1EEEvSK_,"axG",@progbits,_ZN7rocprim17ROCPRIM_400000_NS6detail17trampoline_kernelINS0_14default_configENS1_22reduce_config_selectorIjEEZNS1_11reduce_implILb1ES3_N6thrust23THRUST_200600_302600_NS6detail15normal_iteratorINS8_10device_ptrIjEEEEPiiNS8_4plusIiEEEE10hipError_tPvRmT1_T2_T3_mT4_P12ihipStream_tbEUlT_E0_NS1_11comp_targetILNS1_3genE4ELNS1_11target_archE910ELNS1_3gpuE8ELNS1_3repE0EEENS1_30default_config_static_selectorELNS0_4arch9wavefront6targetE1EEEvSK_,comdat
	.protected	_ZN7rocprim17ROCPRIM_400000_NS6detail17trampoline_kernelINS0_14default_configENS1_22reduce_config_selectorIjEEZNS1_11reduce_implILb1ES3_N6thrust23THRUST_200600_302600_NS6detail15normal_iteratorINS8_10device_ptrIjEEEEPiiNS8_4plusIiEEEE10hipError_tPvRmT1_T2_T3_mT4_P12ihipStream_tbEUlT_E0_NS1_11comp_targetILNS1_3genE4ELNS1_11target_archE910ELNS1_3gpuE8ELNS1_3repE0EEENS1_30default_config_static_selectorELNS0_4arch9wavefront6targetE1EEEvSK_ ; -- Begin function _ZN7rocprim17ROCPRIM_400000_NS6detail17trampoline_kernelINS0_14default_configENS1_22reduce_config_selectorIjEEZNS1_11reduce_implILb1ES3_N6thrust23THRUST_200600_302600_NS6detail15normal_iteratorINS8_10device_ptrIjEEEEPiiNS8_4plusIiEEEE10hipError_tPvRmT1_T2_T3_mT4_P12ihipStream_tbEUlT_E0_NS1_11comp_targetILNS1_3genE4ELNS1_11target_archE910ELNS1_3gpuE8ELNS1_3repE0EEENS1_30default_config_static_selectorELNS0_4arch9wavefront6targetE1EEEvSK_
	.globl	_ZN7rocprim17ROCPRIM_400000_NS6detail17trampoline_kernelINS0_14default_configENS1_22reduce_config_selectorIjEEZNS1_11reduce_implILb1ES3_N6thrust23THRUST_200600_302600_NS6detail15normal_iteratorINS8_10device_ptrIjEEEEPiiNS8_4plusIiEEEE10hipError_tPvRmT1_T2_T3_mT4_P12ihipStream_tbEUlT_E0_NS1_11comp_targetILNS1_3genE4ELNS1_11target_archE910ELNS1_3gpuE8ELNS1_3repE0EEENS1_30default_config_static_selectorELNS0_4arch9wavefront6targetE1EEEvSK_
	.p2align	8
	.type	_ZN7rocprim17ROCPRIM_400000_NS6detail17trampoline_kernelINS0_14default_configENS1_22reduce_config_selectorIjEEZNS1_11reduce_implILb1ES3_N6thrust23THRUST_200600_302600_NS6detail15normal_iteratorINS8_10device_ptrIjEEEEPiiNS8_4plusIiEEEE10hipError_tPvRmT1_T2_T3_mT4_P12ihipStream_tbEUlT_E0_NS1_11comp_targetILNS1_3genE4ELNS1_11target_archE910ELNS1_3gpuE8ELNS1_3repE0EEENS1_30default_config_static_selectorELNS0_4arch9wavefront6targetE1EEEvSK_,@function
_ZN7rocprim17ROCPRIM_400000_NS6detail17trampoline_kernelINS0_14default_configENS1_22reduce_config_selectorIjEEZNS1_11reduce_implILb1ES3_N6thrust23THRUST_200600_302600_NS6detail15normal_iteratorINS8_10device_ptrIjEEEEPiiNS8_4plusIiEEEE10hipError_tPvRmT1_T2_T3_mT4_P12ihipStream_tbEUlT_E0_NS1_11comp_targetILNS1_3genE4ELNS1_11target_archE910ELNS1_3gpuE8ELNS1_3repE0EEENS1_30default_config_static_selectorELNS0_4arch9wavefront6targetE1EEEvSK_: ; @_ZN7rocprim17ROCPRIM_400000_NS6detail17trampoline_kernelINS0_14default_configENS1_22reduce_config_selectorIjEEZNS1_11reduce_implILb1ES3_N6thrust23THRUST_200600_302600_NS6detail15normal_iteratorINS8_10device_ptrIjEEEEPiiNS8_4plusIiEEEE10hipError_tPvRmT1_T2_T3_mT4_P12ihipStream_tbEUlT_E0_NS1_11comp_targetILNS1_3genE4ELNS1_11target_archE910ELNS1_3gpuE8ELNS1_3repE0EEENS1_30default_config_static_selectorELNS0_4arch9wavefront6targetE1EEEvSK_
; %bb.0:
	.section	.rodata,"a",@progbits
	.p2align	6, 0x0
	.amdhsa_kernel _ZN7rocprim17ROCPRIM_400000_NS6detail17trampoline_kernelINS0_14default_configENS1_22reduce_config_selectorIjEEZNS1_11reduce_implILb1ES3_N6thrust23THRUST_200600_302600_NS6detail15normal_iteratorINS8_10device_ptrIjEEEEPiiNS8_4plusIiEEEE10hipError_tPvRmT1_T2_T3_mT4_P12ihipStream_tbEUlT_E0_NS1_11comp_targetILNS1_3genE4ELNS1_11target_archE910ELNS1_3gpuE8ELNS1_3repE0EEENS1_30default_config_static_selectorELNS0_4arch9wavefront6targetE1EEEvSK_
		.amdhsa_group_segment_fixed_size 0
		.amdhsa_private_segment_fixed_size 0
		.amdhsa_kernarg_size 56
		.amdhsa_user_sgpr_count 2
		.amdhsa_user_sgpr_dispatch_ptr 0
		.amdhsa_user_sgpr_queue_ptr 0
		.amdhsa_user_sgpr_kernarg_segment_ptr 1
		.amdhsa_user_sgpr_dispatch_id 0
		.amdhsa_user_sgpr_kernarg_preload_length 0
		.amdhsa_user_sgpr_kernarg_preload_offset 0
		.amdhsa_user_sgpr_private_segment_size 0
		.amdhsa_uses_dynamic_stack 0
		.amdhsa_enable_private_segment 0
		.amdhsa_system_sgpr_workgroup_id_x 1
		.amdhsa_system_sgpr_workgroup_id_y 0
		.amdhsa_system_sgpr_workgroup_id_z 0
		.amdhsa_system_sgpr_workgroup_info 0
		.amdhsa_system_vgpr_workitem_id 0
		.amdhsa_next_free_vgpr 1
		.amdhsa_next_free_sgpr 0
		.amdhsa_accum_offset 4
		.amdhsa_reserve_vcc 0
		.amdhsa_float_round_mode_32 0
		.amdhsa_float_round_mode_16_64 0
		.amdhsa_float_denorm_mode_32 3
		.amdhsa_float_denorm_mode_16_64 3
		.amdhsa_dx10_clamp 1
		.amdhsa_ieee_mode 1
		.amdhsa_fp16_overflow 0
		.amdhsa_tg_split 0
		.amdhsa_exception_fp_ieee_invalid_op 0
		.amdhsa_exception_fp_denorm_src 0
		.amdhsa_exception_fp_ieee_div_zero 0
		.amdhsa_exception_fp_ieee_overflow 0
		.amdhsa_exception_fp_ieee_underflow 0
		.amdhsa_exception_fp_ieee_inexact 0
		.amdhsa_exception_int_div_zero 0
	.end_amdhsa_kernel
	.section	.text._ZN7rocprim17ROCPRIM_400000_NS6detail17trampoline_kernelINS0_14default_configENS1_22reduce_config_selectorIjEEZNS1_11reduce_implILb1ES3_N6thrust23THRUST_200600_302600_NS6detail15normal_iteratorINS8_10device_ptrIjEEEEPiiNS8_4plusIiEEEE10hipError_tPvRmT1_T2_T3_mT4_P12ihipStream_tbEUlT_E0_NS1_11comp_targetILNS1_3genE4ELNS1_11target_archE910ELNS1_3gpuE8ELNS1_3repE0EEENS1_30default_config_static_selectorELNS0_4arch9wavefront6targetE1EEEvSK_,"axG",@progbits,_ZN7rocprim17ROCPRIM_400000_NS6detail17trampoline_kernelINS0_14default_configENS1_22reduce_config_selectorIjEEZNS1_11reduce_implILb1ES3_N6thrust23THRUST_200600_302600_NS6detail15normal_iteratorINS8_10device_ptrIjEEEEPiiNS8_4plusIiEEEE10hipError_tPvRmT1_T2_T3_mT4_P12ihipStream_tbEUlT_E0_NS1_11comp_targetILNS1_3genE4ELNS1_11target_archE910ELNS1_3gpuE8ELNS1_3repE0EEENS1_30default_config_static_selectorELNS0_4arch9wavefront6targetE1EEEvSK_,comdat
.Lfunc_end389:
	.size	_ZN7rocprim17ROCPRIM_400000_NS6detail17trampoline_kernelINS0_14default_configENS1_22reduce_config_selectorIjEEZNS1_11reduce_implILb1ES3_N6thrust23THRUST_200600_302600_NS6detail15normal_iteratorINS8_10device_ptrIjEEEEPiiNS8_4plusIiEEEE10hipError_tPvRmT1_T2_T3_mT4_P12ihipStream_tbEUlT_E0_NS1_11comp_targetILNS1_3genE4ELNS1_11target_archE910ELNS1_3gpuE8ELNS1_3repE0EEENS1_30default_config_static_selectorELNS0_4arch9wavefront6targetE1EEEvSK_, .Lfunc_end389-_ZN7rocprim17ROCPRIM_400000_NS6detail17trampoline_kernelINS0_14default_configENS1_22reduce_config_selectorIjEEZNS1_11reduce_implILb1ES3_N6thrust23THRUST_200600_302600_NS6detail15normal_iteratorINS8_10device_ptrIjEEEEPiiNS8_4plusIiEEEE10hipError_tPvRmT1_T2_T3_mT4_P12ihipStream_tbEUlT_E0_NS1_11comp_targetILNS1_3genE4ELNS1_11target_archE910ELNS1_3gpuE8ELNS1_3repE0EEENS1_30default_config_static_selectorELNS0_4arch9wavefront6targetE1EEEvSK_
                                        ; -- End function
	.set _ZN7rocprim17ROCPRIM_400000_NS6detail17trampoline_kernelINS0_14default_configENS1_22reduce_config_selectorIjEEZNS1_11reduce_implILb1ES3_N6thrust23THRUST_200600_302600_NS6detail15normal_iteratorINS8_10device_ptrIjEEEEPiiNS8_4plusIiEEEE10hipError_tPvRmT1_T2_T3_mT4_P12ihipStream_tbEUlT_E0_NS1_11comp_targetILNS1_3genE4ELNS1_11target_archE910ELNS1_3gpuE8ELNS1_3repE0EEENS1_30default_config_static_selectorELNS0_4arch9wavefront6targetE1EEEvSK_.num_vgpr, 0
	.set _ZN7rocprim17ROCPRIM_400000_NS6detail17trampoline_kernelINS0_14default_configENS1_22reduce_config_selectorIjEEZNS1_11reduce_implILb1ES3_N6thrust23THRUST_200600_302600_NS6detail15normal_iteratorINS8_10device_ptrIjEEEEPiiNS8_4plusIiEEEE10hipError_tPvRmT1_T2_T3_mT4_P12ihipStream_tbEUlT_E0_NS1_11comp_targetILNS1_3genE4ELNS1_11target_archE910ELNS1_3gpuE8ELNS1_3repE0EEENS1_30default_config_static_selectorELNS0_4arch9wavefront6targetE1EEEvSK_.num_agpr, 0
	.set _ZN7rocprim17ROCPRIM_400000_NS6detail17trampoline_kernelINS0_14default_configENS1_22reduce_config_selectorIjEEZNS1_11reduce_implILb1ES3_N6thrust23THRUST_200600_302600_NS6detail15normal_iteratorINS8_10device_ptrIjEEEEPiiNS8_4plusIiEEEE10hipError_tPvRmT1_T2_T3_mT4_P12ihipStream_tbEUlT_E0_NS1_11comp_targetILNS1_3genE4ELNS1_11target_archE910ELNS1_3gpuE8ELNS1_3repE0EEENS1_30default_config_static_selectorELNS0_4arch9wavefront6targetE1EEEvSK_.numbered_sgpr, 0
	.set _ZN7rocprim17ROCPRIM_400000_NS6detail17trampoline_kernelINS0_14default_configENS1_22reduce_config_selectorIjEEZNS1_11reduce_implILb1ES3_N6thrust23THRUST_200600_302600_NS6detail15normal_iteratorINS8_10device_ptrIjEEEEPiiNS8_4plusIiEEEE10hipError_tPvRmT1_T2_T3_mT4_P12ihipStream_tbEUlT_E0_NS1_11comp_targetILNS1_3genE4ELNS1_11target_archE910ELNS1_3gpuE8ELNS1_3repE0EEENS1_30default_config_static_selectorELNS0_4arch9wavefront6targetE1EEEvSK_.num_named_barrier, 0
	.set _ZN7rocprim17ROCPRIM_400000_NS6detail17trampoline_kernelINS0_14default_configENS1_22reduce_config_selectorIjEEZNS1_11reduce_implILb1ES3_N6thrust23THRUST_200600_302600_NS6detail15normal_iteratorINS8_10device_ptrIjEEEEPiiNS8_4plusIiEEEE10hipError_tPvRmT1_T2_T3_mT4_P12ihipStream_tbEUlT_E0_NS1_11comp_targetILNS1_3genE4ELNS1_11target_archE910ELNS1_3gpuE8ELNS1_3repE0EEENS1_30default_config_static_selectorELNS0_4arch9wavefront6targetE1EEEvSK_.private_seg_size, 0
	.set _ZN7rocprim17ROCPRIM_400000_NS6detail17trampoline_kernelINS0_14default_configENS1_22reduce_config_selectorIjEEZNS1_11reduce_implILb1ES3_N6thrust23THRUST_200600_302600_NS6detail15normal_iteratorINS8_10device_ptrIjEEEEPiiNS8_4plusIiEEEE10hipError_tPvRmT1_T2_T3_mT4_P12ihipStream_tbEUlT_E0_NS1_11comp_targetILNS1_3genE4ELNS1_11target_archE910ELNS1_3gpuE8ELNS1_3repE0EEENS1_30default_config_static_selectorELNS0_4arch9wavefront6targetE1EEEvSK_.uses_vcc, 0
	.set _ZN7rocprim17ROCPRIM_400000_NS6detail17trampoline_kernelINS0_14default_configENS1_22reduce_config_selectorIjEEZNS1_11reduce_implILb1ES3_N6thrust23THRUST_200600_302600_NS6detail15normal_iteratorINS8_10device_ptrIjEEEEPiiNS8_4plusIiEEEE10hipError_tPvRmT1_T2_T3_mT4_P12ihipStream_tbEUlT_E0_NS1_11comp_targetILNS1_3genE4ELNS1_11target_archE910ELNS1_3gpuE8ELNS1_3repE0EEENS1_30default_config_static_selectorELNS0_4arch9wavefront6targetE1EEEvSK_.uses_flat_scratch, 0
	.set _ZN7rocprim17ROCPRIM_400000_NS6detail17trampoline_kernelINS0_14default_configENS1_22reduce_config_selectorIjEEZNS1_11reduce_implILb1ES3_N6thrust23THRUST_200600_302600_NS6detail15normal_iteratorINS8_10device_ptrIjEEEEPiiNS8_4plusIiEEEE10hipError_tPvRmT1_T2_T3_mT4_P12ihipStream_tbEUlT_E0_NS1_11comp_targetILNS1_3genE4ELNS1_11target_archE910ELNS1_3gpuE8ELNS1_3repE0EEENS1_30default_config_static_selectorELNS0_4arch9wavefront6targetE1EEEvSK_.has_dyn_sized_stack, 0
	.set _ZN7rocprim17ROCPRIM_400000_NS6detail17trampoline_kernelINS0_14default_configENS1_22reduce_config_selectorIjEEZNS1_11reduce_implILb1ES3_N6thrust23THRUST_200600_302600_NS6detail15normal_iteratorINS8_10device_ptrIjEEEEPiiNS8_4plusIiEEEE10hipError_tPvRmT1_T2_T3_mT4_P12ihipStream_tbEUlT_E0_NS1_11comp_targetILNS1_3genE4ELNS1_11target_archE910ELNS1_3gpuE8ELNS1_3repE0EEENS1_30default_config_static_selectorELNS0_4arch9wavefront6targetE1EEEvSK_.has_recursion, 0
	.set _ZN7rocprim17ROCPRIM_400000_NS6detail17trampoline_kernelINS0_14default_configENS1_22reduce_config_selectorIjEEZNS1_11reduce_implILb1ES3_N6thrust23THRUST_200600_302600_NS6detail15normal_iteratorINS8_10device_ptrIjEEEEPiiNS8_4plusIiEEEE10hipError_tPvRmT1_T2_T3_mT4_P12ihipStream_tbEUlT_E0_NS1_11comp_targetILNS1_3genE4ELNS1_11target_archE910ELNS1_3gpuE8ELNS1_3repE0EEENS1_30default_config_static_selectorELNS0_4arch9wavefront6targetE1EEEvSK_.has_indirect_call, 0
	.section	.AMDGPU.csdata,"",@progbits
; Kernel info:
; codeLenInByte = 0
; TotalNumSgprs: 6
; NumVgprs: 0
; NumAgprs: 0
; TotalNumVgprs: 0
; ScratchSize: 0
; MemoryBound: 0
; FloatMode: 240
; IeeeMode: 1
; LDSByteSize: 0 bytes/workgroup (compile time only)
; SGPRBlocks: 0
; VGPRBlocks: 0
; NumSGPRsForWavesPerEU: 6
; NumVGPRsForWavesPerEU: 1
; AccumOffset: 4
; Occupancy: 8
; WaveLimiterHint : 0
; COMPUTE_PGM_RSRC2:SCRATCH_EN: 0
; COMPUTE_PGM_RSRC2:USER_SGPR: 2
; COMPUTE_PGM_RSRC2:TRAP_HANDLER: 0
; COMPUTE_PGM_RSRC2:TGID_X_EN: 1
; COMPUTE_PGM_RSRC2:TGID_Y_EN: 0
; COMPUTE_PGM_RSRC2:TGID_Z_EN: 0
; COMPUTE_PGM_RSRC2:TIDIG_COMP_CNT: 0
; COMPUTE_PGM_RSRC3_GFX90A:ACCUM_OFFSET: 0
; COMPUTE_PGM_RSRC3_GFX90A:TG_SPLIT: 0
	.section	.text._ZN7rocprim17ROCPRIM_400000_NS6detail17trampoline_kernelINS0_14default_configENS1_22reduce_config_selectorIjEEZNS1_11reduce_implILb1ES3_N6thrust23THRUST_200600_302600_NS6detail15normal_iteratorINS8_10device_ptrIjEEEEPiiNS8_4plusIiEEEE10hipError_tPvRmT1_T2_T3_mT4_P12ihipStream_tbEUlT_E0_NS1_11comp_targetILNS1_3genE3ELNS1_11target_archE908ELNS1_3gpuE7ELNS1_3repE0EEENS1_30default_config_static_selectorELNS0_4arch9wavefront6targetE1EEEvSK_,"axG",@progbits,_ZN7rocprim17ROCPRIM_400000_NS6detail17trampoline_kernelINS0_14default_configENS1_22reduce_config_selectorIjEEZNS1_11reduce_implILb1ES3_N6thrust23THRUST_200600_302600_NS6detail15normal_iteratorINS8_10device_ptrIjEEEEPiiNS8_4plusIiEEEE10hipError_tPvRmT1_T2_T3_mT4_P12ihipStream_tbEUlT_E0_NS1_11comp_targetILNS1_3genE3ELNS1_11target_archE908ELNS1_3gpuE7ELNS1_3repE0EEENS1_30default_config_static_selectorELNS0_4arch9wavefront6targetE1EEEvSK_,comdat
	.protected	_ZN7rocprim17ROCPRIM_400000_NS6detail17trampoline_kernelINS0_14default_configENS1_22reduce_config_selectorIjEEZNS1_11reduce_implILb1ES3_N6thrust23THRUST_200600_302600_NS6detail15normal_iteratorINS8_10device_ptrIjEEEEPiiNS8_4plusIiEEEE10hipError_tPvRmT1_T2_T3_mT4_P12ihipStream_tbEUlT_E0_NS1_11comp_targetILNS1_3genE3ELNS1_11target_archE908ELNS1_3gpuE7ELNS1_3repE0EEENS1_30default_config_static_selectorELNS0_4arch9wavefront6targetE1EEEvSK_ ; -- Begin function _ZN7rocprim17ROCPRIM_400000_NS6detail17trampoline_kernelINS0_14default_configENS1_22reduce_config_selectorIjEEZNS1_11reduce_implILb1ES3_N6thrust23THRUST_200600_302600_NS6detail15normal_iteratorINS8_10device_ptrIjEEEEPiiNS8_4plusIiEEEE10hipError_tPvRmT1_T2_T3_mT4_P12ihipStream_tbEUlT_E0_NS1_11comp_targetILNS1_3genE3ELNS1_11target_archE908ELNS1_3gpuE7ELNS1_3repE0EEENS1_30default_config_static_selectorELNS0_4arch9wavefront6targetE1EEEvSK_
	.globl	_ZN7rocprim17ROCPRIM_400000_NS6detail17trampoline_kernelINS0_14default_configENS1_22reduce_config_selectorIjEEZNS1_11reduce_implILb1ES3_N6thrust23THRUST_200600_302600_NS6detail15normal_iteratorINS8_10device_ptrIjEEEEPiiNS8_4plusIiEEEE10hipError_tPvRmT1_T2_T3_mT4_P12ihipStream_tbEUlT_E0_NS1_11comp_targetILNS1_3genE3ELNS1_11target_archE908ELNS1_3gpuE7ELNS1_3repE0EEENS1_30default_config_static_selectorELNS0_4arch9wavefront6targetE1EEEvSK_
	.p2align	8
	.type	_ZN7rocprim17ROCPRIM_400000_NS6detail17trampoline_kernelINS0_14default_configENS1_22reduce_config_selectorIjEEZNS1_11reduce_implILb1ES3_N6thrust23THRUST_200600_302600_NS6detail15normal_iteratorINS8_10device_ptrIjEEEEPiiNS8_4plusIiEEEE10hipError_tPvRmT1_T2_T3_mT4_P12ihipStream_tbEUlT_E0_NS1_11comp_targetILNS1_3genE3ELNS1_11target_archE908ELNS1_3gpuE7ELNS1_3repE0EEENS1_30default_config_static_selectorELNS0_4arch9wavefront6targetE1EEEvSK_,@function
_ZN7rocprim17ROCPRIM_400000_NS6detail17trampoline_kernelINS0_14default_configENS1_22reduce_config_selectorIjEEZNS1_11reduce_implILb1ES3_N6thrust23THRUST_200600_302600_NS6detail15normal_iteratorINS8_10device_ptrIjEEEEPiiNS8_4plusIiEEEE10hipError_tPvRmT1_T2_T3_mT4_P12ihipStream_tbEUlT_E0_NS1_11comp_targetILNS1_3genE3ELNS1_11target_archE908ELNS1_3gpuE7ELNS1_3repE0EEENS1_30default_config_static_selectorELNS0_4arch9wavefront6targetE1EEEvSK_: ; @_ZN7rocprim17ROCPRIM_400000_NS6detail17trampoline_kernelINS0_14default_configENS1_22reduce_config_selectorIjEEZNS1_11reduce_implILb1ES3_N6thrust23THRUST_200600_302600_NS6detail15normal_iteratorINS8_10device_ptrIjEEEEPiiNS8_4plusIiEEEE10hipError_tPvRmT1_T2_T3_mT4_P12ihipStream_tbEUlT_E0_NS1_11comp_targetILNS1_3genE3ELNS1_11target_archE908ELNS1_3gpuE7ELNS1_3repE0EEENS1_30default_config_static_selectorELNS0_4arch9wavefront6targetE1EEEvSK_
; %bb.0:
	.section	.rodata,"a",@progbits
	.p2align	6, 0x0
	.amdhsa_kernel _ZN7rocprim17ROCPRIM_400000_NS6detail17trampoline_kernelINS0_14default_configENS1_22reduce_config_selectorIjEEZNS1_11reduce_implILb1ES3_N6thrust23THRUST_200600_302600_NS6detail15normal_iteratorINS8_10device_ptrIjEEEEPiiNS8_4plusIiEEEE10hipError_tPvRmT1_T2_T3_mT4_P12ihipStream_tbEUlT_E0_NS1_11comp_targetILNS1_3genE3ELNS1_11target_archE908ELNS1_3gpuE7ELNS1_3repE0EEENS1_30default_config_static_selectorELNS0_4arch9wavefront6targetE1EEEvSK_
		.amdhsa_group_segment_fixed_size 0
		.amdhsa_private_segment_fixed_size 0
		.amdhsa_kernarg_size 56
		.amdhsa_user_sgpr_count 2
		.amdhsa_user_sgpr_dispatch_ptr 0
		.amdhsa_user_sgpr_queue_ptr 0
		.amdhsa_user_sgpr_kernarg_segment_ptr 1
		.amdhsa_user_sgpr_dispatch_id 0
		.amdhsa_user_sgpr_kernarg_preload_length 0
		.amdhsa_user_sgpr_kernarg_preload_offset 0
		.amdhsa_user_sgpr_private_segment_size 0
		.amdhsa_uses_dynamic_stack 0
		.amdhsa_enable_private_segment 0
		.amdhsa_system_sgpr_workgroup_id_x 1
		.amdhsa_system_sgpr_workgroup_id_y 0
		.amdhsa_system_sgpr_workgroup_id_z 0
		.amdhsa_system_sgpr_workgroup_info 0
		.amdhsa_system_vgpr_workitem_id 0
		.amdhsa_next_free_vgpr 1
		.amdhsa_next_free_sgpr 0
		.amdhsa_accum_offset 4
		.amdhsa_reserve_vcc 0
		.amdhsa_float_round_mode_32 0
		.amdhsa_float_round_mode_16_64 0
		.amdhsa_float_denorm_mode_32 3
		.amdhsa_float_denorm_mode_16_64 3
		.amdhsa_dx10_clamp 1
		.amdhsa_ieee_mode 1
		.amdhsa_fp16_overflow 0
		.amdhsa_tg_split 0
		.amdhsa_exception_fp_ieee_invalid_op 0
		.amdhsa_exception_fp_denorm_src 0
		.amdhsa_exception_fp_ieee_div_zero 0
		.amdhsa_exception_fp_ieee_overflow 0
		.amdhsa_exception_fp_ieee_underflow 0
		.amdhsa_exception_fp_ieee_inexact 0
		.amdhsa_exception_int_div_zero 0
	.end_amdhsa_kernel
	.section	.text._ZN7rocprim17ROCPRIM_400000_NS6detail17trampoline_kernelINS0_14default_configENS1_22reduce_config_selectorIjEEZNS1_11reduce_implILb1ES3_N6thrust23THRUST_200600_302600_NS6detail15normal_iteratorINS8_10device_ptrIjEEEEPiiNS8_4plusIiEEEE10hipError_tPvRmT1_T2_T3_mT4_P12ihipStream_tbEUlT_E0_NS1_11comp_targetILNS1_3genE3ELNS1_11target_archE908ELNS1_3gpuE7ELNS1_3repE0EEENS1_30default_config_static_selectorELNS0_4arch9wavefront6targetE1EEEvSK_,"axG",@progbits,_ZN7rocprim17ROCPRIM_400000_NS6detail17trampoline_kernelINS0_14default_configENS1_22reduce_config_selectorIjEEZNS1_11reduce_implILb1ES3_N6thrust23THRUST_200600_302600_NS6detail15normal_iteratorINS8_10device_ptrIjEEEEPiiNS8_4plusIiEEEE10hipError_tPvRmT1_T2_T3_mT4_P12ihipStream_tbEUlT_E0_NS1_11comp_targetILNS1_3genE3ELNS1_11target_archE908ELNS1_3gpuE7ELNS1_3repE0EEENS1_30default_config_static_selectorELNS0_4arch9wavefront6targetE1EEEvSK_,comdat
.Lfunc_end390:
	.size	_ZN7rocprim17ROCPRIM_400000_NS6detail17trampoline_kernelINS0_14default_configENS1_22reduce_config_selectorIjEEZNS1_11reduce_implILb1ES3_N6thrust23THRUST_200600_302600_NS6detail15normal_iteratorINS8_10device_ptrIjEEEEPiiNS8_4plusIiEEEE10hipError_tPvRmT1_T2_T3_mT4_P12ihipStream_tbEUlT_E0_NS1_11comp_targetILNS1_3genE3ELNS1_11target_archE908ELNS1_3gpuE7ELNS1_3repE0EEENS1_30default_config_static_selectorELNS0_4arch9wavefront6targetE1EEEvSK_, .Lfunc_end390-_ZN7rocprim17ROCPRIM_400000_NS6detail17trampoline_kernelINS0_14default_configENS1_22reduce_config_selectorIjEEZNS1_11reduce_implILb1ES3_N6thrust23THRUST_200600_302600_NS6detail15normal_iteratorINS8_10device_ptrIjEEEEPiiNS8_4plusIiEEEE10hipError_tPvRmT1_T2_T3_mT4_P12ihipStream_tbEUlT_E0_NS1_11comp_targetILNS1_3genE3ELNS1_11target_archE908ELNS1_3gpuE7ELNS1_3repE0EEENS1_30default_config_static_selectorELNS0_4arch9wavefront6targetE1EEEvSK_
                                        ; -- End function
	.set _ZN7rocprim17ROCPRIM_400000_NS6detail17trampoline_kernelINS0_14default_configENS1_22reduce_config_selectorIjEEZNS1_11reduce_implILb1ES3_N6thrust23THRUST_200600_302600_NS6detail15normal_iteratorINS8_10device_ptrIjEEEEPiiNS8_4plusIiEEEE10hipError_tPvRmT1_T2_T3_mT4_P12ihipStream_tbEUlT_E0_NS1_11comp_targetILNS1_3genE3ELNS1_11target_archE908ELNS1_3gpuE7ELNS1_3repE0EEENS1_30default_config_static_selectorELNS0_4arch9wavefront6targetE1EEEvSK_.num_vgpr, 0
	.set _ZN7rocprim17ROCPRIM_400000_NS6detail17trampoline_kernelINS0_14default_configENS1_22reduce_config_selectorIjEEZNS1_11reduce_implILb1ES3_N6thrust23THRUST_200600_302600_NS6detail15normal_iteratorINS8_10device_ptrIjEEEEPiiNS8_4plusIiEEEE10hipError_tPvRmT1_T2_T3_mT4_P12ihipStream_tbEUlT_E0_NS1_11comp_targetILNS1_3genE3ELNS1_11target_archE908ELNS1_3gpuE7ELNS1_3repE0EEENS1_30default_config_static_selectorELNS0_4arch9wavefront6targetE1EEEvSK_.num_agpr, 0
	.set _ZN7rocprim17ROCPRIM_400000_NS6detail17trampoline_kernelINS0_14default_configENS1_22reduce_config_selectorIjEEZNS1_11reduce_implILb1ES3_N6thrust23THRUST_200600_302600_NS6detail15normal_iteratorINS8_10device_ptrIjEEEEPiiNS8_4plusIiEEEE10hipError_tPvRmT1_T2_T3_mT4_P12ihipStream_tbEUlT_E0_NS1_11comp_targetILNS1_3genE3ELNS1_11target_archE908ELNS1_3gpuE7ELNS1_3repE0EEENS1_30default_config_static_selectorELNS0_4arch9wavefront6targetE1EEEvSK_.numbered_sgpr, 0
	.set _ZN7rocprim17ROCPRIM_400000_NS6detail17trampoline_kernelINS0_14default_configENS1_22reduce_config_selectorIjEEZNS1_11reduce_implILb1ES3_N6thrust23THRUST_200600_302600_NS6detail15normal_iteratorINS8_10device_ptrIjEEEEPiiNS8_4plusIiEEEE10hipError_tPvRmT1_T2_T3_mT4_P12ihipStream_tbEUlT_E0_NS1_11comp_targetILNS1_3genE3ELNS1_11target_archE908ELNS1_3gpuE7ELNS1_3repE0EEENS1_30default_config_static_selectorELNS0_4arch9wavefront6targetE1EEEvSK_.num_named_barrier, 0
	.set _ZN7rocprim17ROCPRIM_400000_NS6detail17trampoline_kernelINS0_14default_configENS1_22reduce_config_selectorIjEEZNS1_11reduce_implILb1ES3_N6thrust23THRUST_200600_302600_NS6detail15normal_iteratorINS8_10device_ptrIjEEEEPiiNS8_4plusIiEEEE10hipError_tPvRmT1_T2_T3_mT4_P12ihipStream_tbEUlT_E0_NS1_11comp_targetILNS1_3genE3ELNS1_11target_archE908ELNS1_3gpuE7ELNS1_3repE0EEENS1_30default_config_static_selectorELNS0_4arch9wavefront6targetE1EEEvSK_.private_seg_size, 0
	.set _ZN7rocprim17ROCPRIM_400000_NS6detail17trampoline_kernelINS0_14default_configENS1_22reduce_config_selectorIjEEZNS1_11reduce_implILb1ES3_N6thrust23THRUST_200600_302600_NS6detail15normal_iteratorINS8_10device_ptrIjEEEEPiiNS8_4plusIiEEEE10hipError_tPvRmT1_T2_T3_mT4_P12ihipStream_tbEUlT_E0_NS1_11comp_targetILNS1_3genE3ELNS1_11target_archE908ELNS1_3gpuE7ELNS1_3repE0EEENS1_30default_config_static_selectorELNS0_4arch9wavefront6targetE1EEEvSK_.uses_vcc, 0
	.set _ZN7rocprim17ROCPRIM_400000_NS6detail17trampoline_kernelINS0_14default_configENS1_22reduce_config_selectorIjEEZNS1_11reduce_implILb1ES3_N6thrust23THRUST_200600_302600_NS6detail15normal_iteratorINS8_10device_ptrIjEEEEPiiNS8_4plusIiEEEE10hipError_tPvRmT1_T2_T3_mT4_P12ihipStream_tbEUlT_E0_NS1_11comp_targetILNS1_3genE3ELNS1_11target_archE908ELNS1_3gpuE7ELNS1_3repE0EEENS1_30default_config_static_selectorELNS0_4arch9wavefront6targetE1EEEvSK_.uses_flat_scratch, 0
	.set _ZN7rocprim17ROCPRIM_400000_NS6detail17trampoline_kernelINS0_14default_configENS1_22reduce_config_selectorIjEEZNS1_11reduce_implILb1ES3_N6thrust23THRUST_200600_302600_NS6detail15normal_iteratorINS8_10device_ptrIjEEEEPiiNS8_4plusIiEEEE10hipError_tPvRmT1_T2_T3_mT4_P12ihipStream_tbEUlT_E0_NS1_11comp_targetILNS1_3genE3ELNS1_11target_archE908ELNS1_3gpuE7ELNS1_3repE0EEENS1_30default_config_static_selectorELNS0_4arch9wavefront6targetE1EEEvSK_.has_dyn_sized_stack, 0
	.set _ZN7rocprim17ROCPRIM_400000_NS6detail17trampoline_kernelINS0_14default_configENS1_22reduce_config_selectorIjEEZNS1_11reduce_implILb1ES3_N6thrust23THRUST_200600_302600_NS6detail15normal_iteratorINS8_10device_ptrIjEEEEPiiNS8_4plusIiEEEE10hipError_tPvRmT1_T2_T3_mT4_P12ihipStream_tbEUlT_E0_NS1_11comp_targetILNS1_3genE3ELNS1_11target_archE908ELNS1_3gpuE7ELNS1_3repE0EEENS1_30default_config_static_selectorELNS0_4arch9wavefront6targetE1EEEvSK_.has_recursion, 0
	.set _ZN7rocprim17ROCPRIM_400000_NS6detail17trampoline_kernelINS0_14default_configENS1_22reduce_config_selectorIjEEZNS1_11reduce_implILb1ES3_N6thrust23THRUST_200600_302600_NS6detail15normal_iteratorINS8_10device_ptrIjEEEEPiiNS8_4plusIiEEEE10hipError_tPvRmT1_T2_T3_mT4_P12ihipStream_tbEUlT_E0_NS1_11comp_targetILNS1_3genE3ELNS1_11target_archE908ELNS1_3gpuE7ELNS1_3repE0EEENS1_30default_config_static_selectorELNS0_4arch9wavefront6targetE1EEEvSK_.has_indirect_call, 0
	.section	.AMDGPU.csdata,"",@progbits
; Kernel info:
; codeLenInByte = 0
; TotalNumSgprs: 6
; NumVgprs: 0
; NumAgprs: 0
; TotalNumVgprs: 0
; ScratchSize: 0
; MemoryBound: 0
; FloatMode: 240
; IeeeMode: 1
; LDSByteSize: 0 bytes/workgroup (compile time only)
; SGPRBlocks: 0
; VGPRBlocks: 0
; NumSGPRsForWavesPerEU: 6
; NumVGPRsForWavesPerEU: 1
; AccumOffset: 4
; Occupancy: 8
; WaveLimiterHint : 0
; COMPUTE_PGM_RSRC2:SCRATCH_EN: 0
; COMPUTE_PGM_RSRC2:USER_SGPR: 2
; COMPUTE_PGM_RSRC2:TRAP_HANDLER: 0
; COMPUTE_PGM_RSRC2:TGID_X_EN: 1
; COMPUTE_PGM_RSRC2:TGID_Y_EN: 0
; COMPUTE_PGM_RSRC2:TGID_Z_EN: 0
; COMPUTE_PGM_RSRC2:TIDIG_COMP_CNT: 0
; COMPUTE_PGM_RSRC3_GFX90A:ACCUM_OFFSET: 0
; COMPUTE_PGM_RSRC3_GFX90A:TG_SPLIT: 0
	.section	.text._ZN7rocprim17ROCPRIM_400000_NS6detail17trampoline_kernelINS0_14default_configENS1_22reduce_config_selectorIjEEZNS1_11reduce_implILb1ES3_N6thrust23THRUST_200600_302600_NS6detail15normal_iteratorINS8_10device_ptrIjEEEEPiiNS8_4plusIiEEEE10hipError_tPvRmT1_T2_T3_mT4_P12ihipStream_tbEUlT_E0_NS1_11comp_targetILNS1_3genE2ELNS1_11target_archE906ELNS1_3gpuE6ELNS1_3repE0EEENS1_30default_config_static_selectorELNS0_4arch9wavefront6targetE1EEEvSK_,"axG",@progbits,_ZN7rocprim17ROCPRIM_400000_NS6detail17trampoline_kernelINS0_14default_configENS1_22reduce_config_selectorIjEEZNS1_11reduce_implILb1ES3_N6thrust23THRUST_200600_302600_NS6detail15normal_iteratorINS8_10device_ptrIjEEEEPiiNS8_4plusIiEEEE10hipError_tPvRmT1_T2_T3_mT4_P12ihipStream_tbEUlT_E0_NS1_11comp_targetILNS1_3genE2ELNS1_11target_archE906ELNS1_3gpuE6ELNS1_3repE0EEENS1_30default_config_static_selectorELNS0_4arch9wavefront6targetE1EEEvSK_,comdat
	.protected	_ZN7rocprim17ROCPRIM_400000_NS6detail17trampoline_kernelINS0_14default_configENS1_22reduce_config_selectorIjEEZNS1_11reduce_implILb1ES3_N6thrust23THRUST_200600_302600_NS6detail15normal_iteratorINS8_10device_ptrIjEEEEPiiNS8_4plusIiEEEE10hipError_tPvRmT1_T2_T3_mT4_P12ihipStream_tbEUlT_E0_NS1_11comp_targetILNS1_3genE2ELNS1_11target_archE906ELNS1_3gpuE6ELNS1_3repE0EEENS1_30default_config_static_selectorELNS0_4arch9wavefront6targetE1EEEvSK_ ; -- Begin function _ZN7rocprim17ROCPRIM_400000_NS6detail17trampoline_kernelINS0_14default_configENS1_22reduce_config_selectorIjEEZNS1_11reduce_implILb1ES3_N6thrust23THRUST_200600_302600_NS6detail15normal_iteratorINS8_10device_ptrIjEEEEPiiNS8_4plusIiEEEE10hipError_tPvRmT1_T2_T3_mT4_P12ihipStream_tbEUlT_E0_NS1_11comp_targetILNS1_3genE2ELNS1_11target_archE906ELNS1_3gpuE6ELNS1_3repE0EEENS1_30default_config_static_selectorELNS0_4arch9wavefront6targetE1EEEvSK_
	.globl	_ZN7rocprim17ROCPRIM_400000_NS6detail17trampoline_kernelINS0_14default_configENS1_22reduce_config_selectorIjEEZNS1_11reduce_implILb1ES3_N6thrust23THRUST_200600_302600_NS6detail15normal_iteratorINS8_10device_ptrIjEEEEPiiNS8_4plusIiEEEE10hipError_tPvRmT1_T2_T3_mT4_P12ihipStream_tbEUlT_E0_NS1_11comp_targetILNS1_3genE2ELNS1_11target_archE906ELNS1_3gpuE6ELNS1_3repE0EEENS1_30default_config_static_selectorELNS0_4arch9wavefront6targetE1EEEvSK_
	.p2align	8
	.type	_ZN7rocprim17ROCPRIM_400000_NS6detail17trampoline_kernelINS0_14default_configENS1_22reduce_config_selectorIjEEZNS1_11reduce_implILb1ES3_N6thrust23THRUST_200600_302600_NS6detail15normal_iteratorINS8_10device_ptrIjEEEEPiiNS8_4plusIiEEEE10hipError_tPvRmT1_T2_T3_mT4_P12ihipStream_tbEUlT_E0_NS1_11comp_targetILNS1_3genE2ELNS1_11target_archE906ELNS1_3gpuE6ELNS1_3repE0EEENS1_30default_config_static_selectorELNS0_4arch9wavefront6targetE1EEEvSK_,@function
_ZN7rocprim17ROCPRIM_400000_NS6detail17trampoline_kernelINS0_14default_configENS1_22reduce_config_selectorIjEEZNS1_11reduce_implILb1ES3_N6thrust23THRUST_200600_302600_NS6detail15normal_iteratorINS8_10device_ptrIjEEEEPiiNS8_4plusIiEEEE10hipError_tPvRmT1_T2_T3_mT4_P12ihipStream_tbEUlT_E0_NS1_11comp_targetILNS1_3genE2ELNS1_11target_archE906ELNS1_3gpuE6ELNS1_3repE0EEENS1_30default_config_static_selectorELNS0_4arch9wavefront6targetE1EEEvSK_: ; @_ZN7rocprim17ROCPRIM_400000_NS6detail17trampoline_kernelINS0_14default_configENS1_22reduce_config_selectorIjEEZNS1_11reduce_implILb1ES3_N6thrust23THRUST_200600_302600_NS6detail15normal_iteratorINS8_10device_ptrIjEEEEPiiNS8_4plusIiEEEE10hipError_tPvRmT1_T2_T3_mT4_P12ihipStream_tbEUlT_E0_NS1_11comp_targetILNS1_3genE2ELNS1_11target_archE906ELNS1_3gpuE6ELNS1_3repE0EEENS1_30default_config_static_selectorELNS0_4arch9wavefront6targetE1EEEvSK_
; %bb.0:
	.section	.rodata,"a",@progbits
	.p2align	6, 0x0
	.amdhsa_kernel _ZN7rocprim17ROCPRIM_400000_NS6detail17trampoline_kernelINS0_14default_configENS1_22reduce_config_selectorIjEEZNS1_11reduce_implILb1ES3_N6thrust23THRUST_200600_302600_NS6detail15normal_iteratorINS8_10device_ptrIjEEEEPiiNS8_4plusIiEEEE10hipError_tPvRmT1_T2_T3_mT4_P12ihipStream_tbEUlT_E0_NS1_11comp_targetILNS1_3genE2ELNS1_11target_archE906ELNS1_3gpuE6ELNS1_3repE0EEENS1_30default_config_static_selectorELNS0_4arch9wavefront6targetE1EEEvSK_
		.amdhsa_group_segment_fixed_size 0
		.amdhsa_private_segment_fixed_size 0
		.amdhsa_kernarg_size 56
		.amdhsa_user_sgpr_count 2
		.amdhsa_user_sgpr_dispatch_ptr 0
		.amdhsa_user_sgpr_queue_ptr 0
		.amdhsa_user_sgpr_kernarg_segment_ptr 1
		.amdhsa_user_sgpr_dispatch_id 0
		.amdhsa_user_sgpr_kernarg_preload_length 0
		.amdhsa_user_sgpr_kernarg_preload_offset 0
		.amdhsa_user_sgpr_private_segment_size 0
		.amdhsa_uses_dynamic_stack 0
		.amdhsa_enable_private_segment 0
		.amdhsa_system_sgpr_workgroup_id_x 1
		.amdhsa_system_sgpr_workgroup_id_y 0
		.amdhsa_system_sgpr_workgroup_id_z 0
		.amdhsa_system_sgpr_workgroup_info 0
		.amdhsa_system_vgpr_workitem_id 0
		.amdhsa_next_free_vgpr 1
		.amdhsa_next_free_sgpr 0
		.amdhsa_accum_offset 4
		.amdhsa_reserve_vcc 0
		.amdhsa_float_round_mode_32 0
		.amdhsa_float_round_mode_16_64 0
		.amdhsa_float_denorm_mode_32 3
		.amdhsa_float_denorm_mode_16_64 3
		.amdhsa_dx10_clamp 1
		.amdhsa_ieee_mode 1
		.amdhsa_fp16_overflow 0
		.amdhsa_tg_split 0
		.amdhsa_exception_fp_ieee_invalid_op 0
		.amdhsa_exception_fp_denorm_src 0
		.amdhsa_exception_fp_ieee_div_zero 0
		.amdhsa_exception_fp_ieee_overflow 0
		.amdhsa_exception_fp_ieee_underflow 0
		.amdhsa_exception_fp_ieee_inexact 0
		.amdhsa_exception_int_div_zero 0
	.end_amdhsa_kernel
	.section	.text._ZN7rocprim17ROCPRIM_400000_NS6detail17trampoline_kernelINS0_14default_configENS1_22reduce_config_selectorIjEEZNS1_11reduce_implILb1ES3_N6thrust23THRUST_200600_302600_NS6detail15normal_iteratorINS8_10device_ptrIjEEEEPiiNS8_4plusIiEEEE10hipError_tPvRmT1_T2_T3_mT4_P12ihipStream_tbEUlT_E0_NS1_11comp_targetILNS1_3genE2ELNS1_11target_archE906ELNS1_3gpuE6ELNS1_3repE0EEENS1_30default_config_static_selectorELNS0_4arch9wavefront6targetE1EEEvSK_,"axG",@progbits,_ZN7rocprim17ROCPRIM_400000_NS6detail17trampoline_kernelINS0_14default_configENS1_22reduce_config_selectorIjEEZNS1_11reduce_implILb1ES3_N6thrust23THRUST_200600_302600_NS6detail15normal_iteratorINS8_10device_ptrIjEEEEPiiNS8_4plusIiEEEE10hipError_tPvRmT1_T2_T3_mT4_P12ihipStream_tbEUlT_E0_NS1_11comp_targetILNS1_3genE2ELNS1_11target_archE906ELNS1_3gpuE6ELNS1_3repE0EEENS1_30default_config_static_selectorELNS0_4arch9wavefront6targetE1EEEvSK_,comdat
.Lfunc_end391:
	.size	_ZN7rocprim17ROCPRIM_400000_NS6detail17trampoline_kernelINS0_14default_configENS1_22reduce_config_selectorIjEEZNS1_11reduce_implILb1ES3_N6thrust23THRUST_200600_302600_NS6detail15normal_iteratorINS8_10device_ptrIjEEEEPiiNS8_4plusIiEEEE10hipError_tPvRmT1_T2_T3_mT4_P12ihipStream_tbEUlT_E0_NS1_11comp_targetILNS1_3genE2ELNS1_11target_archE906ELNS1_3gpuE6ELNS1_3repE0EEENS1_30default_config_static_selectorELNS0_4arch9wavefront6targetE1EEEvSK_, .Lfunc_end391-_ZN7rocprim17ROCPRIM_400000_NS6detail17trampoline_kernelINS0_14default_configENS1_22reduce_config_selectorIjEEZNS1_11reduce_implILb1ES3_N6thrust23THRUST_200600_302600_NS6detail15normal_iteratorINS8_10device_ptrIjEEEEPiiNS8_4plusIiEEEE10hipError_tPvRmT1_T2_T3_mT4_P12ihipStream_tbEUlT_E0_NS1_11comp_targetILNS1_3genE2ELNS1_11target_archE906ELNS1_3gpuE6ELNS1_3repE0EEENS1_30default_config_static_selectorELNS0_4arch9wavefront6targetE1EEEvSK_
                                        ; -- End function
	.set _ZN7rocprim17ROCPRIM_400000_NS6detail17trampoline_kernelINS0_14default_configENS1_22reduce_config_selectorIjEEZNS1_11reduce_implILb1ES3_N6thrust23THRUST_200600_302600_NS6detail15normal_iteratorINS8_10device_ptrIjEEEEPiiNS8_4plusIiEEEE10hipError_tPvRmT1_T2_T3_mT4_P12ihipStream_tbEUlT_E0_NS1_11comp_targetILNS1_3genE2ELNS1_11target_archE906ELNS1_3gpuE6ELNS1_3repE0EEENS1_30default_config_static_selectorELNS0_4arch9wavefront6targetE1EEEvSK_.num_vgpr, 0
	.set _ZN7rocprim17ROCPRIM_400000_NS6detail17trampoline_kernelINS0_14default_configENS1_22reduce_config_selectorIjEEZNS1_11reduce_implILb1ES3_N6thrust23THRUST_200600_302600_NS6detail15normal_iteratorINS8_10device_ptrIjEEEEPiiNS8_4plusIiEEEE10hipError_tPvRmT1_T2_T3_mT4_P12ihipStream_tbEUlT_E0_NS1_11comp_targetILNS1_3genE2ELNS1_11target_archE906ELNS1_3gpuE6ELNS1_3repE0EEENS1_30default_config_static_selectorELNS0_4arch9wavefront6targetE1EEEvSK_.num_agpr, 0
	.set _ZN7rocprim17ROCPRIM_400000_NS6detail17trampoline_kernelINS0_14default_configENS1_22reduce_config_selectorIjEEZNS1_11reduce_implILb1ES3_N6thrust23THRUST_200600_302600_NS6detail15normal_iteratorINS8_10device_ptrIjEEEEPiiNS8_4plusIiEEEE10hipError_tPvRmT1_T2_T3_mT4_P12ihipStream_tbEUlT_E0_NS1_11comp_targetILNS1_3genE2ELNS1_11target_archE906ELNS1_3gpuE6ELNS1_3repE0EEENS1_30default_config_static_selectorELNS0_4arch9wavefront6targetE1EEEvSK_.numbered_sgpr, 0
	.set _ZN7rocprim17ROCPRIM_400000_NS6detail17trampoline_kernelINS0_14default_configENS1_22reduce_config_selectorIjEEZNS1_11reduce_implILb1ES3_N6thrust23THRUST_200600_302600_NS6detail15normal_iteratorINS8_10device_ptrIjEEEEPiiNS8_4plusIiEEEE10hipError_tPvRmT1_T2_T3_mT4_P12ihipStream_tbEUlT_E0_NS1_11comp_targetILNS1_3genE2ELNS1_11target_archE906ELNS1_3gpuE6ELNS1_3repE0EEENS1_30default_config_static_selectorELNS0_4arch9wavefront6targetE1EEEvSK_.num_named_barrier, 0
	.set _ZN7rocprim17ROCPRIM_400000_NS6detail17trampoline_kernelINS0_14default_configENS1_22reduce_config_selectorIjEEZNS1_11reduce_implILb1ES3_N6thrust23THRUST_200600_302600_NS6detail15normal_iteratorINS8_10device_ptrIjEEEEPiiNS8_4plusIiEEEE10hipError_tPvRmT1_T2_T3_mT4_P12ihipStream_tbEUlT_E0_NS1_11comp_targetILNS1_3genE2ELNS1_11target_archE906ELNS1_3gpuE6ELNS1_3repE0EEENS1_30default_config_static_selectorELNS0_4arch9wavefront6targetE1EEEvSK_.private_seg_size, 0
	.set _ZN7rocprim17ROCPRIM_400000_NS6detail17trampoline_kernelINS0_14default_configENS1_22reduce_config_selectorIjEEZNS1_11reduce_implILb1ES3_N6thrust23THRUST_200600_302600_NS6detail15normal_iteratorINS8_10device_ptrIjEEEEPiiNS8_4plusIiEEEE10hipError_tPvRmT1_T2_T3_mT4_P12ihipStream_tbEUlT_E0_NS1_11comp_targetILNS1_3genE2ELNS1_11target_archE906ELNS1_3gpuE6ELNS1_3repE0EEENS1_30default_config_static_selectorELNS0_4arch9wavefront6targetE1EEEvSK_.uses_vcc, 0
	.set _ZN7rocprim17ROCPRIM_400000_NS6detail17trampoline_kernelINS0_14default_configENS1_22reduce_config_selectorIjEEZNS1_11reduce_implILb1ES3_N6thrust23THRUST_200600_302600_NS6detail15normal_iteratorINS8_10device_ptrIjEEEEPiiNS8_4plusIiEEEE10hipError_tPvRmT1_T2_T3_mT4_P12ihipStream_tbEUlT_E0_NS1_11comp_targetILNS1_3genE2ELNS1_11target_archE906ELNS1_3gpuE6ELNS1_3repE0EEENS1_30default_config_static_selectorELNS0_4arch9wavefront6targetE1EEEvSK_.uses_flat_scratch, 0
	.set _ZN7rocprim17ROCPRIM_400000_NS6detail17trampoline_kernelINS0_14default_configENS1_22reduce_config_selectorIjEEZNS1_11reduce_implILb1ES3_N6thrust23THRUST_200600_302600_NS6detail15normal_iteratorINS8_10device_ptrIjEEEEPiiNS8_4plusIiEEEE10hipError_tPvRmT1_T2_T3_mT4_P12ihipStream_tbEUlT_E0_NS1_11comp_targetILNS1_3genE2ELNS1_11target_archE906ELNS1_3gpuE6ELNS1_3repE0EEENS1_30default_config_static_selectorELNS0_4arch9wavefront6targetE1EEEvSK_.has_dyn_sized_stack, 0
	.set _ZN7rocprim17ROCPRIM_400000_NS6detail17trampoline_kernelINS0_14default_configENS1_22reduce_config_selectorIjEEZNS1_11reduce_implILb1ES3_N6thrust23THRUST_200600_302600_NS6detail15normal_iteratorINS8_10device_ptrIjEEEEPiiNS8_4plusIiEEEE10hipError_tPvRmT1_T2_T3_mT4_P12ihipStream_tbEUlT_E0_NS1_11comp_targetILNS1_3genE2ELNS1_11target_archE906ELNS1_3gpuE6ELNS1_3repE0EEENS1_30default_config_static_selectorELNS0_4arch9wavefront6targetE1EEEvSK_.has_recursion, 0
	.set _ZN7rocprim17ROCPRIM_400000_NS6detail17trampoline_kernelINS0_14default_configENS1_22reduce_config_selectorIjEEZNS1_11reduce_implILb1ES3_N6thrust23THRUST_200600_302600_NS6detail15normal_iteratorINS8_10device_ptrIjEEEEPiiNS8_4plusIiEEEE10hipError_tPvRmT1_T2_T3_mT4_P12ihipStream_tbEUlT_E0_NS1_11comp_targetILNS1_3genE2ELNS1_11target_archE906ELNS1_3gpuE6ELNS1_3repE0EEENS1_30default_config_static_selectorELNS0_4arch9wavefront6targetE1EEEvSK_.has_indirect_call, 0
	.section	.AMDGPU.csdata,"",@progbits
; Kernel info:
; codeLenInByte = 0
; TotalNumSgprs: 6
; NumVgprs: 0
; NumAgprs: 0
; TotalNumVgprs: 0
; ScratchSize: 0
; MemoryBound: 0
; FloatMode: 240
; IeeeMode: 1
; LDSByteSize: 0 bytes/workgroup (compile time only)
; SGPRBlocks: 0
; VGPRBlocks: 0
; NumSGPRsForWavesPerEU: 6
; NumVGPRsForWavesPerEU: 1
; AccumOffset: 4
; Occupancy: 8
; WaveLimiterHint : 0
; COMPUTE_PGM_RSRC2:SCRATCH_EN: 0
; COMPUTE_PGM_RSRC2:USER_SGPR: 2
; COMPUTE_PGM_RSRC2:TRAP_HANDLER: 0
; COMPUTE_PGM_RSRC2:TGID_X_EN: 1
; COMPUTE_PGM_RSRC2:TGID_Y_EN: 0
; COMPUTE_PGM_RSRC2:TGID_Z_EN: 0
; COMPUTE_PGM_RSRC2:TIDIG_COMP_CNT: 0
; COMPUTE_PGM_RSRC3_GFX90A:ACCUM_OFFSET: 0
; COMPUTE_PGM_RSRC3_GFX90A:TG_SPLIT: 0
	.section	.text._ZN7rocprim17ROCPRIM_400000_NS6detail17trampoline_kernelINS0_14default_configENS1_22reduce_config_selectorIjEEZNS1_11reduce_implILb1ES3_N6thrust23THRUST_200600_302600_NS6detail15normal_iteratorINS8_10device_ptrIjEEEEPiiNS8_4plusIiEEEE10hipError_tPvRmT1_T2_T3_mT4_P12ihipStream_tbEUlT_E0_NS1_11comp_targetILNS1_3genE10ELNS1_11target_archE1201ELNS1_3gpuE5ELNS1_3repE0EEENS1_30default_config_static_selectorELNS0_4arch9wavefront6targetE1EEEvSK_,"axG",@progbits,_ZN7rocprim17ROCPRIM_400000_NS6detail17trampoline_kernelINS0_14default_configENS1_22reduce_config_selectorIjEEZNS1_11reduce_implILb1ES3_N6thrust23THRUST_200600_302600_NS6detail15normal_iteratorINS8_10device_ptrIjEEEEPiiNS8_4plusIiEEEE10hipError_tPvRmT1_T2_T3_mT4_P12ihipStream_tbEUlT_E0_NS1_11comp_targetILNS1_3genE10ELNS1_11target_archE1201ELNS1_3gpuE5ELNS1_3repE0EEENS1_30default_config_static_selectorELNS0_4arch9wavefront6targetE1EEEvSK_,comdat
	.protected	_ZN7rocprim17ROCPRIM_400000_NS6detail17trampoline_kernelINS0_14default_configENS1_22reduce_config_selectorIjEEZNS1_11reduce_implILb1ES3_N6thrust23THRUST_200600_302600_NS6detail15normal_iteratorINS8_10device_ptrIjEEEEPiiNS8_4plusIiEEEE10hipError_tPvRmT1_T2_T3_mT4_P12ihipStream_tbEUlT_E0_NS1_11comp_targetILNS1_3genE10ELNS1_11target_archE1201ELNS1_3gpuE5ELNS1_3repE0EEENS1_30default_config_static_selectorELNS0_4arch9wavefront6targetE1EEEvSK_ ; -- Begin function _ZN7rocprim17ROCPRIM_400000_NS6detail17trampoline_kernelINS0_14default_configENS1_22reduce_config_selectorIjEEZNS1_11reduce_implILb1ES3_N6thrust23THRUST_200600_302600_NS6detail15normal_iteratorINS8_10device_ptrIjEEEEPiiNS8_4plusIiEEEE10hipError_tPvRmT1_T2_T3_mT4_P12ihipStream_tbEUlT_E0_NS1_11comp_targetILNS1_3genE10ELNS1_11target_archE1201ELNS1_3gpuE5ELNS1_3repE0EEENS1_30default_config_static_selectorELNS0_4arch9wavefront6targetE1EEEvSK_
	.globl	_ZN7rocprim17ROCPRIM_400000_NS6detail17trampoline_kernelINS0_14default_configENS1_22reduce_config_selectorIjEEZNS1_11reduce_implILb1ES3_N6thrust23THRUST_200600_302600_NS6detail15normal_iteratorINS8_10device_ptrIjEEEEPiiNS8_4plusIiEEEE10hipError_tPvRmT1_T2_T3_mT4_P12ihipStream_tbEUlT_E0_NS1_11comp_targetILNS1_3genE10ELNS1_11target_archE1201ELNS1_3gpuE5ELNS1_3repE0EEENS1_30default_config_static_selectorELNS0_4arch9wavefront6targetE1EEEvSK_
	.p2align	8
	.type	_ZN7rocprim17ROCPRIM_400000_NS6detail17trampoline_kernelINS0_14default_configENS1_22reduce_config_selectorIjEEZNS1_11reduce_implILb1ES3_N6thrust23THRUST_200600_302600_NS6detail15normal_iteratorINS8_10device_ptrIjEEEEPiiNS8_4plusIiEEEE10hipError_tPvRmT1_T2_T3_mT4_P12ihipStream_tbEUlT_E0_NS1_11comp_targetILNS1_3genE10ELNS1_11target_archE1201ELNS1_3gpuE5ELNS1_3repE0EEENS1_30default_config_static_selectorELNS0_4arch9wavefront6targetE1EEEvSK_,@function
_ZN7rocprim17ROCPRIM_400000_NS6detail17trampoline_kernelINS0_14default_configENS1_22reduce_config_selectorIjEEZNS1_11reduce_implILb1ES3_N6thrust23THRUST_200600_302600_NS6detail15normal_iteratorINS8_10device_ptrIjEEEEPiiNS8_4plusIiEEEE10hipError_tPvRmT1_T2_T3_mT4_P12ihipStream_tbEUlT_E0_NS1_11comp_targetILNS1_3genE10ELNS1_11target_archE1201ELNS1_3gpuE5ELNS1_3repE0EEENS1_30default_config_static_selectorELNS0_4arch9wavefront6targetE1EEEvSK_: ; @_ZN7rocprim17ROCPRIM_400000_NS6detail17trampoline_kernelINS0_14default_configENS1_22reduce_config_selectorIjEEZNS1_11reduce_implILb1ES3_N6thrust23THRUST_200600_302600_NS6detail15normal_iteratorINS8_10device_ptrIjEEEEPiiNS8_4plusIiEEEE10hipError_tPvRmT1_T2_T3_mT4_P12ihipStream_tbEUlT_E0_NS1_11comp_targetILNS1_3genE10ELNS1_11target_archE1201ELNS1_3gpuE5ELNS1_3repE0EEENS1_30default_config_static_selectorELNS0_4arch9wavefront6targetE1EEEvSK_
; %bb.0:
	.section	.rodata,"a",@progbits
	.p2align	6, 0x0
	.amdhsa_kernel _ZN7rocprim17ROCPRIM_400000_NS6detail17trampoline_kernelINS0_14default_configENS1_22reduce_config_selectorIjEEZNS1_11reduce_implILb1ES3_N6thrust23THRUST_200600_302600_NS6detail15normal_iteratorINS8_10device_ptrIjEEEEPiiNS8_4plusIiEEEE10hipError_tPvRmT1_T2_T3_mT4_P12ihipStream_tbEUlT_E0_NS1_11comp_targetILNS1_3genE10ELNS1_11target_archE1201ELNS1_3gpuE5ELNS1_3repE0EEENS1_30default_config_static_selectorELNS0_4arch9wavefront6targetE1EEEvSK_
		.amdhsa_group_segment_fixed_size 0
		.amdhsa_private_segment_fixed_size 0
		.amdhsa_kernarg_size 56
		.amdhsa_user_sgpr_count 2
		.amdhsa_user_sgpr_dispatch_ptr 0
		.amdhsa_user_sgpr_queue_ptr 0
		.amdhsa_user_sgpr_kernarg_segment_ptr 1
		.amdhsa_user_sgpr_dispatch_id 0
		.amdhsa_user_sgpr_kernarg_preload_length 0
		.amdhsa_user_sgpr_kernarg_preload_offset 0
		.amdhsa_user_sgpr_private_segment_size 0
		.amdhsa_uses_dynamic_stack 0
		.amdhsa_enable_private_segment 0
		.amdhsa_system_sgpr_workgroup_id_x 1
		.amdhsa_system_sgpr_workgroup_id_y 0
		.amdhsa_system_sgpr_workgroup_id_z 0
		.amdhsa_system_sgpr_workgroup_info 0
		.amdhsa_system_vgpr_workitem_id 0
		.amdhsa_next_free_vgpr 1
		.amdhsa_next_free_sgpr 0
		.amdhsa_accum_offset 4
		.amdhsa_reserve_vcc 0
		.amdhsa_float_round_mode_32 0
		.amdhsa_float_round_mode_16_64 0
		.amdhsa_float_denorm_mode_32 3
		.amdhsa_float_denorm_mode_16_64 3
		.amdhsa_dx10_clamp 1
		.amdhsa_ieee_mode 1
		.amdhsa_fp16_overflow 0
		.amdhsa_tg_split 0
		.amdhsa_exception_fp_ieee_invalid_op 0
		.amdhsa_exception_fp_denorm_src 0
		.amdhsa_exception_fp_ieee_div_zero 0
		.amdhsa_exception_fp_ieee_overflow 0
		.amdhsa_exception_fp_ieee_underflow 0
		.amdhsa_exception_fp_ieee_inexact 0
		.amdhsa_exception_int_div_zero 0
	.end_amdhsa_kernel
	.section	.text._ZN7rocprim17ROCPRIM_400000_NS6detail17trampoline_kernelINS0_14default_configENS1_22reduce_config_selectorIjEEZNS1_11reduce_implILb1ES3_N6thrust23THRUST_200600_302600_NS6detail15normal_iteratorINS8_10device_ptrIjEEEEPiiNS8_4plusIiEEEE10hipError_tPvRmT1_T2_T3_mT4_P12ihipStream_tbEUlT_E0_NS1_11comp_targetILNS1_3genE10ELNS1_11target_archE1201ELNS1_3gpuE5ELNS1_3repE0EEENS1_30default_config_static_selectorELNS0_4arch9wavefront6targetE1EEEvSK_,"axG",@progbits,_ZN7rocprim17ROCPRIM_400000_NS6detail17trampoline_kernelINS0_14default_configENS1_22reduce_config_selectorIjEEZNS1_11reduce_implILb1ES3_N6thrust23THRUST_200600_302600_NS6detail15normal_iteratorINS8_10device_ptrIjEEEEPiiNS8_4plusIiEEEE10hipError_tPvRmT1_T2_T3_mT4_P12ihipStream_tbEUlT_E0_NS1_11comp_targetILNS1_3genE10ELNS1_11target_archE1201ELNS1_3gpuE5ELNS1_3repE0EEENS1_30default_config_static_selectorELNS0_4arch9wavefront6targetE1EEEvSK_,comdat
.Lfunc_end392:
	.size	_ZN7rocprim17ROCPRIM_400000_NS6detail17trampoline_kernelINS0_14default_configENS1_22reduce_config_selectorIjEEZNS1_11reduce_implILb1ES3_N6thrust23THRUST_200600_302600_NS6detail15normal_iteratorINS8_10device_ptrIjEEEEPiiNS8_4plusIiEEEE10hipError_tPvRmT1_T2_T3_mT4_P12ihipStream_tbEUlT_E0_NS1_11comp_targetILNS1_3genE10ELNS1_11target_archE1201ELNS1_3gpuE5ELNS1_3repE0EEENS1_30default_config_static_selectorELNS0_4arch9wavefront6targetE1EEEvSK_, .Lfunc_end392-_ZN7rocprim17ROCPRIM_400000_NS6detail17trampoline_kernelINS0_14default_configENS1_22reduce_config_selectorIjEEZNS1_11reduce_implILb1ES3_N6thrust23THRUST_200600_302600_NS6detail15normal_iteratorINS8_10device_ptrIjEEEEPiiNS8_4plusIiEEEE10hipError_tPvRmT1_T2_T3_mT4_P12ihipStream_tbEUlT_E0_NS1_11comp_targetILNS1_3genE10ELNS1_11target_archE1201ELNS1_3gpuE5ELNS1_3repE0EEENS1_30default_config_static_selectorELNS0_4arch9wavefront6targetE1EEEvSK_
                                        ; -- End function
	.set _ZN7rocprim17ROCPRIM_400000_NS6detail17trampoline_kernelINS0_14default_configENS1_22reduce_config_selectorIjEEZNS1_11reduce_implILb1ES3_N6thrust23THRUST_200600_302600_NS6detail15normal_iteratorINS8_10device_ptrIjEEEEPiiNS8_4plusIiEEEE10hipError_tPvRmT1_T2_T3_mT4_P12ihipStream_tbEUlT_E0_NS1_11comp_targetILNS1_3genE10ELNS1_11target_archE1201ELNS1_3gpuE5ELNS1_3repE0EEENS1_30default_config_static_selectorELNS0_4arch9wavefront6targetE1EEEvSK_.num_vgpr, 0
	.set _ZN7rocprim17ROCPRIM_400000_NS6detail17trampoline_kernelINS0_14default_configENS1_22reduce_config_selectorIjEEZNS1_11reduce_implILb1ES3_N6thrust23THRUST_200600_302600_NS6detail15normal_iteratorINS8_10device_ptrIjEEEEPiiNS8_4plusIiEEEE10hipError_tPvRmT1_T2_T3_mT4_P12ihipStream_tbEUlT_E0_NS1_11comp_targetILNS1_3genE10ELNS1_11target_archE1201ELNS1_3gpuE5ELNS1_3repE0EEENS1_30default_config_static_selectorELNS0_4arch9wavefront6targetE1EEEvSK_.num_agpr, 0
	.set _ZN7rocprim17ROCPRIM_400000_NS6detail17trampoline_kernelINS0_14default_configENS1_22reduce_config_selectorIjEEZNS1_11reduce_implILb1ES3_N6thrust23THRUST_200600_302600_NS6detail15normal_iteratorINS8_10device_ptrIjEEEEPiiNS8_4plusIiEEEE10hipError_tPvRmT1_T2_T3_mT4_P12ihipStream_tbEUlT_E0_NS1_11comp_targetILNS1_3genE10ELNS1_11target_archE1201ELNS1_3gpuE5ELNS1_3repE0EEENS1_30default_config_static_selectorELNS0_4arch9wavefront6targetE1EEEvSK_.numbered_sgpr, 0
	.set _ZN7rocprim17ROCPRIM_400000_NS6detail17trampoline_kernelINS0_14default_configENS1_22reduce_config_selectorIjEEZNS1_11reduce_implILb1ES3_N6thrust23THRUST_200600_302600_NS6detail15normal_iteratorINS8_10device_ptrIjEEEEPiiNS8_4plusIiEEEE10hipError_tPvRmT1_T2_T3_mT4_P12ihipStream_tbEUlT_E0_NS1_11comp_targetILNS1_3genE10ELNS1_11target_archE1201ELNS1_3gpuE5ELNS1_3repE0EEENS1_30default_config_static_selectorELNS0_4arch9wavefront6targetE1EEEvSK_.num_named_barrier, 0
	.set _ZN7rocprim17ROCPRIM_400000_NS6detail17trampoline_kernelINS0_14default_configENS1_22reduce_config_selectorIjEEZNS1_11reduce_implILb1ES3_N6thrust23THRUST_200600_302600_NS6detail15normal_iteratorINS8_10device_ptrIjEEEEPiiNS8_4plusIiEEEE10hipError_tPvRmT1_T2_T3_mT4_P12ihipStream_tbEUlT_E0_NS1_11comp_targetILNS1_3genE10ELNS1_11target_archE1201ELNS1_3gpuE5ELNS1_3repE0EEENS1_30default_config_static_selectorELNS0_4arch9wavefront6targetE1EEEvSK_.private_seg_size, 0
	.set _ZN7rocprim17ROCPRIM_400000_NS6detail17trampoline_kernelINS0_14default_configENS1_22reduce_config_selectorIjEEZNS1_11reduce_implILb1ES3_N6thrust23THRUST_200600_302600_NS6detail15normal_iteratorINS8_10device_ptrIjEEEEPiiNS8_4plusIiEEEE10hipError_tPvRmT1_T2_T3_mT4_P12ihipStream_tbEUlT_E0_NS1_11comp_targetILNS1_3genE10ELNS1_11target_archE1201ELNS1_3gpuE5ELNS1_3repE0EEENS1_30default_config_static_selectorELNS0_4arch9wavefront6targetE1EEEvSK_.uses_vcc, 0
	.set _ZN7rocprim17ROCPRIM_400000_NS6detail17trampoline_kernelINS0_14default_configENS1_22reduce_config_selectorIjEEZNS1_11reduce_implILb1ES3_N6thrust23THRUST_200600_302600_NS6detail15normal_iteratorINS8_10device_ptrIjEEEEPiiNS8_4plusIiEEEE10hipError_tPvRmT1_T2_T3_mT4_P12ihipStream_tbEUlT_E0_NS1_11comp_targetILNS1_3genE10ELNS1_11target_archE1201ELNS1_3gpuE5ELNS1_3repE0EEENS1_30default_config_static_selectorELNS0_4arch9wavefront6targetE1EEEvSK_.uses_flat_scratch, 0
	.set _ZN7rocprim17ROCPRIM_400000_NS6detail17trampoline_kernelINS0_14default_configENS1_22reduce_config_selectorIjEEZNS1_11reduce_implILb1ES3_N6thrust23THRUST_200600_302600_NS6detail15normal_iteratorINS8_10device_ptrIjEEEEPiiNS8_4plusIiEEEE10hipError_tPvRmT1_T2_T3_mT4_P12ihipStream_tbEUlT_E0_NS1_11comp_targetILNS1_3genE10ELNS1_11target_archE1201ELNS1_3gpuE5ELNS1_3repE0EEENS1_30default_config_static_selectorELNS0_4arch9wavefront6targetE1EEEvSK_.has_dyn_sized_stack, 0
	.set _ZN7rocprim17ROCPRIM_400000_NS6detail17trampoline_kernelINS0_14default_configENS1_22reduce_config_selectorIjEEZNS1_11reduce_implILb1ES3_N6thrust23THRUST_200600_302600_NS6detail15normal_iteratorINS8_10device_ptrIjEEEEPiiNS8_4plusIiEEEE10hipError_tPvRmT1_T2_T3_mT4_P12ihipStream_tbEUlT_E0_NS1_11comp_targetILNS1_3genE10ELNS1_11target_archE1201ELNS1_3gpuE5ELNS1_3repE0EEENS1_30default_config_static_selectorELNS0_4arch9wavefront6targetE1EEEvSK_.has_recursion, 0
	.set _ZN7rocprim17ROCPRIM_400000_NS6detail17trampoline_kernelINS0_14default_configENS1_22reduce_config_selectorIjEEZNS1_11reduce_implILb1ES3_N6thrust23THRUST_200600_302600_NS6detail15normal_iteratorINS8_10device_ptrIjEEEEPiiNS8_4plusIiEEEE10hipError_tPvRmT1_T2_T3_mT4_P12ihipStream_tbEUlT_E0_NS1_11comp_targetILNS1_3genE10ELNS1_11target_archE1201ELNS1_3gpuE5ELNS1_3repE0EEENS1_30default_config_static_selectorELNS0_4arch9wavefront6targetE1EEEvSK_.has_indirect_call, 0
	.section	.AMDGPU.csdata,"",@progbits
; Kernel info:
; codeLenInByte = 0
; TotalNumSgprs: 6
; NumVgprs: 0
; NumAgprs: 0
; TotalNumVgprs: 0
; ScratchSize: 0
; MemoryBound: 0
; FloatMode: 240
; IeeeMode: 1
; LDSByteSize: 0 bytes/workgroup (compile time only)
; SGPRBlocks: 0
; VGPRBlocks: 0
; NumSGPRsForWavesPerEU: 6
; NumVGPRsForWavesPerEU: 1
; AccumOffset: 4
; Occupancy: 8
; WaveLimiterHint : 0
; COMPUTE_PGM_RSRC2:SCRATCH_EN: 0
; COMPUTE_PGM_RSRC2:USER_SGPR: 2
; COMPUTE_PGM_RSRC2:TRAP_HANDLER: 0
; COMPUTE_PGM_RSRC2:TGID_X_EN: 1
; COMPUTE_PGM_RSRC2:TGID_Y_EN: 0
; COMPUTE_PGM_RSRC2:TGID_Z_EN: 0
; COMPUTE_PGM_RSRC2:TIDIG_COMP_CNT: 0
; COMPUTE_PGM_RSRC3_GFX90A:ACCUM_OFFSET: 0
; COMPUTE_PGM_RSRC3_GFX90A:TG_SPLIT: 0
	.section	.text._ZN7rocprim17ROCPRIM_400000_NS6detail17trampoline_kernelINS0_14default_configENS1_22reduce_config_selectorIjEEZNS1_11reduce_implILb1ES3_N6thrust23THRUST_200600_302600_NS6detail15normal_iteratorINS8_10device_ptrIjEEEEPiiNS8_4plusIiEEEE10hipError_tPvRmT1_T2_T3_mT4_P12ihipStream_tbEUlT_E0_NS1_11comp_targetILNS1_3genE10ELNS1_11target_archE1200ELNS1_3gpuE4ELNS1_3repE0EEENS1_30default_config_static_selectorELNS0_4arch9wavefront6targetE1EEEvSK_,"axG",@progbits,_ZN7rocprim17ROCPRIM_400000_NS6detail17trampoline_kernelINS0_14default_configENS1_22reduce_config_selectorIjEEZNS1_11reduce_implILb1ES3_N6thrust23THRUST_200600_302600_NS6detail15normal_iteratorINS8_10device_ptrIjEEEEPiiNS8_4plusIiEEEE10hipError_tPvRmT1_T2_T3_mT4_P12ihipStream_tbEUlT_E0_NS1_11comp_targetILNS1_3genE10ELNS1_11target_archE1200ELNS1_3gpuE4ELNS1_3repE0EEENS1_30default_config_static_selectorELNS0_4arch9wavefront6targetE1EEEvSK_,comdat
	.protected	_ZN7rocprim17ROCPRIM_400000_NS6detail17trampoline_kernelINS0_14default_configENS1_22reduce_config_selectorIjEEZNS1_11reduce_implILb1ES3_N6thrust23THRUST_200600_302600_NS6detail15normal_iteratorINS8_10device_ptrIjEEEEPiiNS8_4plusIiEEEE10hipError_tPvRmT1_T2_T3_mT4_P12ihipStream_tbEUlT_E0_NS1_11comp_targetILNS1_3genE10ELNS1_11target_archE1200ELNS1_3gpuE4ELNS1_3repE0EEENS1_30default_config_static_selectorELNS0_4arch9wavefront6targetE1EEEvSK_ ; -- Begin function _ZN7rocprim17ROCPRIM_400000_NS6detail17trampoline_kernelINS0_14default_configENS1_22reduce_config_selectorIjEEZNS1_11reduce_implILb1ES3_N6thrust23THRUST_200600_302600_NS6detail15normal_iteratorINS8_10device_ptrIjEEEEPiiNS8_4plusIiEEEE10hipError_tPvRmT1_T2_T3_mT4_P12ihipStream_tbEUlT_E0_NS1_11comp_targetILNS1_3genE10ELNS1_11target_archE1200ELNS1_3gpuE4ELNS1_3repE0EEENS1_30default_config_static_selectorELNS0_4arch9wavefront6targetE1EEEvSK_
	.globl	_ZN7rocprim17ROCPRIM_400000_NS6detail17trampoline_kernelINS0_14default_configENS1_22reduce_config_selectorIjEEZNS1_11reduce_implILb1ES3_N6thrust23THRUST_200600_302600_NS6detail15normal_iteratorINS8_10device_ptrIjEEEEPiiNS8_4plusIiEEEE10hipError_tPvRmT1_T2_T3_mT4_P12ihipStream_tbEUlT_E0_NS1_11comp_targetILNS1_3genE10ELNS1_11target_archE1200ELNS1_3gpuE4ELNS1_3repE0EEENS1_30default_config_static_selectorELNS0_4arch9wavefront6targetE1EEEvSK_
	.p2align	8
	.type	_ZN7rocprim17ROCPRIM_400000_NS6detail17trampoline_kernelINS0_14default_configENS1_22reduce_config_selectorIjEEZNS1_11reduce_implILb1ES3_N6thrust23THRUST_200600_302600_NS6detail15normal_iteratorINS8_10device_ptrIjEEEEPiiNS8_4plusIiEEEE10hipError_tPvRmT1_T2_T3_mT4_P12ihipStream_tbEUlT_E0_NS1_11comp_targetILNS1_3genE10ELNS1_11target_archE1200ELNS1_3gpuE4ELNS1_3repE0EEENS1_30default_config_static_selectorELNS0_4arch9wavefront6targetE1EEEvSK_,@function
_ZN7rocprim17ROCPRIM_400000_NS6detail17trampoline_kernelINS0_14default_configENS1_22reduce_config_selectorIjEEZNS1_11reduce_implILb1ES3_N6thrust23THRUST_200600_302600_NS6detail15normal_iteratorINS8_10device_ptrIjEEEEPiiNS8_4plusIiEEEE10hipError_tPvRmT1_T2_T3_mT4_P12ihipStream_tbEUlT_E0_NS1_11comp_targetILNS1_3genE10ELNS1_11target_archE1200ELNS1_3gpuE4ELNS1_3repE0EEENS1_30default_config_static_selectorELNS0_4arch9wavefront6targetE1EEEvSK_: ; @_ZN7rocprim17ROCPRIM_400000_NS6detail17trampoline_kernelINS0_14default_configENS1_22reduce_config_selectorIjEEZNS1_11reduce_implILb1ES3_N6thrust23THRUST_200600_302600_NS6detail15normal_iteratorINS8_10device_ptrIjEEEEPiiNS8_4plusIiEEEE10hipError_tPvRmT1_T2_T3_mT4_P12ihipStream_tbEUlT_E0_NS1_11comp_targetILNS1_3genE10ELNS1_11target_archE1200ELNS1_3gpuE4ELNS1_3repE0EEENS1_30default_config_static_selectorELNS0_4arch9wavefront6targetE1EEEvSK_
; %bb.0:
	.section	.rodata,"a",@progbits
	.p2align	6, 0x0
	.amdhsa_kernel _ZN7rocprim17ROCPRIM_400000_NS6detail17trampoline_kernelINS0_14default_configENS1_22reduce_config_selectorIjEEZNS1_11reduce_implILb1ES3_N6thrust23THRUST_200600_302600_NS6detail15normal_iteratorINS8_10device_ptrIjEEEEPiiNS8_4plusIiEEEE10hipError_tPvRmT1_T2_T3_mT4_P12ihipStream_tbEUlT_E0_NS1_11comp_targetILNS1_3genE10ELNS1_11target_archE1200ELNS1_3gpuE4ELNS1_3repE0EEENS1_30default_config_static_selectorELNS0_4arch9wavefront6targetE1EEEvSK_
		.amdhsa_group_segment_fixed_size 0
		.amdhsa_private_segment_fixed_size 0
		.amdhsa_kernarg_size 56
		.amdhsa_user_sgpr_count 2
		.amdhsa_user_sgpr_dispatch_ptr 0
		.amdhsa_user_sgpr_queue_ptr 0
		.amdhsa_user_sgpr_kernarg_segment_ptr 1
		.amdhsa_user_sgpr_dispatch_id 0
		.amdhsa_user_sgpr_kernarg_preload_length 0
		.amdhsa_user_sgpr_kernarg_preload_offset 0
		.amdhsa_user_sgpr_private_segment_size 0
		.amdhsa_uses_dynamic_stack 0
		.amdhsa_enable_private_segment 0
		.amdhsa_system_sgpr_workgroup_id_x 1
		.amdhsa_system_sgpr_workgroup_id_y 0
		.amdhsa_system_sgpr_workgroup_id_z 0
		.amdhsa_system_sgpr_workgroup_info 0
		.amdhsa_system_vgpr_workitem_id 0
		.amdhsa_next_free_vgpr 1
		.amdhsa_next_free_sgpr 0
		.amdhsa_accum_offset 4
		.amdhsa_reserve_vcc 0
		.amdhsa_float_round_mode_32 0
		.amdhsa_float_round_mode_16_64 0
		.amdhsa_float_denorm_mode_32 3
		.amdhsa_float_denorm_mode_16_64 3
		.amdhsa_dx10_clamp 1
		.amdhsa_ieee_mode 1
		.amdhsa_fp16_overflow 0
		.amdhsa_tg_split 0
		.amdhsa_exception_fp_ieee_invalid_op 0
		.amdhsa_exception_fp_denorm_src 0
		.amdhsa_exception_fp_ieee_div_zero 0
		.amdhsa_exception_fp_ieee_overflow 0
		.amdhsa_exception_fp_ieee_underflow 0
		.amdhsa_exception_fp_ieee_inexact 0
		.amdhsa_exception_int_div_zero 0
	.end_amdhsa_kernel
	.section	.text._ZN7rocprim17ROCPRIM_400000_NS6detail17trampoline_kernelINS0_14default_configENS1_22reduce_config_selectorIjEEZNS1_11reduce_implILb1ES3_N6thrust23THRUST_200600_302600_NS6detail15normal_iteratorINS8_10device_ptrIjEEEEPiiNS8_4plusIiEEEE10hipError_tPvRmT1_T2_T3_mT4_P12ihipStream_tbEUlT_E0_NS1_11comp_targetILNS1_3genE10ELNS1_11target_archE1200ELNS1_3gpuE4ELNS1_3repE0EEENS1_30default_config_static_selectorELNS0_4arch9wavefront6targetE1EEEvSK_,"axG",@progbits,_ZN7rocprim17ROCPRIM_400000_NS6detail17trampoline_kernelINS0_14default_configENS1_22reduce_config_selectorIjEEZNS1_11reduce_implILb1ES3_N6thrust23THRUST_200600_302600_NS6detail15normal_iteratorINS8_10device_ptrIjEEEEPiiNS8_4plusIiEEEE10hipError_tPvRmT1_T2_T3_mT4_P12ihipStream_tbEUlT_E0_NS1_11comp_targetILNS1_3genE10ELNS1_11target_archE1200ELNS1_3gpuE4ELNS1_3repE0EEENS1_30default_config_static_selectorELNS0_4arch9wavefront6targetE1EEEvSK_,comdat
.Lfunc_end393:
	.size	_ZN7rocprim17ROCPRIM_400000_NS6detail17trampoline_kernelINS0_14default_configENS1_22reduce_config_selectorIjEEZNS1_11reduce_implILb1ES3_N6thrust23THRUST_200600_302600_NS6detail15normal_iteratorINS8_10device_ptrIjEEEEPiiNS8_4plusIiEEEE10hipError_tPvRmT1_T2_T3_mT4_P12ihipStream_tbEUlT_E0_NS1_11comp_targetILNS1_3genE10ELNS1_11target_archE1200ELNS1_3gpuE4ELNS1_3repE0EEENS1_30default_config_static_selectorELNS0_4arch9wavefront6targetE1EEEvSK_, .Lfunc_end393-_ZN7rocprim17ROCPRIM_400000_NS6detail17trampoline_kernelINS0_14default_configENS1_22reduce_config_selectorIjEEZNS1_11reduce_implILb1ES3_N6thrust23THRUST_200600_302600_NS6detail15normal_iteratorINS8_10device_ptrIjEEEEPiiNS8_4plusIiEEEE10hipError_tPvRmT1_T2_T3_mT4_P12ihipStream_tbEUlT_E0_NS1_11comp_targetILNS1_3genE10ELNS1_11target_archE1200ELNS1_3gpuE4ELNS1_3repE0EEENS1_30default_config_static_selectorELNS0_4arch9wavefront6targetE1EEEvSK_
                                        ; -- End function
	.set _ZN7rocprim17ROCPRIM_400000_NS6detail17trampoline_kernelINS0_14default_configENS1_22reduce_config_selectorIjEEZNS1_11reduce_implILb1ES3_N6thrust23THRUST_200600_302600_NS6detail15normal_iteratorINS8_10device_ptrIjEEEEPiiNS8_4plusIiEEEE10hipError_tPvRmT1_T2_T3_mT4_P12ihipStream_tbEUlT_E0_NS1_11comp_targetILNS1_3genE10ELNS1_11target_archE1200ELNS1_3gpuE4ELNS1_3repE0EEENS1_30default_config_static_selectorELNS0_4arch9wavefront6targetE1EEEvSK_.num_vgpr, 0
	.set _ZN7rocprim17ROCPRIM_400000_NS6detail17trampoline_kernelINS0_14default_configENS1_22reduce_config_selectorIjEEZNS1_11reduce_implILb1ES3_N6thrust23THRUST_200600_302600_NS6detail15normal_iteratorINS8_10device_ptrIjEEEEPiiNS8_4plusIiEEEE10hipError_tPvRmT1_T2_T3_mT4_P12ihipStream_tbEUlT_E0_NS1_11comp_targetILNS1_3genE10ELNS1_11target_archE1200ELNS1_3gpuE4ELNS1_3repE0EEENS1_30default_config_static_selectorELNS0_4arch9wavefront6targetE1EEEvSK_.num_agpr, 0
	.set _ZN7rocprim17ROCPRIM_400000_NS6detail17trampoline_kernelINS0_14default_configENS1_22reduce_config_selectorIjEEZNS1_11reduce_implILb1ES3_N6thrust23THRUST_200600_302600_NS6detail15normal_iteratorINS8_10device_ptrIjEEEEPiiNS8_4plusIiEEEE10hipError_tPvRmT1_T2_T3_mT4_P12ihipStream_tbEUlT_E0_NS1_11comp_targetILNS1_3genE10ELNS1_11target_archE1200ELNS1_3gpuE4ELNS1_3repE0EEENS1_30default_config_static_selectorELNS0_4arch9wavefront6targetE1EEEvSK_.numbered_sgpr, 0
	.set _ZN7rocprim17ROCPRIM_400000_NS6detail17trampoline_kernelINS0_14default_configENS1_22reduce_config_selectorIjEEZNS1_11reduce_implILb1ES3_N6thrust23THRUST_200600_302600_NS6detail15normal_iteratorINS8_10device_ptrIjEEEEPiiNS8_4plusIiEEEE10hipError_tPvRmT1_T2_T3_mT4_P12ihipStream_tbEUlT_E0_NS1_11comp_targetILNS1_3genE10ELNS1_11target_archE1200ELNS1_3gpuE4ELNS1_3repE0EEENS1_30default_config_static_selectorELNS0_4arch9wavefront6targetE1EEEvSK_.num_named_barrier, 0
	.set _ZN7rocprim17ROCPRIM_400000_NS6detail17trampoline_kernelINS0_14default_configENS1_22reduce_config_selectorIjEEZNS1_11reduce_implILb1ES3_N6thrust23THRUST_200600_302600_NS6detail15normal_iteratorINS8_10device_ptrIjEEEEPiiNS8_4plusIiEEEE10hipError_tPvRmT1_T2_T3_mT4_P12ihipStream_tbEUlT_E0_NS1_11comp_targetILNS1_3genE10ELNS1_11target_archE1200ELNS1_3gpuE4ELNS1_3repE0EEENS1_30default_config_static_selectorELNS0_4arch9wavefront6targetE1EEEvSK_.private_seg_size, 0
	.set _ZN7rocprim17ROCPRIM_400000_NS6detail17trampoline_kernelINS0_14default_configENS1_22reduce_config_selectorIjEEZNS1_11reduce_implILb1ES3_N6thrust23THRUST_200600_302600_NS6detail15normal_iteratorINS8_10device_ptrIjEEEEPiiNS8_4plusIiEEEE10hipError_tPvRmT1_T2_T3_mT4_P12ihipStream_tbEUlT_E0_NS1_11comp_targetILNS1_3genE10ELNS1_11target_archE1200ELNS1_3gpuE4ELNS1_3repE0EEENS1_30default_config_static_selectorELNS0_4arch9wavefront6targetE1EEEvSK_.uses_vcc, 0
	.set _ZN7rocprim17ROCPRIM_400000_NS6detail17trampoline_kernelINS0_14default_configENS1_22reduce_config_selectorIjEEZNS1_11reduce_implILb1ES3_N6thrust23THRUST_200600_302600_NS6detail15normal_iteratorINS8_10device_ptrIjEEEEPiiNS8_4plusIiEEEE10hipError_tPvRmT1_T2_T3_mT4_P12ihipStream_tbEUlT_E0_NS1_11comp_targetILNS1_3genE10ELNS1_11target_archE1200ELNS1_3gpuE4ELNS1_3repE0EEENS1_30default_config_static_selectorELNS0_4arch9wavefront6targetE1EEEvSK_.uses_flat_scratch, 0
	.set _ZN7rocprim17ROCPRIM_400000_NS6detail17trampoline_kernelINS0_14default_configENS1_22reduce_config_selectorIjEEZNS1_11reduce_implILb1ES3_N6thrust23THRUST_200600_302600_NS6detail15normal_iteratorINS8_10device_ptrIjEEEEPiiNS8_4plusIiEEEE10hipError_tPvRmT1_T2_T3_mT4_P12ihipStream_tbEUlT_E0_NS1_11comp_targetILNS1_3genE10ELNS1_11target_archE1200ELNS1_3gpuE4ELNS1_3repE0EEENS1_30default_config_static_selectorELNS0_4arch9wavefront6targetE1EEEvSK_.has_dyn_sized_stack, 0
	.set _ZN7rocprim17ROCPRIM_400000_NS6detail17trampoline_kernelINS0_14default_configENS1_22reduce_config_selectorIjEEZNS1_11reduce_implILb1ES3_N6thrust23THRUST_200600_302600_NS6detail15normal_iteratorINS8_10device_ptrIjEEEEPiiNS8_4plusIiEEEE10hipError_tPvRmT1_T2_T3_mT4_P12ihipStream_tbEUlT_E0_NS1_11comp_targetILNS1_3genE10ELNS1_11target_archE1200ELNS1_3gpuE4ELNS1_3repE0EEENS1_30default_config_static_selectorELNS0_4arch9wavefront6targetE1EEEvSK_.has_recursion, 0
	.set _ZN7rocprim17ROCPRIM_400000_NS6detail17trampoline_kernelINS0_14default_configENS1_22reduce_config_selectorIjEEZNS1_11reduce_implILb1ES3_N6thrust23THRUST_200600_302600_NS6detail15normal_iteratorINS8_10device_ptrIjEEEEPiiNS8_4plusIiEEEE10hipError_tPvRmT1_T2_T3_mT4_P12ihipStream_tbEUlT_E0_NS1_11comp_targetILNS1_3genE10ELNS1_11target_archE1200ELNS1_3gpuE4ELNS1_3repE0EEENS1_30default_config_static_selectorELNS0_4arch9wavefront6targetE1EEEvSK_.has_indirect_call, 0
	.section	.AMDGPU.csdata,"",@progbits
; Kernel info:
; codeLenInByte = 0
; TotalNumSgprs: 6
; NumVgprs: 0
; NumAgprs: 0
; TotalNumVgprs: 0
; ScratchSize: 0
; MemoryBound: 0
; FloatMode: 240
; IeeeMode: 1
; LDSByteSize: 0 bytes/workgroup (compile time only)
; SGPRBlocks: 0
; VGPRBlocks: 0
; NumSGPRsForWavesPerEU: 6
; NumVGPRsForWavesPerEU: 1
; AccumOffset: 4
; Occupancy: 8
; WaveLimiterHint : 0
; COMPUTE_PGM_RSRC2:SCRATCH_EN: 0
; COMPUTE_PGM_RSRC2:USER_SGPR: 2
; COMPUTE_PGM_RSRC2:TRAP_HANDLER: 0
; COMPUTE_PGM_RSRC2:TGID_X_EN: 1
; COMPUTE_PGM_RSRC2:TGID_Y_EN: 0
; COMPUTE_PGM_RSRC2:TGID_Z_EN: 0
; COMPUTE_PGM_RSRC2:TIDIG_COMP_CNT: 0
; COMPUTE_PGM_RSRC3_GFX90A:ACCUM_OFFSET: 0
; COMPUTE_PGM_RSRC3_GFX90A:TG_SPLIT: 0
	.section	.text._ZN7rocprim17ROCPRIM_400000_NS6detail17trampoline_kernelINS0_14default_configENS1_22reduce_config_selectorIjEEZNS1_11reduce_implILb1ES3_N6thrust23THRUST_200600_302600_NS6detail15normal_iteratorINS8_10device_ptrIjEEEEPiiNS8_4plusIiEEEE10hipError_tPvRmT1_T2_T3_mT4_P12ihipStream_tbEUlT_E0_NS1_11comp_targetILNS1_3genE9ELNS1_11target_archE1100ELNS1_3gpuE3ELNS1_3repE0EEENS1_30default_config_static_selectorELNS0_4arch9wavefront6targetE1EEEvSK_,"axG",@progbits,_ZN7rocprim17ROCPRIM_400000_NS6detail17trampoline_kernelINS0_14default_configENS1_22reduce_config_selectorIjEEZNS1_11reduce_implILb1ES3_N6thrust23THRUST_200600_302600_NS6detail15normal_iteratorINS8_10device_ptrIjEEEEPiiNS8_4plusIiEEEE10hipError_tPvRmT1_T2_T3_mT4_P12ihipStream_tbEUlT_E0_NS1_11comp_targetILNS1_3genE9ELNS1_11target_archE1100ELNS1_3gpuE3ELNS1_3repE0EEENS1_30default_config_static_selectorELNS0_4arch9wavefront6targetE1EEEvSK_,comdat
	.protected	_ZN7rocprim17ROCPRIM_400000_NS6detail17trampoline_kernelINS0_14default_configENS1_22reduce_config_selectorIjEEZNS1_11reduce_implILb1ES3_N6thrust23THRUST_200600_302600_NS6detail15normal_iteratorINS8_10device_ptrIjEEEEPiiNS8_4plusIiEEEE10hipError_tPvRmT1_T2_T3_mT4_P12ihipStream_tbEUlT_E0_NS1_11comp_targetILNS1_3genE9ELNS1_11target_archE1100ELNS1_3gpuE3ELNS1_3repE0EEENS1_30default_config_static_selectorELNS0_4arch9wavefront6targetE1EEEvSK_ ; -- Begin function _ZN7rocprim17ROCPRIM_400000_NS6detail17trampoline_kernelINS0_14default_configENS1_22reduce_config_selectorIjEEZNS1_11reduce_implILb1ES3_N6thrust23THRUST_200600_302600_NS6detail15normal_iteratorINS8_10device_ptrIjEEEEPiiNS8_4plusIiEEEE10hipError_tPvRmT1_T2_T3_mT4_P12ihipStream_tbEUlT_E0_NS1_11comp_targetILNS1_3genE9ELNS1_11target_archE1100ELNS1_3gpuE3ELNS1_3repE0EEENS1_30default_config_static_selectorELNS0_4arch9wavefront6targetE1EEEvSK_
	.globl	_ZN7rocprim17ROCPRIM_400000_NS6detail17trampoline_kernelINS0_14default_configENS1_22reduce_config_selectorIjEEZNS1_11reduce_implILb1ES3_N6thrust23THRUST_200600_302600_NS6detail15normal_iteratorINS8_10device_ptrIjEEEEPiiNS8_4plusIiEEEE10hipError_tPvRmT1_T2_T3_mT4_P12ihipStream_tbEUlT_E0_NS1_11comp_targetILNS1_3genE9ELNS1_11target_archE1100ELNS1_3gpuE3ELNS1_3repE0EEENS1_30default_config_static_selectorELNS0_4arch9wavefront6targetE1EEEvSK_
	.p2align	8
	.type	_ZN7rocprim17ROCPRIM_400000_NS6detail17trampoline_kernelINS0_14default_configENS1_22reduce_config_selectorIjEEZNS1_11reduce_implILb1ES3_N6thrust23THRUST_200600_302600_NS6detail15normal_iteratorINS8_10device_ptrIjEEEEPiiNS8_4plusIiEEEE10hipError_tPvRmT1_T2_T3_mT4_P12ihipStream_tbEUlT_E0_NS1_11comp_targetILNS1_3genE9ELNS1_11target_archE1100ELNS1_3gpuE3ELNS1_3repE0EEENS1_30default_config_static_selectorELNS0_4arch9wavefront6targetE1EEEvSK_,@function
_ZN7rocprim17ROCPRIM_400000_NS6detail17trampoline_kernelINS0_14default_configENS1_22reduce_config_selectorIjEEZNS1_11reduce_implILb1ES3_N6thrust23THRUST_200600_302600_NS6detail15normal_iteratorINS8_10device_ptrIjEEEEPiiNS8_4plusIiEEEE10hipError_tPvRmT1_T2_T3_mT4_P12ihipStream_tbEUlT_E0_NS1_11comp_targetILNS1_3genE9ELNS1_11target_archE1100ELNS1_3gpuE3ELNS1_3repE0EEENS1_30default_config_static_selectorELNS0_4arch9wavefront6targetE1EEEvSK_: ; @_ZN7rocprim17ROCPRIM_400000_NS6detail17trampoline_kernelINS0_14default_configENS1_22reduce_config_selectorIjEEZNS1_11reduce_implILb1ES3_N6thrust23THRUST_200600_302600_NS6detail15normal_iteratorINS8_10device_ptrIjEEEEPiiNS8_4plusIiEEEE10hipError_tPvRmT1_T2_T3_mT4_P12ihipStream_tbEUlT_E0_NS1_11comp_targetILNS1_3genE9ELNS1_11target_archE1100ELNS1_3gpuE3ELNS1_3repE0EEENS1_30default_config_static_selectorELNS0_4arch9wavefront6targetE1EEEvSK_
; %bb.0:
	.section	.rodata,"a",@progbits
	.p2align	6, 0x0
	.amdhsa_kernel _ZN7rocprim17ROCPRIM_400000_NS6detail17trampoline_kernelINS0_14default_configENS1_22reduce_config_selectorIjEEZNS1_11reduce_implILb1ES3_N6thrust23THRUST_200600_302600_NS6detail15normal_iteratorINS8_10device_ptrIjEEEEPiiNS8_4plusIiEEEE10hipError_tPvRmT1_T2_T3_mT4_P12ihipStream_tbEUlT_E0_NS1_11comp_targetILNS1_3genE9ELNS1_11target_archE1100ELNS1_3gpuE3ELNS1_3repE0EEENS1_30default_config_static_selectorELNS0_4arch9wavefront6targetE1EEEvSK_
		.amdhsa_group_segment_fixed_size 0
		.amdhsa_private_segment_fixed_size 0
		.amdhsa_kernarg_size 56
		.amdhsa_user_sgpr_count 2
		.amdhsa_user_sgpr_dispatch_ptr 0
		.amdhsa_user_sgpr_queue_ptr 0
		.amdhsa_user_sgpr_kernarg_segment_ptr 1
		.amdhsa_user_sgpr_dispatch_id 0
		.amdhsa_user_sgpr_kernarg_preload_length 0
		.amdhsa_user_sgpr_kernarg_preload_offset 0
		.amdhsa_user_sgpr_private_segment_size 0
		.amdhsa_uses_dynamic_stack 0
		.amdhsa_enable_private_segment 0
		.amdhsa_system_sgpr_workgroup_id_x 1
		.amdhsa_system_sgpr_workgroup_id_y 0
		.amdhsa_system_sgpr_workgroup_id_z 0
		.amdhsa_system_sgpr_workgroup_info 0
		.amdhsa_system_vgpr_workitem_id 0
		.amdhsa_next_free_vgpr 1
		.amdhsa_next_free_sgpr 0
		.amdhsa_accum_offset 4
		.amdhsa_reserve_vcc 0
		.amdhsa_float_round_mode_32 0
		.amdhsa_float_round_mode_16_64 0
		.amdhsa_float_denorm_mode_32 3
		.amdhsa_float_denorm_mode_16_64 3
		.amdhsa_dx10_clamp 1
		.amdhsa_ieee_mode 1
		.amdhsa_fp16_overflow 0
		.amdhsa_tg_split 0
		.amdhsa_exception_fp_ieee_invalid_op 0
		.amdhsa_exception_fp_denorm_src 0
		.amdhsa_exception_fp_ieee_div_zero 0
		.amdhsa_exception_fp_ieee_overflow 0
		.amdhsa_exception_fp_ieee_underflow 0
		.amdhsa_exception_fp_ieee_inexact 0
		.amdhsa_exception_int_div_zero 0
	.end_amdhsa_kernel
	.section	.text._ZN7rocprim17ROCPRIM_400000_NS6detail17trampoline_kernelINS0_14default_configENS1_22reduce_config_selectorIjEEZNS1_11reduce_implILb1ES3_N6thrust23THRUST_200600_302600_NS6detail15normal_iteratorINS8_10device_ptrIjEEEEPiiNS8_4plusIiEEEE10hipError_tPvRmT1_T2_T3_mT4_P12ihipStream_tbEUlT_E0_NS1_11comp_targetILNS1_3genE9ELNS1_11target_archE1100ELNS1_3gpuE3ELNS1_3repE0EEENS1_30default_config_static_selectorELNS0_4arch9wavefront6targetE1EEEvSK_,"axG",@progbits,_ZN7rocprim17ROCPRIM_400000_NS6detail17trampoline_kernelINS0_14default_configENS1_22reduce_config_selectorIjEEZNS1_11reduce_implILb1ES3_N6thrust23THRUST_200600_302600_NS6detail15normal_iteratorINS8_10device_ptrIjEEEEPiiNS8_4plusIiEEEE10hipError_tPvRmT1_T2_T3_mT4_P12ihipStream_tbEUlT_E0_NS1_11comp_targetILNS1_3genE9ELNS1_11target_archE1100ELNS1_3gpuE3ELNS1_3repE0EEENS1_30default_config_static_selectorELNS0_4arch9wavefront6targetE1EEEvSK_,comdat
.Lfunc_end394:
	.size	_ZN7rocprim17ROCPRIM_400000_NS6detail17trampoline_kernelINS0_14default_configENS1_22reduce_config_selectorIjEEZNS1_11reduce_implILb1ES3_N6thrust23THRUST_200600_302600_NS6detail15normal_iteratorINS8_10device_ptrIjEEEEPiiNS8_4plusIiEEEE10hipError_tPvRmT1_T2_T3_mT4_P12ihipStream_tbEUlT_E0_NS1_11comp_targetILNS1_3genE9ELNS1_11target_archE1100ELNS1_3gpuE3ELNS1_3repE0EEENS1_30default_config_static_selectorELNS0_4arch9wavefront6targetE1EEEvSK_, .Lfunc_end394-_ZN7rocprim17ROCPRIM_400000_NS6detail17trampoline_kernelINS0_14default_configENS1_22reduce_config_selectorIjEEZNS1_11reduce_implILb1ES3_N6thrust23THRUST_200600_302600_NS6detail15normal_iteratorINS8_10device_ptrIjEEEEPiiNS8_4plusIiEEEE10hipError_tPvRmT1_T2_T3_mT4_P12ihipStream_tbEUlT_E0_NS1_11comp_targetILNS1_3genE9ELNS1_11target_archE1100ELNS1_3gpuE3ELNS1_3repE0EEENS1_30default_config_static_selectorELNS0_4arch9wavefront6targetE1EEEvSK_
                                        ; -- End function
	.set _ZN7rocprim17ROCPRIM_400000_NS6detail17trampoline_kernelINS0_14default_configENS1_22reduce_config_selectorIjEEZNS1_11reduce_implILb1ES3_N6thrust23THRUST_200600_302600_NS6detail15normal_iteratorINS8_10device_ptrIjEEEEPiiNS8_4plusIiEEEE10hipError_tPvRmT1_T2_T3_mT4_P12ihipStream_tbEUlT_E0_NS1_11comp_targetILNS1_3genE9ELNS1_11target_archE1100ELNS1_3gpuE3ELNS1_3repE0EEENS1_30default_config_static_selectorELNS0_4arch9wavefront6targetE1EEEvSK_.num_vgpr, 0
	.set _ZN7rocprim17ROCPRIM_400000_NS6detail17trampoline_kernelINS0_14default_configENS1_22reduce_config_selectorIjEEZNS1_11reduce_implILb1ES3_N6thrust23THRUST_200600_302600_NS6detail15normal_iteratorINS8_10device_ptrIjEEEEPiiNS8_4plusIiEEEE10hipError_tPvRmT1_T2_T3_mT4_P12ihipStream_tbEUlT_E0_NS1_11comp_targetILNS1_3genE9ELNS1_11target_archE1100ELNS1_3gpuE3ELNS1_3repE0EEENS1_30default_config_static_selectorELNS0_4arch9wavefront6targetE1EEEvSK_.num_agpr, 0
	.set _ZN7rocprim17ROCPRIM_400000_NS6detail17trampoline_kernelINS0_14default_configENS1_22reduce_config_selectorIjEEZNS1_11reduce_implILb1ES3_N6thrust23THRUST_200600_302600_NS6detail15normal_iteratorINS8_10device_ptrIjEEEEPiiNS8_4plusIiEEEE10hipError_tPvRmT1_T2_T3_mT4_P12ihipStream_tbEUlT_E0_NS1_11comp_targetILNS1_3genE9ELNS1_11target_archE1100ELNS1_3gpuE3ELNS1_3repE0EEENS1_30default_config_static_selectorELNS0_4arch9wavefront6targetE1EEEvSK_.numbered_sgpr, 0
	.set _ZN7rocprim17ROCPRIM_400000_NS6detail17trampoline_kernelINS0_14default_configENS1_22reduce_config_selectorIjEEZNS1_11reduce_implILb1ES3_N6thrust23THRUST_200600_302600_NS6detail15normal_iteratorINS8_10device_ptrIjEEEEPiiNS8_4plusIiEEEE10hipError_tPvRmT1_T2_T3_mT4_P12ihipStream_tbEUlT_E0_NS1_11comp_targetILNS1_3genE9ELNS1_11target_archE1100ELNS1_3gpuE3ELNS1_3repE0EEENS1_30default_config_static_selectorELNS0_4arch9wavefront6targetE1EEEvSK_.num_named_barrier, 0
	.set _ZN7rocprim17ROCPRIM_400000_NS6detail17trampoline_kernelINS0_14default_configENS1_22reduce_config_selectorIjEEZNS1_11reduce_implILb1ES3_N6thrust23THRUST_200600_302600_NS6detail15normal_iteratorINS8_10device_ptrIjEEEEPiiNS8_4plusIiEEEE10hipError_tPvRmT1_T2_T3_mT4_P12ihipStream_tbEUlT_E0_NS1_11comp_targetILNS1_3genE9ELNS1_11target_archE1100ELNS1_3gpuE3ELNS1_3repE0EEENS1_30default_config_static_selectorELNS0_4arch9wavefront6targetE1EEEvSK_.private_seg_size, 0
	.set _ZN7rocprim17ROCPRIM_400000_NS6detail17trampoline_kernelINS0_14default_configENS1_22reduce_config_selectorIjEEZNS1_11reduce_implILb1ES3_N6thrust23THRUST_200600_302600_NS6detail15normal_iteratorINS8_10device_ptrIjEEEEPiiNS8_4plusIiEEEE10hipError_tPvRmT1_T2_T3_mT4_P12ihipStream_tbEUlT_E0_NS1_11comp_targetILNS1_3genE9ELNS1_11target_archE1100ELNS1_3gpuE3ELNS1_3repE0EEENS1_30default_config_static_selectorELNS0_4arch9wavefront6targetE1EEEvSK_.uses_vcc, 0
	.set _ZN7rocprim17ROCPRIM_400000_NS6detail17trampoline_kernelINS0_14default_configENS1_22reduce_config_selectorIjEEZNS1_11reduce_implILb1ES3_N6thrust23THRUST_200600_302600_NS6detail15normal_iteratorINS8_10device_ptrIjEEEEPiiNS8_4plusIiEEEE10hipError_tPvRmT1_T2_T3_mT4_P12ihipStream_tbEUlT_E0_NS1_11comp_targetILNS1_3genE9ELNS1_11target_archE1100ELNS1_3gpuE3ELNS1_3repE0EEENS1_30default_config_static_selectorELNS0_4arch9wavefront6targetE1EEEvSK_.uses_flat_scratch, 0
	.set _ZN7rocprim17ROCPRIM_400000_NS6detail17trampoline_kernelINS0_14default_configENS1_22reduce_config_selectorIjEEZNS1_11reduce_implILb1ES3_N6thrust23THRUST_200600_302600_NS6detail15normal_iteratorINS8_10device_ptrIjEEEEPiiNS8_4plusIiEEEE10hipError_tPvRmT1_T2_T3_mT4_P12ihipStream_tbEUlT_E0_NS1_11comp_targetILNS1_3genE9ELNS1_11target_archE1100ELNS1_3gpuE3ELNS1_3repE0EEENS1_30default_config_static_selectorELNS0_4arch9wavefront6targetE1EEEvSK_.has_dyn_sized_stack, 0
	.set _ZN7rocprim17ROCPRIM_400000_NS6detail17trampoline_kernelINS0_14default_configENS1_22reduce_config_selectorIjEEZNS1_11reduce_implILb1ES3_N6thrust23THRUST_200600_302600_NS6detail15normal_iteratorINS8_10device_ptrIjEEEEPiiNS8_4plusIiEEEE10hipError_tPvRmT1_T2_T3_mT4_P12ihipStream_tbEUlT_E0_NS1_11comp_targetILNS1_3genE9ELNS1_11target_archE1100ELNS1_3gpuE3ELNS1_3repE0EEENS1_30default_config_static_selectorELNS0_4arch9wavefront6targetE1EEEvSK_.has_recursion, 0
	.set _ZN7rocprim17ROCPRIM_400000_NS6detail17trampoline_kernelINS0_14default_configENS1_22reduce_config_selectorIjEEZNS1_11reduce_implILb1ES3_N6thrust23THRUST_200600_302600_NS6detail15normal_iteratorINS8_10device_ptrIjEEEEPiiNS8_4plusIiEEEE10hipError_tPvRmT1_T2_T3_mT4_P12ihipStream_tbEUlT_E0_NS1_11comp_targetILNS1_3genE9ELNS1_11target_archE1100ELNS1_3gpuE3ELNS1_3repE0EEENS1_30default_config_static_selectorELNS0_4arch9wavefront6targetE1EEEvSK_.has_indirect_call, 0
	.section	.AMDGPU.csdata,"",@progbits
; Kernel info:
; codeLenInByte = 0
; TotalNumSgprs: 6
; NumVgprs: 0
; NumAgprs: 0
; TotalNumVgprs: 0
; ScratchSize: 0
; MemoryBound: 0
; FloatMode: 240
; IeeeMode: 1
; LDSByteSize: 0 bytes/workgroup (compile time only)
; SGPRBlocks: 0
; VGPRBlocks: 0
; NumSGPRsForWavesPerEU: 6
; NumVGPRsForWavesPerEU: 1
; AccumOffset: 4
; Occupancy: 8
; WaveLimiterHint : 0
; COMPUTE_PGM_RSRC2:SCRATCH_EN: 0
; COMPUTE_PGM_RSRC2:USER_SGPR: 2
; COMPUTE_PGM_RSRC2:TRAP_HANDLER: 0
; COMPUTE_PGM_RSRC2:TGID_X_EN: 1
; COMPUTE_PGM_RSRC2:TGID_Y_EN: 0
; COMPUTE_PGM_RSRC2:TGID_Z_EN: 0
; COMPUTE_PGM_RSRC2:TIDIG_COMP_CNT: 0
; COMPUTE_PGM_RSRC3_GFX90A:ACCUM_OFFSET: 0
; COMPUTE_PGM_RSRC3_GFX90A:TG_SPLIT: 0
	.section	.text._ZN7rocprim17ROCPRIM_400000_NS6detail17trampoline_kernelINS0_14default_configENS1_22reduce_config_selectorIjEEZNS1_11reduce_implILb1ES3_N6thrust23THRUST_200600_302600_NS6detail15normal_iteratorINS8_10device_ptrIjEEEEPiiNS8_4plusIiEEEE10hipError_tPvRmT1_T2_T3_mT4_P12ihipStream_tbEUlT_E0_NS1_11comp_targetILNS1_3genE8ELNS1_11target_archE1030ELNS1_3gpuE2ELNS1_3repE0EEENS1_30default_config_static_selectorELNS0_4arch9wavefront6targetE1EEEvSK_,"axG",@progbits,_ZN7rocprim17ROCPRIM_400000_NS6detail17trampoline_kernelINS0_14default_configENS1_22reduce_config_selectorIjEEZNS1_11reduce_implILb1ES3_N6thrust23THRUST_200600_302600_NS6detail15normal_iteratorINS8_10device_ptrIjEEEEPiiNS8_4plusIiEEEE10hipError_tPvRmT1_T2_T3_mT4_P12ihipStream_tbEUlT_E0_NS1_11comp_targetILNS1_3genE8ELNS1_11target_archE1030ELNS1_3gpuE2ELNS1_3repE0EEENS1_30default_config_static_selectorELNS0_4arch9wavefront6targetE1EEEvSK_,comdat
	.protected	_ZN7rocprim17ROCPRIM_400000_NS6detail17trampoline_kernelINS0_14default_configENS1_22reduce_config_selectorIjEEZNS1_11reduce_implILb1ES3_N6thrust23THRUST_200600_302600_NS6detail15normal_iteratorINS8_10device_ptrIjEEEEPiiNS8_4plusIiEEEE10hipError_tPvRmT1_T2_T3_mT4_P12ihipStream_tbEUlT_E0_NS1_11comp_targetILNS1_3genE8ELNS1_11target_archE1030ELNS1_3gpuE2ELNS1_3repE0EEENS1_30default_config_static_selectorELNS0_4arch9wavefront6targetE1EEEvSK_ ; -- Begin function _ZN7rocprim17ROCPRIM_400000_NS6detail17trampoline_kernelINS0_14default_configENS1_22reduce_config_selectorIjEEZNS1_11reduce_implILb1ES3_N6thrust23THRUST_200600_302600_NS6detail15normal_iteratorINS8_10device_ptrIjEEEEPiiNS8_4plusIiEEEE10hipError_tPvRmT1_T2_T3_mT4_P12ihipStream_tbEUlT_E0_NS1_11comp_targetILNS1_3genE8ELNS1_11target_archE1030ELNS1_3gpuE2ELNS1_3repE0EEENS1_30default_config_static_selectorELNS0_4arch9wavefront6targetE1EEEvSK_
	.globl	_ZN7rocprim17ROCPRIM_400000_NS6detail17trampoline_kernelINS0_14default_configENS1_22reduce_config_selectorIjEEZNS1_11reduce_implILb1ES3_N6thrust23THRUST_200600_302600_NS6detail15normal_iteratorINS8_10device_ptrIjEEEEPiiNS8_4plusIiEEEE10hipError_tPvRmT1_T2_T3_mT4_P12ihipStream_tbEUlT_E0_NS1_11comp_targetILNS1_3genE8ELNS1_11target_archE1030ELNS1_3gpuE2ELNS1_3repE0EEENS1_30default_config_static_selectorELNS0_4arch9wavefront6targetE1EEEvSK_
	.p2align	8
	.type	_ZN7rocprim17ROCPRIM_400000_NS6detail17trampoline_kernelINS0_14default_configENS1_22reduce_config_selectorIjEEZNS1_11reduce_implILb1ES3_N6thrust23THRUST_200600_302600_NS6detail15normal_iteratorINS8_10device_ptrIjEEEEPiiNS8_4plusIiEEEE10hipError_tPvRmT1_T2_T3_mT4_P12ihipStream_tbEUlT_E0_NS1_11comp_targetILNS1_3genE8ELNS1_11target_archE1030ELNS1_3gpuE2ELNS1_3repE0EEENS1_30default_config_static_selectorELNS0_4arch9wavefront6targetE1EEEvSK_,@function
_ZN7rocprim17ROCPRIM_400000_NS6detail17trampoline_kernelINS0_14default_configENS1_22reduce_config_selectorIjEEZNS1_11reduce_implILb1ES3_N6thrust23THRUST_200600_302600_NS6detail15normal_iteratorINS8_10device_ptrIjEEEEPiiNS8_4plusIiEEEE10hipError_tPvRmT1_T2_T3_mT4_P12ihipStream_tbEUlT_E0_NS1_11comp_targetILNS1_3genE8ELNS1_11target_archE1030ELNS1_3gpuE2ELNS1_3repE0EEENS1_30default_config_static_selectorELNS0_4arch9wavefront6targetE1EEEvSK_: ; @_ZN7rocprim17ROCPRIM_400000_NS6detail17trampoline_kernelINS0_14default_configENS1_22reduce_config_selectorIjEEZNS1_11reduce_implILb1ES3_N6thrust23THRUST_200600_302600_NS6detail15normal_iteratorINS8_10device_ptrIjEEEEPiiNS8_4plusIiEEEE10hipError_tPvRmT1_T2_T3_mT4_P12ihipStream_tbEUlT_E0_NS1_11comp_targetILNS1_3genE8ELNS1_11target_archE1030ELNS1_3gpuE2ELNS1_3repE0EEENS1_30default_config_static_selectorELNS0_4arch9wavefront6targetE1EEEvSK_
; %bb.0:
	.section	.rodata,"a",@progbits
	.p2align	6, 0x0
	.amdhsa_kernel _ZN7rocprim17ROCPRIM_400000_NS6detail17trampoline_kernelINS0_14default_configENS1_22reduce_config_selectorIjEEZNS1_11reduce_implILb1ES3_N6thrust23THRUST_200600_302600_NS6detail15normal_iteratorINS8_10device_ptrIjEEEEPiiNS8_4plusIiEEEE10hipError_tPvRmT1_T2_T3_mT4_P12ihipStream_tbEUlT_E0_NS1_11comp_targetILNS1_3genE8ELNS1_11target_archE1030ELNS1_3gpuE2ELNS1_3repE0EEENS1_30default_config_static_selectorELNS0_4arch9wavefront6targetE1EEEvSK_
		.amdhsa_group_segment_fixed_size 0
		.amdhsa_private_segment_fixed_size 0
		.amdhsa_kernarg_size 56
		.amdhsa_user_sgpr_count 2
		.amdhsa_user_sgpr_dispatch_ptr 0
		.amdhsa_user_sgpr_queue_ptr 0
		.amdhsa_user_sgpr_kernarg_segment_ptr 1
		.amdhsa_user_sgpr_dispatch_id 0
		.amdhsa_user_sgpr_kernarg_preload_length 0
		.amdhsa_user_sgpr_kernarg_preload_offset 0
		.amdhsa_user_sgpr_private_segment_size 0
		.amdhsa_uses_dynamic_stack 0
		.amdhsa_enable_private_segment 0
		.amdhsa_system_sgpr_workgroup_id_x 1
		.amdhsa_system_sgpr_workgroup_id_y 0
		.amdhsa_system_sgpr_workgroup_id_z 0
		.amdhsa_system_sgpr_workgroup_info 0
		.amdhsa_system_vgpr_workitem_id 0
		.amdhsa_next_free_vgpr 1
		.amdhsa_next_free_sgpr 0
		.amdhsa_accum_offset 4
		.amdhsa_reserve_vcc 0
		.amdhsa_float_round_mode_32 0
		.amdhsa_float_round_mode_16_64 0
		.amdhsa_float_denorm_mode_32 3
		.amdhsa_float_denorm_mode_16_64 3
		.amdhsa_dx10_clamp 1
		.amdhsa_ieee_mode 1
		.amdhsa_fp16_overflow 0
		.amdhsa_tg_split 0
		.amdhsa_exception_fp_ieee_invalid_op 0
		.amdhsa_exception_fp_denorm_src 0
		.amdhsa_exception_fp_ieee_div_zero 0
		.amdhsa_exception_fp_ieee_overflow 0
		.amdhsa_exception_fp_ieee_underflow 0
		.amdhsa_exception_fp_ieee_inexact 0
		.amdhsa_exception_int_div_zero 0
	.end_amdhsa_kernel
	.section	.text._ZN7rocprim17ROCPRIM_400000_NS6detail17trampoline_kernelINS0_14default_configENS1_22reduce_config_selectorIjEEZNS1_11reduce_implILb1ES3_N6thrust23THRUST_200600_302600_NS6detail15normal_iteratorINS8_10device_ptrIjEEEEPiiNS8_4plusIiEEEE10hipError_tPvRmT1_T2_T3_mT4_P12ihipStream_tbEUlT_E0_NS1_11comp_targetILNS1_3genE8ELNS1_11target_archE1030ELNS1_3gpuE2ELNS1_3repE0EEENS1_30default_config_static_selectorELNS0_4arch9wavefront6targetE1EEEvSK_,"axG",@progbits,_ZN7rocprim17ROCPRIM_400000_NS6detail17trampoline_kernelINS0_14default_configENS1_22reduce_config_selectorIjEEZNS1_11reduce_implILb1ES3_N6thrust23THRUST_200600_302600_NS6detail15normal_iteratorINS8_10device_ptrIjEEEEPiiNS8_4plusIiEEEE10hipError_tPvRmT1_T2_T3_mT4_P12ihipStream_tbEUlT_E0_NS1_11comp_targetILNS1_3genE8ELNS1_11target_archE1030ELNS1_3gpuE2ELNS1_3repE0EEENS1_30default_config_static_selectorELNS0_4arch9wavefront6targetE1EEEvSK_,comdat
.Lfunc_end395:
	.size	_ZN7rocprim17ROCPRIM_400000_NS6detail17trampoline_kernelINS0_14default_configENS1_22reduce_config_selectorIjEEZNS1_11reduce_implILb1ES3_N6thrust23THRUST_200600_302600_NS6detail15normal_iteratorINS8_10device_ptrIjEEEEPiiNS8_4plusIiEEEE10hipError_tPvRmT1_T2_T3_mT4_P12ihipStream_tbEUlT_E0_NS1_11comp_targetILNS1_3genE8ELNS1_11target_archE1030ELNS1_3gpuE2ELNS1_3repE0EEENS1_30default_config_static_selectorELNS0_4arch9wavefront6targetE1EEEvSK_, .Lfunc_end395-_ZN7rocprim17ROCPRIM_400000_NS6detail17trampoline_kernelINS0_14default_configENS1_22reduce_config_selectorIjEEZNS1_11reduce_implILb1ES3_N6thrust23THRUST_200600_302600_NS6detail15normal_iteratorINS8_10device_ptrIjEEEEPiiNS8_4plusIiEEEE10hipError_tPvRmT1_T2_T3_mT4_P12ihipStream_tbEUlT_E0_NS1_11comp_targetILNS1_3genE8ELNS1_11target_archE1030ELNS1_3gpuE2ELNS1_3repE0EEENS1_30default_config_static_selectorELNS0_4arch9wavefront6targetE1EEEvSK_
                                        ; -- End function
	.set _ZN7rocprim17ROCPRIM_400000_NS6detail17trampoline_kernelINS0_14default_configENS1_22reduce_config_selectorIjEEZNS1_11reduce_implILb1ES3_N6thrust23THRUST_200600_302600_NS6detail15normal_iteratorINS8_10device_ptrIjEEEEPiiNS8_4plusIiEEEE10hipError_tPvRmT1_T2_T3_mT4_P12ihipStream_tbEUlT_E0_NS1_11comp_targetILNS1_3genE8ELNS1_11target_archE1030ELNS1_3gpuE2ELNS1_3repE0EEENS1_30default_config_static_selectorELNS0_4arch9wavefront6targetE1EEEvSK_.num_vgpr, 0
	.set _ZN7rocprim17ROCPRIM_400000_NS6detail17trampoline_kernelINS0_14default_configENS1_22reduce_config_selectorIjEEZNS1_11reduce_implILb1ES3_N6thrust23THRUST_200600_302600_NS6detail15normal_iteratorINS8_10device_ptrIjEEEEPiiNS8_4plusIiEEEE10hipError_tPvRmT1_T2_T3_mT4_P12ihipStream_tbEUlT_E0_NS1_11comp_targetILNS1_3genE8ELNS1_11target_archE1030ELNS1_3gpuE2ELNS1_3repE0EEENS1_30default_config_static_selectorELNS0_4arch9wavefront6targetE1EEEvSK_.num_agpr, 0
	.set _ZN7rocprim17ROCPRIM_400000_NS6detail17trampoline_kernelINS0_14default_configENS1_22reduce_config_selectorIjEEZNS1_11reduce_implILb1ES3_N6thrust23THRUST_200600_302600_NS6detail15normal_iteratorINS8_10device_ptrIjEEEEPiiNS8_4plusIiEEEE10hipError_tPvRmT1_T2_T3_mT4_P12ihipStream_tbEUlT_E0_NS1_11comp_targetILNS1_3genE8ELNS1_11target_archE1030ELNS1_3gpuE2ELNS1_3repE0EEENS1_30default_config_static_selectorELNS0_4arch9wavefront6targetE1EEEvSK_.numbered_sgpr, 0
	.set _ZN7rocprim17ROCPRIM_400000_NS6detail17trampoline_kernelINS0_14default_configENS1_22reduce_config_selectorIjEEZNS1_11reduce_implILb1ES3_N6thrust23THRUST_200600_302600_NS6detail15normal_iteratorINS8_10device_ptrIjEEEEPiiNS8_4plusIiEEEE10hipError_tPvRmT1_T2_T3_mT4_P12ihipStream_tbEUlT_E0_NS1_11comp_targetILNS1_3genE8ELNS1_11target_archE1030ELNS1_3gpuE2ELNS1_3repE0EEENS1_30default_config_static_selectorELNS0_4arch9wavefront6targetE1EEEvSK_.num_named_barrier, 0
	.set _ZN7rocprim17ROCPRIM_400000_NS6detail17trampoline_kernelINS0_14default_configENS1_22reduce_config_selectorIjEEZNS1_11reduce_implILb1ES3_N6thrust23THRUST_200600_302600_NS6detail15normal_iteratorINS8_10device_ptrIjEEEEPiiNS8_4plusIiEEEE10hipError_tPvRmT1_T2_T3_mT4_P12ihipStream_tbEUlT_E0_NS1_11comp_targetILNS1_3genE8ELNS1_11target_archE1030ELNS1_3gpuE2ELNS1_3repE0EEENS1_30default_config_static_selectorELNS0_4arch9wavefront6targetE1EEEvSK_.private_seg_size, 0
	.set _ZN7rocprim17ROCPRIM_400000_NS6detail17trampoline_kernelINS0_14default_configENS1_22reduce_config_selectorIjEEZNS1_11reduce_implILb1ES3_N6thrust23THRUST_200600_302600_NS6detail15normal_iteratorINS8_10device_ptrIjEEEEPiiNS8_4plusIiEEEE10hipError_tPvRmT1_T2_T3_mT4_P12ihipStream_tbEUlT_E0_NS1_11comp_targetILNS1_3genE8ELNS1_11target_archE1030ELNS1_3gpuE2ELNS1_3repE0EEENS1_30default_config_static_selectorELNS0_4arch9wavefront6targetE1EEEvSK_.uses_vcc, 0
	.set _ZN7rocprim17ROCPRIM_400000_NS6detail17trampoline_kernelINS0_14default_configENS1_22reduce_config_selectorIjEEZNS1_11reduce_implILb1ES3_N6thrust23THRUST_200600_302600_NS6detail15normal_iteratorINS8_10device_ptrIjEEEEPiiNS8_4plusIiEEEE10hipError_tPvRmT1_T2_T3_mT4_P12ihipStream_tbEUlT_E0_NS1_11comp_targetILNS1_3genE8ELNS1_11target_archE1030ELNS1_3gpuE2ELNS1_3repE0EEENS1_30default_config_static_selectorELNS0_4arch9wavefront6targetE1EEEvSK_.uses_flat_scratch, 0
	.set _ZN7rocprim17ROCPRIM_400000_NS6detail17trampoline_kernelINS0_14default_configENS1_22reduce_config_selectorIjEEZNS1_11reduce_implILb1ES3_N6thrust23THRUST_200600_302600_NS6detail15normal_iteratorINS8_10device_ptrIjEEEEPiiNS8_4plusIiEEEE10hipError_tPvRmT1_T2_T3_mT4_P12ihipStream_tbEUlT_E0_NS1_11comp_targetILNS1_3genE8ELNS1_11target_archE1030ELNS1_3gpuE2ELNS1_3repE0EEENS1_30default_config_static_selectorELNS0_4arch9wavefront6targetE1EEEvSK_.has_dyn_sized_stack, 0
	.set _ZN7rocprim17ROCPRIM_400000_NS6detail17trampoline_kernelINS0_14default_configENS1_22reduce_config_selectorIjEEZNS1_11reduce_implILb1ES3_N6thrust23THRUST_200600_302600_NS6detail15normal_iteratorINS8_10device_ptrIjEEEEPiiNS8_4plusIiEEEE10hipError_tPvRmT1_T2_T3_mT4_P12ihipStream_tbEUlT_E0_NS1_11comp_targetILNS1_3genE8ELNS1_11target_archE1030ELNS1_3gpuE2ELNS1_3repE0EEENS1_30default_config_static_selectorELNS0_4arch9wavefront6targetE1EEEvSK_.has_recursion, 0
	.set _ZN7rocprim17ROCPRIM_400000_NS6detail17trampoline_kernelINS0_14default_configENS1_22reduce_config_selectorIjEEZNS1_11reduce_implILb1ES3_N6thrust23THRUST_200600_302600_NS6detail15normal_iteratorINS8_10device_ptrIjEEEEPiiNS8_4plusIiEEEE10hipError_tPvRmT1_T2_T3_mT4_P12ihipStream_tbEUlT_E0_NS1_11comp_targetILNS1_3genE8ELNS1_11target_archE1030ELNS1_3gpuE2ELNS1_3repE0EEENS1_30default_config_static_selectorELNS0_4arch9wavefront6targetE1EEEvSK_.has_indirect_call, 0
	.section	.AMDGPU.csdata,"",@progbits
; Kernel info:
; codeLenInByte = 0
; TotalNumSgprs: 6
; NumVgprs: 0
; NumAgprs: 0
; TotalNumVgprs: 0
; ScratchSize: 0
; MemoryBound: 0
; FloatMode: 240
; IeeeMode: 1
; LDSByteSize: 0 bytes/workgroup (compile time only)
; SGPRBlocks: 0
; VGPRBlocks: 0
; NumSGPRsForWavesPerEU: 6
; NumVGPRsForWavesPerEU: 1
; AccumOffset: 4
; Occupancy: 8
; WaveLimiterHint : 0
; COMPUTE_PGM_RSRC2:SCRATCH_EN: 0
; COMPUTE_PGM_RSRC2:USER_SGPR: 2
; COMPUTE_PGM_RSRC2:TRAP_HANDLER: 0
; COMPUTE_PGM_RSRC2:TGID_X_EN: 1
; COMPUTE_PGM_RSRC2:TGID_Y_EN: 0
; COMPUTE_PGM_RSRC2:TGID_Z_EN: 0
; COMPUTE_PGM_RSRC2:TIDIG_COMP_CNT: 0
; COMPUTE_PGM_RSRC3_GFX90A:ACCUM_OFFSET: 0
; COMPUTE_PGM_RSRC3_GFX90A:TG_SPLIT: 0
	.section	.text._ZN7rocprim17ROCPRIM_400000_NS6detail17trampoline_kernelINS0_14default_configENS1_22reduce_config_selectorIjEEZNS1_11reduce_implILb1ES3_N6thrust23THRUST_200600_302600_NS6detail15normal_iteratorINS8_10device_ptrIjEEEEPiiNS8_4plusIiEEEE10hipError_tPvRmT1_T2_T3_mT4_P12ihipStream_tbEUlT_E1_NS1_11comp_targetILNS1_3genE0ELNS1_11target_archE4294967295ELNS1_3gpuE0ELNS1_3repE0EEENS1_30default_config_static_selectorELNS0_4arch9wavefront6targetE1EEEvSK_,"axG",@progbits,_ZN7rocprim17ROCPRIM_400000_NS6detail17trampoline_kernelINS0_14default_configENS1_22reduce_config_selectorIjEEZNS1_11reduce_implILb1ES3_N6thrust23THRUST_200600_302600_NS6detail15normal_iteratorINS8_10device_ptrIjEEEEPiiNS8_4plusIiEEEE10hipError_tPvRmT1_T2_T3_mT4_P12ihipStream_tbEUlT_E1_NS1_11comp_targetILNS1_3genE0ELNS1_11target_archE4294967295ELNS1_3gpuE0ELNS1_3repE0EEENS1_30default_config_static_selectorELNS0_4arch9wavefront6targetE1EEEvSK_,comdat
	.protected	_ZN7rocprim17ROCPRIM_400000_NS6detail17trampoline_kernelINS0_14default_configENS1_22reduce_config_selectorIjEEZNS1_11reduce_implILb1ES3_N6thrust23THRUST_200600_302600_NS6detail15normal_iteratorINS8_10device_ptrIjEEEEPiiNS8_4plusIiEEEE10hipError_tPvRmT1_T2_T3_mT4_P12ihipStream_tbEUlT_E1_NS1_11comp_targetILNS1_3genE0ELNS1_11target_archE4294967295ELNS1_3gpuE0ELNS1_3repE0EEENS1_30default_config_static_selectorELNS0_4arch9wavefront6targetE1EEEvSK_ ; -- Begin function _ZN7rocprim17ROCPRIM_400000_NS6detail17trampoline_kernelINS0_14default_configENS1_22reduce_config_selectorIjEEZNS1_11reduce_implILb1ES3_N6thrust23THRUST_200600_302600_NS6detail15normal_iteratorINS8_10device_ptrIjEEEEPiiNS8_4plusIiEEEE10hipError_tPvRmT1_T2_T3_mT4_P12ihipStream_tbEUlT_E1_NS1_11comp_targetILNS1_3genE0ELNS1_11target_archE4294967295ELNS1_3gpuE0ELNS1_3repE0EEENS1_30default_config_static_selectorELNS0_4arch9wavefront6targetE1EEEvSK_
	.globl	_ZN7rocprim17ROCPRIM_400000_NS6detail17trampoline_kernelINS0_14default_configENS1_22reduce_config_selectorIjEEZNS1_11reduce_implILb1ES3_N6thrust23THRUST_200600_302600_NS6detail15normal_iteratorINS8_10device_ptrIjEEEEPiiNS8_4plusIiEEEE10hipError_tPvRmT1_T2_T3_mT4_P12ihipStream_tbEUlT_E1_NS1_11comp_targetILNS1_3genE0ELNS1_11target_archE4294967295ELNS1_3gpuE0ELNS1_3repE0EEENS1_30default_config_static_selectorELNS0_4arch9wavefront6targetE1EEEvSK_
	.p2align	8
	.type	_ZN7rocprim17ROCPRIM_400000_NS6detail17trampoline_kernelINS0_14default_configENS1_22reduce_config_selectorIjEEZNS1_11reduce_implILb1ES3_N6thrust23THRUST_200600_302600_NS6detail15normal_iteratorINS8_10device_ptrIjEEEEPiiNS8_4plusIiEEEE10hipError_tPvRmT1_T2_T3_mT4_P12ihipStream_tbEUlT_E1_NS1_11comp_targetILNS1_3genE0ELNS1_11target_archE4294967295ELNS1_3gpuE0ELNS1_3repE0EEENS1_30default_config_static_selectorELNS0_4arch9wavefront6targetE1EEEvSK_,@function
_ZN7rocprim17ROCPRIM_400000_NS6detail17trampoline_kernelINS0_14default_configENS1_22reduce_config_selectorIjEEZNS1_11reduce_implILb1ES3_N6thrust23THRUST_200600_302600_NS6detail15normal_iteratorINS8_10device_ptrIjEEEEPiiNS8_4plusIiEEEE10hipError_tPvRmT1_T2_T3_mT4_P12ihipStream_tbEUlT_E1_NS1_11comp_targetILNS1_3genE0ELNS1_11target_archE4294967295ELNS1_3gpuE0ELNS1_3repE0EEENS1_30default_config_static_selectorELNS0_4arch9wavefront6targetE1EEEvSK_: ; @_ZN7rocprim17ROCPRIM_400000_NS6detail17trampoline_kernelINS0_14default_configENS1_22reduce_config_selectorIjEEZNS1_11reduce_implILb1ES3_N6thrust23THRUST_200600_302600_NS6detail15normal_iteratorINS8_10device_ptrIjEEEEPiiNS8_4plusIiEEEE10hipError_tPvRmT1_T2_T3_mT4_P12ihipStream_tbEUlT_E1_NS1_11comp_targetILNS1_3genE0ELNS1_11target_archE4294967295ELNS1_3gpuE0ELNS1_3repE0EEENS1_30default_config_static_selectorELNS0_4arch9wavefront6targetE1EEEvSK_
; %bb.0:
	s_load_dword s33, s[0:1], 0x4
	s_load_dwordx4 s[68:71], s[0:1], 0x8
	s_waitcnt lgkmcnt(0)
	s_cmp_lt_i32 s33, 8
	s_cbranch_scc1 .LBB396_11
; %bb.1:
	s_cmp_gt_i32 s33, 15
	s_cbranch_scc0 .LBB396_12
; %bb.2:
	s_cmp_gt_i32 s33, 31
	s_cbranch_scc0 .LBB396_13
; %bb.3:
	s_cmp_eq_u32 s33, 32
	s_mov_b64 s[66:67], 0
	s_cbranch_scc0 .LBB396_14
; %bb.4:
	s_mov_b32 s3, 0
	s_lshl_b32 s4, s2, 13
	s_mov_b32 s5, s3
	s_lshr_b64 s[6:7], s[70:71], 13
	s_lshl_b64 s[8:9], s[4:5], 2
	s_add_u32 s72, s68, s8
	s_addc_u32 s73, s69, s9
	s_cmp_lg_u64 s[6:7], s[2:3]
	s_cbranch_scc0 .LBB396_23
; %bb.5:
	v_lshlrev_b32_e32 v2, 2, v0
	v_mov_b32_e32 v3, 0
	v_lshl_add_u64 v[4:5], s[72:73], 0, v[2:3]
	global_load_dword v1, v2, s[72:73]
	global_load_dword v8, v2, s[72:73] offset:1024
	global_load_dword v9, v2, s[72:73] offset:2048
	;; [unrolled: 1-line block ×3, first 2 shown]
	v_add_co_u32_e32 v2, vcc, 0x1000, v4
	s_waitcnt vmcnt(2)
	v_add_u32_e32 v1, v8, v1
	v_addc_co_u32_e32 v3, vcc, 0, v5, vcc
	v_add_co_u32_e32 v6, vcc, 0x2000, v4
	s_waitcnt vmcnt(0)
	v_add3_u32 v1, v1, v9, v10
	v_addc_co_u32_e32 v7, vcc, 0, v5, vcc
	global_load_dword v11, v[2:3], off
	global_load_dword v12, v[2:3], off offset:1024
	global_load_dword v13, v[2:3], off offset:2048
	global_load_dword v14, v[2:3], off offset:3072
	global_load_dword v15, v[6:7], off
	global_load_dword v16, v[6:7], off offset:1024
	global_load_dword v17, v[6:7], off offset:2048
	global_load_dword v18, v[6:7], off offset:3072
	v_add_co_u32_e32 v2, vcc, 0x3000, v4
	s_waitcnt vmcnt(6)
	v_add3_u32 v1, v1, v11, v12
	v_addc_co_u32_e32 v3, vcc, 0, v5, vcc
	v_add_co_u32_e32 v6, vcc, 0x4000, v4
	s_waitcnt vmcnt(4)
	v_add3_u32 v1, v1, v13, v14
	v_addc_co_u32_e32 v7, vcc, 0, v5, vcc
	global_load_dword v19, v[2:3], off
	global_load_dword v20, v[2:3], off offset:1024
	global_load_dword v21, v[2:3], off offset:2048
	global_load_dword v22, v[2:3], off offset:3072
	global_load_dword v23, v[6:7], off
	global_load_dword v24, v[6:7], off offset:1024
	global_load_dword v25, v[6:7], off offset:2048
	global_load_dword v26, v[6:7], off offset:3072
	v_add_co_u32_e32 v2, vcc, 0x5000, v4
	s_waitcnt vmcnt(10)
	v_add3_u32 v1, v1, v15, v16
	v_addc_co_u32_e32 v3, vcc, 0, v5, vcc
	v_add_co_u32_e32 v6, vcc, 0x6000, v4
	s_waitcnt vmcnt(8)
	v_add3_u32 v1, v1, v17, v18
	v_addc_co_u32_e32 v7, vcc, 0, v5, vcc
	global_load_dword v27, v[2:3], off
	global_load_dword v28, v[2:3], off offset:1024
	global_load_dword v29, v[2:3], off offset:2048
	global_load_dword v30, v[2:3], off offset:3072
	global_load_dword v31, v[6:7], off
	global_load_dword v32, v[6:7], off offset:1024
	global_load_dword v33, v[6:7], off offset:2048
	global_load_dword v34, v[6:7], off offset:3072
	v_add_co_u32_e32 v2, vcc, 0x7000, v4
	s_waitcnt vmcnt(14)
	v_add3_u32 v1, v1, v19, v20
	v_addc_co_u32_e32 v3, vcc, 0, v5, vcc
	global_load_dword v4, v[2:3], off
	global_load_dword v5, v[2:3], off offset:1024
	global_load_dword v6, v[2:3], off offset:2048
	;; [unrolled: 1-line block ×3, first 2 shown]
	s_waitcnt vmcnt(16)
	v_add3_u32 v1, v1, v21, v22
	s_waitcnt vmcnt(14)
	v_add3_u32 v1, v1, v23, v24
	;; [unrolled: 2-line block ×3, first 2 shown]
	v_mbcnt_lo_u32_b32 v2, -1, 0
	v_mbcnt_hi_u32_b32 v2, -1, v2
	v_lshlrev_b32_e32 v3, 2, v2
	v_cmp_eq_u32_e32 vcc, 0, v2
	s_waitcnt vmcnt(10)
	v_add3_u32 v1, v1, v27, v28
	s_waitcnt vmcnt(8)
	v_add3_u32 v1, v1, v29, v30
	;; [unrolled: 2-line block ×5, first 2 shown]
	v_or_b32_e32 v4, 0xfc, v3
	s_waitcnt vmcnt(0)
	v_add3_u32 v1, v1, v6, v7
	s_nop 1
	v_add_u32_dpp v1, v1, v1 quad_perm:[1,0,3,2] row_mask:0xf bank_mask:0xf bound_ctrl:1
	s_nop 1
	v_add_u32_dpp v1, v1, v1 quad_perm:[2,3,0,1] row_mask:0xf bank_mask:0xf bound_ctrl:1
	s_nop 1
	v_add_u32_dpp v1, v1, v1 row_ror:4 row_mask:0xf bank_mask:0xf bound_ctrl:1
	s_nop 1
	v_add_u32_dpp v1, v1, v1 row_ror:8 row_mask:0xf bank_mask:0xf bound_ctrl:1
	s_nop 1
	v_add_u32_dpp v1, v1, v1 row_bcast:15 row_mask:0xf bank_mask:0xf bound_ctrl:1
	s_nop 1
	v_add_u32_dpp v1, v1, v1 row_bcast:31 row_mask:0xf bank_mask:0xf bound_ctrl:1
	ds_bpermute_b32 v1, v4, v1
	s_and_saveexec_b64 s[6:7], vcc
	s_cbranch_execz .LBB396_7
; %bb.6:
	v_lshrrev_b32_e32 v4, 4, v0
	v_and_b32_e32 v4, 12, v4
	s_waitcnt lgkmcnt(0)
	ds_write_b32 v4, v1 offset:48
.LBB396_7:
	s_or_b64 exec, exec, s[6:7]
	v_cmp_gt_u32_e32 vcc, 64, v0
	s_waitcnt lgkmcnt(0)
	s_barrier
	s_and_saveexec_b64 s[6:7], vcc
	s_cbranch_execz .LBB396_9
; %bb.8:
	v_and_b32_e32 v1, 3, v2
	v_lshlrev_b32_e32 v4, 2, v1
	ds_read_b32 v4, v4 offset:48
	v_cmp_ne_u32_e32 vcc, 3, v1
	s_nop 1
	v_addc_co_u32_e32 v1, vcc, 0, v2, vcc
	v_lshlrev_b32_e32 v1, 2, v1
	s_waitcnt lgkmcnt(0)
	ds_bpermute_b32 v1, v1, v4
	v_or_b32_e32 v2, 8, v3
	s_waitcnt lgkmcnt(0)
	v_add_u32_e32 v1, v1, v4
	ds_bpermute_b32 v2, v2, v1
	s_waitcnt lgkmcnt(0)
	v_add_u32_e32 v1, v2, v1
.LBB396_9:
	s_or_b64 exec, exec, s[6:7]
.LBB396_10:
	v_cmp_eq_u32_e64 s[4:5], 0, v0
	s_and_b64 vcc, exec, s[66:67]
	s_cbranch_vccnz .LBB396_15
	s_branch .LBB396_93
.LBB396_11:
	s_mov_b64 s[4:5], 0
                                        ; implicit-def: $vgpr1
	s_cbranch_execnz .LBB396_166
	s_branch .LBB396_224
.LBB396_12:
	s_mov_b64 s[4:5], 0
                                        ; implicit-def: $vgpr1
	s_cbranch_execnz .LBB396_134
	s_branch .LBB396_142
.LBB396_13:
	s_mov_b64 s[66:67], -1
.LBB396_14:
	s_mov_b64 s[4:5], 0
                                        ; implicit-def: $vgpr1
	s_and_b64 vcc, exec, s[66:67]
	s_cbranch_vccz .LBB396_93
.LBB396_15:
	s_cmp_eq_u32 s33, 16
	s_cbranch_scc0 .LBB396_22
; %bb.16:
	s_mov_b32 s3, 0
	s_lshl_b32 s4, s2, 12
	s_mov_b32 s5, s3
	s_lshr_b64 s[6:7], s[70:71], 12
	s_lshl_b64 s[8:9], s[4:5], 2
	s_add_u32 s34, s68, s8
	s_addc_u32 s35, s69, s9
	s_cmp_lg_u64 s[6:7], s[2:3]
	s_cbranch_scc0 .LBB396_94
; %bb.17:
	v_lshlrev_b32_e32 v2, 2, v0
	v_mov_b32_e32 v3, 0
	v_lshl_add_u64 v[4:5], s[34:35], 0, v[2:3]
	global_load_dword v1, v2, s[34:35]
	global_load_dword v8, v2, s[34:35] offset:1024
	global_load_dword v9, v2, s[34:35] offset:2048
	;; [unrolled: 1-line block ×3, first 2 shown]
	v_add_co_u32_e32 v2, vcc, 0x1000, v4
	s_waitcnt vmcnt(2)
	v_add_u32_e32 v1, v8, v1
	v_addc_co_u32_e32 v3, vcc, 0, v5, vcc
	v_add_co_u32_e32 v6, vcc, 0x2000, v4
	s_waitcnt vmcnt(0)
	v_add3_u32 v1, v1, v9, v10
	v_addc_co_u32_e32 v7, vcc, 0, v5, vcc
	global_load_dword v11, v[2:3], off
	global_load_dword v12, v[2:3], off offset:1024
	global_load_dword v13, v[2:3], off offset:2048
	;; [unrolled: 1-line block ×3, first 2 shown]
	global_load_dword v15, v[6:7], off
	global_load_dword v16, v[6:7], off offset:1024
	global_load_dword v17, v[6:7], off offset:2048
	;; [unrolled: 1-line block ×3, first 2 shown]
	v_add_co_u32_e32 v2, vcc, 0x3000, v4
	s_waitcnt vmcnt(6)
	v_add3_u32 v1, v1, v11, v12
	v_addc_co_u32_e32 v3, vcc, 0, v5, vcc
	global_load_dword v4, v[2:3], off
	global_load_dword v5, v[2:3], off offset:1024
	global_load_dword v6, v[2:3], off offset:2048
	;; [unrolled: 1-line block ×3, first 2 shown]
	s_waitcnt vmcnt(8)
	v_add3_u32 v1, v1, v13, v14
	s_waitcnt vmcnt(6)
	v_add3_u32 v1, v1, v15, v16
	;; [unrolled: 2-line block ×3, first 2 shown]
	v_mbcnt_lo_u32_b32 v2, -1, 0
	v_mbcnt_hi_u32_b32 v2, -1, v2
	v_lshlrev_b32_e32 v3, 2, v2
	v_cmp_eq_u32_e32 vcc, 0, v2
	s_waitcnt vmcnt(2)
	v_add3_u32 v1, v1, v4, v5
	v_or_b32_e32 v4, 0xfc, v3
	s_waitcnt vmcnt(0)
	v_add3_u32 v1, v1, v6, v7
	s_nop 1
	v_add_u32_dpp v1, v1, v1 quad_perm:[1,0,3,2] row_mask:0xf bank_mask:0xf bound_ctrl:1
	s_nop 1
	v_add_u32_dpp v1, v1, v1 quad_perm:[2,3,0,1] row_mask:0xf bank_mask:0xf bound_ctrl:1
	s_nop 1
	v_add_u32_dpp v1, v1, v1 row_ror:4 row_mask:0xf bank_mask:0xf bound_ctrl:1
	s_nop 1
	v_add_u32_dpp v1, v1, v1 row_ror:8 row_mask:0xf bank_mask:0xf bound_ctrl:1
	s_nop 1
	v_add_u32_dpp v1, v1, v1 row_bcast:15 row_mask:0xf bank_mask:0xf bound_ctrl:1
	s_nop 1
	v_add_u32_dpp v1, v1, v1 row_bcast:31 row_mask:0xf bank_mask:0xf bound_ctrl:1
	ds_bpermute_b32 v1, v4, v1
	s_and_saveexec_b64 s[6:7], vcc
	s_cbranch_execz .LBB396_19
; %bb.18:
	v_lshrrev_b32_e32 v4, 4, v0
	v_and_b32_e32 v4, 12, v4
	s_waitcnt lgkmcnt(0)
	ds_write_b32 v4, v1
.LBB396_19:
	s_or_b64 exec, exec, s[6:7]
	v_cmp_gt_u32_e32 vcc, 64, v0
	s_waitcnt lgkmcnt(0)
	s_barrier
	s_and_saveexec_b64 s[6:7], vcc
	s_cbranch_execz .LBB396_21
; %bb.20:
	v_and_b32_e32 v1, 3, v2
	v_lshlrev_b32_e32 v4, 2, v1
	ds_read_b32 v4, v4
	v_cmp_ne_u32_e32 vcc, 3, v1
	s_nop 1
	v_addc_co_u32_e32 v1, vcc, 0, v2, vcc
	v_lshlrev_b32_e32 v1, 2, v1
	s_waitcnt lgkmcnt(0)
	ds_bpermute_b32 v1, v1, v4
	v_or_b32_e32 v2, 8, v3
	s_waitcnt lgkmcnt(0)
	v_add_u32_e32 v1, v1, v4
	ds_bpermute_b32 v2, v2, v1
	s_waitcnt lgkmcnt(0)
	v_add_u32_e32 v1, v2, v1
.LBB396_21:
	s_or_b64 exec, exec, s[6:7]
	s_mov_b64 s[6:7], 0
	s_branch .LBB396_95
.LBB396_22:
                                        ; implicit-def: $vgpr1
	s_branch .LBB396_142
.LBB396_23:
                                        ; implicit-def: $vgpr1
	s_cbranch_execz .LBB396_10
; %bb.24:
	s_sub_i32 s76, s70, s4
	v_mov_b32_e32 v2, 0
	v_cmp_gt_u32_e32 vcc, s76, v0
	v_mov_b32_e32 v3, v2
	v_mov_b32_e32 v4, v2
	;; [unrolled: 1-line block ×31, first 2 shown]
	s_and_saveexec_b64 s[4:5], vcc
	s_cbranch_execz .LBB396_26
; %bb.25:
	v_lshlrev_b32_e32 v1, 2, v0
	global_load_dword v4, v1, s[72:73]
	v_mov_b32_e32 v5, v2
	v_mov_b32_e32 v6, v2
	;; [unrolled: 1-line block ×31, first 2 shown]
	s_waitcnt vmcnt(0)
	v_mov_b64_e32 v[2:3], v[4:5]
	v_mov_b64_e32 v[4:5], v[6:7]
	;; [unrolled: 1-line block ×16, first 2 shown]
.LBB396_26:
	s_or_b64 exec, exec, s[4:5]
	v_or_b32_e32 v1, 0x100, v0
	v_cmp_gt_u32_e32 vcc, s76, v1
	s_and_saveexec_b64 s[4:5], vcc
	s_cbranch_execz .LBB396_28
; %bb.27:
	v_lshlrev_b32_e32 v1, 2, v0
	global_load_dword v3, v1, s[72:73] offset:1024
.LBB396_28:
	s_or_b64 exec, exec, s[4:5]
	v_or_b32_e32 v1, 0x200, v0
	v_cmp_gt_u32_e64 s[4:5], s76, v1
	s_and_saveexec_b64 s[6:7], s[4:5]
	s_cbranch_execz .LBB396_30
; %bb.29:
	v_lshlrev_b32_e32 v1, 2, v0
	global_load_dword v4, v1, s[72:73] offset:2048
.LBB396_30:
	s_or_b64 exec, exec, s[6:7]
	v_or_b32_e32 v1, 0x300, v0
	v_cmp_gt_u32_e64 s[6:7], s76, v1
	s_and_saveexec_b64 s[8:9], s[6:7]
	;; [unrolled: 9-line block ×3, first 2 shown]
	s_cbranch_execz .LBB396_34
; %bb.33:
	v_lshlrev_b32_e32 v1, 2, v1
	global_load_dword v6, v1, s[72:73]
.LBB396_34:
	s_or_b64 exec, exec, s[10:11]
	v_or_b32_e32 v1, 0x500, v0
	v_cmp_gt_u32_e64 s[10:11], s76, v1
	s_and_saveexec_b64 s[12:13], s[10:11]
	s_cbranch_execz .LBB396_36
; %bb.35:
	v_lshlrev_b32_e32 v1, 2, v1
	global_load_dword v7, v1, s[72:73]
.LBB396_36:
	s_or_b64 exec, exec, s[12:13]
	v_or_b32_e32 v1, 0x600, v0
	v_cmp_gt_u32_e64 s[12:13], s76, v1
	s_and_saveexec_b64 s[14:15], s[12:13]
	;; [unrolled: 9-line block ×27, first 2 shown]
	s_cbranch_execz .LBB396_88
; %bb.87:
	v_lshlrev_b32_e32 v1, 2, v1
	global_load_dword v33, v1, s[72:73]
.LBB396_88:
	s_or_b64 exec, exec, s[74:75]
	s_waitcnt vmcnt(0)
	v_cndmask_b32_e32 v1, 0, v3, vcc
	v_add_u32_e32 v1, v1, v2
	v_cndmask_b32_e64 v2, 0, v4, s[4:5]
	v_cndmask_b32_e64 v3, 0, v5, s[6:7]
	v_add3_u32 v1, v1, v2, v3
	v_cndmask_b32_e64 v2, 0, v6, s[8:9]
	v_cndmask_b32_e64 v3, 0, v7, s[10:11]
	v_add3_u32 v1, v1, v2, v3
	;; [unrolled: 3-line block ×15, first 2 shown]
	v_mbcnt_lo_u32_b32 v2, -1, 0
	v_mbcnt_hi_u32_b32 v2, -1, v2
	v_and_b32_e32 v4, 63, v2
	v_cmp_ne_u32_e32 vcc, 63, v4
	s_min_u32 s6, s76, 0x100
	v_and_b32_e32 v5, 0xc0, v0
	v_addc_co_u32_e32 v3, vcc, 0, v2, vcc
	v_lshlrev_b32_e32 v3, 2, v3
	ds_bpermute_b32 v3, v3, v1
	v_sub_u32_e64 v5, s6, v5 clamp
	v_add_u32_e32 v6, 1, v4
	v_cmp_lt_u32_e32 vcc, v6, v5
	v_add_u32_e32 v6, 2, v4
	s_waitcnt lgkmcnt(0)
	v_cndmask_b32_e32 v3, 0, v3, vcc
	v_cmp_gt_u32_e32 vcc, 62, v4
	v_add_u32_e32 v1, v1, v3
	s_nop 0
	v_cndmask_b32_e64 v3, 0, 2, vcc
	v_add_lshl_u32 v3, v3, v2, 2
	ds_bpermute_b32 v3, v3, v1
	v_cmp_lt_u32_e32 vcc, v6, v5
	v_add_u32_e32 v6, 4, v4
	s_waitcnt lgkmcnt(0)
	v_cndmask_b32_e32 v3, 0, v3, vcc
	v_cmp_gt_u32_e32 vcc, 60, v4
	v_add_u32_e32 v1, v1, v3
	s_nop 0
	v_cndmask_b32_e64 v3, 0, 4, vcc
	v_add_lshl_u32 v3, v3, v2, 2
	ds_bpermute_b32 v3, v3, v1
	;; [unrolled: 10-line block ×3, first 2 shown]
	v_cmp_lt_u32_e32 vcc, v6, v5
	v_add_u32_e32 v6, 16, v4
	s_waitcnt lgkmcnt(0)
	v_cndmask_b32_e32 v3, 0, v3, vcc
	v_cmp_gt_u32_e32 vcc, 48, v4
	v_add_u32_e32 v1, v1, v3
	v_add_u32_e32 v4, 32, v4
	v_cndmask_b32_e64 v3, 0, 16, vcc
	v_add_lshl_u32 v3, v3, v2, 2
	ds_bpermute_b32 v3, v3, v1
	v_cmp_lt_u32_e32 vcc, v6, v5
	s_waitcnt lgkmcnt(0)
	s_nop 0
	v_cndmask_b32_e32 v3, 0, v3, vcc
	v_add_u32_e32 v1, v1, v3
	v_lshlrev_b32_e32 v3, 2, v2
	v_or_b32_e32 v6, 0x80, v3
	ds_bpermute_b32 v6, v6, v1
	v_cmp_lt_u32_e32 vcc, v4, v5
	s_waitcnt lgkmcnt(0)
	s_nop 0
	v_cndmask_b32_e32 v4, 0, v6, vcc
	v_add_u32_e32 v1, v1, v4
	v_cmp_eq_u32_e32 vcc, 0, v2
	s_and_saveexec_b64 s[4:5], vcc
; %bb.89:
	v_lshrrev_b32_e32 v4, 4, v0
	v_and_b32_e32 v4, 12, v4
	ds_write_b32 v4, v1 offset:96
; %bb.90:
	s_or_b64 exec, exec, s[4:5]
	v_cmp_gt_u32_e32 vcc, 4, v0
	s_waitcnt lgkmcnt(0)
	s_barrier
	s_and_saveexec_b64 s[4:5], vcc
	s_cbranch_execz .LBB396_92
; %bb.91:
	ds_read_b32 v1, v3 offset:96
	v_and_b32_e32 v4, 3, v2
	v_cmp_ne_u32_e32 vcc, 3, v4
	s_add_i32 s6, s6, 63
	s_lshr_b32 s6, s6, 6
	v_addc_co_u32_e32 v2, vcc, 0, v2, vcc
	v_lshlrev_b32_e32 v2, 2, v2
	s_waitcnt lgkmcnt(0)
	ds_bpermute_b32 v2, v2, v1
	v_add_u32_e32 v5, 1, v4
	v_cmp_gt_u32_e32 vcc, s6, v5
	s_waitcnt lgkmcnt(0)
	s_nop 0
	v_cndmask_b32_e32 v2, 0, v2, vcc
	v_add_u32_e32 v1, v2, v1
	v_or_b32_e32 v2, 8, v3
	ds_bpermute_b32 v2, v2, v1
	v_add_u32_e32 v3, 2, v4
	v_cmp_gt_u32_e32 vcc, s6, v3
	s_waitcnt lgkmcnt(0)
	s_nop 0
	v_cndmask_b32_e32 v2, 0, v2, vcc
	v_add_u32_e32 v1, v1, v2
.LBB396_92:
	s_or_b64 exec, exec, s[4:5]
	v_cmp_eq_u32_e64 s[4:5], 0, v0
	s_and_b64 vcc, exec, s[66:67]
	s_cbranch_vccnz .LBB396_15
.LBB396_93:
	s_branch .LBB396_142
.LBB396_94:
	s_mov_b64 s[6:7], -1
                                        ; implicit-def: $vgpr1
.LBB396_95:
	s_and_b64 vcc, exec, s[6:7]
	s_cbranch_vccz .LBB396_133
; %bb.96:
	s_sub_i32 s38, s70, s4
	v_mov_b32_e32 v2, 0
	v_cmp_gt_u32_e32 vcc, s38, v0
	v_mov_b32_e32 v3, v2
	v_mov_b32_e32 v4, v2
	;; [unrolled: 1-line block ×15, first 2 shown]
	s_and_saveexec_b64 s[4:5], vcc
	s_cbranch_execz .LBB396_98
; %bb.97:
	v_lshlrev_b32_e32 v1, 2, v0
	global_load_dword v4, v1, s[34:35]
	v_mov_b32_e32 v5, v2
	v_mov_b32_e32 v6, v2
	;; [unrolled: 1-line block ×15, first 2 shown]
	s_waitcnt vmcnt(0)
	v_mov_b64_e32 v[2:3], v[4:5]
	v_mov_b64_e32 v[4:5], v[6:7]
	;; [unrolled: 1-line block ×8, first 2 shown]
.LBB396_98:
	s_or_b64 exec, exec, s[4:5]
	v_or_b32_e32 v1, 0x100, v0
	v_cmp_gt_u32_e32 vcc, s38, v1
	s_and_saveexec_b64 s[4:5], vcc
	s_cbranch_execz .LBB396_100
; %bb.99:
	v_lshlrev_b32_e32 v1, 2, v0
	global_load_dword v3, v1, s[34:35] offset:1024
.LBB396_100:
	s_or_b64 exec, exec, s[4:5]
	v_or_b32_e32 v1, 0x200, v0
	v_cmp_gt_u32_e64 s[4:5], s38, v1
	s_and_saveexec_b64 s[6:7], s[4:5]
	s_cbranch_execz .LBB396_102
; %bb.101:
	v_lshlrev_b32_e32 v1, 2, v0
	global_load_dword v4, v1, s[34:35] offset:2048
.LBB396_102:
	s_or_b64 exec, exec, s[6:7]
	v_or_b32_e32 v1, 0x300, v0
	v_cmp_gt_u32_e64 s[6:7], s38, v1
	s_and_saveexec_b64 s[8:9], s[6:7]
	;; [unrolled: 9-line block ×3, first 2 shown]
	s_cbranch_execz .LBB396_106
; %bb.105:
	v_lshlrev_b32_e32 v1, 2, v1
	global_load_dword v6, v1, s[34:35]
.LBB396_106:
	s_or_b64 exec, exec, s[10:11]
	v_or_b32_e32 v1, 0x500, v0
	v_cmp_gt_u32_e64 s[10:11], s38, v1
	s_and_saveexec_b64 s[12:13], s[10:11]
	s_cbranch_execz .LBB396_108
; %bb.107:
	v_lshlrev_b32_e32 v1, 2, v1
	global_load_dword v7, v1, s[34:35]
.LBB396_108:
	s_or_b64 exec, exec, s[12:13]
	v_or_b32_e32 v1, 0x600, v0
	v_cmp_gt_u32_e64 s[12:13], s38, v1
	s_and_saveexec_b64 s[14:15], s[12:13]
	;; [unrolled: 9-line block ×11, first 2 shown]
	s_cbranch_execz .LBB396_128
; %bb.127:
	v_lshlrev_b32_e32 v1, 2, v1
	global_load_dword v17, v1, s[34:35]
.LBB396_128:
	s_or_b64 exec, exec, s[36:37]
	s_waitcnt vmcnt(0)
	v_cndmask_b32_e32 v1, 0, v3, vcc
	v_add_u32_e32 v1, v1, v2
	v_cndmask_b32_e64 v2, 0, v4, s[4:5]
	v_cndmask_b32_e64 v3, 0, v5, s[6:7]
	v_add3_u32 v1, v1, v2, v3
	v_cndmask_b32_e64 v2, 0, v6, s[8:9]
	v_cndmask_b32_e64 v3, 0, v7, s[10:11]
	v_add3_u32 v1, v1, v2, v3
	;; [unrolled: 3-line block ×7, first 2 shown]
	v_mbcnt_lo_u32_b32 v2, -1, 0
	v_mbcnt_hi_u32_b32 v2, -1, v2
	v_and_b32_e32 v4, 63, v2
	v_cmp_ne_u32_e32 vcc, 63, v4
	s_min_u32 s6, s38, 0x100
	v_and_b32_e32 v5, 0xc0, v0
	v_addc_co_u32_e32 v3, vcc, 0, v2, vcc
	v_lshlrev_b32_e32 v3, 2, v3
	ds_bpermute_b32 v3, v3, v1
	v_sub_u32_e64 v5, s6, v5 clamp
	v_add_u32_e32 v6, 1, v4
	v_cmp_lt_u32_e32 vcc, v6, v5
	v_add_u32_e32 v6, 2, v4
	s_waitcnt lgkmcnt(0)
	v_cndmask_b32_e32 v3, 0, v3, vcc
	v_cmp_gt_u32_e32 vcc, 62, v4
	v_add_u32_e32 v1, v1, v3
	s_nop 0
	v_cndmask_b32_e64 v3, 0, 2, vcc
	v_add_lshl_u32 v3, v3, v2, 2
	ds_bpermute_b32 v3, v3, v1
	v_cmp_lt_u32_e32 vcc, v6, v5
	v_add_u32_e32 v6, 4, v4
	s_waitcnt lgkmcnt(0)
	v_cndmask_b32_e32 v3, 0, v3, vcc
	v_cmp_gt_u32_e32 vcc, 60, v4
	v_add_u32_e32 v1, v1, v3
	s_nop 0
	v_cndmask_b32_e64 v3, 0, 4, vcc
	v_add_lshl_u32 v3, v3, v2, 2
	ds_bpermute_b32 v3, v3, v1
	;; [unrolled: 10-line block ×3, first 2 shown]
	v_cmp_lt_u32_e32 vcc, v6, v5
	v_add_u32_e32 v6, 16, v4
	s_waitcnt lgkmcnt(0)
	v_cndmask_b32_e32 v3, 0, v3, vcc
	v_cmp_gt_u32_e32 vcc, 48, v4
	v_add_u32_e32 v1, v1, v3
	v_add_u32_e32 v4, 32, v4
	v_cndmask_b32_e64 v3, 0, 16, vcc
	v_add_lshl_u32 v3, v3, v2, 2
	ds_bpermute_b32 v3, v3, v1
	v_cmp_lt_u32_e32 vcc, v6, v5
	s_waitcnt lgkmcnt(0)
	s_nop 0
	v_cndmask_b32_e32 v3, 0, v3, vcc
	v_add_u32_e32 v1, v1, v3
	v_lshlrev_b32_e32 v3, 2, v2
	v_or_b32_e32 v6, 0x80, v3
	ds_bpermute_b32 v6, v6, v1
	v_cmp_lt_u32_e32 vcc, v4, v5
	s_waitcnt lgkmcnt(0)
	s_nop 0
	v_cndmask_b32_e32 v4, 0, v6, vcc
	v_add_u32_e32 v1, v1, v4
	v_cmp_eq_u32_e32 vcc, 0, v2
	s_and_saveexec_b64 s[4:5], vcc
; %bb.129:
	v_lshrrev_b32_e32 v4, 4, v0
	v_and_b32_e32 v4, 12, v4
	ds_write_b32 v4, v1 offset:96
; %bb.130:
	s_or_b64 exec, exec, s[4:5]
	v_cmp_gt_u32_e32 vcc, 4, v0
	s_waitcnt lgkmcnt(0)
	s_barrier
	s_and_saveexec_b64 s[4:5], vcc
	s_cbranch_execz .LBB396_132
; %bb.131:
	ds_read_b32 v1, v3 offset:96
	v_and_b32_e32 v4, 3, v2
	v_cmp_ne_u32_e32 vcc, 3, v4
	s_add_i32 s6, s6, 63
	s_lshr_b32 s6, s6, 6
	v_addc_co_u32_e32 v2, vcc, 0, v2, vcc
	v_lshlrev_b32_e32 v2, 2, v2
	s_waitcnt lgkmcnt(0)
	ds_bpermute_b32 v2, v2, v1
	v_add_u32_e32 v5, 1, v4
	v_cmp_gt_u32_e32 vcc, s6, v5
	s_waitcnt lgkmcnt(0)
	s_nop 0
	v_cndmask_b32_e32 v2, 0, v2, vcc
	v_add_u32_e32 v1, v2, v1
	v_or_b32_e32 v2, 8, v3
	ds_bpermute_b32 v2, v2, v1
	v_add_u32_e32 v3, 2, v4
	v_cmp_gt_u32_e32 vcc, s6, v3
	s_waitcnt lgkmcnt(0)
	s_nop 0
	v_cndmask_b32_e32 v2, 0, v2, vcc
	v_add_u32_e32 v1, v1, v2
.LBB396_132:
	s_or_b64 exec, exec, s[4:5]
.LBB396_133:
	v_cmp_eq_u32_e64 s[4:5], 0, v0
	s_branch .LBB396_142
.LBB396_134:
	s_cmp_eq_u32 s33, 8
	s_cbranch_scc0 .LBB396_141
; %bb.135:
	s_mov_b32 s3, 0
	s_lshl_b32 s4, s2, 11
	s_mov_b32 s5, s3
	s_lshr_b64 s[6:7], s[70:71], 11
	s_lshl_b64 s[8:9], s[4:5], 2
	s_add_u32 s16, s68, s8
	s_addc_u32 s17, s69, s9
	s_cmp_lg_u64 s[6:7], s[2:3]
	s_cbranch_scc0 .LBB396_143
; %bb.136:
	v_lshlrev_b32_e32 v2, 2, v0
	v_mov_b32_e32 v3, 0
	v_lshl_add_u64 v[4:5], s[16:17], 0, v[2:3]
	v_add_co_u32_e32 v4, vcc, 0x1000, v4
	s_nop 1
	v_addc_co_u32_e32 v5, vcc, 0, v5, vcc
	global_load_dword v1, v2, s[16:17]
	global_load_dword v6, v2, s[16:17] offset:1024
	global_load_dword v7, v2, s[16:17] offset:2048
	;; [unrolled: 1-line block ×3, first 2 shown]
	global_load_dword v9, v[4:5], off
	global_load_dword v10, v[4:5], off offset:1024
	global_load_dword v11, v[4:5], off offset:2048
	;; [unrolled: 1-line block ×3, first 2 shown]
	v_mbcnt_lo_u32_b32 v2, -1, 0
	v_mbcnt_hi_u32_b32 v2, -1, v2
	v_lshlrev_b32_e32 v3, 2, v2
	v_or_b32_e32 v4, 0xfc, v3
	v_cmp_eq_u32_e32 vcc, 0, v2
	s_waitcnt vmcnt(6)
	v_add_u32_e32 v1, v6, v1
	s_waitcnt vmcnt(4)
	v_add3_u32 v1, v1, v7, v8
	s_waitcnt vmcnt(2)
	v_add3_u32 v1, v1, v9, v10
	;; [unrolled: 2-line block ×3, first 2 shown]
	s_nop 1
	v_add_u32_dpp v1, v1, v1 quad_perm:[1,0,3,2] row_mask:0xf bank_mask:0xf bound_ctrl:1
	s_nop 1
	v_add_u32_dpp v1, v1, v1 quad_perm:[2,3,0,1] row_mask:0xf bank_mask:0xf bound_ctrl:1
	s_nop 1
	v_add_u32_dpp v1, v1, v1 row_ror:4 row_mask:0xf bank_mask:0xf bound_ctrl:1
	s_nop 1
	v_add_u32_dpp v1, v1, v1 row_ror:8 row_mask:0xf bank_mask:0xf bound_ctrl:1
	s_nop 1
	v_add_u32_dpp v1, v1, v1 row_bcast:15 row_mask:0xf bank_mask:0xf bound_ctrl:1
	s_nop 1
	v_add_u32_dpp v1, v1, v1 row_bcast:31 row_mask:0xf bank_mask:0xf bound_ctrl:1
	ds_bpermute_b32 v1, v4, v1
	s_and_saveexec_b64 s[6:7], vcc
	s_cbranch_execz .LBB396_138
; %bb.137:
	v_lshrrev_b32_e32 v4, 4, v0
	v_and_b32_e32 v4, 12, v4
	s_waitcnt lgkmcnt(0)
	ds_write_b32 v4, v1 offset:80
.LBB396_138:
	s_or_b64 exec, exec, s[6:7]
	v_cmp_gt_u32_e32 vcc, 64, v0
	s_waitcnt lgkmcnt(0)
	s_barrier
	s_and_saveexec_b64 s[6:7], vcc
	s_cbranch_execz .LBB396_140
; %bb.139:
	v_and_b32_e32 v1, 3, v2
	v_lshlrev_b32_e32 v4, 2, v1
	ds_read_b32 v4, v4 offset:80
	v_cmp_ne_u32_e32 vcc, 3, v1
	s_nop 1
	v_addc_co_u32_e32 v1, vcc, 0, v2, vcc
	v_lshlrev_b32_e32 v1, 2, v1
	s_waitcnt lgkmcnt(0)
	ds_bpermute_b32 v1, v1, v4
	v_or_b32_e32 v2, 8, v3
	s_waitcnt lgkmcnt(0)
	v_add_u32_e32 v1, v1, v4
	ds_bpermute_b32 v2, v2, v1
	s_waitcnt lgkmcnt(0)
	v_add_u32_e32 v1, v2, v1
.LBB396_140:
	s_or_b64 exec, exec, s[6:7]
	s_branch .LBB396_165
.LBB396_141:
                                        ; implicit-def: $vgpr1
.LBB396_142:
	s_branch .LBB396_224
.LBB396_143:
                                        ; implicit-def: $vgpr1
	s_cbranch_execz .LBB396_165
; %bb.144:
	s_sub_i32 s20, s70, s4
	v_mov_b32_e32 v2, 0
	v_cmp_gt_u32_e32 vcc, s20, v0
	v_mov_b32_e32 v3, v2
	v_mov_b32_e32 v4, v2
	;; [unrolled: 1-line block ×7, first 2 shown]
	s_and_saveexec_b64 s[4:5], vcc
	s_cbranch_execz .LBB396_146
; %bb.145:
	v_lshlrev_b32_e32 v1, 2, v0
	global_load_dword v4, v1, s[16:17]
	v_mov_b32_e32 v5, v2
	v_mov_b32_e32 v6, v2
	;; [unrolled: 1-line block ×7, first 2 shown]
	s_waitcnt vmcnt(0)
	v_mov_b64_e32 v[2:3], v[4:5]
	v_mov_b64_e32 v[4:5], v[6:7]
	;; [unrolled: 1-line block ×4, first 2 shown]
.LBB396_146:
	s_or_b64 exec, exec, s[4:5]
	v_or_b32_e32 v1, 0x100, v0
	v_cmp_gt_u32_e32 vcc, s20, v1
	s_and_saveexec_b64 s[4:5], vcc
	s_cbranch_execz .LBB396_148
; %bb.147:
	v_lshlrev_b32_e32 v1, 2, v0
	global_load_dword v3, v1, s[16:17] offset:1024
.LBB396_148:
	s_or_b64 exec, exec, s[4:5]
	v_or_b32_e32 v1, 0x200, v0
	v_cmp_gt_u32_e64 s[4:5], s20, v1
	s_and_saveexec_b64 s[6:7], s[4:5]
	s_cbranch_execz .LBB396_150
; %bb.149:
	v_lshlrev_b32_e32 v1, 2, v0
	global_load_dword v4, v1, s[16:17] offset:2048
.LBB396_150:
	s_or_b64 exec, exec, s[6:7]
	v_or_b32_e32 v1, 0x300, v0
	v_cmp_gt_u32_e64 s[6:7], s20, v1
	s_and_saveexec_b64 s[8:9], s[6:7]
	;; [unrolled: 9-line block ×3, first 2 shown]
	s_cbranch_execz .LBB396_154
; %bb.153:
	v_lshlrev_b32_e32 v1, 2, v1
	global_load_dword v6, v1, s[16:17]
.LBB396_154:
	s_or_b64 exec, exec, s[10:11]
	v_or_b32_e32 v1, 0x500, v0
	v_cmp_gt_u32_e64 s[10:11], s20, v1
	s_and_saveexec_b64 s[12:13], s[10:11]
	s_cbranch_execz .LBB396_156
; %bb.155:
	v_lshlrev_b32_e32 v1, 2, v1
	global_load_dword v7, v1, s[16:17]
.LBB396_156:
	s_or_b64 exec, exec, s[12:13]
	v_or_b32_e32 v1, 0x600, v0
	v_cmp_gt_u32_e64 s[12:13], s20, v1
	s_and_saveexec_b64 s[14:15], s[12:13]
	;; [unrolled: 9-line block ×3, first 2 shown]
	s_cbranch_execz .LBB396_160
; %bb.159:
	v_lshlrev_b32_e32 v1, 2, v1
	global_load_dword v9, v1, s[16:17]
.LBB396_160:
	s_or_b64 exec, exec, s[18:19]
	s_waitcnt vmcnt(0)
	v_cndmask_b32_e32 v1, 0, v3, vcc
	v_add_u32_e32 v1, v1, v2
	v_cndmask_b32_e64 v2, 0, v4, s[4:5]
	v_cndmask_b32_e64 v3, 0, v5, s[6:7]
	v_add3_u32 v1, v1, v2, v3
	v_cndmask_b32_e64 v2, 0, v6, s[8:9]
	v_cndmask_b32_e64 v3, 0, v7, s[10:11]
	v_add3_u32 v1, v1, v2, v3
	;; [unrolled: 3-line block ×3, first 2 shown]
	v_mbcnt_lo_u32_b32 v2, -1, 0
	v_mbcnt_hi_u32_b32 v2, -1, v2
	v_and_b32_e32 v4, 63, v2
	v_cmp_ne_u32_e32 vcc, 63, v4
	s_min_u32 s6, s20, 0x100
	v_and_b32_e32 v5, 0xc0, v0
	v_addc_co_u32_e32 v3, vcc, 0, v2, vcc
	v_lshlrev_b32_e32 v3, 2, v3
	ds_bpermute_b32 v3, v3, v1
	v_sub_u32_e64 v5, s6, v5 clamp
	v_add_u32_e32 v6, 1, v4
	v_cmp_lt_u32_e32 vcc, v6, v5
	v_add_u32_e32 v6, 2, v4
	s_waitcnt lgkmcnt(0)
	v_cndmask_b32_e32 v3, 0, v3, vcc
	v_cmp_gt_u32_e32 vcc, 62, v4
	v_add_u32_e32 v1, v1, v3
	s_nop 0
	v_cndmask_b32_e64 v3, 0, 2, vcc
	v_add_lshl_u32 v3, v3, v2, 2
	ds_bpermute_b32 v3, v3, v1
	v_cmp_lt_u32_e32 vcc, v6, v5
	v_add_u32_e32 v6, 4, v4
	s_waitcnt lgkmcnt(0)
	v_cndmask_b32_e32 v3, 0, v3, vcc
	v_cmp_gt_u32_e32 vcc, 60, v4
	v_add_u32_e32 v1, v1, v3
	s_nop 0
	v_cndmask_b32_e64 v3, 0, 4, vcc
	v_add_lshl_u32 v3, v3, v2, 2
	ds_bpermute_b32 v3, v3, v1
	;; [unrolled: 10-line block ×3, first 2 shown]
	v_cmp_lt_u32_e32 vcc, v6, v5
	v_add_u32_e32 v6, 16, v4
	s_waitcnt lgkmcnt(0)
	v_cndmask_b32_e32 v3, 0, v3, vcc
	v_cmp_gt_u32_e32 vcc, 48, v4
	v_add_u32_e32 v1, v1, v3
	v_add_u32_e32 v4, 32, v4
	v_cndmask_b32_e64 v3, 0, 16, vcc
	v_add_lshl_u32 v3, v3, v2, 2
	ds_bpermute_b32 v3, v3, v1
	v_cmp_lt_u32_e32 vcc, v6, v5
	s_waitcnt lgkmcnt(0)
	s_nop 0
	v_cndmask_b32_e32 v3, 0, v3, vcc
	v_add_u32_e32 v1, v1, v3
	v_lshlrev_b32_e32 v3, 2, v2
	v_or_b32_e32 v6, 0x80, v3
	ds_bpermute_b32 v6, v6, v1
	v_cmp_lt_u32_e32 vcc, v4, v5
	s_waitcnt lgkmcnt(0)
	s_nop 0
	v_cndmask_b32_e32 v4, 0, v6, vcc
	v_add_u32_e32 v1, v1, v4
	v_cmp_eq_u32_e32 vcc, 0, v2
	s_and_saveexec_b64 s[4:5], vcc
; %bb.161:
	v_lshrrev_b32_e32 v4, 4, v0
	v_and_b32_e32 v4, 12, v4
	ds_write_b32 v4, v1 offset:96
; %bb.162:
	s_or_b64 exec, exec, s[4:5]
	v_cmp_gt_u32_e32 vcc, 4, v0
	s_waitcnt lgkmcnt(0)
	s_barrier
	s_and_saveexec_b64 s[4:5], vcc
	s_cbranch_execz .LBB396_164
; %bb.163:
	ds_read_b32 v1, v3 offset:96
	v_and_b32_e32 v4, 3, v2
	v_cmp_ne_u32_e32 vcc, 3, v4
	s_add_i32 s6, s6, 63
	s_lshr_b32 s6, s6, 6
	v_addc_co_u32_e32 v2, vcc, 0, v2, vcc
	v_lshlrev_b32_e32 v2, 2, v2
	s_waitcnt lgkmcnt(0)
	ds_bpermute_b32 v2, v2, v1
	v_add_u32_e32 v5, 1, v4
	v_cmp_gt_u32_e32 vcc, s6, v5
	s_waitcnt lgkmcnt(0)
	s_nop 0
	v_cndmask_b32_e32 v2, 0, v2, vcc
	v_add_u32_e32 v1, v2, v1
	v_or_b32_e32 v2, 8, v3
	ds_bpermute_b32 v2, v2, v1
	v_add_u32_e32 v3, 2, v4
	v_cmp_gt_u32_e32 vcc, s6, v3
	s_waitcnt lgkmcnt(0)
	s_nop 0
	v_cndmask_b32_e32 v2, 0, v2, vcc
	v_add_u32_e32 v1, v1, v2
.LBB396_164:
	s_or_b64 exec, exec, s[4:5]
.LBB396_165:
	v_cmp_eq_u32_e64 s[4:5], 0, v0
	s_branch .LBB396_224
.LBB396_166:
	s_cmp_gt_i32 s33, 1
	s_cbranch_scc0 .LBB396_175
; %bb.167:
	s_cmp_gt_i32 s33, 3
	s_cbranch_scc0 .LBB396_176
; %bb.168:
	s_cmp_eq_u32 s33, 4
	s_cbranch_scc0 .LBB396_177
; %bb.169:
	s_mov_b32 s3, 0
	s_lshl_b32 s4, s2, 10
	s_mov_b32 s5, s3
	s_lshr_b64 s[6:7], s[70:71], 10
	s_lshl_b64 s[8:9], s[4:5], 2
	s_add_u32 s8, s68, s8
	s_addc_u32 s9, s69, s9
	s_cmp_lg_u64 s[6:7], s[2:3]
	s_cbranch_scc0 .LBB396_179
; %bb.170:
	v_lshlrev_b32_e32 v1, 2, v0
	global_load_dword v4, v1, s[8:9]
	global_load_dword v5, v1, s[8:9] offset:1024
	global_load_dword v6, v1, s[8:9] offset:2048
	;; [unrolled: 1-line block ×3, first 2 shown]
	v_mbcnt_lo_u32_b32 v1, -1, 0
	v_mbcnt_hi_u32_b32 v2, -1, v1
	v_lshlrev_b32_e32 v3, 2, v2
	v_cmp_eq_u32_e32 vcc, 0, v2
	s_waitcnt vmcnt(2)
	v_add_u32_e32 v1, v5, v4
	v_or_b32_e32 v4, 0xfc, v3
	s_waitcnt vmcnt(0)
	v_add3_u32 v1, v1, v6, v7
	s_nop 1
	v_add_u32_dpp v1, v1, v1 quad_perm:[1,0,3,2] row_mask:0xf bank_mask:0xf bound_ctrl:1
	s_nop 1
	v_add_u32_dpp v1, v1, v1 quad_perm:[2,3,0,1] row_mask:0xf bank_mask:0xf bound_ctrl:1
	s_nop 1
	v_add_u32_dpp v1, v1, v1 row_ror:4 row_mask:0xf bank_mask:0xf bound_ctrl:1
	s_nop 1
	v_add_u32_dpp v1, v1, v1 row_ror:8 row_mask:0xf bank_mask:0xf bound_ctrl:1
	s_nop 1
	v_add_u32_dpp v1, v1, v1 row_bcast:15 row_mask:0xf bank_mask:0xf bound_ctrl:1
	s_nop 1
	v_add_u32_dpp v1, v1, v1 row_bcast:31 row_mask:0xf bank_mask:0xf bound_ctrl:1
	ds_bpermute_b32 v1, v4, v1
	s_and_saveexec_b64 s[6:7], vcc
	s_cbranch_execz .LBB396_172
; %bb.171:
	v_lshrrev_b32_e32 v4, 4, v0
	v_and_b32_e32 v4, 12, v4
	s_waitcnt lgkmcnt(0)
	ds_write_b32 v4, v1 offset:64
.LBB396_172:
	s_or_b64 exec, exec, s[6:7]
	v_cmp_gt_u32_e32 vcc, 64, v0
	s_waitcnt lgkmcnt(0)
	s_barrier
	s_and_saveexec_b64 s[6:7], vcc
	s_cbranch_execz .LBB396_174
; %bb.173:
	v_and_b32_e32 v1, 3, v2
	v_lshlrev_b32_e32 v4, 2, v1
	ds_read_b32 v4, v4 offset:64
	v_cmp_ne_u32_e32 vcc, 3, v1
	s_nop 1
	v_addc_co_u32_e32 v1, vcc, 0, v2, vcc
	v_lshlrev_b32_e32 v1, 2, v1
	s_waitcnt lgkmcnt(0)
	ds_bpermute_b32 v1, v1, v4
	v_or_b32_e32 v2, 8, v3
	s_waitcnt lgkmcnt(0)
	v_add_u32_e32 v1, v1, v4
	ds_bpermute_b32 v2, v2, v1
	s_waitcnt lgkmcnt(0)
	v_add_u32_e32 v1, v2, v1
.LBB396_174:
	s_or_b64 exec, exec, s[6:7]
	s_mov_b64 s[6:7], 0
	s_branch .LBB396_180
.LBB396_175:
                                        ; implicit-def: $vgpr1
	s_cbranch_execnz .LBB396_215
	s_branch .LBB396_224
.LBB396_176:
                                        ; implicit-def: $vgpr1
	s_cbranch_execz .LBB396_178
	s_branch .LBB396_195
.LBB396_177:
                                        ; implicit-def: $vgpr1
.LBB396_178:
	s_branch .LBB396_224
.LBB396_179:
	s_mov_b64 s[6:7], -1
                                        ; implicit-def: $vgpr1
.LBB396_180:
	s_and_b64 vcc, exec, s[6:7]
	s_cbranch_vccz .LBB396_194
; %bb.181:
	s_sub_i32 s12, s70, s4
	v_mov_b32_e32 v2, 0
	v_cmp_gt_u32_e32 vcc, s12, v0
	v_mov_b32_e32 v3, v2
	v_mov_b32_e32 v4, v2
	;; [unrolled: 1-line block ×3, first 2 shown]
	s_and_saveexec_b64 s[4:5], vcc
	s_cbranch_execz .LBB396_183
; %bb.182:
	v_lshlrev_b32_e32 v1, 2, v0
	global_load_dword v4, v1, s[8:9]
	v_mov_b32_e32 v5, v2
	v_mov_b32_e32 v6, v2
	;; [unrolled: 1-line block ×3, first 2 shown]
	s_waitcnt vmcnt(0)
	v_mov_b64_e32 v[2:3], v[4:5]
	v_mov_b64_e32 v[4:5], v[6:7]
.LBB396_183:
	s_or_b64 exec, exec, s[4:5]
	v_or_b32_e32 v1, 0x100, v0
	v_cmp_gt_u32_e32 vcc, s12, v1
	s_and_saveexec_b64 s[4:5], vcc
	s_cbranch_execz .LBB396_185
; %bb.184:
	v_lshlrev_b32_e32 v1, 2, v0
	global_load_dword v3, v1, s[8:9] offset:1024
.LBB396_185:
	s_or_b64 exec, exec, s[4:5]
	v_or_b32_e32 v1, 0x200, v0
	v_cmp_gt_u32_e64 s[4:5], s12, v1
	s_and_saveexec_b64 s[6:7], s[4:5]
	s_cbranch_execz .LBB396_187
; %bb.186:
	v_lshlrev_b32_e32 v1, 2, v0
	global_load_dword v4, v1, s[8:9] offset:2048
.LBB396_187:
	s_or_b64 exec, exec, s[6:7]
	v_or_b32_e32 v1, 0x300, v0
	v_cmp_gt_u32_e64 s[6:7], s12, v1
	s_and_saveexec_b64 s[10:11], s[6:7]
	s_cbranch_execz .LBB396_189
; %bb.188:
	v_lshlrev_b32_e32 v1, 2, v0
	global_load_dword v5, v1, s[8:9] offset:3072
.LBB396_189:
	s_or_b64 exec, exec, s[10:11]
	s_waitcnt vmcnt(0)
	v_cndmask_b32_e32 v1, 0, v3, vcc
	v_add_u32_e32 v1, v1, v2
	v_cndmask_b32_e64 v2, 0, v4, s[4:5]
	v_cndmask_b32_e64 v3, 0, v5, s[6:7]
	v_add3_u32 v1, v1, v2, v3
	v_mbcnt_lo_u32_b32 v2, -1, 0
	v_mbcnt_hi_u32_b32 v2, -1, v2
	v_and_b32_e32 v4, 63, v2
	v_cmp_ne_u32_e32 vcc, 63, v4
	s_min_u32 s6, s12, 0x100
	v_and_b32_e32 v5, 0xc0, v0
	v_addc_co_u32_e32 v3, vcc, 0, v2, vcc
	v_lshlrev_b32_e32 v3, 2, v3
	ds_bpermute_b32 v3, v3, v1
	v_sub_u32_e64 v5, s6, v5 clamp
	v_add_u32_e32 v6, 1, v4
	v_cmp_lt_u32_e32 vcc, v6, v5
	v_add_u32_e32 v6, 2, v4
	s_waitcnt lgkmcnt(0)
	v_cndmask_b32_e32 v3, 0, v3, vcc
	v_cmp_gt_u32_e32 vcc, 62, v4
	v_add_u32_e32 v1, v3, v1
	s_nop 0
	v_cndmask_b32_e64 v3, 0, 2, vcc
	v_add_lshl_u32 v3, v3, v2, 2
	ds_bpermute_b32 v3, v3, v1
	v_cmp_lt_u32_e32 vcc, v6, v5
	v_add_u32_e32 v6, 4, v4
	s_waitcnt lgkmcnt(0)
	v_cndmask_b32_e32 v3, 0, v3, vcc
	v_cmp_gt_u32_e32 vcc, 60, v4
	v_add_u32_e32 v1, v1, v3
	s_nop 0
	v_cndmask_b32_e64 v3, 0, 4, vcc
	v_add_lshl_u32 v3, v3, v2, 2
	ds_bpermute_b32 v3, v3, v1
	;; [unrolled: 10-line block ×3, first 2 shown]
	v_cmp_lt_u32_e32 vcc, v6, v5
	v_add_u32_e32 v6, 16, v4
	s_waitcnt lgkmcnt(0)
	v_cndmask_b32_e32 v3, 0, v3, vcc
	v_cmp_gt_u32_e32 vcc, 48, v4
	v_add_u32_e32 v1, v1, v3
	v_add_u32_e32 v4, 32, v4
	v_cndmask_b32_e64 v3, 0, 16, vcc
	v_add_lshl_u32 v3, v3, v2, 2
	ds_bpermute_b32 v3, v3, v1
	v_cmp_lt_u32_e32 vcc, v6, v5
	s_waitcnt lgkmcnt(0)
	s_nop 0
	v_cndmask_b32_e32 v3, 0, v3, vcc
	v_add_u32_e32 v1, v1, v3
	v_lshlrev_b32_e32 v3, 2, v2
	v_or_b32_e32 v6, 0x80, v3
	ds_bpermute_b32 v6, v6, v1
	v_cmp_lt_u32_e32 vcc, v4, v5
	s_waitcnt lgkmcnt(0)
	s_nop 0
	v_cndmask_b32_e32 v4, 0, v6, vcc
	v_add_u32_e32 v1, v1, v4
	v_cmp_eq_u32_e32 vcc, 0, v2
	s_and_saveexec_b64 s[4:5], vcc
; %bb.190:
	v_lshrrev_b32_e32 v4, 4, v0
	v_and_b32_e32 v4, 12, v4
	ds_write_b32 v4, v1 offset:96
; %bb.191:
	s_or_b64 exec, exec, s[4:5]
	v_cmp_gt_u32_e32 vcc, 4, v0
	s_waitcnt lgkmcnt(0)
	s_barrier
	s_and_saveexec_b64 s[4:5], vcc
	s_cbranch_execz .LBB396_193
; %bb.192:
	ds_read_b32 v1, v3 offset:96
	v_and_b32_e32 v4, 3, v2
	v_cmp_ne_u32_e32 vcc, 3, v4
	s_add_i32 s6, s6, 63
	s_lshr_b32 s6, s6, 6
	v_addc_co_u32_e32 v2, vcc, 0, v2, vcc
	v_lshlrev_b32_e32 v2, 2, v2
	s_waitcnt lgkmcnt(0)
	ds_bpermute_b32 v2, v2, v1
	v_add_u32_e32 v5, 1, v4
	v_cmp_gt_u32_e32 vcc, s6, v5
	s_waitcnt lgkmcnt(0)
	s_nop 0
	v_cndmask_b32_e32 v2, 0, v2, vcc
	v_add_u32_e32 v1, v2, v1
	v_or_b32_e32 v2, 8, v3
	ds_bpermute_b32 v2, v2, v1
	v_add_u32_e32 v3, 2, v4
	v_cmp_gt_u32_e32 vcc, s6, v3
	s_waitcnt lgkmcnt(0)
	s_nop 0
	v_cndmask_b32_e32 v2, 0, v2, vcc
	v_add_u32_e32 v1, v1, v2
.LBB396_193:
	s_or_b64 exec, exec, s[4:5]
.LBB396_194:
	v_cmp_eq_u32_e64 s[4:5], 0, v0
	s_branch .LBB396_178
.LBB396_195:
	s_cmp_eq_u32 s33, 2
	s_cbranch_scc0 .LBB396_202
; %bb.196:
	s_mov_b32 s3, 0
	s_lshl_b32 s6, s2, 9
	s_mov_b32 s7, s3
	s_lshr_b64 s[8:9], s[70:71], 9
	s_lshl_b64 s[4:5], s[6:7], 2
	s_add_u32 s4, s68, s4
	s_addc_u32 s5, s69, s5
	s_cmp_lg_u64 s[8:9], s[2:3]
	s_cbranch_scc0 .LBB396_203
; %bb.197:
	v_lshlrev_b32_e32 v1, 2, v0
	global_load_dword v4, v1, s[4:5]
	global_load_dword v5, v1, s[4:5] offset:1024
	v_mbcnt_lo_u32_b32 v1, -1, 0
	v_mbcnt_hi_u32_b32 v2, -1, v1
	v_lshlrev_b32_e32 v3, 2, v2
	v_cmp_eq_u32_e32 vcc, 0, v2
	s_waitcnt vmcnt(0)
	v_add_u32_e32 v1, v5, v4
	s_nop 1
	v_add_u32_dpp v1, v1, v1 quad_perm:[1,0,3,2] row_mask:0xf bank_mask:0xf bound_ctrl:1
	v_or_b32_e32 v4, 0xfc, v3
	s_nop 0
	v_add_u32_dpp v1, v1, v1 quad_perm:[2,3,0,1] row_mask:0xf bank_mask:0xf bound_ctrl:1
	s_nop 1
	v_add_u32_dpp v1, v1, v1 row_ror:4 row_mask:0xf bank_mask:0xf bound_ctrl:1
	s_nop 1
	v_add_u32_dpp v1, v1, v1 row_ror:8 row_mask:0xf bank_mask:0xf bound_ctrl:1
	s_nop 1
	v_add_u32_dpp v1, v1, v1 row_bcast:15 row_mask:0xf bank_mask:0xf bound_ctrl:1
	s_nop 1
	v_add_u32_dpp v1, v1, v1 row_bcast:31 row_mask:0xf bank_mask:0xf bound_ctrl:1
	ds_bpermute_b32 v1, v4, v1
	s_and_saveexec_b64 s[8:9], vcc
	s_cbranch_execz .LBB396_199
; %bb.198:
	v_lshrrev_b32_e32 v4, 4, v0
	v_and_b32_e32 v4, 12, v4
	s_waitcnt lgkmcnt(0)
	ds_write_b32 v4, v1 offset:32
.LBB396_199:
	s_or_b64 exec, exec, s[8:9]
	v_cmp_gt_u32_e32 vcc, 64, v0
	s_waitcnt lgkmcnt(0)
	s_barrier
	s_and_saveexec_b64 s[8:9], vcc
	s_cbranch_execz .LBB396_201
; %bb.200:
	v_and_b32_e32 v1, 3, v2
	v_lshlrev_b32_e32 v4, 2, v1
	ds_read_b32 v4, v4 offset:32
	v_cmp_ne_u32_e32 vcc, 3, v1
	s_nop 1
	v_addc_co_u32_e32 v1, vcc, 0, v2, vcc
	v_lshlrev_b32_e32 v1, 2, v1
	s_waitcnt lgkmcnt(0)
	ds_bpermute_b32 v1, v1, v4
	v_or_b32_e32 v2, 8, v3
	s_waitcnt lgkmcnt(0)
	v_add_u32_e32 v1, v1, v4
	ds_bpermute_b32 v2, v2, v1
	s_waitcnt lgkmcnt(0)
	v_add_u32_e32 v1, v2, v1
.LBB396_201:
	s_or_b64 exec, exec, s[8:9]
	s_mov_b64 s[8:9], 0
	s_branch .LBB396_204
.LBB396_202:
                                        ; implicit-def: $vgpr1
	s_branch .LBB396_224
.LBB396_203:
	s_mov_b64 s[8:9], -1
                                        ; implicit-def: $vgpr1
.LBB396_204:
	s_and_b64 vcc, exec, s[8:9]
	s_cbranch_vccz .LBB396_214
; %bb.205:
	s_sub_i32 s8, s70, s6
	v_mov_b32_e32 v2, 0
	v_cmp_gt_u32_e32 vcc, s8, v0
	v_mov_b32_e32 v3, v2
	s_and_saveexec_b64 s[6:7], vcc
	s_cbranch_execz .LBB396_207
; %bb.206:
	v_lshlrev_b32_e32 v1, 2, v0
	global_load_dword v4, v1, s[4:5]
	v_mov_b32_e32 v5, v2
	s_waitcnt vmcnt(0)
	v_mov_b64_e32 v[2:3], v[4:5]
.LBB396_207:
	s_or_b64 exec, exec, s[6:7]
	v_or_b32_e32 v1, 0x100, v0
	v_cmp_gt_u32_e32 vcc, s8, v1
	s_and_saveexec_b64 s[6:7], vcc
	s_cbranch_execz .LBB396_209
; %bb.208:
	v_lshlrev_b32_e32 v1, 2, v0
	global_load_dword v3, v1, s[4:5] offset:1024
.LBB396_209:
	s_or_b64 exec, exec, s[6:7]
	s_waitcnt vmcnt(0)
	v_cndmask_b32_e32 v1, 0, v3, vcc
	v_add_u32_e32 v1, v1, v2
	v_mbcnt_lo_u32_b32 v2, -1, 0
	v_mbcnt_hi_u32_b32 v2, -1, v2
	v_and_b32_e32 v4, 63, v2
	v_cmp_ne_u32_e32 vcc, 63, v4
	s_min_u32 s6, s8, 0x100
	v_and_b32_e32 v5, 0xc0, v0
	v_addc_co_u32_e32 v3, vcc, 0, v2, vcc
	v_lshlrev_b32_e32 v3, 2, v3
	ds_bpermute_b32 v3, v3, v1
	v_sub_u32_e64 v5, s6, v5 clamp
	v_add_u32_e32 v6, 1, v4
	v_cmp_lt_u32_e32 vcc, v6, v5
	v_add_u32_e32 v6, 2, v4
	s_waitcnt lgkmcnt(0)
	v_cndmask_b32_e32 v3, 0, v3, vcc
	v_cmp_gt_u32_e32 vcc, 62, v4
	v_add_u32_e32 v1, v3, v1
	s_nop 0
	v_cndmask_b32_e64 v3, 0, 2, vcc
	v_add_lshl_u32 v3, v3, v2, 2
	ds_bpermute_b32 v3, v3, v1
	v_cmp_lt_u32_e32 vcc, v6, v5
	v_add_u32_e32 v6, 4, v4
	s_waitcnt lgkmcnt(0)
	v_cndmask_b32_e32 v3, 0, v3, vcc
	v_cmp_gt_u32_e32 vcc, 60, v4
	v_add_u32_e32 v1, v1, v3
	s_nop 0
	v_cndmask_b32_e64 v3, 0, 4, vcc
	v_add_lshl_u32 v3, v3, v2, 2
	ds_bpermute_b32 v3, v3, v1
	;; [unrolled: 10-line block ×3, first 2 shown]
	v_cmp_lt_u32_e32 vcc, v6, v5
	v_add_u32_e32 v6, 16, v4
	s_waitcnt lgkmcnt(0)
	v_cndmask_b32_e32 v3, 0, v3, vcc
	v_cmp_gt_u32_e32 vcc, 48, v4
	v_add_u32_e32 v1, v1, v3
	v_add_u32_e32 v4, 32, v4
	v_cndmask_b32_e64 v3, 0, 16, vcc
	v_add_lshl_u32 v3, v3, v2, 2
	ds_bpermute_b32 v3, v3, v1
	v_cmp_lt_u32_e32 vcc, v6, v5
	s_waitcnt lgkmcnt(0)
	s_nop 0
	v_cndmask_b32_e32 v3, 0, v3, vcc
	v_add_u32_e32 v1, v1, v3
	v_lshlrev_b32_e32 v3, 2, v2
	v_or_b32_e32 v6, 0x80, v3
	ds_bpermute_b32 v6, v6, v1
	v_cmp_lt_u32_e32 vcc, v4, v5
	s_waitcnt lgkmcnt(0)
	s_nop 0
	v_cndmask_b32_e32 v4, 0, v6, vcc
	v_add_u32_e32 v1, v1, v4
	v_cmp_eq_u32_e32 vcc, 0, v2
	s_and_saveexec_b64 s[4:5], vcc
; %bb.210:
	v_lshrrev_b32_e32 v4, 4, v0
	v_and_b32_e32 v4, 12, v4
	ds_write_b32 v4, v1 offset:96
; %bb.211:
	s_or_b64 exec, exec, s[4:5]
	v_cmp_gt_u32_e32 vcc, 4, v0
	s_waitcnt lgkmcnt(0)
	s_barrier
	s_and_saveexec_b64 s[4:5], vcc
	s_cbranch_execz .LBB396_213
; %bb.212:
	ds_read_b32 v1, v3 offset:96
	v_and_b32_e32 v4, 3, v2
	v_cmp_ne_u32_e32 vcc, 3, v4
	s_add_i32 s6, s6, 63
	s_lshr_b32 s6, s6, 6
	v_addc_co_u32_e32 v2, vcc, 0, v2, vcc
	v_lshlrev_b32_e32 v2, 2, v2
	s_waitcnt lgkmcnt(0)
	ds_bpermute_b32 v2, v2, v1
	v_add_u32_e32 v5, 1, v4
	v_cmp_gt_u32_e32 vcc, s6, v5
	s_waitcnt lgkmcnt(0)
	s_nop 0
	v_cndmask_b32_e32 v2, 0, v2, vcc
	v_add_u32_e32 v1, v2, v1
	v_or_b32_e32 v2, 8, v3
	ds_bpermute_b32 v2, v2, v1
	v_add_u32_e32 v3, 2, v4
	v_cmp_gt_u32_e32 vcc, s6, v3
	s_waitcnt lgkmcnt(0)
	s_nop 0
	v_cndmask_b32_e32 v2, 0, v2, vcc
	v_add_u32_e32 v1, v1, v2
.LBB396_213:
	s_or_b64 exec, exec, s[4:5]
.LBB396_214:
	v_cmp_eq_u32_e64 s[4:5], 0, v0
	s_branch .LBB396_224
.LBB396_215:
	s_cmp_eq_u32 s33, 1
	s_cbranch_scc0 .LBB396_223
; %bb.216:
	s_mov_b32 s5, 0
	s_lshl_b32 s4, s2, 8
	s_mov_b32 s3, s5
	s_lshr_b64 s[6:7], s[70:71], 8
	s_cmp_lg_u64 s[6:7], s[2:3]
	v_mbcnt_lo_u32_b32 v2, -1, 0
	s_cbranch_scc0 .LBB396_227
; %bb.217:
	s_lshl_b64 s[6:7], s[4:5], 2
	s_add_u32 s6, s68, s6
	s_addc_u32 s7, s69, s7
	v_lshlrev_b32_e32 v1, 2, v0
	global_load_dword v1, v1, s[6:7]
	v_mbcnt_hi_u32_b32 v3, -1, v2
	v_lshlrev_b32_e32 v4, 2, v3
	v_or_b32_e32 v5, 0xfc, v4
	v_cmp_eq_u32_e32 vcc, 0, v3
	s_waitcnt vmcnt(0)
	v_add_u32_dpp v1, v1, v1 quad_perm:[1,0,3,2] row_mask:0xf bank_mask:0xf bound_ctrl:1
	s_nop 1
	v_add_u32_dpp v1, v1, v1 quad_perm:[2,3,0,1] row_mask:0xf bank_mask:0xf bound_ctrl:1
	s_nop 1
	v_add_u32_dpp v1, v1, v1 row_ror:4 row_mask:0xf bank_mask:0xf bound_ctrl:1
	s_nop 1
	v_add_u32_dpp v1, v1, v1 row_ror:8 row_mask:0xf bank_mask:0xf bound_ctrl:1
	s_nop 1
	v_add_u32_dpp v1, v1, v1 row_bcast:15 row_mask:0xf bank_mask:0xf bound_ctrl:1
	s_nop 1
	v_add_u32_dpp v1, v1, v1 row_bcast:31 row_mask:0xf bank_mask:0xf bound_ctrl:1
	ds_bpermute_b32 v1, v5, v1
	s_and_saveexec_b64 s[6:7], vcc
	s_cbranch_execz .LBB396_219
; %bb.218:
	v_lshrrev_b32_e32 v5, 4, v0
	v_and_b32_e32 v5, 12, v5
	s_waitcnt lgkmcnt(0)
	ds_write_b32 v5, v1 offset:16
.LBB396_219:
	s_or_b64 exec, exec, s[6:7]
	v_cmp_gt_u32_e32 vcc, 64, v0
	s_waitcnt lgkmcnt(0)
	s_barrier
	s_and_saveexec_b64 s[6:7], vcc
	s_cbranch_execz .LBB396_221
; %bb.220:
	v_and_b32_e32 v1, 3, v3
	v_lshlrev_b32_e32 v5, 2, v1
	ds_read_b32 v5, v5 offset:16
	v_cmp_ne_u32_e32 vcc, 3, v1
	s_nop 1
	v_addc_co_u32_e32 v1, vcc, 0, v3, vcc
	v_lshlrev_b32_e32 v1, 2, v1
	s_waitcnt lgkmcnt(0)
	ds_bpermute_b32 v1, v1, v5
	v_or_b32_e32 v3, 8, v4
	s_waitcnt lgkmcnt(0)
	v_add_u32_e32 v1, v1, v5
	ds_bpermute_b32 v3, v3, v1
	s_waitcnt lgkmcnt(0)
	v_add_u32_e32 v1, v3, v1
.LBB396_221:
	s_or_b64 exec, exec, s[6:7]
.LBB396_222:
	v_cmp_eq_u32_e64 s[4:5], 0, v0
	s_and_saveexec_b64 s[6:7], s[4:5]
	s_cbranch_execnz .LBB396_225
	s_branch .LBB396_226
.LBB396_223:
                                        ; implicit-def: $vgpr1
                                        ; implicit-def: $sgpr2_sgpr3
.LBB396_224:
	s_and_saveexec_b64 s[6:7], s[4:5]
	s_cbranch_execz .LBB396_226
.LBB396_225:
	s_load_dwordx2 s[4:5], s[0:1], 0x18
	s_load_dword s6, s[0:1], 0x20
	s_lshl_b64 s[0:1], s[2:3], 2
	v_mov_b32_e32 v0, 0
	s_waitcnt lgkmcnt(0)
	s_add_u32 s0, s4, s0
	s_addc_u32 s1, s5, s1
	s_cmp_lg_u64 s[70:71], 0
	s_cselect_b64 vcc, -1, 0
	v_cndmask_b32_e32 v1, 0, v1, vcc
	v_add_u32_e32 v1, s6, v1
	global_store_dword v0, v1, s[0:1]
.LBB396_226:
	s_endpgm
.LBB396_227:
                                        ; implicit-def: $vgpr1
	s_cbranch_execz .LBB396_222
; %bb.228:
	s_sub_i32 s8, s70, s4
	v_cmp_gt_u32_e32 vcc, s8, v0
                                        ; implicit-def: $vgpr1
	s_and_saveexec_b64 s[6:7], vcc
	s_cbranch_execz .LBB396_230
; %bb.229:
	s_lshl_b64 s[4:5], s[4:5], 2
	s_add_u32 s4, s68, s4
	s_addc_u32 s5, s69, s5
	v_lshlrev_b32_e32 v1, 2, v0
	global_load_dword v1, v1, s[4:5]
.LBB396_230:
	s_or_b64 exec, exec, s[6:7]
	v_mbcnt_hi_u32_b32 v2, -1, v2
	v_and_b32_e32 v4, 63, v2
	v_cmp_ne_u32_e32 vcc, 63, v4
	s_min_u32 s6, s8, 0x100
	v_and_b32_e32 v5, 0xc0, v0
	v_addc_co_u32_e32 v3, vcc, 0, v2, vcc
	v_lshlrev_b32_e32 v3, 2, v3
	s_waitcnt vmcnt(0)
	ds_bpermute_b32 v3, v3, v1
	v_sub_u32_e64 v5, s6, v5 clamp
	v_add_u32_e32 v6, 1, v4
	v_cmp_lt_u32_e32 vcc, v6, v5
	v_add_u32_e32 v6, 2, v4
	s_waitcnt lgkmcnt(0)
	v_cndmask_b32_e32 v3, 0, v3, vcc
	v_cmp_gt_u32_e32 vcc, 62, v4
	v_add_u32_e32 v1, v3, v1
	s_nop 0
	v_cndmask_b32_e64 v3, 0, 2, vcc
	v_add_lshl_u32 v3, v3, v2, 2
	ds_bpermute_b32 v3, v3, v1
	v_cmp_lt_u32_e32 vcc, v6, v5
	v_add_u32_e32 v6, 4, v4
	s_waitcnt lgkmcnt(0)
	v_cndmask_b32_e32 v3, 0, v3, vcc
	v_cmp_gt_u32_e32 vcc, 60, v4
	v_add_u32_e32 v1, v1, v3
	s_nop 0
	v_cndmask_b32_e64 v3, 0, 4, vcc
	v_add_lshl_u32 v3, v3, v2, 2
	ds_bpermute_b32 v3, v3, v1
	;; [unrolled: 10-line block ×3, first 2 shown]
	v_cmp_lt_u32_e32 vcc, v6, v5
	v_add_u32_e32 v6, 16, v4
	s_waitcnt lgkmcnt(0)
	v_cndmask_b32_e32 v3, 0, v3, vcc
	v_cmp_gt_u32_e32 vcc, 48, v4
	v_add_u32_e32 v1, v1, v3
	v_add_u32_e32 v4, 32, v4
	v_cndmask_b32_e64 v3, 0, 16, vcc
	v_add_lshl_u32 v3, v3, v2, 2
	ds_bpermute_b32 v3, v3, v1
	v_cmp_lt_u32_e32 vcc, v6, v5
	s_waitcnt lgkmcnt(0)
	s_nop 0
	v_cndmask_b32_e32 v3, 0, v3, vcc
	v_add_u32_e32 v1, v1, v3
	v_lshlrev_b32_e32 v3, 2, v2
	v_or_b32_e32 v6, 0x80, v3
	ds_bpermute_b32 v6, v6, v1
	v_cmp_lt_u32_e32 vcc, v4, v5
	s_waitcnt lgkmcnt(0)
	s_nop 0
	v_cndmask_b32_e32 v4, 0, v6, vcc
	v_add_u32_e32 v1, v1, v4
	v_cmp_eq_u32_e32 vcc, 0, v2
	s_and_saveexec_b64 s[4:5], vcc
; %bb.231:
	v_lshrrev_b32_e32 v4, 4, v0
	v_and_b32_e32 v4, 12, v4
	ds_write_b32 v4, v1 offset:96
; %bb.232:
	s_or_b64 exec, exec, s[4:5]
	v_cmp_gt_u32_e32 vcc, 4, v0
	s_waitcnt lgkmcnt(0)
	s_barrier
	s_and_saveexec_b64 s[4:5], vcc
	s_cbranch_execz .LBB396_234
; %bb.233:
	ds_read_b32 v1, v3 offset:96
	v_and_b32_e32 v4, 3, v2
	v_cmp_ne_u32_e32 vcc, 3, v4
	s_add_i32 s6, s6, 63
	s_lshr_b32 s6, s6, 6
	v_addc_co_u32_e32 v2, vcc, 0, v2, vcc
	v_lshlrev_b32_e32 v2, 2, v2
	s_waitcnt lgkmcnt(0)
	ds_bpermute_b32 v2, v2, v1
	v_add_u32_e32 v5, 1, v4
	v_cmp_gt_u32_e32 vcc, s6, v5
	s_waitcnt lgkmcnt(0)
	s_nop 0
	v_cndmask_b32_e32 v2, 0, v2, vcc
	v_add_u32_e32 v1, v2, v1
	v_or_b32_e32 v2, 8, v3
	ds_bpermute_b32 v2, v2, v1
	v_add_u32_e32 v3, 2, v4
	v_cmp_gt_u32_e32 vcc, s6, v3
	s_waitcnt lgkmcnt(0)
	s_nop 0
	v_cndmask_b32_e32 v2, 0, v2, vcc
	v_add_u32_e32 v1, v1, v2
.LBB396_234:
	s_or_b64 exec, exec, s[4:5]
	v_cmp_eq_u32_e64 s[4:5], 0, v0
	s_and_saveexec_b64 s[6:7], s[4:5]
	s_cbranch_execnz .LBB396_225
	s_branch .LBB396_226
	.section	.rodata,"a",@progbits
	.p2align	6, 0x0
	.amdhsa_kernel _ZN7rocprim17ROCPRIM_400000_NS6detail17trampoline_kernelINS0_14default_configENS1_22reduce_config_selectorIjEEZNS1_11reduce_implILb1ES3_N6thrust23THRUST_200600_302600_NS6detail15normal_iteratorINS8_10device_ptrIjEEEEPiiNS8_4plusIiEEEE10hipError_tPvRmT1_T2_T3_mT4_P12ihipStream_tbEUlT_E1_NS1_11comp_targetILNS1_3genE0ELNS1_11target_archE4294967295ELNS1_3gpuE0ELNS1_3repE0EEENS1_30default_config_static_selectorELNS0_4arch9wavefront6targetE1EEEvSK_
		.amdhsa_group_segment_fixed_size 112
		.amdhsa_private_segment_fixed_size 0
		.amdhsa_kernarg_size 40
		.amdhsa_user_sgpr_count 2
		.amdhsa_user_sgpr_dispatch_ptr 0
		.amdhsa_user_sgpr_queue_ptr 0
		.amdhsa_user_sgpr_kernarg_segment_ptr 1
		.amdhsa_user_sgpr_dispatch_id 0
		.amdhsa_user_sgpr_kernarg_preload_length 0
		.amdhsa_user_sgpr_kernarg_preload_offset 0
		.amdhsa_user_sgpr_private_segment_size 0
		.amdhsa_uses_dynamic_stack 0
		.amdhsa_enable_private_segment 0
		.amdhsa_system_sgpr_workgroup_id_x 1
		.amdhsa_system_sgpr_workgroup_id_y 0
		.amdhsa_system_sgpr_workgroup_id_z 0
		.amdhsa_system_sgpr_workgroup_info 0
		.amdhsa_system_vgpr_workitem_id 0
		.amdhsa_next_free_vgpr 36
		.amdhsa_next_free_sgpr 77
		.amdhsa_accum_offset 36
		.amdhsa_reserve_vcc 1
		.amdhsa_float_round_mode_32 0
		.amdhsa_float_round_mode_16_64 0
		.amdhsa_float_denorm_mode_32 3
		.amdhsa_float_denorm_mode_16_64 3
		.amdhsa_dx10_clamp 1
		.amdhsa_ieee_mode 1
		.amdhsa_fp16_overflow 0
		.amdhsa_tg_split 0
		.amdhsa_exception_fp_ieee_invalid_op 0
		.amdhsa_exception_fp_denorm_src 0
		.amdhsa_exception_fp_ieee_div_zero 0
		.amdhsa_exception_fp_ieee_overflow 0
		.amdhsa_exception_fp_ieee_underflow 0
		.amdhsa_exception_fp_ieee_inexact 0
		.amdhsa_exception_int_div_zero 0
	.end_amdhsa_kernel
	.section	.text._ZN7rocprim17ROCPRIM_400000_NS6detail17trampoline_kernelINS0_14default_configENS1_22reduce_config_selectorIjEEZNS1_11reduce_implILb1ES3_N6thrust23THRUST_200600_302600_NS6detail15normal_iteratorINS8_10device_ptrIjEEEEPiiNS8_4plusIiEEEE10hipError_tPvRmT1_T2_T3_mT4_P12ihipStream_tbEUlT_E1_NS1_11comp_targetILNS1_3genE0ELNS1_11target_archE4294967295ELNS1_3gpuE0ELNS1_3repE0EEENS1_30default_config_static_selectorELNS0_4arch9wavefront6targetE1EEEvSK_,"axG",@progbits,_ZN7rocprim17ROCPRIM_400000_NS6detail17trampoline_kernelINS0_14default_configENS1_22reduce_config_selectorIjEEZNS1_11reduce_implILb1ES3_N6thrust23THRUST_200600_302600_NS6detail15normal_iteratorINS8_10device_ptrIjEEEEPiiNS8_4plusIiEEEE10hipError_tPvRmT1_T2_T3_mT4_P12ihipStream_tbEUlT_E1_NS1_11comp_targetILNS1_3genE0ELNS1_11target_archE4294967295ELNS1_3gpuE0ELNS1_3repE0EEENS1_30default_config_static_selectorELNS0_4arch9wavefront6targetE1EEEvSK_,comdat
.Lfunc_end396:
	.size	_ZN7rocprim17ROCPRIM_400000_NS6detail17trampoline_kernelINS0_14default_configENS1_22reduce_config_selectorIjEEZNS1_11reduce_implILb1ES3_N6thrust23THRUST_200600_302600_NS6detail15normal_iteratorINS8_10device_ptrIjEEEEPiiNS8_4plusIiEEEE10hipError_tPvRmT1_T2_T3_mT4_P12ihipStream_tbEUlT_E1_NS1_11comp_targetILNS1_3genE0ELNS1_11target_archE4294967295ELNS1_3gpuE0ELNS1_3repE0EEENS1_30default_config_static_selectorELNS0_4arch9wavefront6targetE1EEEvSK_, .Lfunc_end396-_ZN7rocprim17ROCPRIM_400000_NS6detail17trampoline_kernelINS0_14default_configENS1_22reduce_config_selectorIjEEZNS1_11reduce_implILb1ES3_N6thrust23THRUST_200600_302600_NS6detail15normal_iteratorINS8_10device_ptrIjEEEEPiiNS8_4plusIiEEEE10hipError_tPvRmT1_T2_T3_mT4_P12ihipStream_tbEUlT_E1_NS1_11comp_targetILNS1_3genE0ELNS1_11target_archE4294967295ELNS1_3gpuE0ELNS1_3repE0EEENS1_30default_config_static_selectorELNS0_4arch9wavefront6targetE1EEEvSK_
                                        ; -- End function
	.set _ZN7rocprim17ROCPRIM_400000_NS6detail17trampoline_kernelINS0_14default_configENS1_22reduce_config_selectorIjEEZNS1_11reduce_implILb1ES3_N6thrust23THRUST_200600_302600_NS6detail15normal_iteratorINS8_10device_ptrIjEEEEPiiNS8_4plusIiEEEE10hipError_tPvRmT1_T2_T3_mT4_P12ihipStream_tbEUlT_E1_NS1_11comp_targetILNS1_3genE0ELNS1_11target_archE4294967295ELNS1_3gpuE0ELNS1_3repE0EEENS1_30default_config_static_selectorELNS0_4arch9wavefront6targetE1EEEvSK_.num_vgpr, 36
	.set _ZN7rocprim17ROCPRIM_400000_NS6detail17trampoline_kernelINS0_14default_configENS1_22reduce_config_selectorIjEEZNS1_11reduce_implILb1ES3_N6thrust23THRUST_200600_302600_NS6detail15normal_iteratorINS8_10device_ptrIjEEEEPiiNS8_4plusIiEEEE10hipError_tPvRmT1_T2_T3_mT4_P12ihipStream_tbEUlT_E1_NS1_11comp_targetILNS1_3genE0ELNS1_11target_archE4294967295ELNS1_3gpuE0ELNS1_3repE0EEENS1_30default_config_static_selectorELNS0_4arch9wavefront6targetE1EEEvSK_.num_agpr, 0
	.set _ZN7rocprim17ROCPRIM_400000_NS6detail17trampoline_kernelINS0_14default_configENS1_22reduce_config_selectorIjEEZNS1_11reduce_implILb1ES3_N6thrust23THRUST_200600_302600_NS6detail15normal_iteratorINS8_10device_ptrIjEEEEPiiNS8_4plusIiEEEE10hipError_tPvRmT1_T2_T3_mT4_P12ihipStream_tbEUlT_E1_NS1_11comp_targetILNS1_3genE0ELNS1_11target_archE4294967295ELNS1_3gpuE0ELNS1_3repE0EEENS1_30default_config_static_selectorELNS0_4arch9wavefront6targetE1EEEvSK_.numbered_sgpr, 77
	.set _ZN7rocprim17ROCPRIM_400000_NS6detail17trampoline_kernelINS0_14default_configENS1_22reduce_config_selectorIjEEZNS1_11reduce_implILb1ES3_N6thrust23THRUST_200600_302600_NS6detail15normal_iteratorINS8_10device_ptrIjEEEEPiiNS8_4plusIiEEEE10hipError_tPvRmT1_T2_T3_mT4_P12ihipStream_tbEUlT_E1_NS1_11comp_targetILNS1_3genE0ELNS1_11target_archE4294967295ELNS1_3gpuE0ELNS1_3repE0EEENS1_30default_config_static_selectorELNS0_4arch9wavefront6targetE1EEEvSK_.num_named_barrier, 0
	.set _ZN7rocprim17ROCPRIM_400000_NS6detail17trampoline_kernelINS0_14default_configENS1_22reduce_config_selectorIjEEZNS1_11reduce_implILb1ES3_N6thrust23THRUST_200600_302600_NS6detail15normal_iteratorINS8_10device_ptrIjEEEEPiiNS8_4plusIiEEEE10hipError_tPvRmT1_T2_T3_mT4_P12ihipStream_tbEUlT_E1_NS1_11comp_targetILNS1_3genE0ELNS1_11target_archE4294967295ELNS1_3gpuE0ELNS1_3repE0EEENS1_30default_config_static_selectorELNS0_4arch9wavefront6targetE1EEEvSK_.private_seg_size, 0
	.set _ZN7rocprim17ROCPRIM_400000_NS6detail17trampoline_kernelINS0_14default_configENS1_22reduce_config_selectorIjEEZNS1_11reduce_implILb1ES3_N6thrust23THRUST_200600_302600_NS6detail15normal_iteratorINS8_10device_ptrIjEEEEPiiNS8_4plusIiEEEE10hipError_tPvRmT1_T2_T3_mT4_P12ihipStream_tbEUlT_E1_NS1_11comp_targetILNS1_3genE0ELNS1_11target_archE4294967295ELNS1_3gpuE0ELNS1_3repE0EEENS1_30default_config_static_selectorELNS0_4arch9wavefront6targetE1EEEvSK_.uses_vcc, 1
	.set _ZN7rocprim17ROCPRIM_400000_NS6detail17trampoline_kernelINS0_14default_configENS1_22reduce_config_selectorIjEEZNS1_11reduce_implILb1ES3_N6thrust23THRUST_200600_302600_NS6detail15normal_iteratorINS8_10device_ptrIjEEEEPiiNS8_4plusIiEEEE10hipError_tPvRmT1_T2_T3_mT4_P12ihipStream_tbEUlT_E1_NS1_11comp_targetILNS1_3genE0ELNS1_11target_archE4294967295ELNS1_3gpuE0ELNS1_3repE0EEENS1_30default_config_static_selectorELNS0_4arch9wavefront6targetE1EEEvSK_.uses_flat_scratch, 0
	.set _ZN7rocprim17ROCPRIM_400000_NS6detail17trampoline_kernelINS0_14default_configENS1_22reduce_config_selectorIjEEZNS1_11reduce_implILb1ES3_N6thrust23THRUST_200600_302600_NS6detail15normal_iteratorINS8_10device_ptrIjEEEEPiiNS8_4plusIiEEEE10hipError_tPvRmT1_T2_T3_mT4_P12ihipStream_tbEUlT_E1_NS1_11comp_targetILNS1_3genE0ELNS1_11target_archE4294967295ELNS1_3gpuE0ELNS1_3repE0EEENS1_30default_config_static_selectorELNS0_4arch9wavefront6targetE1EEEvSK_.has_dyn_sized_stack, 0
	.set _ZN7rocprim17ROCPRIM_400000_NS6detail17trampoline_kernelINS0_14default_configENS1_22reduce_config_selectorIjEEZNS1_11reduce_implILb1ES3_N6thrust23THRUST_200600_302600_NS6detail15normal_iteratorINS8_10device_ptrIjEEEEPiiNS8_4plusIiEEEE10hipError_tPvRmT1_T2_T3_mT4_P12ihipStream_tbEUlT_E1_NS1_11comp_targetILNS1_3genE0ELNS1_11target_archE4294967295ELNS1_3gpuE0ELNS1_3repE0EEENS1_30default_config_static_selectorELNS0_4arch9wavefront6targetE1EEEvSK_.has_recursion, 0
	.set _ZN7rocprim17ROCPRIM_400000_NS6detail17trampoline_kernelINS0_14default_configENS1_22reduce_config_selectorIjEEZNS1_11reduce_implILb1ES3_N6thrust23THRUST_200600_302600_NS6detail15normal_iteratorINS8_10device_ptrIjEEEEPiiNS8_4plusIiEEEE10hipError_tPvRmT1_T2_T3_mT4_P12ihipStream_tbEUlT_E1_NS1_11comp_targetILNS1_3genE0ELNS1_11target_archE4294967295ELNS1_3gpuE0ELNS1_3repE0EEENS1_30default_config_static_selectorELNS0_4arch9wavefront6targetE1EEEvSK_.has_indirect_call, 0
	.section	.AMDGPU.csdata,"",@progbits
; Kernel info:
; codeLenInByte = 9884
; TotalNumSgprs: 83
; NumVgprs: 36
; NumAgprs: 0
; TotalNumVgprs: 36
; ScratchSize: 0
; MemoryBound: 0
; FloatMode: 240
; IeeeMode: 1
; LDSByteSize: 112 bytes/workgroup (compile time only)
; SGPRBlocks: 10
; VGPRBlocks: 4
; NumSGPRsForWavesPerEU: 83
; NumVGPRsForWavesPerEU: 36
; AccumOffset: 36
; Occupancy: 8
; WaveLimiterHint : 1
; COMPUTE_PGM_RSRC2:SCRATCH_EN: 0
; COMPUTE_PGM_RSRC2:USER_SGPR: 2
; COMPUTE_PGM_RSRC2:TRAP_HANDLER: 0
; COMPUTE_PGM_RSRC2:TGID_X_EN: 1
; COMPUTE_PGM_RSRC2:TGID_Y_EN: 0
; COMPUTE_PGM_RSRC2:TGID_Z_EN: 0
; COMPUTE_PGM_RSRC2:TIDIG_COMP_CNT: 0
; COMPUTE_PGM_RSRC3_GFX90A:ACCUM_OFFSET: 8
; COMPUTE_PGM_RSRC3_GFX90A:TG_SPLIT: 0
	.section	.text._ZN7rocprim17ROCPRIM_400000_NS6detail17trampoline_kernelINS0_14default_configENS1_22reduce_config_selectorIjEEZNS1_11reduce_implILb1ES3_N6thrust23THRUST_200600_302600_NS6detail15normal_iteratorINS8_10device_ptrIjEEEEPiiNS8_4plusIiEEEE10hipError_tPvRmT1_T2_T3_mT4_P12ihipStream_tbEUlT_E1_NS1_11comp_targetILNS1_3genE5ELNS1_11target_archE942ELNS1_3gpuE9ELNS1_3repE0EEENS1_30default_config_static_selectorELNS0_4arch9wavefront6targetE1EEEvSK_,"axG",@progbits,_ZN7rocprim17ROCPRIM_400000_NS6detail17trampoline_kernelINS0_14default_configENS1_22reduce_config_selectorIjEEZNS1_11reduce_implILb1ES3_N6thrust23THRUST_200600_302600_NS6detail15normal_iteratorINS8_10device_ptrIjEEEEPiiNS8_4plusIiEEEE10hipError_tPvRmT1_T2_T3_mT4_P12ihipStream_tbEUlT_E1_NS1_11comp_targetILNS1_3genE5ELNS1_11target_archE942ELNS1_3gpuE9ELNS1_3repE0EEENS1_30default_config_static_selectorELNS0_4arch9wavefront6targetE1EEEvSK_,comdat
	.protected	_ZN7rocprim17ROCPRIM_400000_NS6detail17trampoline_kernelINS0_14default_configENS1_22reduce_config_selectorIjEEZNS1_11reduce_implILb1ES3_N6thrust23THRUST_200600_302600_NS6detail15normal_iteratorINS8_10device_ptrIjEEEEPiiNS8_4plusIiEEEE10hipError_tPvRmT1_T2_T3_mT4_P12ihipStream_tbEUlT_E1_NS1_11comp_targetILNS1_3genE5ELNS1_11target_archE942ELNS1_3gpuE9ELNS1_3repE0EEENS1_30default_config_static_selectorELNS0_4arch9wavefront6targetE1EEEvSK_ ; -- Begin function _ZN7rocprim17ROCPRIM_400000_NS6detail17trampoline_kernelINS0_14default_configENS1_22reduce_config_selectorIjEEZNS1_11reduce_implILb1ES3_N6thrust23THRUST_200600_302600_NS6detail15normal_iteratorINS8_10device_ptrIjEEEEPiiNS8_4plusIiEEEE10hipError_tPvRmT1_T2_T3_mT4_P12ihipStream_tbEUlT_E1_NS1_11comp_targetILNS1_3genE5ELNS1_11target_archE942ELNS1_3gpuE9ELNS1_3repE0EEENS1_30default_config_static_selectorELNS0_4arch9wavefront6targetE1EEEvSK_
	.globl	_ZN7rocprim17ROCPRIM_400000_NS6detail17trampoline_kernelINS0_14default_configENS1_22reduce_config_selectorIjEEZNS1_11reduce_implILb1ES3_N6thrust23THRUST_200600_302600_NS6detail15normal_iteratorINS8_10device_ptrIjEEEEPiiNS8_4plusIiEEEE10hipError_tPvRmT1_T2_T3_mT4_P12ihipStream_tbEUlT_E1_NS1_11comp_targetILNS1_3genE5ELNS1_11target_archE942ELNS1_3gpuE9ELNS1_3repE0EEENS1_30default_config_static_selectorELNS0_4arch9wavefront6targetE1EEEvSK_
	.p2align	8
	.type	_ZN7rocprim17ROCPRIM_400000_NS6detail17trampoline_kernelINS0_14default_configENS1_22reduce_config_selectorIjEEZNS1_11reduce_implILb1ES3_N6thrust23THRUST_200600_302600_NS6detail15normal_iteratorINS8_10device_ptrIjEEEEPiiNS8_4plusIiEEEE10hipError_tPvRmT1_T2_T3_mT4_P12ihipStream_tbEUlT_E1_NS1_11comp_targetILNS1_3genE5ELNS1_11target_archE942ELNS1_3gpuE9ELNS1_3repE0EEENS1_30default_config_static_selectorELNS0_4arch9wavefront6targetE1EEEvSK_,@function
_ZN7rocprim17ROCPRIM_400000_NS6detail17trampoline_kernelINS0_14default_configENS1_22reduce_config_selectorIjEEZNS1_11reduce_implILb1ES3_N6thrust23THRUST_200600_302600_NS6detail15normal_iteratorINS8_10device_ptrIjEEEEPiiNS8_4plusIiEEEE10hipError_tPvRmT1_T2_T3_mT4_P12ihipStream_tbEUlT_E1_NS1_11comp_targetILNS1_3genE5ELNS1_11target_archE942ELNS1_3gpuE9ELNS1_3repE0EEENS1_30default_config_static_selectorELNS0_4arch9wavefront6targetE1EEEvSK_: ; @_ZN7rocprim17ROCPRIM_400000_NS6detail17trampoline_kernelINS0_14default_configENS1_22reduce_config_selectorIjEEZNS1_11reduce_implILb1ES3_N6thrust23THRUST_200600_302600_NS6detail15normal_iteratorINS8_10device_ptrIjEEEEPiiNS8_4plusIiEEEE10hipError_tPvRmT1_T2_T3_mT4_P12ihipStream_tbEUlT_E1_NS1_11comp_targetILNS1_3genE5ELNS1_11target_archE942ELNS1_3gpuE9ELNS1_3repE0EEENS1_30default_config_static_selectorELNS0_4arch9wavefront6targetE1EEEvSK_
; %bb.0:
	.section	.rodata,"a",@progbits
	.p2align	6, 0x0
	.amdhsa_kernel _ZN7rocprim17ROCPRIM_400000_NS6detail17trampoline_kernelINS0_14default_configENS1_22reduce_config_selectorIjEEZNS1_11reduce_implILb1ES3_N6thrust23THRUST_200600_302600_NS6detail15normal_iteratorINS8_10device_ptrIjEEEEPiiNS8_4plusIiEEEE10hipError_tPvRmT1_T2_T3_mT4_P12ihipStream_tbEUlT_E1_NS1_11comp_targetILNS1_3genE5ELNS1_11target_archE942ELNS1_3gpuE9ELNS1_3repE0EEENS1_30default_config_static_selectorELNS0_4arch9wavefront6targetE1EEEvSK_
		.amdhsa_group_segment_fixed_size 0
		.amdhsa_private_segment_fixed_size 0
		.amdhsa_kernarg_size 40
		.amdhsa_user_sgpr_count 2
		.amdhsa_user_sgpr_dispatch_ptr 0
		.amdhsa_user_sgpr_queue_ptr 0
		.amdhsa_user_sgpr_kernarg_segment_ptr 1
		.amdhsa_user_sgpr_dispatch_id 0
		.amdhsa_user_sgpr_kernarg_preload_length 0
		.amdhsa_user_sgpr_kernarg_preload_offset 0
		.amdhsa_user_sgpr_private_segment_size 0
		.amdhsa_uses_dynamic_stack 0
		.amdhsa_enable_private_segment 0
		.amdhsa_system_sgpr_workgroup_id_x 1
		.amdhsa_system_sgpr_workgroup_id_y 0
		.amdhsa_system_sgpr_workgroup_id_z 0
		.amdhsa_system_sgpr_workgroup_info 0
		.amdhsa_system_vgpr_workitem_id 0
		.amdhsa_next_free_vgpr 1
		.amdhsa_next_free_sgpr 0
		.amdhsa_accum_offset 4
		.amdhsa_reserve_vcc 0
		.amdhsa_float_round_mode_32 0
		.amdhsa_float_round_mode_16_64 0
		.amdhsa_float_denorm_mode_32 3
		.amdhsa_float_denorm_mode_16_64 3
		.amdhsa_dx10_clamp 1
		.amdhsa_ieee_mode 1
		.amdhsa_fp16_overflow 0
		.amdhsa_tg_split 0
		.amdhsa_exception_fp_ieee_invalid_op 0
		.amdhsa_exception_fp_denorm_src 0
		.amdhsa_exception_fp_ieee_div_zero 0
		.amdhsa_exception_fp_ieee_overflow 0
		.amdhsa_exception_fp_ieee_underflow 0
		.amdhsa_exception_fp_ieee_inexact 0
		.amdhsa_exception_int_div_zero 0
	.end_amdhsa_kernel
	.section	.text._ZN7rocprim17ROCPRIM_400000_NS6detail17trampoline_kernelINS0_14default_configENS1_22reduce_config_selectorIjEEZNS1_11reduce_implILb1ES3_N6thrust23THRUST_200600_302600_NS6detail15normal_iteratorINS8_10device_ptrIjEEEEPiiNS8_4plusIiEEEE10hipError_tPvRmT1_T2_T3_mT4_P12ihipStream_tbEUlT_E1_NS1_11comp_targetILNS1_3genE5ELNS1_11target_archE942ELNS1_3gpuE9ELNS1_3repE0EEENS1_30default_config_static_selectorELNS0_4arch9wavefront6targetE1EEEvSK_,"axG",@progbits,_ZN7rocprim17ROCPRIM_400000_NS6detail17trampoline_kernelINS0_14default_configENS1_22reduce_config_selectorIjEEZNS1_11reduce_implILb1ES3_N6thrust23THRUST_200600_302600_NS6detail15normal_iteratorINS8_10device_ptrIjEEEEPiiNS8_4plusIiEEEE10hipError_tPvRmT1_T2_T3_mT4_P12ihipStream_tbEUlT_E1_NS1_11comp_targetILNS1_3genE5ELNS1_11target_archE942ELNS1_3gpuE9ELNS1_3repE0EEENS1_30default_config_static_selectorELNS0_4arch9wavefront6targetE1EEEvSK_,comdat
.Lfunc_end397:
	.size	_ZN7rocprim17ROCPRIM_400000_NS6detail17trampoline_kernelINS0_14default_configENS1_22reduce_config_selectorIjEEZNS1_11reduce_implILb1ES3_N6thrust23THRUST_200600_302600_NS6detail15normal_iteratorINS8_10device_ptrIjEEEEPiiNS8_4plusIiEEEE10hipError_tPvRmT1_T2_T3_mT4_P12ihipStream_tbEUlT_E1_NS1_11comp_targetILNS1_3genE5ELNS1_11target_archE942ELNS1_3gpuE9ELNS1_3repE0EEENS1_30default_config_static_selectorELNS0_4arch9wavefront6targetE1EEEvSK_, .Lfunc_end397-_ZN7rocprim17ROCPRIM_400000_NS6detail17trampoline_kernelINS0_14default_configENS1_22reduce_config_selectorIjEEZNS1_11reduce_implILb1ES3_N6thrust23THRUST_200600_302600_NS6detail15normal_iteratorINS8_10device_ptrIjEEEEPiiNS8_4plusIiEEEE10hipError_tPvRmT1_T2_T3_mT4_P12ihipStream_tbEUlT_E1_NS1_11comp_targetILNS1_3genE5ELNS1_11target_archE942ELNS1_3gpuE9ELNS1_3repE0EEENS1_30default_config_static_selectorELNS0_4arch9wavefront6targetE1EEEvSK_
                                        ; -- End function
	.set _ZN7rocprim17ROCPRIM_400000_NS6detail17trampoline_kernelINS0_14default_configENS1_22reduce_config_selectorIjEEZNS1_11reduce_implILb1ES3_N6thrust23THRUST_200600_302600_NS6detail15normal_iteratorINS8_10device_ptrIjEEEEPiiNS8_4plusIiEEEE10hipError_tPvRmT1_T2_T3_mT4_P12ihipStream_tbEUlT_E1_NS1_11comp_targetILNS1_3genE5ELNS1_11target_archE942ELNS1_3gpuE9ELNS1_3repE0EEENS1_30default_config_static_selectorELNS0_4arch9wavefront6targetE1EEEvSK_.num_vgpr, 0
	.set _ZN7rocprim17ROCPRIM_400000_NS6detail17trampoline_kernelINS0_14default_configENS1_22reduce_config_selectorIjEEZNS1_11reduce_implILb1ES3_N6thrust23THRUST_200600_302600_NS6detail15normal_iteratorINS8_10device_ptrIjEEEEPiiNS8_4plusIiEEEE10hipError_tPvRmT1_T2_T3_mT4_P12ihipStream_tbEUlT_E1_NS1_11comp_targetILNS1_3genE5ELNS1_11target_archE942ELNS1_3gpuE9ELNS1_3repE0EEENS1_30default_config_static_selectorELNS0_4arch9wavefront6targetE1EEEvSK_.num_agpr, 0
	.set _ZN7rocprim17ROCPRIM_400000_NS6detail17trampoline_kernelINS0_14default_configENS1_22reduce_config_selectorIjEEZNS1_11reduce_implILb1ES3_N6thrust23THRUST_200600_302600_NS6detail15normal_iteratorINS8_10device_ptrIjEEEEPiiNS8_4plusIiEEEE10hipError_tPvRmT1_T2_T3_mT4_P12ihipStream_tbEUlT_E1_NS1_11comp_targetILNS1_3genE5ELNS1_11target_archE942ELNS1_3gpuE9ELNS1_3repE0EEENS1_30default_config_static_selectorELNS0_4arch9wavefront6targetE1EEEvSK_.numbered_sgpr, 0
	.set _ZN7rocprim17ROCPRIM_400000_NS6detail17trampoline_kernelINS0_14default_configENS1_22reduce_config_selectorIjEEZNS1_11reduce_implILb1ES3_N6thrust23THRUST_200600_302600_NS6detail15normal_iteratorINS8_10device_ptrIjEEEEPiiNS8_4plusIiEEEE10hipError_tPvRmT1_T2_T3_mT4_P12ihipStream_tbEUlT_E1_NS1_11comp_targetILNS1_3genE5ELNS1_11target_archE942ELNS1_3gpuE9ELNS1_3repE0EEENS1_30default_config_static_selectorELNS0_4arch9wavefront6targetE1EEEvSK_.num_named_barrier, 0
	.set _ZN7rocprim17ROCPRIM_400000_NS6detail17trampoline_kernelINS0_14default_configENS1_22reduce_config_selectorIjEEZNS1_11reduce_implILb1ES3_N6thrust23THRUST_200600_302600_NS6detail15normal_iteratorINS8_10device_ptrIjEEEEPiiNS8_4plusIiEEEE10hipError_tPvRmT1_T2_T3_mT4_P12ihipStream_tbEUlT_E1_NS1_11comp_targetILNS1_3genE5ELNS1_11target_archE942ELNS1_3gpuE9ELNS1_3repE0EEENS1_30default_config_static_selectorELNS0_4arch9wavefront6targetE1EEEvSK_.private_seg_size, 0
	.set _ZN7rocprim17ROCPRIM_400000_NS6detail17trampoline_kernelINS0_14default_configENS1_22reduce_config_selectorIjEEZNS1_11reduce_implILb1ES3_N6thrust23THRUST_200600_302600_NS6detail15normal_iteratorINS8_10device_ptrIjEEEEPiiNS8_4plusIiEEEE10hipError_tPvRmT1_T2_T3_mT4_P12ihipStream_tbEUlT_E1_NS1_11comp_targetILNS1_3genE5ELNS1_11target_archE942ELNS1_3gpuE9ELNS1_3repE0EEENS1_30default_config_static_selectorELNS0_4arch9wavefront6targetE1EEEvSK_.uses_vcc, 0
	.set _ZN7rocprim17ROCPRIM_400000_NS6detail17trampoline_kernelINS0_14default_configENS1_22reduce_config_selectorIjEEZNS1_11reduce_implILb1ES3_N6thrust23THRUST_200600_302600_NS6detail15normal_iteratorINS8_10device_ptrIjEEEEPiiNS8_4plusIiEEEE10hipError_tPvRmT1_T2_T3_mT4_P12ihipStream_tbEUlT_E1_NS1_11comp_targetILNS1_3genE5ELNS1_11target_archE942ELNS1_3gpuE9ELNS1_3repE0EEENS1_30default_config_static_selectorELNS0_4arch9wavefront6targetE1EEEvSK_.uses_flat_scratch, 0
	.set _ZN7rocprim17ROCPRIM_400000_NS6detail17trampoline_kernelINS0_14default_configENS1_22reduce_config_selectorIjEEZNS1_11reduce_implILb1ES3_N6thrust23THRUST_200600_302600_NS6detail15normal_iteratorINS8_10device_ptrIjEEEEPiiNS8_4plusIiEEEE10hipError_tPvRmT1_T2_T3_mT4_P12ihipStream_tbEUlT_E1_NS1_11comp_targetILNS1_3genE5ELNS1_11target_archE942ELNS1_3gpuE9ELNS1_3repE0EEENS1_30default_config_static_selectorELNS0_4arch9wavefront6targetE1EEEvSK_.has_dyn_sized_stack, 0
	.set _ZN7rocprim17ROCPRIM_400000_NS6detail17trampoline_kernelINS0_14default_configENS1_22reduce_config_selectorIjEEZNS1_11reduce_implILb1ES3_N6thrust23THRUST_200600_302600_NS6detail15normal_iteratorINS8_10device_ptrIjEEEEPiiNS8_4plusIiEEEE10hipError_tPvRmT1_T2_T3_mT4_P12ihipStream_tbEUlT_E1_NS1_11comp_targetILNS1_3genE5ELNS1_11target_archE942ELNS1_3gpuE9ELNS1_3repE0EEENS1_30default_config_static_selectorELNS0_4arch9wavefront6targetE1EEEvSK_.has_recursion, 0
	.set _ZN7rocprim17ROCPRIM_400000_NS6detail17trampoline_kernelINS0_14default_configENS1_22reduce_config_selectorIjEEZNS1_11reduce_implILb1ES3_N6thrust23THRUST_200600_302600_NS6detail15normal_iteratorINS8_10device_ptrIjEEEEPiiNS8_4plusIiEEEE10hipError_tPvRmT1_T2_T3_mT4_P12ihipStream_tbEUlT_E1_NS1_11comp_targetILNS1_3genE5ELNS1_11target_archE942ELNS1_3gpuE9ELNS1_3repE0EEENS1_30default_config_static_selectorELNS0_4arch9wavefront6targetE1EEEvSK_.has_indirect_call, 0
	.section	.AMDGPU.csdata,"",@progbits
; Kernel info:
; codeLenInByte = 0
; TotalNumSgprs: 6
; NumVgprs: 0
; NumAgprs: 0
; TotalNumVgprs: 0
; ScratchSize: 0
; MemoryBound: 0
; FloatMode: 240
; IeeeMode: 1
; LDSByteSize: 0 bytes/workgroup (compile time only)
; SGPRBlocks: 0
; VGPRBlocks: 0
; NumSGPRsForWavesPerEU: 6
; NumVGPRsForWavesPerEU: 1
; AccumOffset: 4
; Occupancy: 8
; WaveLimiterHint : 0
; COMPUTE_PGM_RSRC2:SCRATCH_EN: 0
; COMPUTE_PGM_RSRC2:USER_SGPR: 2
; COMPUTE_PGM_RSRC2:TRAP_HANDLER: 0
; COMPUTE_PGM_RSRC2:TGID_X_EN: 1
; COMPUTE_PGM_RSRC2:TGID_Y_EN: 0
; COMPUTE_PGM_RSRC2:TGID_Z_EN: 0
; COMPUTE_PGM_RSRC2:TIDIG_COMP_CNT: 0
; COMPUTE_PGM_RSRC3_GFX90A:ACCUM_OFFSET: 0
; COMPUTE_PGM_RSRC3_GFX90A:TG_SPLIT: 0
	.section	.text._ZN7rocprim17ROCPRIM_400000_NS6detail17trampoline_kernelINS0_14default_configENS1_22reduce_config_selectorIjEEZNS1_11reduce_implILb1ES3_N6thrust23THRUST_200600_302600_NS6detail15normal_iteratorINS8_10device_ptrIjEEEEPiiNS8_4plusIiEEEE10hipError_tPvRmT1_T2_T3_mT4_P12ihipStream_tbEUlT_E1_NS1_11comp_targetILNS1_3genE4ELNS1_11target_archE910ELNS1_3gpuE8ELNS1_3repE0EEENS1_30default_config_static_selectorELNS0_4arch9wavefront6targetE1EEEvSK_,"axG",@progbits,_ZN7rocprim17ROCPRIM_400000_NS6detail17trampoline_kernelINS0_14default_configENS1_22reduce_config_selectorIjEEZNS1_11reduce_implILb1ES3_N6thrust23THRUST_200600_302600_NS6detail15normal_iteratorINS8_10device_ptrIjEEEEPiiNS8_4plusIiEEEE10hipError_tPvRmT1_T2_T3_mT4_P12ihipStream_tbEUlT_E1_NS1_11comp_targetILNS1_3genE4ELNS1_11target_archE910ELNS1_3gpuE8ELNS1_3repE0EEENS1_30default_config_static_selectorELNS0_4arch9wavefront6targetE1EEEvSK_,comdat
	.protected	_ZN7rocprim17ROCPRIM_400000_NS6detail17trampoline_kernelINS0_14default_configENS1_22reduce_config_selectorIjEEZNS1_11reduce_implILb1ES3_N6thrust23THRUST_200600_302600_NS6detail15normal_iteratorINS8_10device_ptrIjEEEEPiiNS8_4plusIiEEEE10hipError_tPvRmT1_T2_T3_mT4_P12ihipStream_tbEUlT_E1_NS1_11comp_targetILNS1_3genE4ELNS1_11target_archE910ELNS1_3gpuE8ELNS1_3repE0EEENS1_30default_config_static_selectorELNS0_4arch9wavefront6targetE1EEEvSK_ ; -- Begin function _ZN7rocprim17ROCPRIM_400000_NS6detail17trampoline_kernelINS0_14default_configENS1_22reduce_config_selectorIjEEZNS1_11reduce_implILb1ES3_N6thrust23THRUST_200600_302600_NS6detail15normal_iteratorINS8_10device_ptrIjEEEEPiiNS8_4plusIiEEEE10hipError_tPvRmT1_T2_T3_mT4_P12ihipStream_tbEUlT_E1_NS1_11comp_targetILNS1_3genE4ELNS1_11target_archE910ELNS1_3gpuE8ELNS1_3repE0EEENS1_30default_config_static_selectorELNS0_4arch9wavefront6targetE1EEEvSK_
	.globl	_ZN7rocprim17ROCPRIM_400000_NS6detail17trampoline_kernelINS0_14default_configENS1_22reduce_config_selectorIjEEZNS1_11reduce_implILb1ES3_N6thrust23THRUST_200600_302600_NS6detail15normal_iteratorINS8_10device_ptrIjEEEEPiiNS8_4plusIiEEEE10hipError_tPvRmT1_T2_T3_mT4_P12ihipStream_tbEUlT_E1_NS1_11comp_targetILNS1_3genE4ELNS1_11target_archE910ELNS1_3gpuE8ELNS1_3repE0EEENS1_30default_config_static_selectorELNS0_4arch9wavefront6targetE1EEEvSK_
	.p2align	8
	.type	_ZN7rocprim17ROCPRIM_400000_NS6detail17trampoline_kernelINS0_14default_configENS1_22reduce_config_selectorIjEEZNS1_11reduce_implILb1ES3_N6thrust23THRUST_200600_302600_NS6detail15normal_iteratorINS8_10device_ptrIjEEEEPiiNS8_4plusIiEEEE10hipError_tPvRmT1_T2_T3_mT4_P12ihipStream_tbEUlT_E1_NS1_11comp_targetILNS1_3genE4ELNS1_11target_archE910ELNS1_3gpuE8ELNS1_3repE0EEENS1_30default_config_static_selectorELNS0_4arch9wavefront6targetE1EEEvSK_,@function
_ZN7rocprim17ROCPRIM_400000_NS6detail17trampoline_kernelINS0_14default_configENS1_22reduce_config_selectorIjEEZNS1_11reduce_implILb1ES3_N6thrust23THRUST_200600_302600_NS6detail15normal_iteratorINS8_10device_ptrIjEEEEPiiNS8_4plusIiEEEE10hipError_tPvRmT1_T2_T3_mT4_P12ihipStream_tbEUlT_E1_NS1_11comp_targetILNS1_3genE4ELNS1_11target_archE910ELNS1_3gpuE8ELNS1_3repE0EEENS1_30default_config_static_selectorELNS0_4arch9wavefront6targetE1EEEvSK_: ; @_ZN7rocprim17ROCPRIM_400000_NS6detail17trampoline_kernelINS0_14default_configENS1_22reduce_config_selectorIjEEZNS1_11reduce_implILb1ES3_N6thrust23THRUST_200600_302600_NS6detail15normal_iteratorINS8_10device_ptrIjEEEEPiiNS8_4plusIiEEEE10hipError_tPvRmT1_T2_T3_mT4_P12ihipStream_tbEUlT_E1_NS1_11comp_targetILNS1_3genE4ELNS1_11target_archE910ELNS1_3gpuE8ELNS1_3repE0EEENS1_30default_config_static_selectorELNS0_4arch9wavefront6targetE1EEEvSK_
; %bb.0:
	.section	.rodata,"a",@progbits
	.p2align	6, 0x0
	.amdhsa_kernel _ZN7rocprim17ROCPRIM_400000_NS6detail17trampoline_kernelINS0_14default_configENS1_22reduce_config_selectorIjEEZNS1_11reduce_implILb1ES3_N6thrust23THRUST_200600_302600_NS6detail15normal_iteratorINS8_10device_ptrIjEEEEPiiNS8_4plusIiEEEE10hipError_tPvRmT1_T2_T3_mT4_P12ihipStream_tbEUlT_E1_NS1_11comp_targetILNS1_3genE4ELNS1_11target_archE910ELNS1_3gpuE8ELNS1_3repE0EEENS1_30default_config_static_selectorELNS0_4arch9wavefront6targetE1EEEvSK_
		.amdhsa_group_segment_fixed_size 0
		.amdhsa_private_segment_fixed_size 0
		.amdhsa_kernarg_size 40
		.amdhsa_user_sgpr_count 2
		.amdhsa_user_sgpr_dispatch_ptr 0
		.amdhsa_user_sgpr_queue_ptr 0
		.amdhsa_user_sgpr_kernarg_segment_ptr 1
		.amdhsa_user_sgpr_dispatch_id 0
		.amdhsa_user_sgpr_kernarg_preload_length 0
		.amdhsa_user_sgpr_kernarg_preload_offset 0
		.amdhsa_user_sgpr_private_segment_size 0
		.amdhsa_uses_dynamic_stack 0
		.amdhsa_enable_private_segment 0
		.amdhsa_system_sgpr_workgroup_id_x 1
		.amdhsa_system_sgpr_workgroup_id_y 0
		.amdhsa_system_sgpr_workgroup_id_z 0
		.amdhsa_system_sgpr_workgroup_info 0
		.amdhsa_system_vgpr_workitem_id 0
		.amdhsa_next_free_vgpr 1
		.amdhsa_next_free_sgpr 0
		.amdhsa_accum_offset 4
		.amdhsa_reserve_vcc 0
		.amdhsa_float_round_mode_32 0
		.amdhsa_float_round_mode_16_64 0
		.amdhsa_float_denorm_mode_32 3
		.amdhsa_float_denorm_mode_16_64 3
		.amdhsa_dx10_clamp 1
		.amdhsa_ieee_mode 1
		.amdhsa_fp16_overflow 0
		.amdhsa_tg_split 0
		.amdhsa_exception_fp_ieee_invalid_op 0
		.amdhsa_exception_fp_denorm_src 0
		.amdhsa_exception_fp_ieee_div_zero 0
		.amdhsa_exception_fp_ieee_overflow 0
		.amdhsa_exception_fp_ieee_underflow 0
		.amdhsa_exception_fp_ieee_inexact 0
		.amdhsa_exception_int_div_zero 0
	.end_amdhsa_kernel
	.section	.text._ZN7rocprim17ROCPRIM_400000_NS6detail17trampoline_kernelINS0_14default_configENS1_22reduce_config_selectorIjEEZNS1_11reduce_implILb1ES3_N6thrust23THRUST_200600_302600_NS6detail15normal_iteratorINS8_10device_ptrIjEEEEPiiNS8_4plusIiEEEE10hipError_tPvRmT1_T2_T3_mT4_P12ihipStream_tbEUlT_E1_NS1_11comp_targetILNS1_3genE4ELNS1_11target_archE910ELNS1_3gpuE8ELNS1_3repE0EEENS1_30default_config_static_selectorELNS0_4arch9wavefront6targetE1EEEvSK_,"axG",@progbits,_ZN7rocprim17ROCPRIM_400000_NS6detail17trampoline_kernelINS0_14default_configENS1_22reduce_config_selectorIjEEZNS1_11reduce_implILb1ES3_N6thrust23THRUST_200600_302600_NS6detail15normal_iteratorINS8_10device_ptrIjEEEEPiiNS8_4plusIiEEEE10hipError_tPvRmT1_T2_T3_mT4_P12ihipStream_tbEUlT_E1_NS1_11comp_targetILNS1_3genE4ELNS1_11target_archE910ELNS1_3gpuE8ELNS1_3repE0EEENS1_30default_config_static_selectorELNS0_4arch9wavefront6targetE1EEEvSK_,comdat
.Lfunc_end398:
	.size	_ZN7rocprim17ROCPRIM_400000_NS6detail17trampoline_kernelINS0_14default_configENS1_22reduce_config_selectorIjEEZNS1_11reduce_implILb1ES3_N6thrust23THRUST_200600_302600_NS6detail15normal_iteratorINS8_10device_ptrIjEEEEPiiNS8_4plusIiEEEE10hipError_tPvRmT1_T2_T3_mT4_P12ihipStream_tbEUlT_E1_NS1_11comp_targetILNS1_3genE4ELNS1_11target_archE910ELNS1_3gpuE8ELNS1_3repE0EEENS1_30default_config_static_selectorELNS0_4arch9wavefront6targetE1EEEvSK_, .Lfunc_end398-_ZN7rocprim17ROCPRIM_400000_NS6detail17trampoline_kernelINS0_14default_configENS1_22reduce_config_selectorIjEEZNS1_11reduce_implILb1ES3_N6thrust23THRUST_200600_302600_NS6detail15normal_iteratorINS8_10device_ptrIjEEEEPiiNS8_4plusIiEEEE10hipError_tPvRmT1_T2_T3_mT4_P12ihipStream_tbEUlT_E1_NS1_11comp_targetILNS1_3genE4ELNS1_11target_archE910ELNS1_3gpuE8ELNS1_3repE0EEENS1_30default_config_static_selectorELNS0_4arch9wavefront6targetE1EEEvSK_
                                        ; -- End function
	.set _ZN7rocprim17ROCPRIM_400000_NS6detail17trampoline_kernelINS0_14default_configENS1_22reduce_config_selectorIjEEZNS1_11reduce_implILb1ES3_N6thrust23THRUST_200600_302600_NS6detail15normal_iteratorINS8_10device_ptrIjEEEEPiiNS8_4plusIiEEEE10hipError_tPvRmT1_T2_T3_mT4_P12ihipStream_tbEUlT_E1_NS1_11comp_targetILNS1_3genE4ELNS1_11target_archE910ELNS1_3gpuE8ELNS1_3repE0EEENS1_30default_config_static_selectorELNS0_4arch9wavefront6targetE1EEEvSK_.num_vgpr, 0
	.set _ZN7rocprim17ROCPRIM_400000_NS6detail17trampoline_kernelINS0_14default_configENS1_22reduce_config_selectorIjEEZNS1_11reduce_implILb1ES3_N6thrust23THRUST_200600_302600_NS6detail15normal_iteratorINS8_10device_ptrIjEEEEPiiNS8_4plusIiEEEE10hipError_tPvRmT1_T2_T3_mT4_P12ihipStream_tbEUlT_E1_NS1_11comp_targetILNS1_3genE4ELNS1_11target_archE910ELNS1_3gpuE8ELNS1_3repE0EEENS1_30default_config_static_selectorELNS0_4arch9wavefront6targetE1EEEvSK_.num_agpr, 0
	.set _ZN7rocprim17ROCPRIM_400000_NS6detail17trampoline_kernelINS0_14default_configENS1_22reduce_config_selectorIjEEZNS1_11reduce_implILb1ES3_N6thrust23THRUST_200600_302600_NS6detail15normal_iteratorINS8_10device_ptrIjEEEEPiiNS8_4plusIiEEEE10hipError_tPvRmT1_T2_T3_mT4_P12ihipStream_tbEUlT_E1_NS1_11comp_targetILNS1_3genE4ELNS1_11target_archE910ELNS1_3gpuE8ELNS1_3repE0EEENS1_30default_config_static_selectorELNS0_4arch9wavefront6targetE1EEEvSK_.numbered_sgpr, 0
	.set _ZN7rocprim17ROCPRIM_400000_NS6detail17trampoline_kernelINS0_14default_configENS1_22reduce_config_selectorIjEEZNS1_11reduce_implILb1ES3_N6thrust23THRUST_200600_302600_NS6detail15normal_iteratorINS8_10device_ptrIjEEEEPiiNS8_4plusIiEEEE10hipError_tPvRmT1_T2_T3_mT4_P12ihipStream_tbEUlT_E1_NS1_11comp_targetILNS1_3genE4ELNS1_11target_archE910ELNS1_3gpuE8ELNS1_3repE0EEENS1_30default_config_static_selectorELNS0_4arch9wavefront6targetE1EEEvSK_.num_named_barrier, 0
	.set _ZN7rocprim17ROCPRIM_400000_NS6detail17trampoline_kernelINS0_14default_configENS1_22reduce_config_selectorIjEEZNS1_11reduce_implILb1ES3_N6thrust23THRUST_200600_302600_NS6detail15normal_iteratorINS8_10device_ptrIjEEEEPiiNS8_4plusIiEEEE10hipError_tPvRmT1_T2_T3_mT4_P12ihipStream_tbEUlT_E1_NS1_11comp_targetILNS1_3genE4ELNS1_11target_archE910ELNS1_3gpuE8ELNS1_3repE0EEENS1_30default_config_static_selectorELNS0_4arch9wavefront6targetE1EEEvSK_.private_seg_size, 0
	.set _ZN7rocprim17ROCPRIM_400000_NS6detail17trampoline_kernelINS0_14default_configENS1_22reduce_config_selectorIjEEZNS1_11reduce_implILb1ES3_N6thrust23THRUST_200600_302600_NS6detail15normal_iteratorINS8_10device_ptrIjEEEEPiiNS8_4plusIiEEEE10hipError_tPvRmT1_T2_T3_mT4_P12ihipStream_tbEUlT_E1_NS1_11comp_targetILNS1_3genE4ELNS1_11target_archE910ELNS1_3gpuE8ELNS1_3repE0EEENS1_30default_config_static_selectorELNS0_4arch9wavefront6targetE1EEEvSK_.uses_vcc, 0
	.set _ZN7rocprim17ROCPRIM_400000_NS6detail17trampoline_kernelINS0_14default_configENS1_22reduce_config_selectorIjEEZNS1_11reduce_implILb1ES3_N6thrust23THRUST_200600_302600_NS6detail15normal_iteratorINS8_10device_ptrIjEEEEPiiNS8_4plusIiEEEE10hipError_tPvRmT1_T2_T3_mT4_P12ihipStream_tbEUlT_E1_NS1_11comp_targetILNS1_3genE4ELNS1_11target_archE910ELNS1_3gpuE8ELNS1_3repE0EEENS1_30default_config_static_selectorELNS0_4arch9wavefront6targetE1EEEvSK_.uses_flat_scratch, 0
	.set _ZN7rocprim17ROCPRIM_400000_NS6detail17trampoline_kernelINS0_14default_configENS1_22reduce_config_selectorIjEEZNS1_11reduce_implILb1ES3_N6thrust23THRUST_200600_302600_NS6detail15normal_iteratorINS8_10device_ptrIjEEEEPiiNS8_4plusIiEEEE10hipError_tPvRmT1_T2_T3_mT4_P12ihipStream_tbEUlT_E1_NS1_11comp_targetILNS1_3genE4ELNS1_11target_archE910ELNS1_3gpuE8ELNS1_3repE0EEENS1_30default_config_static_selectorELNS0_4arch9wavefront6targetE1EEEvSK_.has_dyn_sized_stack, 0
	.set _ZN7rocprim17ROCPRIM_400000_NS6detail17trampoline_kernelINS0_14default_configENS1_22reduce_config_selectorIjEEZNS1_11reduce_implILb1ES3_N6thrust23THRUST_200600_302600_NS6detail15normal_iteratorINS8_10device_ptrIjEEEEPiiNS8_4plusIiEEEE10hipError_tPvRmT1_T2_T3_mT4_P12ihipStream_tbEUlT_E1_NS1_11comp_targetILNS1_3genE4ELNS1_11target_archE910ELNS1_3gpuE8ELNS1_3repE0EEENS1_30default_config_static_selectorELNS0_4arch9wavefront6targetE1EEEvSK_.has_recursion, 0
	.set _ZN7rocprim17ROCPRIM_400000_NS6detail17trampoline_kernelINS0_14default_configENS1_22reduce_config_selectorIjEEZNS1_11reduce_implILb1ES3_N6thrust23THRUST_200600_302600_NS6detail15normal_iteratorINS8_10device_ptrIjEEEEPiiNS8_4plusIiEEEE10hipError_tPvRmT1_T2_T3_mT4_P12ihipStream_tbEUlT_E1_NS1_11comp_targetILNS1_3genE4ELNS1_11target_archE910ELNS1_3gpuE8ELNS1_3repE0EEENS1_30default_config_static_selectorELNS0_4arch9wavefront6targetE1EEEvSK_.has_indirect_call, 0
	.section	.AMDGPU.csdata,"",@progbits
; Kernel info:
; codeLenInByte = 0
; TotalNumSgprs: 6
; NumVgprs: 0
; NumAgprs: 0
; TotalNumVgprs: 0
; ScratchSize: 0
; MemoryBound: 0
; FloatMode: 240
; IeeeMode: 1
; LDSByteSize: 0 bytes/workgroup (compile time only)
; SGPRBlocks: 0
; VGPRBlocks: 0
; NumSGPRsForWavesPerEU: 6
; NumVGPRsForWavesPerEU: 1
; AccumOffset: 4
; Occupancy: 8
; WaveLimiterHint : 0
; COMPUTE_PGM_RSRC2:SCRATCH_EN: 0
; COMPUTE_PGM_RSRC2:USER_SGPR: 2
; COMPUTE_PGM_RSRC2:TRAP_HANDLER: 0
; COMPUTE_PGM_RSRC2:TGID_X_EN: 1
; COMPUTE_PGM_RSRC2:TGID_Y_EN: 0
; COMPUTE_PGM_RSRC2:TGID_Z_EN: 0
; COMPUTE_PGM_RSRC2:TIDIG_COMP_CNT: 0
; COMPUTE_PGM_RSRC3_GFX90A:ACCUM_OFFSET: 0
; COMPUTE_PGM_RSRC3_GFX90A:TG_SPLIT: 0
	.section	.text._ZN7rocprim17ROCPRIM_400000_NS6detail17trampoline_kernelINS0_14default_configENS1_22reduce_config_selectorIjEEZNS1_11reduce_implILb1ES3_N6thrust23THRUST_200600_302600_NS6detail15normal_iteratorINS8_10device_ptrIjEEEEPiiNS8_4plusIiEEEE10hipError_tPvRmT1_T2_T3_mT4_P12ihipStream_tbEUlT_E1_NS1_11comp_targetILNS1_3genE3ELNS1_11target_archE908ELNS1_3gpuE7ELNS1_3repE0EEENS1_30default_config_static_selectorELNS0_4arch9wavefront6targetE1EEEvSK_,"axG",@progbits,_ZN7rocprim17ROCPRIM_400000_NS6detail17trampoline_kernelINS0_14default_configENS1_22reduce_config_selectorIjEEZNS1_11reduce_implILb1ES3_N6thrust23THRUST_200600_302600_NS6detail15normal_iteratorINS8_10device_ptrIjEEEEPiiNS8_4plusIiEEEE10hipError_tPvRmT1_T2_T3_mT4_P12ihipStream_tbEUlT_E1_NS1_11comp_targetILNS1_3genE3ELNS1_11target_archE908ELNS1_3gpuE7ELNS1_3repE0EEENS1_30default_config_static_selectorELNS0_4arch9wavefront6targetE1EEEvSK_,comdat
	.protected	_ZN7rocprim17ROCPRIM_400000_NS6detail17trampoline_kernelINS0_14default_configENS1_22reduce_config_selectorIjEEZNS1_11reduce_implILb1ES3_N6thrust23THRUST_200600_302600_NS6detail15normal_iteratorINS8_10device_ptrIjEEEEPiiNS8_4plusIiEEEE10hipError_tPvRmT1_T2_T3_mT4_P12ihipStream_tbEUlT_E1_NS1_11comp_targetILNS1_3genE3ELNS1_11target_archE908ELNS1_3gpuE7ELNS1_3repE0EEENS1_30default_config_static_selectorELNS0_4arch9wavefront6targetE1EEEvSK_ ; -- Begin function _ZN7rocprim17ROCPRIM_400000_NS6detail17trampoline_kernelINS0_14default_configENS1_22reduce_config_selectorIjEEZNS1_11reduce_implILb1ES3_N6thrust23THRUST_200600_302600_NS6detail15normal_iteratorINS8_10device_ptrIjEEEEPiiNS8_4plusIiEEEE10hipError_tPvRmT1_T2_T3_mT4_P12ihipStream_tbEUlT_E1_NS1_11comp_targetILNS1_3genE3ELNS1_11target_archE908ELNS1_3gpuE7ELNS1_3repE0EEENS1_30default_config_static_selectorELNS0_4arch9wavefront6targetE1EEEvSK_
	.globl	_ZN7rocprim17ROCPRIM_400000_NS6detail17trampoline_kernelINS0_14default_configENS1_22reduce_config_selectorIjEEZNS1_11reduce_implILb1ES3_N6thrust23THRUST_200600_302600_NS6detail15normal_iteratorINS8_10device_ptrIjEEEEPiiNS8_4plusIiEEEE10hipError_tPvRmT1_T2_T3_mT4_P12ihipStream_tbEUlT_E1_NS1_11comp_targetILNS1_3genE3ELNS1_11target_archE908ELNS1_3gpuE7ELNS1_3repE0EEENS1_30default_config_static_selectorELNS0_4arch9wavefront6targetE1EEEvSK_
	.p2align	8
	.type	_ZN7rocprim17ROCPRIM_400000_NS6detail17trampoline_kernelINS0_14default_configENS1_22reduce_config_selectorIjEEZNS1_11reduce_implILb1ES3_N6thrust23THRUST_200600_302600_NS6detail15normal_iteratorINS8_10device_ptrIjEEEEPiiNS8_4plusIiEEEE10hipError_tPvRmT1_T2_T3_mT4_P12ihipStream_tbEUlT_E1_NS1_11comp_targetILNS1_3genE3ELNS1_11target_archE908ELNS1_3gpuE7ELNS1_3repE0EEENS1_30default_config_static_selectorELNS0_4arch9wavefront6targetE1EEEvSK_,@function
_ZN7rocprim17ROCPRIM_400000_NS6detail17trampoline_kernelINS0_14default_configENS1_22reduce_config_selectorIjEEZNS1_11reduce_implILb1ES3_N6thrust23THRUST_200600_302600_NS6detail15normal_iteratorINS8_10device_ptrIjEEEEPiiNS8_4plusIiEEEE10hipError_tPvRmT1_T2_T3_mT4_P12ihipStream_tbEUlT_E1_NS1_11comp_targetILNS1_3genE3ELNS1_11target_archE908ELNS1_3gpuE7ELNS1_3repE0EEENS1_30default_config_static_selectorELNS0_4arch9wavefront6targetE1EEEvSK_: ; @_ZN7rocprim17ROCPRIM_400000_NS6detail17trampoline_kernelINS0_14default_configENS1_22reduce_config_selectorIjEEZNS1_11reduce_implILb1ES3_N6thrust23THRUST_200600_302600_NS6detail15normal_iteratorINS8_10device_ptrIjEEEEPiiNS8_4plusIiEEEE10hipError_tPvRmT1_T2_T3_mT4_P12ihipStream_tbEUlT_E1_NS1_11comp_targetILNS1_3genE3ELNS1_11target_archE908ELNS1_3gpuE7ELNS1_3repE0EEENS1_30default_config_static_selectorELNS0_4arch9wavefront6targetE1EEEvSK_
; %bb.0:
	.section	.rodata,"a",@progbits
	.p2align	6, 0x0
	.amdhsa_kernel _ZN7rocprim17ROCPRIM_400000_NS6detail17trampoline_kernelINS0_14default_configENS1_22reduce_config_selectorIjEEZNS1_11reduce_implILb1ES3_N6thrust23THRUST_200600_302600_NS6detail15normal_iteratorINS8_10device_ptrIjEEEEPiiNS8_4plusIiEEEE10hipError_tPvRmT1_T2_T3_mT4_P12ihipStream_tbEUlT_E1_NS1_11comp_targetILNS1_3genE3ELNS1_11target_archE908ELNS1_3gpuE7ELNS1_3repE0EEENS1_30default_config_static_selectorELNS0_4arch9wavefront6targetE1EEEvSK_
		.amdhsa_group_segment_fixed_size 0
		.amdhsa_private_segment_fixed_size 0
		.amdhsa_kernarg_size 40
		.amdhsa_user_sgpr_count 2
		.amdhsa_user_sgpr_dispatch_ptr 0
		.amdhsa_user_sgpr_queue_ptr 0
		.amdhsa_user_sgpr_kernarg_segment_ptr 1
		.amdhsa_user_sgpr_dispatch_id 0
		.amdhsa_user_sgpr_kernarg_preload_length 0
		.amdhsa_user_sgpr_kernarg_preload_offset 0
		.amdhsa_user_sgpr_private_segment_size 0
		.amdhsa_uses_dynamic_stack 0
		.amdhsa_enable_private_segment 0
		.amdhsa_system_sgpr_workgroup_id_x 1
		.amdhsa_system_sgpr_workgroup_id_y 0
		.amdhsa_system_sgpr_workgroup_id_z 0
		.amdhsa_system_sgpr_workgroup_info 0
		.amdhsa_system_vgpr_workitem_id 0
		.amdhsa_next_free_vgpr 1
		.amdhsa_next_free_sgpr 0
		.amdhsa_accum_offset 4
		.amdhsa_reserve_vcc 0
		.amdhsa_float_round_mode_32 0
		.amdhsa_float_round_mode_16_64 0
		.amdhsa_float_denorm_mode_32 3
		.amdhsa_float_denorm_mode_16_64 3
		.amdhsa_dx10_clamp 1
		.amdhsa_ieee_mode 1
		.amdhsa_fp16_overflow 0
		.amdhsa_tg_split 0
		.amdhsa_exception_fp_ieee_invalid_op 0
		.amdhsa_exception_fp_denorm_src 0
		.amdhsa_exception_fp_ieee_div_zero 0
		.amdhsa_exception_fp_ieee_overflow 0
		.amdhsa_exception_fp_ieee_underflow 0
		.amdhsa_exception_fp_ieee_inexact 0
		.amdhsa_exception_int_div_zero 0
	.end_amdhsa_kernel
	.section	.text._ZN7rocprim17ROCPRIM_400000_NS6detail17trampoline_kernelINS0_14default_configENS1_22reduce_config_selectorIjEEZNS1_11reduce_implILb1ES3_N6thrust23THRUST_200600_302600_NS6detail15normal_iteratorINS8_10device_ptrIjEEEEPiiNS8_4plusIiEEEE10hipError_tPvRmT1_T2_T3_mT4_P12ihipStream_tbEUlT_E1_NS1_11comp_targetILNS1_3genE3ELNS1_11target_archE908ELNS1_3gpuE7ELNS1_3repE0EEENS1_30default_config_static_selectorELNS0_4arch9wavefront6targetE1EEEvSK_,"axG",@progbits,_ZN7rocprim17ROCPRIM_400000_NS6detail17trampoline_kernelINS0_14default_configENS1_22reduce_config_selectorIjEEZNS1_11reduce_implILb1ES3_N6thrust23THRUST_200600_302600_NS6detail15normal_iteratorINS8_10device_ptrIjEEEEPiiNS8_4plusIiEEEE10hipError_tPvRmT1_T2_T3_mT4_P12ihipStream_tbEUlT_E1_NS1_11comp_targetILNS1_3genE3ELNS1_11target_archE908ELNS1_3gpuE7ELNS1_3repE0EEENS1_30default_config_static_selectorELNS0_4arch9wavefront6targetE1EEEvSK_,comdat
.Lfunc_end399:
	.size	_ZN7rocprim17ROCPRIM_400000_NS6detail17trampoline_kernelINS0_14default_configENS1_22reduce_config_selectorIjEEZNS1_11reduce_implILb1ES3_N6thrust23THRUST_200600_302600_NS6detail15normal_iteratorINS8_10device_ptrIjEEEEPiiNS8_4plusIiEEEE10hipError_tPvRmT1_T2_T3_mT4_P12ihipStream_tbEUlT_E1_NS1_11comp_targetILNS1_3genE3ELNS1_11target_archE908ELNS1_3gpuE7ELNS1_3repE0EEENS1_30default_config_static_selectorELNS0_4arch9wavefront6targetE1EEEvSK_, .Lfunc_end399-_ZN7rocprim17ROCPRIM_400000_NS6detail17trampoline_kernelINS0_14default_configENS1_22reduce_config_selectorIjEEZNS1_11reduce_implILb1ES3_N6thrust23THRUST_200600_302600_NS6detail15normal_iteratorINS8_10device_ptrIjEEEEPiiNS8_4plusIiEEEE10hipError_tPvRmT1_T2_T3_mT4_P12ihipStream_tbEUlT_E1_NS1_11comp_targetILNS1_3genE3ELNS1_11target_archE908ELNS1_3gpuE7ELNS1_3repE0EEENS1_30default_config_static_selectorELNS0_4arch9wavefront6targetE1EEEvSK_
                                        ; -- End function
	.set _ZN7rocprim17ROCPRIM_400000_NS6detail17trampoline_kernelINS0_14default_configENS1_22reduce_config_selectorIjEEZNS1_11reduce_implILb1ES3_N6thrust23THRUST_200600_302600_NS6detail15normal_iteratorINS8_10device_ptrIjEEEEPiiNS8_4plusIiEEEE10hipError_tPvRmT1_T2_T3_mT4_P12ihipStream_tbEUlT_E1_NS1_11comp_targetILNS1_3genE3ELNS1_11target_archE908ELNS1_3gpuE7ELNS1_3repE0EEENS1_30default_config_static_selectorELNS0_4arch9wavefront6targetE1EEEvSK_.num_vgpr, 0
	.set _ZN7rocprim17ROCPRIM_400000_NS6detail17trampoline_kernelINS0_14default_configENS1_22reduce_config_selectorIjEEZNS1_11reduce_implILb1ES3_N6thrust23THRUST_200600_302600_NS6detail15normal_iteratorINS8_10device_ptrIjEEEEPiiNS8_4plusIiEEEE10hipError_tPvRmT1_T2_T3_mT4_P12ihipStream_tbEUlT_E1_NS1_11comp_targetILNS1_3genE3ELNS1_11target_archE908ELNS1_3gpuE7ELNS1_3repE0EEENS1_30default_config_static_selectorELNS0_4arch9wavefront6targetE1EEEvSK_.num_agpr, 0
	.set _ZN7rocprim17ROCPRIM_400000_NS6detail17trampoline_kernelINS0_14default_configENS1_22reduce_config_selectorIjEEZNS1_11reduce_implILb1ES3_N6thrust23THRUST_200600_302600_NS6detail15normal_iteratorINS8_10device_ptrIjEEEEPiiNS8_4plusIiEEEE10hipError_tPvRmT1_T2_T3_mT4_P12ihipStream_tbEUlT_E1_NS1_11comp_targetILNS1_3genE3ELNS1_11target_archE908ELNS1_3gpuE7ELNS1_3repE0EEENS1_30default_config_static_selectorELNS0_4arch9wavefront6targetE1EEEvSK_.numbered_sgpr, 0
	.set _ZN7rocprim17ROCPRIM_400000_NS6detail17trampoline_kernelINS0_14default_configENS1_22reduce_config_selectorIjEEZNS1_11reduce_implILb1ES3_N6thrust23THRUST_200600_302600_NS6detail15normal_iteratorINS8_10device_ptrIjEEEEPiiNS8_4plusIiEEEE10hipError_tPvRmT1_T2_T3_mT4_P12ihipStream_tbEUlT_E1_NS1_11comp_targetILNS1_3genE3ELNS1_11target_archE908ELNS1_3gpuE7ELNS1_3repE0EEENS1_30default_config_static_selectorELNS0_4arch9wavefront6targetE1EEEvSK_.num_named_barrier, 0
	.set _ZN7rocprim17ROCPRIM_400000_NS6detail17trampoline_kernelINS0_14default_configENS1_22reduce_config_selectorIjEEZNS1_11reduce_implILb1ES3_N6thrust23THRUST_200600_302600_NS6detail15normal_iteratorINS8_10device_ptrIjEEEEPiiNS8_4plusIiEEEE10hipError_tPvRmT1_T2_T3_mT4_P12ihipStream_tbEUlT_E1_NS1_11comp_targetILNS1_3genE3ELNS1_11target_archE908ELNS1_3gpuE7ELNS1_3repE0EEENS1_30default_config_static_selectorELNS0_4arch9wavefront6targetE1EEEvSK_.private_seg_size, 0
	.set _ZN7rocprim17ROCPRIM_400000_NS6detail17trampoline_kernelINS0_14default_configENS1_22reduce_config_selectorIjEEZNS1_11reduce_implILb1ES3_N6thrust23THRUST_200600_302600_NS6detail15normal_iteratorINS8_10device_ptrIjEEEEPiiNS8_4plusIiEEEE10hipError_tPvRmT1_T2_T3_mT4_P12ihipStream_tbEUlT_E1_NS1_11comp_targetILNS1_3genE3ELNS1_11target_archE908ELNS1_3gpuE7ELNS1_3repE0EEENS1_30default_config_static_selectorELNS0_4arch9wavefront6targetE1EEEvSK_.uses_vcc, 0
	.set _ZN7rocprim17ROCPRIM_400000_NS6detail17trampoline_kernelINS0_14default_configENS1_22reduce_config_selectorIjEEZNS1_11reduce_implILb1ES3_N6thrust23THRUST_200600_302600_NS6detail15normal_iteratorINS8_10device_ptrIjEEEEPiiNS8_4plusIiEEEE10hipError_tPvRmT1_T2_T3_mT4_P12ihipStream_tbEUlT_E1_NS1_11comp_targetILNS1_3genE3ELNS1_11target_archE908ELNS1_3gpuE7ELNS1_3repE0EEENS1_30default_config_static_selectorELNS0_4arch9wavefront6targetE1EEEvSK_.uses_flat_scratch, 0
	.set _ZN7rocprim17ROCPRIM_400000_NS6detail17trampoline_kernelINS0_14default_configENS1_22reduce_config_selectorIjEEZNS1_11reduce_implILb1ES3_N6thrust23THRUST_200600_302600_NS6detail15normal_iteratorINS8_10device_ptrIjEEEEPiiNS8_4plusIiEEEE10hipError_tPvRmT1_T2_T3_mT4_P12ihipStream_tbEUlT_E1_NS1_11comp_targetILNS1_3genE3ELNS1_11target_archE908ELNS1_3gpuE7ELNS1_3repE0EEENS1_30default_config_static_selectorELNS0_4arch9wavefront6targetE1EEEvSK_.has_dyn_sized_stack, 0
	.set _ZN7rocprim17ROCPRIM_400000_NS6detail17trampoline_kernelINS0_14default_configENS1_22reduce_config_selectorIjEEZNS1_11reduce_implILb1ES3_N6thrust23THRUST_200600_302600_NS6detail15normal_iteratorINS8_10device_ptrIjEEEEPiiNS8_4plusIiEEEE10hipError_tPvRmT1_T2_T3_mT4_P12ihipStream_tbEUlT_E1_NS1_11comp_targetILNS1_3genE3ELNS1_11target_archE908ELNS1_3gpuE7ELNS1_3repE0EEENS1_30default_config_static_selectorELNS0_4arch9wavefront6targetE1EEEvSK_.has_recursion, 0
	.set _ZN7rocprim17ROCPRIM_400000_NS6detail17trampoline_kernelINS0_14default_configENS1_22reduce_config_selectorIjEEZNS1_11reduce_implILb1ES3_N6thrust23THRUST_200600_302600_NS6detail15normal_iteratorINS8_10device_ptrIjEEEEPiiNS8_4plusIiEEEE10hipError_tPvRmT1_T2_T3_mT4_P12ihipStream_tbEUlT_E1_NS1_11comp_targetILNS1_3genE3ELNS1_11target_archE908ELNS1_3gpuE7ELNS1_3repE0EEENS1_30default_config_static_selectorELNS0_4arch9wavefront6targetE1EEEvSK_.has_indirect_call, 0
	.section	.AMDGPU.csdata,"",@progbits
; Kernel info:
; codeLenInByte = 0
; TotalNumSgprs: 6
; NumVgprs: 0
; NumAgprs: 0
; TotalNumVgprs: 0
; ScratchSize: 0
; MemoryBound: 0
; FloatMode: 240
; IeeeMode: 1
; LDSByteSize: 0 bytes/workgroup (compile time only)
; SGPRBlocks: 0
; VGPRBlocks: 0
; NumSGPRsForWavesPerEU: 6
; NumVGPRsForWavesPerEU: 1
; AccumOffset: 4
; Occupancy: 8
; WaveLimiterHint : 0
; COMPUTE_PGM_RSRC2:SCRATCH_EN: 0
; COMPUTE_PGM_RSRC2:USER_SGPR: 2
; COMPUTE_PGM_RSRC2:TRAP_HANDLER: 0
; COMPUTE_PGM_RSRC2:TGID_X_EN: 1
; COMPUTE_PGM_RSRC2:TGID_Y_EN: 0
; COMPUTE_PGM_RSRC2:TGID_Z_EN: 0
; COMPUTE_PGM_RSRC2:TIDIG_COMP_CNT: 0
; COMPUTE_PGM_RSRC3_GFX90A:ACCUM_OFFSET: 0
; COMPUTE_PGM_RSRC3_GFX90A:TG_SPLIT: 0
	.section	.text._ZN7rocprim17ROCPRIM_400000_NS6detail17trampoline_kernelINS0_14default_configENS1_22reduce_config_selectorIjEEZNS1_11reduce_implILb1ES3_N6thrust23THRUST_200600_302600_NS6detail15normal_iteratorINS8_10device_ptrIjEEEEPiiNS8_4plusIiEEEE10hipError_tPvRmT1_T2_T3_mT4_P12ihipStream_tbEUlT_E1_NS1_11comp_targetILNS1_3genE2ELNS1_11target_archE906ELNS1_3gpuE6ELNS1_3repE0EEENS1_30default_config_static_selectorELNS0_4arch9wavefront6targetE1EEEvSK_,"axG",@progbits,_ZN7rocprim17ROCPRIM_400000_NS6detail17trampoline_kernelINS0_14default_configENS1_22reduce_config_selectorIjEEZNS1_11reduce_implILb1ES3_N6thrust23THRUST_200600_302600_NS6detail15normal_iteratorINS8_10device_ptrIjEEEEPiiNS8_4plusIiEEEE10hipError_tPvRmT1_T2_T3_mT4_P12ihipStream_tbEUlT_E1_NS1_11comp_targetILNS1_3genE2ELNS1_11target_archE906ELNS1_3gpuE6ELNS1_3repE0EEENS1_30default_config_static_selectorELNS0_4arch9wavefront6targetE1EEEvSK_,comdat
	.protected	_ZN7rocprim17ROCPRIM_400000_NS6detail17trampoline_kernelINS0_14default_configENS1_22reduce_config_selectorIjEEZNS1_11reduce_implILb1ES3_N6thrust23THRUST_200600_302600_NS6detail15normal_iteratorINS8_10device_ptrIjEEEEPiiNS8_4plusIiEEEE10hipError_tPvRmT1_T2_T3_mT4_P12ihipStream_tbEUlT_E1_NS1_11comp_targetILNS1_3genE2ELNS1_11target_archE906ELNS1_3gpuE6ELNS1_3repE0EEENS1_30default_config_static_selectorELNS0_4arch9wavefront6targetE1EEEvSK_ ; -- Begin function _ZN7rocprim17ROCPRIM_400000_NS6detail17trampoline_kernelINS0_14default_configENS1_22reduce_config_selectorIjEEZNS1_11reduce_implILb1ES3_N6thrust23THRUST_200600_302600_NS6detail15normal_iteratorINS8_10device_ptrIjEEEEPiiNS8_4plusIiEEEE10hipError_tPvRmT1_T2_T3_mT4_P12ihipStream_tbEUlT_E1_NS1_11comp_targetILNS1_3genE2ELNS1_11target_archE906ELNS1_3gpuE6ELNS1_3repE0EEENS1_30default_config_static_selectorELNS0_4arch9wavefront6targetE1EEEvSK_
	.globl	_ZN7rocprim17ROCPRIM_400000_NS6detail17trampoline_kernelINS0_14default_configENS1_22reduce_config_selectorIjEEZNS1_11reduce_implILb1ES3_N6thrust23THRUST_200600_302600_NS6detail15normal_iteratorINS8_10device_ptrIjEEEEPiiNS8_4plusIiEEEE10hipError_tPvRmT1_T2_T3_mT4_P12ihipStream_tbEUlT_E1_NS1_11comp_targetILNS1_3genE2ELNS1_11target_archE906ELNS1_3gpuE6ELNS1_3repE0EEENS1_30default_config_static_selectorELNS0_4arch9wavefront6targetE1EEEvSK_
	.p2align	8
	.type	_ZN7rocprim17ROCPRIM_400000_NS6detail17trampoline_kernelINS0_14default_configENS1_22reduce_config_selectorIjEEZNS1_11reduce_implILb1ES3_N6thrust23THRUST_200600_302600_NS6detail15normal_iteratorINS8_10device_ptrIjEEEEPiiNS8_4plusIiEEEE10hipError_tPvRmT1_T2_T3_mT4_P12ihipStream_tbEUlT_E1_NS1_11comp_targetILNS1_3genE2ELNS1_11target_archE906ELNS1_3gpuE6ELNS1_3repE0EEENS1_30default_config_static_selectorELNS0_4arch9wavefront6targetE1EEEvSK_,@function
_ZN7rocprim17ROCPRIM_400000_NS6detail17trampoline_kernelINS0_14default_configENS1_22reduce_config_selectorIjEEZNS1_11reduce_implILb1ES3_N6thrust23THRUST_200600_302600_NS6detail15normal_iteratorINS8_10device_ptrIjEEEEPiiNS8_4plusIiEEEE10hipError_tPvRmT1_T2_T3_mT4_P12ihipStream_tbEUlT_E1_NS1_11comp_targetILNS1_3genE2ELNS1_11target_archE906ELNS1_3gpuE6ELNS1_3repE0EEENS1_30default_config_static_selectorELNS0_4arch9wavefront6targetE1EEEvSK_: ; @_ZN7rocprim17ROCPRIM_400000_NS6detail17trampoline_kernelINS0_14default_configENS1_22reduce_config_selectorIjEEZNS1_11reduce_implILb1ES3_N6thrust23THRUST_200600_302600_NS6detail15normal_iteratorINS8_10device_ptrIjEEEEPiiNS8_4plusIiEEEE10hipError_tPvRmT1_T2_T3_mT4_P12ihipStream_tbEUlT_E1_NS1_11comp_targetILNS1_3genE2ELNS1_11target_archE906ELNS1_3gpuE6ELNS1_3repE0EEENS1_30default_config_static_selectorELNS0_4arch9wavefront6targetE1EEEvSK_
; %bb.0:
	.section	.rodata,"a",@progbits
	.p2align	6, 0x0
	.amdhsa_kernel _ZN7rocprim17ROCPRIM_400000_NS6detail17trampoline_kernelINS0_14default_configENS1_22reduce_config_selectorIjEEZNS1_11reduce_implILb1ES3_N6thrust23THRUST_200600_302600_NS6detail15normal_iteratorINS8_10device_ptrIjEEEEPiiNS8_4plusIiEEEE10hipError_tPvRmT1_T2_T3_mT4_P12ihipStream_tbEUlT_E1_NS1_11comp_targetILNS1_3genE2ELNS1_11target_archE906ELNS1_3gpuE6ELNS1_3repE0EEENS1_30default_config_static_selectorELNS0_4arch9wavefront6targetE1EEEvSK_
		.amdhsa_group_segment_fixed_size 0
		.amdhsa_private_segment_fixed_size 0
		.amdhsa_kernarg_size 40
		.amdhsa_user_sgpr_count 2
		.amdhsa_user_sgpr_dispatch_ptr 0
		.amdhsa_user_sgpr_queue_ptr 0
		.amdhsa_user_sgpr_kernarg_segment_ptr 1
		.amdhsa_user_sgpr_dispatch_id 0
		.amdhsa_user_sgpr_kernarg_preload_length 0
		.amdhsa_user_sgpr_kernarg_preload_offset 0
		.amdhsa_user_sgpr_private_segment_size 0
		.amdhsa_uses_dynamic_stack 0
		.amdhsa_enable_private_segment 0
		.amdhsa_system_sgpr_workgroup_id_x 1
		.amdhsa_system_sgpr_workgroup_id_y 0
		.amdhsa_system_sgpr_workgroup_id_z 0
		.amdhsa_system_sgpr_workgroup_info 0
		.amdhsa_system_vgpr_workitem_id 0
		.amdhsa_next_free_vgpr 1
		.amdhsa_next_free_sgpr 0
		.amdhsa_accum_offset 4
		.amdhsa_reserve_vcc 0
		.amdhsa_float_round_mode_32 0
		.amdhsa_float_round_mode_16_64 0
		.amdhsa_float_denorm_mode_32 3
		.amdhsa_float_denorm_mode_16_64 3
		.amdhsa_dx10_clamp 1
		.amdhsa_ieee_mode 1
		.amdhsa_fp16_overflow 0
		.amdhsa_tg_split 0
		.amdhsa_exception_fp_ieee_invalid_op 0
		.amdhsa_exception_fp_denorm_src 0
		.amdhsa_exception_fp_ieee_div_zero 0
		.amdhsa_exception_fp_ieee_overflow 0
		.amdhsa_exception_fp_ieee_underflow 0
		.amdhsa_exception_fp_ieee_inexact 0
		.amdhsa_exception_int_div_zero 0
	.end_amdhsa_kernel
	.section	.text._ZN7rocprim17ROCPRIM_400000_NS6detail17trampoline_kernelINS0_14default_configENS1_22reduce_config_selectorIjEEZNS1_11reduce_implILb1ES3_N6thrust23THRUST_200600_302600_NS6detail15normal_iteratorINS8_10device_ptrIjEEEEPiiNS8_4plusIiEEEE10hipError_tPvRmT1_T2_T3_mT4_P12ihipStream_tbEUlT_E1_NS1_11comp_targetILNS1_3genE2ELNS1_11target_archE906ELNS1_3gpuE6ELNS1_3repE0EEENS1_30default_config_static_selectorELNS0_4arch9wavefront6targetE1EEEvSK_,"axG",@progbits,_ZN7rocprim17ROCPRIM_400000_NS6detail17trampoline_kernelINS0_14default_configENS1_22reduce_config_selectorIjEEZNS1_11reduce_implILb1ES3_N6thrust23THRUST_200600_302600_NS6detail15normal_iteratorINS8_10device_ptrIjEEEEPiiNS8_4plusIiEEEE10hipError_tPvRmT1_T2_T3_mT4_P12ihipStream_tbEUlT_E1_NS1_11comp_targetILNS1_3genE2ELNS1_11target_archE906ELNS1_3gpuE6ELNS1_3repE0EEENS1_30default_config_static_selectorELNS0_4arch9wavefront6targetE1EEEvSK_,comdat
.Lfunc_end400:
	.size	_ZN7rocprim17ROCPRIM_400000_NS6detail17trampoline_kernelINS0_14default_configENS1_22reduce_config_selectorIjEEZNS1_11reduce_implILb1ES3_N6thrust23THRUST_200600_302600_NS6detail15normal_iteratorINS8_10device_ptrIjEEEEPiiNS8_4plusIiEEEE10hipError_tPvRmT1_T2_T3_mT4_P12ihipStream_tbEUlT_E1_NS1_11comp_targetILNS1_3genE2ELNS1_11target_archE906ELNS1_3gpuE6ELNS1_3repE0EEENS1_30default_config_static_selectorELNS0_4arch9wavefront6targetE1EEEvSK_, .Lfunc_end400-_ZN7rocprim17ROCPRIM_400000_NS6detail17trampoline_kernelINS0_14default_configENS1_22reduce_config_selectorIjEEZNS1_11reduce_implILb1ES3_N6thrust23THRUST_200600_302600_NS6detail15normal_iteratorINS8_10device_ptrIjEEEEPiiNS8_4plusIiEEEE10hipError_tPvRmT1_T2_T3_mT4_P12ihipStream_tbEUlT_E1_NS1_11comp_targetILNS1_3genE2ELNS1_11target_archE906ELNS1_3gpuE6ELNS1_3repE0EEENS1_30default_config_static_selectorELNS0_4arch9wavefront6targetE1EEEvSK_
                                        ; -- End function
	.set _ZN7rocprim17ROCPRIM_400000_NS6detail17trampoline_kernelINS0_14default_configENS1_22reduce_config_selectorIjEEZNS1_11reduce_implILb1ES3_N6thrust23THRUST_200600_302600_NS6detail15normal_iteratorINS8_10device_ptrIjEEEEPiiNS8_4plusIiEEEE10hipError_tPvRmT1_T2_T3_mT4_P12ihipStream_tbEUlT_E1_NS1_11comp_targetILNS1_3genE2ELNS1_11target_archE906ELNS1_3gpuE6ELNS1_3repE0EEENS1_30default_config_static_selectorELNS0_4arch9wavefront6targetE1EEEvSK_.num_vgpr, 0
	.set _ZN7rocprim17ROCPRIM_400000_NS6detail17trampoline_kernelINS0_14default_configENS1_22reduce_config_selectorIjEEZNS1_11reduce_implILb1ES3_N6thrust23THRUST_200600_302600_NS6detail15normal_iteratorINS8_10device_ptrIjEEEEPiiNS8_4plusIiEEEE10hipError_tPvRmT1_T2_T3_mT4_P12ihipStream_tbEUlT_E1_NS1_11comp_targetILNS1_3genE2ELNS1_11target_archE906ELNS1_3gpuE6ELNS1_3repE0EEENS1_30default_config_static_selectorELNS0_4arch9wavefront6targetE1EEEvSK_.num_agpr, 0
	.set _ZN7rocprim17ROCPRIM_400000_NS6detail17trampoline_kernelINS0_14default_configENS1_22reduce_config_selectorIjEEZNS1_11reduce_implILb1ES3_N6thrust23THRUST_200600_302600_NS6detail15normal_iteratorINS8_10device_ptrIjEEEEPiiNS8_4plusIiEEEE10hipError_tPvRmT1_T2_T3_mT4_P12ihipStream_tbEUlT_E1_NS1_11comp_targetILNS1_3genE2ELNS1_11target_archE906ELNS1_3gpuE6ELNS1_3repE0EEENS1_30default_config_static_selectorELNS0_4arch9wavefront6targetE1EEEvSK_.numbered_sgpr, 0
	.set _ZN7rocprim17ROCPRIM_400000_NS6detail17trampoline_kernelINS0_14default_configENS1_22reduce_config_selectorIjEEZNS1_11reduce_implILb1ES3_N6thrust23THRUST_200600_302600_NS6detail15normal_iteratorINS8_10device_ptrIjEEEEPiiNS8_4plusIiEEEE10hipError_tPvRmT1_T2_T3_mT4_P12ihipStream_tbEUlT_E1_NS1_11comp_targetILNS1_3genE2ELNS1_11target_archE906ELNS1_3gpuE6ELNS1_3repE0EEENS1_30default_config_static_selectorELNS0_4arch9wavefront6targetE1EEEvSK_.num_named_barrier, 0
	.set _ZN7rocprim17ROCPRIM_400000_NS6detail17trampoline_kernelINS0_14default_configENS1_22reduce_config_selectorIjEEZNS1_11reduce_implILb1ES3_N6thrust23THRUST_200600_302600_NS6detail15normal_iteratorINS8_10device_ptrIjEEEEPiiNS8_4plusIiEEEE10hipError_tPvRmT1_T2_T3_mT4_P12ihipStream_tbEUlT_E1_NS1_11comp_targetILNS1_3genE2ELNS1_11target_archE906ELNS1_3gpuE6ELNS1_3repE0EEENS1_30default_config_static_selectorELNS0_4arch9wavefront6targetE1EEEvSK_.private_seg_size, 0
	.set _ZN7rocprim17ROCPRIM_400000_NS6detail17trampoline_kernelINS0_14default_configENS1_22reduce_config_selectorIjEEZNS1_11reduce_implILb1ES3_N6thrust23THRUST_200600_302600_NS6detail15normal_iteratorINS8_10device_ptrIjEEEEPiiNS8_4plusIiEEEE10hipError_tPvRmT1_T2_T3_mT4_P12ihipStream_tbEUlT_E1_NS1_11comp_targetILNS1_3genE2ELNS1_11target_archE906ELNS1_3gpuE6ELNS1_3repE0EEENS1_30default_config_static_selectorELNS0_4arch9wavefront6targetE1EEEvSK_.uses_vcc, 0
	.set _ZN7rocprim17ROCPRIM_400000_NS6detail17trampoline_kernelINS0_14default_configENS1_22reduce_config_selectorIjEEZNS1_11reduce_implILb1ES3_N6thrust23THRUST_200600_302600_NS6detail15normal_iteratorINS8_10device_ptrIjEEEEPiiNS8_4plusIiEEEE10hipError_tPvRmT1_T2_T3_mT4_P12ihipStream_tbEUlT_E1_NS1_11comp_targetILNS1_3genE2ELNS1_11target_archE906ELNS1_3gpuE6ELNS1_3repE0EEENS1_30default_config_static_selectorELNS0_4arch9wavefront6targetE1EEEvSK_.uses_flat_scratch, 0
	.set _ZN7rocprim17ROCPRIM_400000_NS6detail17trampoline_kernelINS0_14default_configENS1_22reduce_config_selectorIjEEZNS1_11reduce_implILb1ES3_N6thrust23THRUST_200600_302600_NS6detail15normal_iteratorINS8_10device_ptrIjEEEEPiiNS8_4plusIiEEEE10hipError_tPvRmT1_T2_T3_mT4_P12ihipStream_tbEUlT_E1_NS1_11comp_targetILNS1_3genE2ELNS1_11target_archE906ELNS1_3gpuE6ELNS1_3repE0EEENS1_30default_config_static_selectorELNS0_4arch9wavefront6targetE1EEEvSK_.has_dyn_sized_stack, 0
	.set _ZN7rocprim17ROCPRIM_400000_NS6detail17trampoline_kernelINS0_14default_configENS1_22reduce_config_selectorIjEEZNS1_11reduce_implILb1ES3_N6thrust23THRUST_200600_302600_NS6detail15normal_iteratorINS8_10device_ptrIjEEEEPiiNS8_4plusIiEEEE10hipError_tPvRmT1_T2_T3_mT4_P12ihipStream_tbEUlT_E1_NS1_11comp_targetILNS1_3genE2ELNS1_11target_archE906ELNS1_3gpuE6ELNS1_3repE0EEENS1_30default_config_static_selectorELNS0_4arch9wavefront6targetE1EEEvSK_.has_recursion, 0
	.set _ZN7rocprim17ROCPRIM_400000_NS6detail17trampoline_kernelINS0_14default_configENS1_22reduce_config_selectorIjEEZNS1_11reduce_implILb1ES3_N6thrust23THRUST_200600_302600_NS6detail15normal_iteratorINS8_10device_ptrIjEEEEPiiNS8_4plusIiEEEE10hipError_tPvRmT1_T2_T3_mT4_P12ihipStream_tbEUlT_E1_NS1_11comp_targetILNS1_3genE2ELNS1_11target_archE906ELNS1_3gpuE6ELNS1_3repE0EEENS1_30default_config_static_selectorELNS0_4arch9wavefront6targetE1EEEvSK_.has_indirect_call, 0
	.section	.AMDGPU.csdata,"",@progbits
; Kernel info:
; codeLenInByte = 0
; TotalNumSgprs: 6
; NumVgprs: 0
; NumAgprs: 0
; TotalNumVgprs: 0
; ScratchSize: 0
; MemoryBound: 0
; FloatMode: 240
; IeeeMode: 1
; LDSByteSize: 0 bytes/workgroup (compile time only)
; SGPRBlocks: 0
; VGPRBlocks: 0
; NumSGPRsForWavesPerEU: 6
; NumVGPRsForWavesPerEU: 1
; AccumOffset: 4
; Occupancy: 8
; WaveLimiterHint : 0
; COMPUTE_PGM_RSRC2:SCRATCH_EN: 0
; COMPUTE_PGM_RSRC2:USER_SGPR: 2
; COMPUTE_PGM_RSRC2:TRAP_HANDLER: 0
; COMPUTE_PGM_RSRC2:TGID_X_EN: 1
; COMPUTE_PGM_RSRC2:TGID_Y_EN: 0
; COMPUTE_PGM_RSRC2:TGID_Z_EN: 0
; COMPUTE_PGM_RSRC2:TIDIG_COMP_CNT: 0
; COMPUTE_PGM_RSRC3_GFX90A:ACCUM_OFFSET: 0
; COMPUTE_PGM_RSRC3_GFX90A:TG_SPLIT: 0
	.section	.text._ZN7rocprim17ROCPRIM_400000_NS6detail17trampoline_kernelINS0_14default_configENS1_22reduce_config_selectorIjEEZNS1_11reduce_implILb1ES3_N6thrust23THRUST_200600_302600_NS6detail15normal_iteratorINS8_10device_ptrIjEEEEPiiNS8_4plusIiEEEE10hipError_tPvRmT1_T2_T3_mT4_P12ihipStream_tbEUlT_E1_NS1_11comp_targetILNS1_3genE10ELNS1_11target_archE1201ELNS1_3gpuE5ELNS1_3repE0EEENS1_30default_config_static_selectorELNS0_4arch9wavefront6targetE1EEEvSK_,"axG",@progbits,_ZN7rocprim17ROCPRIM_400000_NS6detail17trampoline_kernelINS0_14default_configENS1_22reduce_config_selectorIjEEZNS1_11reduce_implILb1ES3_N6thrust23THRUST_200600_302600_NS6detail15normal_iteratorINS8_10device_ptrIjEEEEPiiNS8_4plusIiEEEE10hipError_tPvRmT1_T2_T3_mT4_P12ihipStream_tbEUlT_E1_NS1_11comp_targetILNS1_3genE10ELNS1_11target_archE1201ELNS1_3gpuE5ELNS1_3repE0EEENS1_30default_config_static_selectorELNS0_4arch9wavefront6targetE1EEEvSK_,comdat
	.protected	_ZN7rocprim17ROCPRIM_400000_NS6detail17trampoline_kernelINS0_14default_configENS1_22reduce_config_selectorIjEEZNS1_11reduce_implILb1ES3_N6thrust23THRUST_200600_302600_NS6detail15normal_iteratorINS8_10device_ptrIjEEEEPiiNS8_4plusIiEEEE10hipError_tPvRmT1_T2_T3_mT4_P12ihipStream_tbEUlT_E1_NS1_11comp_targetILNS1_3genE10ELNS1_11target_archE1201ELNS1_3gpuE5ELNS1_3repE0EEENS1_30default_config_static_selectorELNS0_4arch9wavefront6targetE1EEEvSK_ ; -- Begin function _ZN7rocprim17ROCPRIM_400000_NS6detail17trampoline_kernelINS0_14default_configENS1_22reduce_config_selectorIjEEZNS1_11reduce_implILb1ES3_N6thrust23THRUST_200600_302600_NS6detail15normal_iteratorINS8_10device_ptrIjEEEEPiiNS8_4plusIiEEEE10hipError_tPvRmT1_T2_T3_mT4_P12ihipStream_tbEUlT_E1_NS1_11comp_targetILNS1_3genE10ELNS1_11target_archE1201ELNS1_3gpuE5ELNS1_3repE0EEENS1_30default_config_static_selectorELNS0_4arch9wavefront6targetE1EEEvSK_
	.globl	_ZN7rocprim17ROCPRIM_400000_NS6detail17trampoline_kernelINS0_14default_configENS1_22reduce_config_selectorIjEEZNS1_11reduce_implILb1ES3_N6thrust23THRUST_200600_302600_NS6detail15normal_iteratorINS8_10device_ptrIjEEEEPiiNS8_4plusIiEEEE10hipError_tPvRmT1_T2_T3_mT4_P12ihipStream_tbEUlT_E1_NS1_11comp_targetILNS1_3genE10ELNS1_11target_archE1201ELNS1_3gpuE5ELNS1_3repE0EEENS1_30default_config_static_selectorELNS0_4arch9wavefront6targetE1EEEvSK_
	.p2align	8
	.type	_ZN7rocprim17ROCPRIM_400000_NS6detail17trampoline_kernelINS0_14default_configENS1_22reduce_config_selectorIjEEZNS1_11reduce_implILb1ES3_N6thrust23THRUST_200600_302600_NS6detail15normal_iteratorINS8_10device_ptrIjEEEEPiiNS8_4plusIiEEEE10hipError_tPvRmT1_T2_T3_mT4_P12ihipStream_tbEUlT_E1_NS1_11comp_targetILNS1_3genE10ELNS1_11target_archE1201ELNS1_3gpuE5ELNS1_3repE0EEENS1_30default_config_static_selectorELNS0_4arch9wavefront6targetE1EEEvSK_,@function
_ZN7rocprim17ROCPRIM_400000_NS6detail17trampoline_kernelINS0_14default_configENS1_22reduce_config_selectorIjEEZNS1_11reduce_implILb1ES3_N6thrust23THRUST_200600_302600_NS6detail15normal_iteratorINS8_10device_ptrIjEEEEPiiNS8_4plusIiEEEE10hipError_tPvRmT1_T2_T3_mT4_P12ihipStream_tbEUlT_E1_NS1_11comp_targetILNS1_3genE10ELNS1_11target_archE1201ELNS1_3gpuE5ELNS1_3repE0EEENS1_30default_config_static_selectorELNS0_4arch9wavefront6targetE1EEEvSK_: ; @_ZN7rocprim17ROCPRIM_400000_NS6detail17trampoline_kernelINS0_14default_configENS1_22reduce_config_selectorIjEEZNS1_11reduce_implILb1ES3_N6thrust23THRUST_200600_302600_NS6detail15normal_iteratorINS8_10device_ptrIjEEEEPiiNS8_4plusIiEEEE10hipError_tPvRmT1_T2_T3_mT4_P12ihipStream_tbEUlT_E1_NS1_11comp_targetILNS1_3genE10ELNS1_11target_archE1201ELNS1_3gpuE5ELNS1_3repE0EEENS1_30default_config_static_selectorELNS0_4arch9wavefront6targetE1EEEvSK_
; %bb.0:
	.section	.rodata,"a",@progbits
	.p2align	6, 0x0
	.amdhsa_kernel _ZN7rocprim17ROCPRIM_400000_NS6detail17trampoline_kernelINS0_14default_configENS1_22reduce_config_selectorIjEEZNS1_11reduce_implILb1ES3_N6thrust23THRUST_200600_302600_NS6detail15normal_iteratorINS8_10device_ptrIjEEEEPiiNS8_4plusIiEEEE10hipError_tPvRmT1_T2_T3_mT4_P12ihipStream_tbEUlT_E1_NS1_11comp_targetILNS1_3genE10ELNS1_11target_archE1201ELNS1_3gpuE5ELNS1_3repE0EEENS1_30default_config_static_selectorELNS0_4arch9wavefront6targetE1EEEvSK_
		.amdhsa_group_segment_fixed_size 0
		.amdhsa_private_segment_fixed_size 0
		.amdhsa_kernarg_size 40
		.amdhsa_user_sgpr_count 2
		.amdhsa_user_sgpr_dispatch_ptr 0
		.amdhsa_user_sgpr_queue_ptr 0
		.amdhsa_user_sgpr_kernarg_segment_ptr 1
		.amdhsa_user_sgpr_dispatch_id 0
		.amdhsa_user_sgpr_kernarg_preload_length 0
		.amdhsa_user_sgpr_kernarg_preload_offset 0
		.amdhsa_user_sgpr_private_segment_size 0
		.amdhsa_uses_dynamic_stack 0
		.amdhsa_enable_private_segment 0
		.amdhsa_system_sgpr_workgroup_id_x 1
		.amdhsa_system_sgpr_workgroup_id_y 0
		.amdhsa_system_sgpr_workgroup_id_z 0
		.amdhsa_system_sgpr_workgroup_info 0
		.amdhsa_system_vgpr_workitem_id 0
		.amdhsa_next_free_vgpr 1
		.amdhsa_next_free_sgpr 0
		.amdhsa_accum_offset 4
		.amdhsa_reserve_vcc 0
		.amdhsa_float_round_mode_32 0
		.amdhsa_float_round_mode_16_64 0
		.amdhsa_float_denorm_mode_32 3
		.amdhsa_float_denorm_mode_16_64 3
		.amdhsa_dx10_clamp 1
		.amdhsa_ieee_mode 1
		.amdhsa_fp16_overflow 0
		.amdhsa_tg_split 0
		.amdhsa_exception_fp_ieee_invalid_op 0
		.amdhsa_exception_fp_denorm_src 0
		.amdhsa_exception_fp_ieee_div_zero 0
		.amdhsa_exception_fp_ieee_overflow 0
		.amdhsa_exception_fp_ieee_underflow 0
		.amdhsa_exception_fp_ieee_inexact 0
		.amdhsa_exception_int_div_zero 0
	.end_amdhsa_kernel
	.section	.text._ZN7rocprim17ROCPRIM_400000_NS6detail17trampoline_kernelINS0_14default_configENS1_22reduce_config_selectorIjEEZNS1_11reduce_implILb1ES3_N6thrust23THRUST_200600_302600_NS6detail15normal_iteratorINS8_10device_ptrIjEEEEPiiNS8_4plusIiEEEE10hipError_tPvRmT1_T2_T3_mT4_P12ihipStream_tbEUlT_E1_NS1_11comp_targetILNS1_3genE10ELNS1_11target_archE1201ELNS1_3gpuE5ELNS1_3repE0EEENS1_30default_config_static_selectorELNS0_4arch9wavefront6targetE1EEEvSK_,"axG",@progbits,_ZN7rocprim17ROCPRIM_400000_NS6detail17trampoline_kernelINS0_14default_configENS1_22reduce_config_selectorIjEEZNS1_11reduce_implILb1ES3_N6thrust23THRUST_200600_302600_NS6detail15normal_iteratorINS8_10device_ptrIjEEEEPiiNS8_4plusIiEEEE10hipError_tPvRmT1_T2_T3_mT4_P12ihipStream_tbEUlT_E1_NS1_11comp_targetILNS1_3genE10ELNS1_11target_archE1201ELNS1_3gpuE5ELNS1_3repE0EEENS1_30default_config_static_selectorELNS0_4arch9wavefront6targetE1EEEvSK_,comdat
.Lfunc_end401:
	.size	_ZN7rocprim17ROCPRIM_400000_NS6detail17trampoline_kernelINS0_14default_configENS1_22reduce_config_selectorIjEEZNS1_11reduce_implILb1ES3_N6thrust23THRUST_200600_302600_NS6detail15normal_iteratorINS8_10device_ptrIjEEEEPiiNS8_4plusIiEEEE10hipError_tPvRmT1_T2_T3_mT4_P12ihipStream_tbEUlT_E1_NS1_11comp_targetILNS1_3genE10ELNS1_11target_archE1201ELNS1_3gpuE5ELNS1_3repE0EEENS1_30default_config_static_selectorELNS0_4arch9wavefront6targetE1EEEvSK_, .Lfunc_end401-_ZN7rocprim17ROCPRIM_400000_NS6detail17trampoline_kernelINS0_14default_configENS1_22reduce_config_selectorIjEEZNS1_11reduce_implILb1ES3_N6thrust23THRUST_200600_302600_NS6detail15normal_iteratorINS8_10device_ptrIjEEEEPiiNS8_4plusIiEEEE10hipError_tPvRmT1_T2_T3_mT4_P12ihipStream_tbEUlT_E1_NS1_11comp_targetILNS1_3genE10ELNS1_11target_archE1201ELNS1_3gpuE5ELNS1_3repE0EEENS1_30default_config_static_selectorELNS0_4arch9wavefront6targetE1EEEvSK_
                                        ; -- End function
	.set _ZN7rocprim17ROCPRIM_400000_NS6detail17trampoline_kernelINS0_14default_configENS1_22reduce_config_selectorIjEEZNS1_11reduce_implILb1ES3_N6thrust23THRUST_200600_302600_NS6detail15normal_iteratorINS8_10device_ptrIjEEEEPiiNS8_4plusIiEEEE10hipError_tPvRmT1_T2_T3_mT4_P12ihipStream_tbEUlT_E1_NS1_11comp_targetILNS1_3genE10ELNS1_11target_archE1201ELNS1_3gpuE5ELNS1_3repE0EEENS1_30default_config_static_selectorELNS0_4arch9wavefront6targetE1EEEvSK_.num_vgpr, 0
	.set _ZN7rocprim17ROCPRIM_400000_NS6detail17trampoline_kernelINS0_14default_configENS1_22reduce_config_selectorIjEEZNS1_11reduce_implILb1ES3_N6thrust23THRUST_200600_302600_NS6detail15normal_iteratorINS8_10device_ptrIjEEEEPiiNS8_4plusIiEEEE10hipError_tPvRmT1_T2_T3_mT4_P12ihipStream_tbEUlT_E1_NS1_11comp_targetILNS1_3genE10ELNS1_11target_archE1201ELNS1_3gpuE5ELNS1_3repE0EEENS1_30default_config_static_selectorELNS0_4arch9wavefront6targetE1EEEvSK_.num_agpr, 0
	.set _ZN7rocprim17ROCPRIM_400000_NS6detail17trampoline_kernelINS0_14default_configENS1_22reduce_config_selectorIjEEZNS1_11reduce_implILb1ES3_N6thrust23THRUST_200600_302600_NS6detail15normal_iteratorINS8_10device_ptrIjEEEEPiiNS8_4plusIiEEEE10hipError_tPvRmT1_T2_T3_mT4_P12ihipStream_tbEUlT_E1_NS1_11comp_targetILNS1_3genE10ELNS1_11target_archE1201ELNS1_3gpuE5ELNS1_3repE0EEENS1_30default_config_static_selectorELNS0_4arch9wavefront6targetE1EEEvSK_.numbered_sgpr, 0
	.set _ZN7rocprim17ROCPRIM_400000_NS6detail17trampoline_kernelINS0_14default_configENS1_22reduce_config_selectorIjEEZNS1_11reduce_implILb1ES3_N6thrust23THRUST_200600_302600_NS6detail15normal_iteratorINS8_10device_ptrIjEEEEPiiNS8_4plusIiEEEE10hipError_tPvRmT1_T2_T3_mT4_P12ihipStream_tbEUlT_E1_NS1_11comp_targetILNS1_3genE10ELNS1_11target_archE1201ELNS1_3gpuE5ELNS1_3repE0EEENS1_30default_config_static_selectorELNS0_4arch9wavefront6targetE1EEEvSK_.num_named_barrier, 0
	.set _ZN7rocprim17ROCPRIM_400000_NS6detail17trampoline_kernelINS0_14default_configENS1_22reduce_config_selectorIjEEZNS1_11reduce_implILb1ES3_N6thrust23THRUST_200600_302600_NS6detail15normal_iteratorINS8_10device_ptrIjEEEEPiiNS8_4plusIiEEEE10hipError_tPvRmT1_T2_T3_mT4_P12ihipStream_tbEUlT_E1_NS1_11comp_targetILNS1_3genE10ELNS1_11target_archE1201ELNS1_3gpuE5ELNS1_3repE0EEENS1_30default_config_static_selectorELNS0_4arch9wavefront6targetE1EEEvSK_.private_seg_size, 0
	.set _ZN7rocprim17ROCPRIM_400000_NS6detail17trampoline_kernelINS0_14default_configENS1_22reduce_config_selectorIjEEZNS1_11reduce_implILb1ES3_N6thrust23THRUST_200600_302600_NS6detail15normal_iteratorINS8_10device_ptrIjEEEEPiiNS8_4plusIiEEEE10hipError_tPvRmT1_T2_T3_mT4_P12ihipStream_tbEUlT_E1_NS1_11comp_targetILNS1_3genE10ELNS1_11target_archE1201ELNS1_3gpuE5ELNS1_3repE0EEENS1_30default_config_static_selectorELNS0_4arch9wavefront6targetE1EEEvSK_.uses_vcc, 0
	.set _ZN7rocprim17ROCPRIM_400000_NS6detail17trampoline_kernelINS0_14default_configENS1_22reduce_config_selectorIjEEZNS1_11reduce_implILb1ES3_N6thrust23THRUST_200600_302600_NS6detail15normal_iteratorINS8_10device_ptrIjEEEEPiiNS8_4plusIiEEEE10hipError_tPvRmT1_T2_T3_mT4_P12ihipStream_tbEUlT_E1_NS1_11comp_targetILNS1_3genE10ELNS1_11target_archE1201ELNS1_3gpuE5ELNS1_3repE0EEENS1_30default_config_static_selectorELNS0_4arch9wavefront6targetE1EEEvSK_.uses_flat_scratch, 0
	.set _ZN7rocprim17ROCPRIM_400000_NS6detail17trampoline_kernelINS0_14default_configENS1_22reduce_config_selectorIjEEZNS1_11reduce_implILb1ES3_N6thrust23THRUST_200600_302600_NS6detail15normal_iteratorINS8_10device_ptrIjEEEEPiiNS8_4plusIiEEEE10hipError_tPvRmT1_T2_T3_mT4_P12ihipStream_tbEUlT_E1_NS1_11comp_targetILNS1_3genE10ELNS1_11target_archE1201ELNS1_3gpuE5ELNS1_3repE0EEENS1_30default_config_static_selectorELNS0_4arch9wavefront6targetE1EEEvSK_.has_dyn_sized_stack, 0
	.set _ZN7rocprim17ROCPRIM_400000_NS6detail17trampoline_kernelINS0_14default_configENS1_22reduce_config_selectorIjEEZNS1_11reduce_implILb1ES3_N6thrust23THRUST_200600_302600_NS6detail15normal_iteratorINS8_10device_ptrIjEEEEPiiNS8_4plusIiEEEE10hipError_tPvRmT1_T2_T3_mT4_P12ihipStream_tbEUlT_E1_NS1_11comp_targetILNS1_3genE10ELNS1_11target_archE1201ELNS1_3gpuE5ELNS1_3repE0EEENS1_30default_config_static_selectorELNS0_4arch9wavefront6targetE1EEEvSK_.has_recursion, 0
	.set _ZN7rocprim17ROCPRIM_400000_NS6detail17trampoline_kernelINS0_14default_configENS1_22reduce_config_selectorIjEEZNS1_11reduce_implILb1ES3_N6thrust23THRUST_200600_302600_NS6detail15normal_iteratorINS8_10device_ptrIjEEEEPiiNS8_4plusIiEEEE10hipError_tPvRmT1_T2_T3_mT4_P12ihipStream_tbEUlT_E1_NS1_11comp_targetILNS1_3genE10ELNS1_11target_archE1201ELNS1_3gpuE5ELNS1_3repE0EEENS1_30default_config_static_selectorELNS0_4arch9wavefront6targetE1EEEvSK_.has_indirect_call, 0
	.section	.AMDGPU.csdata,"",@progbits
; Kernel info:
; codeLenInByte = 0
; TotalNumSgprs: 6
; NumVgprs: 0
; NumAgprs: 0
; TotalNumVgprs: 0
; ScratchSize: 0
; MemoryBound: 0
; FloatMode: 240
; IeeeMode: 1
; LDSByteSize: 0 bytes/workgroup (compile time only)
; SGPRBlocks: 0
; VGPRBlocks: 0
; NumSGPRsForWavesPerEU: 6
; NumVGPRsForWavesPerEU: 1
; AccumOffset: 4
; Occupancy: 8
; WaveLimiterHint : 0
; COMPUTE_PGM_RSRC2:SCRATCH_EN: 0
; COMPUTE_PGM_RSRC2:USER_SGPR: 2
; COMPUTE_PGM_RSRC2:TRAP_HANDLER: 0
; COMPUTE_PGM_RSRC2:TGID_X_EN: 1
; COMPUTE_PGM_RSRC2:TGID_Y_EN: 0
; COMPUTE_PGM_RSRC2:TGID_Z_EN: 0
; COMPUTE_PGM_RSRC2:TIDIG_COMP_CNT: 0
; COMPUTE_PGM_RSRC3_GFX90A:ACCUM_OFFSET: 0
; COMPUTE_PGM_RSRC3_GFX90A:TG_SPLIT: 0
	.section	.text._ZN7rocprim17ROCPRIM_400000_NS6detail17trampoline_kernelINS0_14default_configENS1_22reduce_config_selectorIjEEZNS1_11reduce_implILb1ES3_N6thrust23THRUST_200600_302600_NS6detail15normal_iteratorINS8_10device_ptrIjEEEEPiiNS8_4plusIiEEEE10hipError_tPvRmT1_T2_T3_mT4_P12ihipStream_tbEUlT_E1_NS1_11comp_targetILNS1_3genE10ELNS1_11target_archE1200ELNS1_3gpuE4ELNS1_3repE0EEENS1_30default_config_static_selectorELNS0_4arch9wavefront6targetE1EEEvSK_,"axG",@progbits,_ZN7rocprim17ROCPRIM_400000_NS6detail17trampoline_kernelINS0_14default_configENS1_22reduce_config_selectorIjEEZNS1_11reduce_implILb1ES3_N6thrust23THRUST_200600_302600_NS6detail15normal_iteratorINS8_10device_ptrIjEEEEPiiNS8_4plusIiEEEE10hipError_tPvRmT1_T2_T3_mT4_P12ihipStream_tbEUlT_E1_NS1_11comp_targetILNS1_3genE10ELNS1_11target_archE1200ELNS1_3gpuE4ELNS1_3repE0EEENS1_30default_config_static_selectorELNS0_4arch9wavefront6targetE1EEEvSK_,comdat
	.protected	_ZN7rocprim17ROCPRIM_400000_NS6detail17trampoline_kernelINS0_14default_configENS1_22reduce_config_selectorIjEEZNS1_11reduce_implILb1ES3_N6thrust23THRUST_200600_302600_NS6detail15normal_iteratorINS8_10device_ptrIjEEEEPiiNS8_4plusIiEEEE10hipError_tPvRmT1_T2_T3_mT4_P12ihipStream_tbEUlT_E1_NS1_11comp_targetILNS1_3genE10ELNS1_11target_archE1200ELNS1_3gpuE4ELNS1_3repE0EEENS1_30default_config_static_selectorELNS0_4arch9wavefront6targetE1EEEvSK_ ; -- Begin function _ZN7rocprim17ROCPRIM_400000_NS6detail17trampoline_kernelINS0_14default_configENS1_22reduce_config_selectorIjEEZNS1_11reduce_implILb1ES3_N6thrust23THRUST_200600_302600_NS6detail15normal_iteratorINS8_10device_ptrIjEEEEPiiNS8_4plusIiEEEE10hipError_tPvRmT1_T2_T3_mT4_P12ihipStream_tbEUlT_E1_NS1_11comp_targetILNS1_3genE10ELNS1_11target_archE1200ELNS1_3gpuE4ELNS1_3repE0EEENS1_30default_config_static_selectorELNS0_4arch9wavefront6targetE1EEEvSK_
	.globl	_ZN7rocprim17ROCPRIM_400000_NS6detail17trampoline_kernelINS0_14default_configENS1_22reduce_config_selectorIjEEZNS1_11reduce_implILb1ES3_N6thrust23THRUST_200600_302600_NS6detail15normal_iteratorINS8_10device_ptrIjEEEEPiiNS8_4plusIiEEEE10hipError_tPvRmT1_T2_T3_mT4_P12ihipStream_tbEUlT_E1_NS1_11comp_targetILNS1_3genE10ELNS1_11target_archE1200ELNS1_3gpuE4ELNS1_3repE0EEENS1_30default_config_static_selectorELNS0_4arch9wavefront6targetE1EEEvSK_
	.p2align	8
	.type	_ZN7rocprim17ROCPRIM_400000_NS6detail17trampoline_kernelINS0_14default_configENS1_22reduce_config_selectorIjEEZNS1_11reduce_implILb1ES3_N6thrust23THRUST_200600_302600_NS6detail15normal_iteratorINS8_10device_ptrIjEEEEPiiNS8_4plusIiEEEE10hipError_tPvRmT1_T2_T3_mT4_P12ihipStream_tbEUlT_E1_NS1_11comp_targetILNS1_3genE10ELNS1_11target_archE1200ELNS1_3gpuE4ELNS1_3repE0EEENS1_30default_config_static_selectorELNS0_4arch9wavefront6targetE1EEEvSK_,@function
_ZN7rocprim17ROCPRIM_400000_NS6detail17trampoline_kernelINS0_14default_configENS1_22reduce_config_selectorIjEEZNS1_11reduce_implILb1ES3_N6thrust23THRUST_200600_302600_NS6detail15normal_iteratorINS8_10device_ptrIjEEEEPiiNS8_4plusIiEEEE10hipError_tPvRmT1_T2_T3_mT4_P12ihipStream_tbEUlT_E1_NS1_11comp_targetILNS1_3genE10ELNS1_11target_archE1200ELNS1_3gpuE4ELNS1_3repE0EEENS1_30default_config_static_selectorELNS0_4arch9wavefront6targetE1EEEvSK_: ; @_ZN7rocprim17ROCPRIM_400000_NS6detail17trampoline_kernelINS0_14default_configENS1_22reduce_config_selectorIjEEZNS1_11reduce_implILb1ES3_N6thrust23THRUST_200600_302600_NS6detail15normal_iteratorINS8_10device_ptrIjEEEEPiiNS8_4plusIiEEEE10hipError_tPvRmT1_T2_T3_mT4_P12ihipStream_tbEUlT_E1_NS1_11comp_targetILNS1_3genE10ELNS1_11target_archE1200ELNS1_3gpuE4ELNS1_3repE0EEENS1_30default_config_static_selectorELNS0_4arch9wavefront6targetE1EEEvSK_
; %bb.0:
	.section	.rodata,"a",@progbits
	.p2align	6, 0x0
	.amdhsa_kernel _ZN7rocprim17ROCPRIM_400000_NS6detail17trampoline_kernelINS0_14default_configENS1_22reduce_config_selectorIjEEZNS1_11reduce_implILb1ES3_N6thrust23THRUST_200600_302600_NS6detail15normal_iteratorINS8_10device_ptrIjEEEEPiiNS8_4plusIiEEEE10hipError_tPvRmT1_T2_T3_mT4_P12ihipStream_tbEUlT_E1_NS1_11comp_targetILNS1_3genE10ELNS1_11target_archE1200ELNS1_3gpuE4ELNS1_3repE0EEENS1_30default_config_static_selectorELNS0_4arch9wavefront6targetE1EEEvSK_
		.amdhsa_group_segment_fixed_size 0
		.amdhsa_private_segment_fixed_size 0
		.amdhsa_kernarg_size 40
		.amdhsa_user_sgpr_count 2
		.amdhsa_user_sgpr_dispatch_ptr 0
		.amdhsa_user_sgpr_queue_ptr 0
		.amdhsa_user_sgpr_kernarg_segment_ptr 1
		.amdhsa_user_sgpr_dispatch_id 0
		.amdhsa_user_sgpr_kernarg_preload_length 0
		.amdhsa_user_sgpr_kernarg_preload_offset 0
		.amdhsa_user_sgpr_private_segment_size 0
		.amdhsa_uses_dynamic_stack 0
		.amdhsa_enable_private_segment 0
		.amdhsa_system_sgpr_workgroup_id_x 1
		.amdhsa_system_sgpr_workgroup_id_y 0
		.amdhsa_system_sgpr_workgroup_id_z 0
		.amdhsa_system_sgpr_workgroup_info 0
		.amdhsa_system_vgpr_workitem_id 0
		.amdhsa_next_free_vgpr 1
		.amdhsa_next_free_sgpr 0
		.amdhsa_accum_offset 4
		.amdhsa_reserve_vcc 0
		.amdhsa_float_round_mode_32 0
		.amdhsa_float_round_mode_16_64 0
		.amdhsa_float_denorm_mode_32 3
		.amdhsa_float_denorm_mode_16_64 3
		.amdhsa_dx10_clamp 1
		.amdhsa_ieee_mode 1
		.amdhsa_fp16_overflow 0
		.amdhsa_tg_split 0
		.amdhsa_exception_fp_ieee_invalid_op 0
		.amdhsa_exception_fp_denorm_src 0
		.amdhsa_exception_fp_ieee_div_zero 0
		.amdhsa_exception_fp_ieee_overflow 0
		.amdhsa_exception_fp_ieee_underflow 0
		.amdhsa_exception_fp_ieee_inexact 0
		.amdhsa_exception_int_div_zero 0
	.end_amdhsa_kernel
	.section	.text._ZN7rocprim17ROCPRIM_400000_NS6detail17trampoline_kernelINS0_14default_configENS1_22reduce_config_selectorIjEEZNS1_11reduce_implILb1ES3_N6thrust23THRUST_200600_302600_NS6detail15normal_iteratorINS8_10device_ptrIjEEEEPiiNS8_4plusIiEEEE10hipError_tPvRmT1_T2_T3_mT4_P12ihipStream_tbEUlT_E1_NS1_11comp_targetILNS1_3genE10ELNS1_11target_archE1200ELNS1_3gpuE4ELNS1_3repE0EEENS1_30default_config_static_selectorELNS0_4arch9wavefront6targetE1EEEvSK_,"axG",@progbits,_ZN7rocprim17ROCPRIM_400000_NS6detail17trampoline_kernelINS0_14default_configENS1_22reduce_config_selectorIjEEZNS1_11reduce_implILb1ES3_N6thrust23THRUST_200600_302600_NS6detail15normal_iteratorINS8_10device_ptrIjEEEEPiiNS8_4plusIiEEEE10hipError_tPvRmT1_T2_T3_mT4_P12ihipStream_tbEUlT_E1_NS1_11comp_targetILNS1_3genE10ELNS1_11target_archE1200ELNS1_3gpuE4ELNS1_3repE0EEENS1_30default_config_static_selectorELNS0_4arch9wavefront6targetE1EEEvSK_,comdat
.Lfunc_end402:
	.size	_ZN7rocprim17ROCPRIM_400000_NS6detail17trampoline_kernelINS0_14default_configENS1_22reduce_config_selectorIjEEZNS1_11reduce_implILb1ES3_N6thrust23THRUST_200600_302600_NS6detail15normal_iteratorINS8_10device_ptrIjEEEEPiiNS8_4plusIiEEEE10hipError_tPvRmT1_T2_T3_mT4_P12ihipStream_tbEUlT_E1_NS1_11comp_targetILNS1_3genE10ELNS1_11target_archE1200ELNS1_3gpuE4ELNS1_3repE0EEENS1_30default_config_static_selectorELNS0_4arch9wavefront6targetE1EEEvSK_, .Lfunc_end402-_ZN7rocprim17ROCPRIM_400000_NS6detail17trampoline_kernelINS0_14default_configENS1_22reduce_config_selectorIjEEZNS1_11reduce_implILb1ES3_N6thrust23THRUST_200600_302600_NS6detail15normal_iteratorINS8_10device_ptrIjEEEEPiiNS8_4plusIiEEEE10hipError_tPvRmT1_T2_T3_mT4_P12ihipStream_tbEUlT_E1_NS1_11comp_targetILNS1_3genE10ELNS1_11target_archE1200ELNS1_3gpuE4ELNS1_3repE0EEENS1_30default_config_static_selectorELNS0_4arch9wavefront6targetE1EEEvSK_
                                        ; -- End function
	.set _ZN7rocprim17ROCPRIM_400000_NS6detail17trampoline_kernelINS0_14default_configENS1_22reduce_config_selectorIjEEZNS1_11reduce_implILb1ES3_N6thrust23THRUST_200600_302600_NS6detail15normal_iteratorINS8_10device_ptrIjEEEEPiiNS8_4plusIiEEEE10hipError_tPvRmT1_T2_T3_mT4_P12ihipStream_tbEUlT_E1_NS1_11comp_targetILNS1_3genE10ELNS1_11target_archE1200ELNS1_3gpuE4ELNS1_3repE0EEENS1_30default_config_static_selectorELNS0_4arch9wavefront6targetE1EEEvSK_.num_vgpr, 0
	.set _ZN7rocprim17ROCPRIM_400000_NS6detail17trampoline_kernelINS0_14default_configENS1_22reduce_config_selectorIjEEZNS1_11reduce_implILb1ES3_N6thrust23THRUST_200600_302600_NS6detail15normal_iteratorINS8_10device_ptrIjEEEEPiiNS8_4plusIiEEEE10hipError_tPvRmT1_T2_T3_mT4_P12ihipStream_tbEUlT_E1_NS1_11comp_targetILNS1_3genE10ELNS1_11target_archE1200ELNS1_3gpuE4ELNS1_3repE0EEENS1_30default_config_static_selectorELNS0_4arch9wavefront6targetE1EEEvSK_.num_agpr, 0
	.set _ZN7rocprim17ROCPRIM_400000_NS6detail17trampoline_kernelINS0_14default_configENS1_22reduce_config_selectorIjEEZNS1_11reduce_implILb1ES3_N6thrust23THRUST_200600_302600_NS6detail15normal_iteratorINS8_10device_ptrIjEEEEPiiNS8_4plusIiEEEE10hipError_tPvRmT1_T2_T3_mT4_P12ihipStream_tbEUlT_E1_NS1_11comp_targetILNS1_3genE10ELNS1_11target_archE1200ELNS1_3gpuE4ELNS1_3repE0EEENS1_30default_config_static_selectorELNS0_4arch9wavefront6targetE1EEEvSK_.numbered_sgpr, 0
	.set _ZN7rocprim17ROCPRIM_400000_NS6detail17trampoline_kernelINS0_14default_configENS1_22reduce_config_selectorIjEEZNS1_11reduce_implILb1ES3_N6thrust23THRUST_200600_302600_NS6detail15normal_iteratorINS8_10device_ptrIjEEEEPiiNS8_4plusIiEEEE10hipError_tPvRmT1_T2_T3_mT4_P12ihipStream_tbEUlT_E1_NS1_11comp_targetILNS1_3genE10ELNS1_11target_archE1200ELNS1_3gpuE4ELNS1_3repE0EEENS1_30default_config_static_selectorELNS0_4arch9wavefront6targetE1EEEvSK_.num_named_barrier, 0
	.set _ZN7rocprim17ROCPRIM_400000_NS6detail17trampoline_kernelINS0_14default_configENS1_22reduce_config_selectorIjEEZNS1_11reduce_implILb1ES3_N6thrust23THRUST_200600_302600_NS6detail15normal_iteratorINS8_10device_ptrIjEEEEPiiNS8_4plusIiEEEE10hipError_tPvRmT1_T2_T3_mT4_P12ihipStream_tbEUlT_E1_NS1_11comp_targetILNS1_3genE10ELNS1_11target_archE1200ELNS1_3gpuE4ELNS1_3repE0EEENS1_30default_config_static_selectorELNS0_4arch9wavefront6targetE1EEEvSK_.private_seg_size, 0
	.set _ZN7rocprim17ROCPRIM_400000_NS6detail17trampoline_kernelINS0_14default_configENS1_22reduce_config_selectorIjEEZNS1_11reduce_implILb1ES3_N6thrust23THRUST_200600_302600_NS6detail15normal_iteratorINS8_10device_ptrIjEEEEPiiNS8_4plusIiEEEE10hipError_tPvRmT1_T2_T3_mT4_P12ihipStream_tbEUlT_E1_NS1_11comp_targetILNS1_3genE10ELNS1_11target_archE1200ELNS1_3gpuE4ELNS1_3repE0EEENS1_30default_config_static_selectorELNS0_4arch9wavefront6targetE1EEEvSK_.uses_vcc, 0
	.set _ZN7rocprim17ROCPRIM_400000_NS6detail17trampoline_kernelINS0_14default_configENS1_22reduce_config_selectorIjEEZNS1_11reduce_implILb1ES3_N6thrust23THRUST_200600_302600_NS6detail15normal_iteratorINS8_10device_ptrIjEEEEPiiNS8_4plusIiEEEE10hipError_tPvRmT1_T2_T3_mT4_P12ihipStream_tbEUlT_E1_NS1_11comp_targetILNS1_3genE10ELNS1_11target_archE1200ELNS1_3gpuE4ELNS1_3repE0EEENS1_30default_config_static_selectorELNS0_4arch9wavefront6targetE1EEEvSK_.uses_flat_scratch, 0
	.set _ZN7rocprim17ROCPRIM_400000_NS6detail17trampoline_kernelINS0_14default_configENS1_22reduce_config_selectorIjEEZNS1_11reduce_implILb1ES3_N6thrust23THRUST_200600_302600_NS6detail15normal_iteratorINS8_10device_ptrIjEEEEPiiNS8_4plusIiEEEE10hipError_tPvRmT1_T2_T3_mT4_P12ihipStream_tbEUlT_E1_NS1_11comp_targetILNS1_3genE10ELNS1_11target_archE1200ELNS1_3gpuE4ELNS1_3repE0EEENS1_30default_config_static_selectorELNS0_4arch9wavefront6targetE1EEEvSK_.has_dyn_sized_stack, 0
	.set _ZN7rocprim17ROCPRIM_400000_NS6detail17trampoline_kernelINS0_14default_configENS1_22reduce_config_selectorIjEEZNS1_11reduce_implILb1ES3_N6thrust23THRUST_200600_302600_NS6detail15normal_iteratorINS8_10device_ptrIjEEEEPiiNS8_4plusIiEEEE10hipError_tPvRmT1_T2_T3_mT4_P12ihipStream_tbEUlT_E1_NS1_11comp_targetILNS1_3genE10ELNS1_11target_archE1200ELNS1_3gpuE4ELNS1_3repE0EEENS1_30default_config_static_selectorELNS0_4arch9wavefront6targetE1EEEvSK_.has_recursion, 0
	.set _ZN7rocprim17ROCPRIM_400000_NS6detail17trampoline_kernelINS0_14default_configENS1_22reduce_config_selectorIjEEZNS1_11reduce_implILb1ES3_N6thrust23THRUST_200600_302600_NS6detail15normal_iteratorINS8_10device_ptrIjEEEEPiiNS8_4plusIiEEEE10hipError_tPvRmT1_T2_T3_mT4_P12ihipStream_tbEUlT_E1_NS1_11comp_targetILNS1_3genE10ELNS1_11target_archE1200ELNS1_3gpuE4ELNS1_3repE0EEENS1_30default_config_static_selectorELNS0_4arch9wavefront6targetE1EEEvSK_.has_indirect_call, 0
	.section	.AMDGPU.csdata,"",@progbits
; Kernel info:
; codeLenInByte = 0
; TotalNumSgprs: 6
; NumVgprs: 0
; NumAgprs: 0
; TotalNumVgprs: 0
; ScratchSize: 0
; MemoryBound: 0
; FloatMode: 240
; IeeeMode: 1
; LDSByteSize: 0 bytes/workgroup (compile time only)
; SGPRBlocks: 0
; VGPRBlocks: 0
; NumSGPRsForWavesPerEU: 6
; NumVGPRsForWavesPerEU: 1
; AccumOffset: 4
; Occupancy: 8
; WaveLimiterHint : 0
; COMPUTE_PGM_RSRC2:SCRATCH_EN: 0
; COMPUTE_PGM_RSRC2:USER_SGPR: 2
; COMPUTE_PGM_RSRC2:TRAP_HANDLER: 0
; COMPUTE_PGM_RSRC2:TGID_X_EN: 1
; COMPUTE_PGM_RSRC2:TGID_Y_EN: 0
; COMPUTE_PGM_RSRC2:TGID_Z_EN: 0
; COMPUTE_PGM_RSRC2:TIDIG_COMP_CNT: 0
; COMPUTE_PGM_RSRC3_GFX90A:ACCUM_OFFSET: 0
; COMPUTE_PGM_RSRC3_GFX90A:TG_SPLIT: 0
	.section	.text._ZN7rocprim17ROCPRIM_400000_NS6detail17trampoline_kernelINS0_14default_configENS1_22reduce_config_selectorIjEEZNS1_11reduce_implILb1ES3_N6thrust23THRUST_200600_302600_NS6detail15normal_iteratorINS8_10device_ptrIjEEEEPiiNS8_4plusIiEEEE10hipError_tPvRmT1_T2_T3_mT4_P12ihipStream_tbEUlT_E1_NS1_11comp_targetILNS1_3genE9ELNS1_11target_archE1100ELNS1_3gpuE3ELNS1_3repE0EEENS1_30default_config_static_selectorELNS0_4arch9wavefront6targetE1EEEvSK_,"axG",@progbits,_ZN7rocprim17ROCPRIM_400000_NS6detail17trampoline_kernelINS0_14default_configENS1_22reduce_config_selectorIjEEZNS1_11reduce_implILb1ES3_N6thrust23THRUST_200600_302600_NS6detail15normal_iteratorINS8_10device_ptrIjEEEEPiiNS8_4plusIiEEEE10hipError_tPvRmT1_T2_T3_mT4_P12ihipStream_tbEUlT_E1_NS1_11comp_targetILNS1_3genE9ELNS1_11target_archE1100ELNS1_3gpuE3ELNS1_3repE0EEENS1_30default_config_static_selectorELNS0_4arch9wavefront6targetE1EEEvSK_,comdat
	.protected	_ZN7rocprim17ROCPRIM_400000_NS6detail17trampoline_kernelINS0_14default_configENS1_22reduce_config_selectorIjEEZNS1_11reduce_implILb1ES3_N6thrust23THRUST_200600_302600_NS6detail15normal_iteratorINS8_10device_ptrIjEEEEPiiNS8_4plusIiEEEE10hipError_tPvRmT1_T2_T3_mT4_P12ihipStream_tbEUlT_E1_NS1_11comp_targetILNS1_3genE9ELNS1_11target_archE1100ELNS1_3gpuE3ELNS1_3repE0EEENS1_30default_config_static_selectorELNS0_4arch9wavefront6targetE1EEEvSK_ ; -- Begin function _ZN7rocprim17ROCPRIM_400000_NS6detail17trampoline_kernelINS0_14default_configENS1_22reduce_config_selectorIjEEZNS1_11reduce_implILb1ES3_N6thrust23THRUST_200600_302600_NS6detail15normal_iteratorINS8_10device_ptrIjEEEEPiiNS8_4plusIiEEEE10hipError_tPvRmT1_T2_T3_mT4_P12ihipStream_tbEUlT_E1_NS1_11comp_targetILNS1_3genE9ELNS1_11target_archE1100ELNS1_3gpuE3ELNS1_3repE0EEENS1_30default_config_static_selectorELNS0_4arch9wavefront6targetE1EEEvSK_
	.globl	_ZN7rocprim17ROCPRIM_400000_NS6detail17trampoline_kernelINS0_14default_configENS1_22reduce_config_selectorIjEEZNS1_11reduce_implILb1ES3_N6thrust23THRUST_200600_302600_NS6detail15normal_iteratorINS8_10device_ptrIjEEEEPiiNS8_4plusIiEEEE10hipError_tPvRmT1_T2_T3_mT4_P12ihipStream_tbEUlT_E1_NS1_11comp_targetILNS1_3genE9ELNS1_11target_archE1100ELNS1_3gpuE3ELNS1_3repE0EEENS1_30default_config_static_selectorELNS0_4arch9wavefront6targetE1EEEvSK_
	.p2align	8
	.type	_ZN7rocprim17ROCPRIM_400000_NS6detail17trampoline_kernelINS0_14default_configENS1_22reduce_config_selectorIjEEZNS1_11reduce_implILb1ES3_N6thrust23THRUST_200600_302600_NS6detail15normal_iteratorINS8_10device_ptrIjEEEEPiiNS8_4plusIiEEEE10hipError_tPvRmT1_T2_T3_mT4_P12ihipStream_tbEUlT_E1_NS1_11comp_targetILNS1_3genE9ELNS1_11target_archE1100ELNS1_3gpuE3ELNS1_3repE0EEENS1_30default_config_static_selectorELNS0_4arch9wavefront6targetE1EEEvSK_,@function
_ZN7rocprim17ROCPRIM_400000_NS6detail17trampoline_kernelINS0_14default_configENS1_22reduce_config_selectorIjEEZNS1_11reduce_implILb1ES3_N6thrust23THRUST_200600_302600_NS6detail15normal_iteratorINS8_10device_ptrIjEEEEPiiNS8_4plusIiEEEE10hipError_tPvRmT1_T2_T3_mT4_P12ihipStream_tbEUlT_E1_NS1_11comp_targetILNS1_3genE9ELNS1_11target_archE1100ELNS1_3gpuE3ELNS1_3repE0EEENS1_30default_config_static_selectorELNS0_4arch9wavefront6targetE1EEEvSK_: ; @_ZN7rocprim17ROCPRIM_400000_NS6detail17trampoline_kernelINS0_14default_configENS1_22reduce_config_selectorIjEEZNS1_11reduce_implILb1ES3_N6thrust23THRUST_200600_302600_NS6detail15normal_iteratorINS8_10device_ptrIjEEEEPiiNS8_4plusIiEEEE10hipError_tPvRmT1_T2_T3_mT4_P12ihipStream_tbEUlT_E1_NS1_11comp_targetILNS1_3genE9ELNS1_11target_archE1100ELNS1_3gpuE3ELNS1_3repE0EEENS1_30default_config_static_selectorELNS0_4arch9wavefront6targetE1EEEvSK_
; %bb.0:
	.section	.rodata,"a",@progbits
	.p2align	6, 0x0
	.amdhsa_kernel _ZN7rocprim17ROCPRIM_400000_NS6detail17trampoline_kernelINS0_14default_configENS1_22reduce_config_selectorIjEEZNS1_11reduce_implILb1ES3_N6thrust23THRUST_200600_302600_NS6detail15normal_iteratorINS8_10device_ptrIjEEEEPiiNS8_4plusIiEEEE10hipError_tPvRmT1_T2_T3_mT4_P12ihipStream_tbEUlT_E1_NS1_11comp_targetILNS1_3genE9ELNS1_11target_archE1100ELNS1_3gpuE3ELNS1_3repE0EEENS1_30default_config_static_selectorELNS0_4arch9wavefront6targetE1EEEvSK_
		.amdhsa_group_segment_fixed_size 0
		.amdhsa_private_segment_fixed_size 0
		.amdhsa_kernarg_size 40
		.amdhsa_user_sgpr_count 2
		.amdhsa_user_sgpr_dispatch_ptr 0
		.amdhsa_user_sgpr_queue_ptr 0
		.amdhsa_user_sgpr_kernarg_segment_ptr 1
		.amdhsa_user_sgpr_dispatch_id 0
		.amdhsa_user_sgpr_kernarg_preload_length 0
		.amdhsa_user_sgpr_kernarg_preload_offset 0
		.amdhsa_user_sgpr_private_segment_size 0
		.amdhsa_uses_dynamic_stack 0
		.amdhsa_enable_private_segment 0
		.amdhsa_system_sgpr_workgroup_id_x 1
		.amdhsa_system_sgpr_workgroup_id_y 0
		.amdhsa_system_sgpr_workgroup_id_z 0
		.amdhsa_system_sgpr_workgroup_info 0
		.amdhsa_system_vgpr_workitem_id 0
		.amdhsa_next_free_vgpr 1
		.amdhsa_next_free_sgpr 0
		.amdhsa_accum_offset 4
		.amdhsa_reserve_vcc 0
		.amdhsa_float_round_mode_32 0
		.amdhsa_float_round_mode_16_64 0
		.amdhsa_float_denorm_mode_32 3
		.amdhsa_float_denorm_mode_16_64 3
		.amdhsa_dx10_clamp 1
		.amdhsa_ieee_mode 1
		.amdhsa_fp16_overflow 0
		.amdhsa_tg_split 0
		.amdhsa_exception_fp_ieee_invalid_op 0
		.amdhsa_exception_fp_denorm_src 0
		.amdhsa_exception_fp_ieee_div_zero 0
		.amdhsa_exception_fp_ieee_overflow 0
		.amdhsa_exception_fp_ieee_underflow 0
		.amdhsa_exception_fp_ieee_inexact 0
		.amdhsa_exception_int_div_zero 0
	.end_amdhsa_kernel
	.section	.text._ZN7rocprim17ROCPRIM_400000_NS6detail17trampoline_kernelINS0_14default_configENS1_22reduce_config_selectorIjEEZNS1_11reduce_implILb1ES3_N6thrust23THRUST_200600_302600_NS6detail15normal_iteratorINS8_10device_ptrIjEEEEPiiNS8_4plusIiEEEE10hipError_tPvRmT1_T2_T3_mT4_P12ihipStream_tbEUlT_E1_NS1_11comp_targetILNS1_3genE9ELNS1_11target_archE1100ELNS1_3gpuE3ELNS1_3repE0EEENS1_30default_config_static_selectorELNS0_4arch9wavefront6targetE1EEEvSK_,"axG",@progbits,_ZN7rocprim17ROCPRIM_400000_NS6detail17trampoline_kernelINS0_14default_configENS1_22reduce_config_selectorIjEEZNS1_11reduce_implILb1ES3_N6thrust23THRUST_200600_302600_NS6detail15normal_iteratorINS8_10device_ptrIjEEEEPiiNS8_4plusIiEEEE10hipError_tPvRmT1_T2_T3_mT4_P12ihipStream_tbEUlT_E1_NS1_11comp_targetILNS1_3genE9ELNS1_11target_archE1100ELNS1_3gpuE3ELNS1_3repE0EEENS1_30default_config_static_selectorELNS0_4arch9wavefront6targetE1EEEvSK_,comdat
.Lfunc_end403:
	.size	_ZN7rocprim17ROCPRIM_400000_NS6detail17trampoline_kernelINS0_14default_configENS1_22reduce_config_selectorIjEEZNS1_11reduce_implILb1ES3_N6thrust23THRUST_200600_302600_NS6detail15normal_iteratorINS8_10device_ptrIjEEEEPiiNS8_4plusIiEEEE10hipError_tPvRmT1_T2_T3_mT4_P12ihipStream_tbEUlT_E1_NS1_11comp_targetILNS1_3genE9ELNS1_11target_archE1100ELNS1_3gpuE3ELNS1_3repE0EEENS1_30default_config_static_selectorELNS0_4arch9wavefront6targetE1EEEvSK_, .Lfunc_end403-_ZN7rocprim17ROCPRIM_400000_NS6detail17trampoline_kernelINS0_14default_configENS1_22reduce_config_selectorIjEEZNS1_11reduce_implILb1ES3_N6thrust23THRUST_200600_302600_NS6detail15normal_iteratorINS8_10device_ptrIjEEEEPiiNS8_4plusIiEEEE10hipError_tPvRmT1_T2_T3_mT4_P12ihipStream_tbEUlT_E1_NS1_11comp_targetILNS1_3genE9ELNS1_11target_archE1100ELNS1_3gpuE3ELNS1_3repE0EEENS1_30default_config_static_selectorELNS0_4arch9wavefront6targetE1EEEvSK_
                                        ; -- End function
	.set _ZN7rocprim17ROCPRIM_400000_NS6detail17trampoline_kernelINS0_14default_configENS1_22reduce_config_selectorIjEEZNS1_11reduce_implILb1ES3_N6thrust23THRUST_200600_302600_NS6detail15normal_iteratorINS8_10device_ptrIjEEEEPiiNS8_4plusIiEEEE10hipError_tPvRmT1_T2_T3_mT4_P12ihipStream_tbEUlT_E1_NS1_11comp_targetILNS1_3genE9ELNS1_11target_archE1100ELNS1_3gpuE3ELNS1_3repE0EEENS1_30default_config_static_selectorELNS0_4arch9wavefront6targetE1EEEvSK_.num_vgpr, 0
	.set _ZN7rocprim17ROCPRIM_400000_NS6detail17trampoline_kernelINS0_14default_configENS1_22reduce_config_selectorIjEEZNS1_11reduce_implILb1ES3_N6thrust23THRUST_200600_302600_NS6detail15normal_iteratorINS8_10device_ptrIjEEEEPiiNS8_4plusIiEEEE10hipError_tPvRmT1_T2_T3_mT4_P12ihipStream_tbEUlT_E1_NS1_11comp_targetILNS1_3genE9ELNS1_11target_archE1100ELNS1_3gpuE3ELNS1_3repE0EEENS1_30default_config_static_selectorELNS0_4arch9wavefront6targetE1EEEvSK_.num_agpr, 0
	.set _ZN7rocprim17ROCPRIM_400000_NS6detail17trampoline_kernelINS0_14default_configENS1_22reduce_config_selectorIjEEZNS1_11reduce_implILb1ES3_N6thrust23THRUST_200600_302600_NS6detail15normal_iteratorINS8_10device_ptrIjEEEEPiiNS8_4plusIiEEEE10hipError_tPvRmT1_T2_T3_mT4_P12ihipStream_tbEUlT_E1_NS1_11comp_targetILNS1_3genE9ELNS1_11target_archE1100ELNS1_3gpuE3ELNS1_3repE0EEENS1_30default_config_static_selectorELNS0_4arch9wavefront6targetE1EEEvSK_.numbered_sgpr, 0
	.set _ZN7rocprim17ROCPRIM_400000_NS6detail17trampoline_kernelINS0_14default_configENS1_22reduce_config_selectorIjEEZNS1_11reduce_implILb1ES3_N6thrust23THRUST_200600_302600_NS6detail15normal_iteratorINS8_10device_ptrIjEEEEPiiNS8_4plusIiEEEE10hipError_tPvRmT1_T2_T3_mT4_P12ihipStream_tbEUlT_E1_NS1_11comp_targetILNS1_3genE9ELNS1_11target_archE1100ELNS1_3gpuE3ELNS1_3repE0EEENS1_30default_config_static_selectorELNS0_4arch9wavefront6targetE1EEEvSK_.num_named_barrier, 0
	.set _ZN7rocprim17ROCPRIM_400000_NS6detail17trampoline_kernelINS0_14default_configENS1_22reduce_config_selectorIjEEZNS1_11reduce_implILb1ES3_N6thrust23THRUST_200600_302600_NS6detail15normal_iteratorINS8_10device_ptrIjEEEEPiiNS8_4plusIiEEEE10hipError_tPvRmT1_T2_T3_mT4_P12ihipStream_tbEUlT_E1_NS1_11comp_targetILNS1_3genE9ELNS1_11target_archE1100ELNS1_3gpuE3ELNS1_3repE0EEENS1_30default_config_static_selectorELNS0_4arch9wavefront6targetE1EEEvSK_.private_seg_size, 0
	.set _ZN7rocprim17ROCPRIM_400000_NS6detail17trampoline_kernelINS0_14default_configENS1_22reduce_config_selectorIjEEZNS1_11reduce_implILb1ES3_N6thrust23THRUST_200600_302600_NS6detail15normal_iteratorINS8_10device_ptrIjEEEEPiiNS8_4plusIiEEEE10hipError_tPvRmT1_T2_T3_mT4_P12ihipStream_tbEUlT_E1_NS1_11comp_targetILNS1_3genE9ELNS1_11target_archE1100ELNS1_3gpuE3ELNS1_3repE0EEENS1_30default_config_static_selectorELNS0_4arch9wavefront6targetE1EEEvSK_.uses_vcc, 0
	.set _ZN7rocprim17ROCPRIM_400000_NS6detail17trampoline_kernelINS0_14default_configENS1_22reduce_config_selectorIjEEZNS1_11reduce_implILb1ES3_N6thrust23THRUST_200600_302600_NS6detail15normal_iteratorINS8_10device_ptrIjEEEEPiiNS8_4plusIiEEEE10hipError_tPvRmT1_T2_T3_mT4_P12ihipStream_tbEUlT_E1_NS1_11comp_targetILNS1_3genE9ELNS1_11target_archE1100ELNS1_3gpuE3ELNS1_3repE0EEENS1_30default_config_static_selectorELNS0_4arch9wavefront6targetE1EEEvSK_.uses_flat_scratch, 0
	.set _ZN7rocprim17ROCPRIM_400000_NS6detail17trampoline_kernelINS0_14default_configENS1_22reduce_config_selectorIjEEZNS1_11reduce_implILb1ES3_N6thrust23THRUST_200600_302600_NS6detail15normal_iteratorINS8_10device_ptrIjEEEEPiiNS8_4plusIiEEEE10hipError_tPvRmT1_T2_T3_mT4_P12ihipStream_tbEUlT_E1_NS1_11comp_targetILNS1_3genE9ELNS1_11target_archE1100ELNS1_3gpuE3ELNS1_3repE0EEENS1_30default_config_static_selectorELNS0_4arch9wavefront6targetE1EEEvSK_.has_dyn_sized_stack, 0
	.set _ZN7rocprim17ROCPRIM_400000_NS6detail17trampoline_kernelINS0_14default_configENS1_22reduce_config_selectorIjEEZNS1_11reduce_implILb1ES3_N6thrust23THRUST_200600_302600_NS6detail15normal_iteratorINS8_10device_ptrIjEEEEPiiNS8_4plusIiEEEE10hipError_tPvRmT1_T2_T3_mT4_P12ihipStream_tbEUlT_E1_NS1_11comp_targetILNS1_3genE9ELNS1_11target_archE1100ELNS1_3gpuE3ELNS1_3repE0EEENS1_30default_config_static_selectorELNS0_4arch9wavefront6targetE1EEEvSK_.has_recursion, 0
	.set _ZN7rocprim17ROCPRIM_400000_NS6detail17trampoline_kernelINS0_14default_configENS1_22reduce_config_selectorIjEEZNS1_11reduce_implILb1ES3_N6thrust23THRUST_200600_302600_NS6detail15normal_iteratorINS8_10device_ptrIjEEEEPiiNS8_4plusIiEEEE10hipError_tPvRmT1_T2_T3_mT4_P12ihipStream_tbEUlT_E1_NS1_11comp_targetILNS1_3genE9ELNS1_11target_archE1100ELNS1_3gpuE3ELNS1_3repE0EEENS1_30default_config_static_selectorELNS0_4arch9wavefront6targetE1EEEvSK_.has_indirect_call, 0
	.section	.AMDGPU.csdata,"",@progbits
; Kernel info:
; codeLenInByte = 0
; TotalNumSgprs: 6
; NumVgprs: 0
; NumAgprs: 0
; TotalNumVgprs: 0
; ScratchSize: 0
; MemoryBound: 0
; FloatMode: 240
; IeeeMode: 1
; LDSByteSize: 0 bytes/workgroup (compile time only)
; SGPRBlocks: 0
; VGPRBlocks: 0
; NumSGPRsForWavesPerEU: 6
; NumVGPRsForWavesPerEU: 1
; AccumOffset: 4
; Occupancy: 8
; WaveLimiterHint : 0
; COMPUTE_PGM_RSRC2:SCRATCH_EN: 0
; COMPUTE_PGM_RSRC2:USER_SGPR: 2
; COMPUTE_PGM_RSRC2:TRAP_HANDLER: 0
; COMPUTE_PGM_RSRC2:TGID_X_EN: 1
; COMPUTE_PGM_RSRC2:TGID_Y_EN: 0
; COMPUTE_PGM_RSRC2:TGID_Z_EN: 0
; COMPUTE_PGM_RSRC2:TIDIG_COMP_CNT: 0
; COMPUTE_PGM_RSRC3_GFX90A:ACCUM_OFFSET: 0
; COMPUTE_PGM_RSRC3_GFX90A:TG_SPLIT: 0
	.section	.text._ZN7rocprim17ROCPRIM_400000_NS6detail17trampoline_kernelINS0_14default_configENS1_22reduce_config_selectorIjEEZNS1_11reduce_implILb1ES3_N6thrust23THRUST_200600_302600_NS6detail15normal_iteratorINS8_10device_ptrIjEEEEPiiNS8_4plusIiEEEE10hipError_tPvRmT1_T2_T3_mT4_P12ihipStream_tbEUlT_E1_NS1_11comp_targetILNS1_3genE8ELNS1_11target_archE1030ELNS1_3gpuE2ELNS1_3repE0EEENS1_30default_config_static_selectorELNS0_4arch9wavefront6targetE1EEEvSK_,"axG",@progbits,_ZN7rocprim17ROCPRIM_400000_NS6detail17trampoline_kernelINS0_14default_configENS1_22reduce_config_selectorIjEEZNS1_11reduce_implILb1ES3_N6thrust23THRUST_200600_302600_NS6detail15normal_iteratorINS8_10device_ptrIjEEEEPiiNS8_4plusIiEEEE10hipError_tPvRmT1_T2_T3_mT4_P12ihipStream_tbEUlT_E1_NS1_11comp_targetILNS1_3genE8ELNS1_11target_archE1030ELNS1_3gpuE2ELNS1_3repE0EEENS1_30default_config_static_selectorELNS0_4arch9wavefront6targetE1EEEvSK_,comdat
	.protected	_ZN7rocprim17ROCPRIM_400000_NS6detail17trampoline_kernelINS0_14default_configENS1_22reduce_config_selectorIjEEZNS1_11reduce_implILb1ES3_N6thrust23THRUST_200600_302600_NS6detail15normal_iteratorINS8_10device_ptrIjEEEEPiiNS8_4plusIiEEEE10hipError_tPvRmT1_T2_T3_mT4_P12ihipStream_tbEUlT_E1_NS1_11comp_targetILNS1_3genE8ELNS1_11target_archE1030ELNS1_3gpuE2ELNS1_3repE0EEENS1_30default_config_static_selectorELNS0_4arch9wavefront6targetE1EEEvSK_ ; -- Begin function _ZN7rocprim17ROCPRIM_400000_NS6detail17trampoline_kernelINS0_14default_configENS1_22reduce_config_selectorIjEEZNS1_11reduce_implILb1ES3_N6thrust23THRUST_200600_302600_NS6detail15normal_iteratorINS8_10device_ptrIjEEEEPiiNS8_4plusIiEEEE10hipError_tPvRmT1_T2_T3_mT4_P12ihipStream_tbEUlT_E1_NS1_11comp_targetILNS1_3genE8ELNS1_11target_archE1030ELNS1_3gpuE2ELNS1_3repE0EEENS1_30default_config_static_selectorELNS0_4arch9wavefront6targetE1EEEvSK_
	.globl	_ZN7rocprim17ROCPRIM_400000_NS6detail17trampoline_kernelINS0_14default_configENS1_22reduce_config_selectorIjEEZNS1_11reduce_implILb1ES3_N6thrust23THRUST_200600_302600_NS6detail15normal_iteratorINS8_10device_ptrIjEEEEPiiNS8_4plusIiEEEE10hipError_tPvRmT1_T2_T3_mT4_P12ihipStream_tbEUlT_E1_NS1_11comp_targetILNS1_3genE8ELNS1_11target_archE1030ELNS1_3gpuE2ELNS1_3repE0EEENS1_30default_config_static_selectorELNS0_4arch9wavefront6targetE1EEEvSK_
	.p2align	8
	.type	_ZN7rocprim17ROCPRIM_400000_NS6detail17trampoline_kernelINS0_14default_configENS1_22reduce_config_selectorIjEEZNS1_11reduce_implILb1ES3_N6thrust23THRUST_200600_302600_NS6detail15normal_iteratorINS8_10device_ptrIjEEEEPiiNS8_4plusIiEEEE10hipError_tPvRmT1_T2_T3_mT4_P12ihipStream_tbEUlT_E1_NS1_11comp_targetILNS1_3genE8ELNS1_11target_archE1030ELNS1_3gpuE2ELNS1_3repE0EEENS1_30default_config_static_selectorELNS0_4arch9wavefront6targetE1EEEvSK_,@function
_ZN7rocprim17ROCPRIM_400000_NS6detail17trampoline_kernelINS0_14default_configENS1_22reduce_config_selectorIjEEZNS1_11reduce_implILb1ES3_N6thrust23THRUST_200600_302600_NS6detail15normal_iteratorINS8_10device_ptrIjEEEEPiiNS8_4plusIiEEEE10hipError_tPvRmT1_T2_T3_mT4_P12ihipStream_tbEUlT_E1_NS1_11comp_targetILNS1_3genE8ELNS1_11target_archE1030ELNS1_3gpuE2ELNS1_3repE0EEENS1_30default_config_static_selectorELNS0_4arch9wavefront6targetE1EEEvSK_: ; @_ZN7rocprim17ROCPRIM_400000_NS6detail17trampoline_kernelINS0_14default_configENS1_22reduce_config_selectorIjEEZNS1_11reduce_implILb1ES3_N6thrust23THRUST_200600_302600_NS6detail15normal_iteratorINS8_10device_ptrIjEEEEPiiNS8_4plusIiEEEE10hipError_tPvRmT1_T2_T3_mT4_P12ihipStream_tbEUlT_E1_NS1_11comp_targetILNS1_3genE8ELNS1_11target_archE1030ELNS1_3gpuE2ELNS1_3repE0EEENS1_30default_config_static_selectorELNS0_4arch9wavefront6targetE1EEEvSK_
; %bb.0:
	.section	.rodata,"a",@progbits
	.p2align	6, 0x0
	.amdhsa_kernel _ZN7rocprim17ROCPRIM_400000_NS6detail17trampoline_kernelINS0_14default_configENS1_22reduce_config_selectorIjEEZNS1_11reduce_implILb1ES3_N6thrust23THRUST_200600_302600_NS6detail15normal_iteratorINS8_10device_ptrIjEEEEPiiNS8_4plusIiEEEE10hipError_tPvRmT1_T2_T3_mT4_P12ihipStream_tbEUlT_E1_NS1_11comp_targetILNS1_3genE8ELNS1_11target_archE1030ELNS1_3gpuE2ELNS1_3repE0EEENS1_30default_config_static_selectorELNS0_4arch9wavefront6targetE1EEEvSK_
		.amdhsa_group_segment_fixed_size 0
		.amdhsa_private_segment_fixed_size 0
		.amdhsa_kernarg_size 40
		.amdhsa_user_sgpr_count 2
		.amdhsa_user_sgpr_dispatch_ptr 0
		.amdhsa_user_sgpr_queue_ptr 0
		.amdhsa_user_sgpr_kernarg_segment_ptr 1
		.amdhsa_user_sgpr_dispatch_id 0
		.amdhsa_user_sgpr_kernarg_preload_length 0
		.amdhsa_user_sgpr_kernarg_preload_offset 0
		.amdhsa_user_sgpr_private_segment_size 0
		.amdhsa_uses_dynamic_stack 0
		.amdhsa_enable_private_segment 0
		.amdhsa_system_sgpr_workgroup_id_x 1
		.amdhsa_system_sgpr_workgroup_id_y 0
		.amdhsa_system_sgpr_workgroup_id_z 0
		.amdhsa_system_sgpr_workgroup_info 0
		.amdhsa_system_vgpr_workitem_id 0
		.amdhsa_next_free_vgpr 1
		.amdhsa_next_free_sgpr 0
		.amdhsa_accum_offset 4
		.amdhsa_reserve_vcc 0
		.amdhsa_float_round_mode_32 0
		.amdhsa_float_round_mode_16_64 0
		.amdhsa_float_denorm_mode_32 3
		.amdhsa_float_denorm_mode_16_64 3
		.amdhsa_dx10_clamp 1
		.amdhsa_ieee_mode 1
		.amdhsa_fp16_overflow 0
		.amdhsa_tg_split 0
		.amdhsa_exception_fp_ieee_invalid_op 0
		.amdhsa_exception_fp_denorm_src 0
		.amdhsa_exception_fp_ieee_div_zero 0
		.amdhsa_exception_fp_ieee_overflow 0
		.amdhsa_exception_fp_ieee_underflow 0
		.amdhsa_exception_fp_ieee_inexact 0
		.amdhsa_exception_int_div_zero 0
	.end_amdhsa_kernel
	.section	.text._ZN7rocprim17ROCPRIM_400000_NS6detail17trampoline_kernelINS0_14default_configENS1_22reduce_config_selectorIjEEZNS1_11reduce_implILb1ES3_N6thrust23THRUST_200600_302600_NS6detail15normal_iteratorINS8_10device_ptrIjEEEEPiiNS8_4plusIiEEEE10hipError_tPvRmT1_T2_T3_mT4_P12ihipStream_tbEUlT_E1_NS1_11comp_targetILNS1_3genE8ELNS1_11target_archE1030ELNS1_3gpuE2ELNS1_3repE0EEENS1_30default_config_static_selectorELNS0_4arch9wavefront6targetE1EEEvSK_,"axG",@progbits,_ZN7rocprim17ROCPRIM_400000_NS6detail17trampoline_kernelINS0_14default_configENS1_22reduce_config_selectorIjEEZNS1_11reduce_implILb1ES3_N6thrust23THRUST_200600_302600_NS6detail15normal_iteratorINS8_10device_ptrIjEEEEPiiNS8_4plusIiEEEE10hipError_tPvRmT1_T2_T3_mT4_P12ihipStream_tbEUlT_E1_NS1_11comp_targetILNS1_3genE8ELNS1_11target_archE1030ELNS1_3gpuE2ELNS1_3repE0EEENS1_30default_config_static_selectorELNS0_4arch9wavefront6targetE1EEEvSK_,comdat
.Lfunc_end404:
	.size	_ZN7rocprim17ROCPRIM_400000_NS6detail17trampoline_kernelINS0_14default_configENS1_22reduce_config_selectorIjEEZNS1_11reduce_implILb1ES3_N6thrust23THRUST_200600_302600_NS6detail15normal_iteratorINS8_10device_ptrIjEEEEPiiNS8_4plusIiEEEE10hipError_tPvRmT1_T2_T3_mT4_P12ihipStream_tbEUlT_E1_NS1_11comp_targetILNS1_3genE8ELNS1_11target_archE1030ELNS1_3gpuE2ELNS1_3repE0EEENS1_30default_config_static_selectorELNS0_4arch9wavefront6targetE1EEEvSK_, .Lfunc_end404-_ZN7rocprim17ROCPRIM_400000_NS6detail17trampoline_kernelINS0_14default_configENS1_22reduce_config_selectorIjEEZNS1_11reduce_implILb1ES3_N6thrust23THRUST_200600_302600_NS6detail15normal_iteratorINS8_10device_ptrIjEEEEPiiNS8_4plusIiEEEE10hipError_tPvRmT1_T2_T3_mT4_P12ihipStream_tbEUlT_E1_NS1_11comp_targetILNS1_3genE8ELNS1_11target_archE1030ELNS1_3gpuE2ELNS1_3repE0EEENS1_30default_config_static_selectorELNS0_4arch9wavefront6targetE1EEEvSK_
                                        ; -- End function
	.set _ZN7rocprim17ROCPRIM_400000_NS6detail17trampoline_kernelINS0_14default_configENS1_22reduce_config_selectorIjEEZNS1_11reduce_implILb1ES3_N6thrust23THRUST_200600_302600_NS6detail15normal_iteratorINS8_10device_ptrIjEEEEPiiNS8_4plusIiEEEE10hipError_tPvRmT1_T2_T3_mT4_P12ihipStream_tbEUlT_E1_NS1_11comp_targetILNS1_3genE8ELNS1_11target_archE1030ELNS1_3gpuE2ELNS1_3repE0EEENS1_30default_config_static_selectorELNS0_4arch9wavefront6targetE1EEEvSK_.num_vgpr, 0
	.set _ZN7rocprim17ROCPRIM_400000_NS6detail17trampoline_kernelINS0_14default_configENS1_22reduce_config_selectorIjEEZNS1_11reduce_implILb1ES3_N6thrust23THRUST_200600_302600_NS6detail15normal_iteratorINS8_10device_ptrIjEEEEPiiNS8_4plusIiEEEE10hipError_tPvRmT1_T2_T3_mT4_P12ihipStream_tbEUlT_E1_NS1_11comp_targetILNS1_3genE8ELNS1_11target_archE1030ELNS1_3gpuE2ELNS1_3repE0EEENS1_30default_config_static_selectorELNS0_4arch9wavefront6targetE1EEEvSK_.num_agpr, 0
	.set _ZN7rocprim17ROCPRIM_400000_NS6detail17trampoline_kernelINS0_14default_configENS1_22reduce_config_selectorIjEEZNS1_11reduce_implILb1ES3_N6thrust23THRUST_200600_302600_NS6detail15normal_iteratorINS8_10device_ptrIjEEEEPiiNS8_4plusIiEEEE10hipError_tPvRmT1_T2_T3_mT4_P12ihipStream_tbEUlT_E1_NS1_11comp_targetILNS1_3genE8ELNS1_11target_archE1030ELNS1_3gpuE2ELNS1_3repE0EEENS1_30default_config_static_selectorELNS0_4arch9wavefront6targetE1EEEvSK_.numbered_sgpr, 0
	.set _ZN7rocprim17ROCPRIM_400000_NS6detail17trampoline_kernelINS0_14default_configENS1_22reduce_config_selectorIjEEZNS1_11reduce_implILb1ES3_N6thrust23THRUST_200600_302600_NS6detail15normal_iteratorINS8_10device_ptrIjEEEEPiiNS8_4plusIiEEEE10hipError_tPvRmT1_T2_T3_mT4_P12ihipStream_tbEUlT_E1_NS1_11comp_targetILNS1_3genE8ELNS1_11target_archE1030ELNS1_3gpuE2ELNS1_3repE0EEENS1_30default_config_static_selectorELNS0_4arch9wavefront6targetE1EEEvSK_.num_named_barrier, 0
	.set _ZN7rocprim17ROCPRIM_400000_NS6detail17trampoline_kernelINS0_14default_configENS1_22reduce_config_selectorIjEEZNS1_11reduce_implILb1ES3_N6thrust23THRUST_200600_302600_NS6detail15normal_iteratorINS8_10device_ptrIjEEEEPiiNS8_4plusIiEEEE10hipError_tPvRmT1_T2_T3_mT4_P12ihipStream_tbEUlT_E1_NS1_11comp_targetILNS1_3genE8ELNS1_11target_archE1030ELNS1_3gpuE2ELNS1_3repE0EEENS1_30default_config_static_selectorELNS0_4arch9wavefront6targetE1EEEvSK_.private_seg_size, 0
	.set _ZN7rocprim17ROCPRIM_400000_NS6detail17trampoline_kernelINS0_14default_configENS1_22reduce_config_selectorIjEEZNS1_11reduce_implILb1ES3_N6thrust23THRUST_200600_302600_NS6detail15normal_iteratorINS8_10device_ptrIjEEEEPiiNS8_4plusIiEEEE10hipError_tPvRmT1_T2_T3_mT4_P12ihipStream_tbEUlT_E1_NS1_11comp_targetILNS1_3genE8ELNS1_11target_archE1030ELNS1_3gpuE2ELNS1_3repE0EEENS1_30default_config_static_selectorELNS0_4arch9wavefront6targetE1EEEvSK_.uses_vcc, 0
	.set _ZN7rocprim17ROCPRIM_400000_NS6detail17trampoline_kernelINS0_14default_configENS1_22reduce_config_selectorIjEEZNS1_11reduce_implILb1ES3_N6thrust23THRUST_200600_302600_NS6detail15normal_iteratorINS8_10device_ptrIjEEEEPiiNS8_4plusIiEEEE10hipError_tPvRmT1_T2_T3_mT4_P12ihipStream_tbEUlT_E1_NS1_11comp_targetILNS1_3genE8ELNS1_11target_archE1030ELNS1_3gpuE2ELNS1_3repE0EEENS1_30default_config_static_selectorELNS0_4arch9wavefront6targetE1EEEvSK_.uses_flat_scratch, 0
	.set _ZN7rocprim17ROCPRIM_400000_NS6detail17trampoline_kernelINS0_14default_configENS1_22reduce_config_selectorIjEEZNS1_11reduce_implILb1ES3_N6thrust23THRUST_200600_302600_NS6detail15normal_iteratorINS8_10device_ptrIjEEEEPiiNS8_4plusIiEEEE10hipError_tPvRmT1_T2_T3_mT4_P12ihipStream_tbEUlT_E1_NS1_11comp_targetILNS1_3genE8ELNS1_11target_archE1030ELNS1_3gpuE2ELNS1_3repE0EEENS1_30default_config_static_selectorELNS0_4arch9wavefront6targetE1EEEvSK_.has_dyn_sized_stack, 0
	.set _ZN7rocprim17ROCPRIM_400000_NS6detail17trampoline_kernelINS0_14default_configENS1_22reduce_config_selectorIjEEZNS1_11reduce_implILb1ES3_N6thrust23THRUST_200600_302600_NS6detail15normal_iteratorINS8_10device_ptrIjEEEEPiiNS8_4plusIiEEEE10hipError_tPvRmT1_T2_T3_mT4_P12ihipStream_tbEUlT_E1_NS1_11comp_targetILNS1_3genE8ELNS1_11target_archE1030ELNS1_3gpuE2ELNS1_3repE0EEENS1_30default_config_static_selectorELNS0_4arch9wavefront6targetE1EEEvSK_.has_recursion, 0
	.set _ZN7rocprim17ROCPRIM_400000_NS6detail17trampoline_kernelINS0_14default_configENS1_22reduce_config_selectorIjEEZNS1_11reduce_implILb1ES3_N6thrust23THRUST_200600_302600_NS6detail15normal_iteratorINS8_10device_ptrIjEEEEPiiNS8_4plusIiEEEE10hipError_tPvRmT1_T2_T3_mT4_P12ihipStream_tbEUlT_E1_NS1_11comp_targetILNS1_3genE8ELNS1_11target_archE1030ELNS1_3gpuE2ELNS1_3repE0EEENS1_30default_config_static_selectorELNS0_4arch9wavefront6targetE1EEEvSK_.has_indirect_call, 0
	.section	.AMDGPU.csdata,"",@progbits
; Kernel info:
; codeLenInByte = 0
; TotalNumSgprs: 6
; NumVgprs: 0
; NumAgprs: 0
; TotalNumVgprs: 0
; ScratchSize: 0
; MemoryBound: 0
; FloatMode: 240
; IeeeMode: 1
; LDSByteSize: 0 bytes/workgroup (compile time only)
; SGPRBlocks: 0
; VGPRBlocks: 0
; NumSGPRsForWavesPerEU: 6
; NumVGPRsForWavesPerEU: 1
; AccumOffset: 4
; Occupancy: 8
; WaveLimiterHint : 0
; COMPUTE_PGM_RSRC2:SCRATCH_EN: 0
; COMPUTE_PGM_RSRC2:USER_SGPR: 2
; COMPUTE_PGM_RSRC2:TRAP_HANDLER: 0
; COMPUTE_PGM_RSRC2:TGID_X_EN: 1
; COMPUTE_PGM_RSRC2:TGID_Y_EN: 0
; COMPUTE_PGM_RSRC2:TGID_Z_EN: 0
; COMPUTE_PGM_RSRC2:TIDIG_COMP_CNT: 0
; COMPUTE_PGM_RSRC3_GFX90A:ACCUM_OFFSET: 0
; COMPUTE_PGM_RSRC3_GFX90A:TG_SPLIT: 0
	.section	.text._ZN7rocprim17ROCPRIM_400000_NS6detail17trampoline_kernelINS0_14default_configENS1_22reduce_config_selectorIjEEZNS1_11reduce_implILb1ES3_N6thrust23THRUST_200600_302600_NS6detail15normal_iteratorINS8_10device_ptrIjEEEEPffNS8_4plusIfEEEE10hipError_tPvRmT1_T2_T3_mT4_P12ihipStream_tbEUlT_E0_NS1_11comp_targetILNS1_3genE0ELNS1_11target_archE4294967295ELNS1_3gpuE0ELNS1_3repE0EEENS1_30default_config_static_selectorELNS0_4arch9wavefront6targetE1EEEvSK_,"axG",@progbits,_ZN7rocprim17ROCPRIM_400000_NS6detail17trampoline_kernelINS0_14default_configENS1_22reduce_config_selectorIjEEZNS1_11reduce_implILb1ES3_N6thrust23THRUST_200600_302600_NS6detail15normal_iteratorINS8_10device_ptrIjEEEEPffNS8_4plusIfEEEE10hipError_tPvRmT1_T2_T3_mT4_P12ihipStream_tbEUlT_E0_NS1_11comp_targetILNS1_3genE0ELNS1_11target_archE4294967295ELNS1_3gpuE0ELNS1_3repE0EEENS1_30default_config_static_selectorELNS0_4arch9wavefront6targetE1EEEvSK_,comdat
	.protected	_ZN7rocprim17ROCPRIM_400000_NS6detail17trampoline_kernelINS0_14default_configENS1_22reduce_config_selectorIjEEZNS1_11reduce_implILb1ES3_N6thrust23THRUST_200600_302600_NS6detail15normal_iteratorINS8_10device_ptrIjEEEEPffNS8_4plusIfEEEE10hipError_tPvRmT1_T2_T3_mT4_P12ihipStream_tbEUlT_E0_NS1_11comp_targetILNS1_3genE0ELNS1_11target_archE4294967295ELNS1_3gpuE0ELNS1_3repE0EEENS1_30default_config_static_selectorELNS0_4arch9wavefront6targetE1EEEvSK_ ; -- Begin function _ZN7rocprim17ROCPRIM_400000_NS6detail17trampoline_kernelINS0_14default_configENS1_22reduce_config_selectorIjEEZNS1_11reduce_implILb1ES3_N6thrust23THRUST_200600_302600_NS6detail15normal_iteratorINS8_10device_ptrIjEEEEPffNS8_4plusIfEEEE10hipError_tPvRmT1_T2_T3_mT4_P12ihipStream_tbEUlT_E0_NS1_11comp_targetILNS1_3genE0ELNS1_11target_archE4294967295ELNS1_3gpuE0ELNS1_3repE0EEENS1_30default_config_static_selectorELNS0_4arch9wavefront6targetE1EEEvSK_
	.globl	_ZN7rocprim17ROCPRIM_400000_NS6detail17trampoline_kernelINS0_14default_configENS1_22reduce_config_selectorIjEEZNS1_11reduce_implILb1ES3_N6thrust23THRUST_200600_302600_NS6detail15normal_iteratorINS8_10device_ptrIjEEEEPffNS8_4plusIfEEEE10hipError_tPvRmT1_T2_T3_mT4_P12ihipStream_tbEUlT_E0_NS1_11comp_targetILNS1_3genE0ELNS1_11target_archE4294967295ELNS1_3gpuE0ELNS1_3repE0EEENS1_30default_config_static_selectorELNS0_4arch9wavefront6targetE1EEEvSK_
	.p2align	8
	.type	_ZN7rocprim17ROCPRIM_400000_NS6detail17trampoline_kernelINS0_14default_configENS1_22reduce_config_selectorIjEEZNS1_11reduce_implILb1ES3_N6thrust23THRUST_200600_302600_NS6detail15normal_iteratorINS8_10device_ptrIjEEEEPffNS8_4plusIfEEEE10hipError_tPvRmT1_T2_T3_mT4_P12ihipStream_tbEUlT_E0_NS1_11comp_targetILNS1_3genE0ELNS1_11target_archE4294967295ELNS1_3gpuE0ELNS1_3repE0EEENS1_30default_config_static_selectorELNS0_4arch9wavefront6targetE1EEEvSK_,@function
_ZN7rocprim17ROCPRIM_400000_NS6detail17trampoline_kernelINS0_14default_configENS1_22reduce_config_selectorIjEEZNS1_11reduce_implILb1ES3_N6thrust23THRUST_200600_302600_NS6detail15normal_iteratorINS8_10device_ptrIjEEEEPffNS8_4plusIfEEEE10hipError_tPvRmT1_T2_T3_mT4_P12ihipStream_tbEUlT_E0_NS1_11comp_targetILNS1_3genE0ELNS1_11target_archE4294967295ELNS1_3gpuE0ELNS1_3repE0EEENS1_30default_config_static_selectorELNS0_4arch9wavefront6targetE1EEEvSK_: ; @_ZN7rocprim17ROCPRIM_400000_NS6detail17trampoline_kernelINS0_14default_configENS1_22reduce_config_selectorIjEEZNS1_11reduce_implILb1ES3_N6thrust23THRUST_200600_302600_NS6detail15normal_iteratorINS8_10device_ptrIjEEEEPffNS8_4plusIfEEEE10hipError_tPvRmT1_T2_T3_mT4_P12ihipStream_tbEUlT_E0_NS1_11comp_targetILNS1_3genE0ELNS1_11target_archE4294967295ELNS1_3gpuE0ELNS1_3repE0EEENS1_30default_config_static_selectorELNS0_4arch9wavefront6targetE1EEEvSK_
; %bb.0:
	s_load_dwordx8 s[4:11], s[0:1], 0x0
	s_load_dwordx4 s[12:15], s[0:1], 0x20
	v_lshlrev_b32_e32 v6, 2, v0
	v_mbcnt_lo_u32_b32 v1, -1, 0
	s_waitcnt lgkmcnt(0)
	s_lshl_b64 s[6:7], s[6:7], 2
	s_add_u32 s18, s4, s6
	s_addc_u32 s19, s5, s7
	s_lshl_b32 s4, s2, 10
	s_mov_b32 s5, 0
	s_lshr_b64 s[16:17], s[8:9], 10
	s_lshl_b64 s[6:7], s[4:5], 2
	s_add_u32 s6, s18, s6
	s_mov_b32 s3, s5
	s_addc_u32 s7, s19, s7
	s_cmp_lg_u64 s[16:17], s[2:3]
	s_cbranch_scc0 .LBB405_6
; %bb.1:
	v_mov_b32_e32 v7, 0
	v_lshl_add_u64 v[2:3], s[6:7], 0, v[6:7]
	flat_load_dword v4, v[2:3]
	flat_load_dword v5, v[2:3] offset:1024
	flat_load_dword v7, v[2:3] offset:2048
	;; [unrolled: 1-line block ×3, first 2 shown]
	v_mbcnt_hi_u32_b32 v3, -1, v1
	v_cmp_eq_u32_e32 vcc, 0, v3
	s_waitcnt vmcnt(0) lgkmcnt(0)
	v_cvt_f32_u32_e32 v2, v4
	v_cvt_f32_u32_e32 v5, v5
	;; [unrolled: 1-line block ×4, first 2 shown]
	v_lshlrev_b32_e32 v4, 2, v3
	v_add_f32_e32 v2, v2, v5
	v_add_f32_e32 v2, v2, v7
	;; [unrolled: 1-line block ×3, first 2 shown]
	v_or_b32_e32 v5, 0xfc, v4
	s_nop 0
	v_add_f32_dpp v2, v2, v2 quad_perm:[1,0,3,2] row_mask:0xf bank_mask:0xf bound_ctrl:1
	s_nop 1
	v_add_f32_dpp v2, v2, v2 quad_perm:[2,3,0,1] row_mask:0xf bank_mask:0xf bound_ctrl:1
	s_nop 1
	v_add_f32_dpp v2, v2, v2 row_ror:4 row_mask:0xf bank_mask:0xf bound_ctrl:1
	s_nop 1
	v_add_f32_dpp v2, v2, v2 row_ror:8 row_mask:0xf bank_mask:0xf bound_ctrl:1
	s_nop 1
	v_add_f32_dpp v2, v2, v2 row_bcast:15 row_mask:0xf bank_mask:0xf bound_ctrl:1
	s_nop 1
	v_add_f32_dpp v2, v2, v2 row_bcast:31 row_mask:0xf bank_mask:0xf bound_ctrl:1
	ds_bpermute_b32 v2, v5, v2
	s_and_saveexec_b64 s[16:17], vcc
	s_cbranch_execz .LBB405_3
; %bb.2:
	v_lshrrev_b32_e32 v5, 4, v0
	v_and_b32_e32 v5, 12, v5
	s_waitcnt lgkmcnt(0)
	ds_write_b32 v5, v2
.LBB405_3:
	s_or_b64 exec, exec, s[16:17]
	v_cmp_gt_u32_e32 vcc, 64, v0
	s_waitcnt lgkmcnt(0)
	s_barrier
	s_and_saveexec_b64 s[16:17], vcc
	s_cbranch_execz .LBB405_5
; %bb.4:
	v_and_b32_e32 v2, 3, v3
	v_lshlrev_b32_e32 v5, 2, v2
	ds_read_b32 v5, v5
	v_cmp_ne_u32_e32 vcc, 3, v2
	s_nop 1
	v_addc_co_u32_e32 v2, vcc, 0, v3, vcc
	v_lshlrev_b32_e32 v2, 2, v2
	s_waitcnt lgkmcnt(0)
	ds_bpermute_b32 v2, v2, v5
	v_or_b32_e32 v3, 8, v4
	s_waitcnt lgkmcnt(0)
	v_add_f32_e32 v2, v5, v2
	ds_bpermute_b32 v3, v3, v2
	s_waitcnt lgkmcnt(0)
	v_add_f32_e32 v2, v2, v3
.LBB405_5:
	s_or_b64 exec, exec, s[16:17]
	s_load_dword s18, s[0:1], 0x30
	s_branch .LBB405_20
.LBB405_6:
                                        ; implicit-def: $vgpr2
	s_load_dword s18, s[0:1], 0x30
	s_cbranch_execz .LBB405_20
; %bb.7:
	s_sub_i32 s19, s8, s4
	v_mov_b32_e32 v2, 0
	v_cmp_gt_u32_e32 vcc, s19, v0
	v_mov_b32_e32 v3, v2
	v_mov_b32_e32 v4, v2
	;; [unrolled: 1-line block ×3, first 2 shown]
	s_and_saveexec_b64 s[0:1], vcc
	s_cbranch_execz .LBB405_9
; %bb.8:
	v_mov_b32_e32 v7, v2
	v_lshl_add_u64 v[4:5], s[6:7], 0, v[6:7]
	flat_load_dword v3, v[4:5]
	v_mov_b32_e32 v9, v2
	v_mov_b32_e32 v10, v2
	v_mov_b32_e32 v11, v2
	s_waitcnt vmcnt(0) lgkmcnt(0)
	v_cvt_f32_u32_e32 v8, v3
	v_mov_b64_e32 v[2:3], v[8:9]
	v_mov_b64_e32 v[4:5], v[10:11]
.LBB405_9:
	s_or_b64 exec, exec, s[0:1]
	v_or_b32_e32 v7, 0x100, v0
	v_cmp_gt_u32_e32 vcc, s19, v7
	s_and_saveexec_b64 s[0:1], vcc
	s_cbranch_execz .LBB405_11
; %bb.10:
	v_mov_b32_e32 v7, 0
	v_lshl_add_u64 v[8:9], s[6:7], 0, v[6:7]
	flat_load_dword v3, v[8:9] offset:1024
	s_waitcnt vmcnt(0) lgkmcnt(0)
	v_cvt_f32_u32_e32 v3, v3
.LBB405_11:
	s_or_b64 exec, exec, s[0:1]
	v_or_b32_e32 v7, 0x200, v0
	v_cmp_gt_u32_e64 s[0:1], s19, v7
	s_and_saveexec_b64 s[4:5], s[0:1]
	s_cbranch_execz .LBB405_13
; %bb.12:
	v_mov_b32_e32 v7, 0
	v_lshl_add_u64 v[8:9], s[6:7], 0, v[6:7]
	flat_load_dword v4, v[8:9] offset:2048
	s_waitcnt vmcnt(0) lgkmcnt(0)
	v_cvt_f32_u32_e32 v4, v4
.LBB405_13:
	s_or_b64 exec, exec, s[4:5]
	v_or_b32_e32 v7, 0x300, v0
	v_cmp_gt_u32_e64 s[4:5], s19, v7
	s_and_saveexec_b64 s[16:17], s[4:5]
	s_cbranch_execz .LBB405_15
; %bb.14:
	v_mov_b32_e32 v7, 0
	v_lshl_add_u64 v[6:7], s[6:7], 0, v[6:7]
	flat_load_dword v5, v[6:7] offset:3072
	s_waitcnt vmcnt(0) lgkmcnt(0)
	v_cvt_f32_u32_e32 v5, v5
.LBB405_15:
	s_or_b64 exec, exec, s[16:17]
	v_add_f32_e32 v3, v2, v3
	v_cndmask_b32_e32 v2, v2, v3, vcc
	v_add_f32_e32 v3, v4, v2
	v_mbcnt_hi_u32_b32 v1, -1, v1
	v_cndmask_b32_e64 v2, v2, v3, s[0:1]
	v_and_b32_e32 v4, 63, v1
	v_add_f32_e32 v3, v5, v2
	v_cmp_ne_u32_e32 vcc, 63, v4
	v_cndmask_b32_e64 v2, v2, v3, s[4:5]
	s_min_u32 s6, s19, 0x100
	v_addc_co_u32_e32 v3, vcc, 0, v1, vcc
	v_lshlrev_b32_e32 v3, 2, v3
	ds_bpermute_b32 v3, v3, v2
	v_and_b32_e32 v5, 0xc0, v0
	v_sub_u32_e64 v5, s6, v5 clamp
	v_add_u32_e32 v6, 1, v4
	v_cmp_gt_u32_e64 s[0:1], 62, v4
	s_waitcnt lgkmcnt(0)
	v_add_f32_e32 v3, v2, v3
	v_cmp_lt_u32_e32 vcc, v6, v5
	v_cndmask_b32_e64 v6, 0, 2, s[0:1]
	v_add_lshl_u32 v6, v6, v1, 2
	v_cndmask_b32_e32 v3, v2, v3, vcc
	ds_bpermute_b32 v6, v6, v3
	v_add_u32_e32 v7, 2, v4
	v_cmp_lt_u32_e64 s[0:1], v7, v5
	v_add_u32_e32 v7, 4, v4
	s_waitcnt lgkmcnt(0)
	v_add_f32_e32 v6, v3, v6
	v_cndmask_b32_e64 v3, v3, v6, s[0:1]
	v_cmp_gt_u32_e64 s[0:1], 60, v4
	s_nop 1
	v_cndmask_b32_e64 v6, 0, 4, s[0:1]
	v_add_lshl_u32 v6, v6, v1, 2
	ds_bpermute_b32 v6, v6, v3
	v_cmp_lt_u32_e64 s[0:1], v7, v5
	v_add_u32_e32 v7, 8, v4
	s_waitcnt lgkmcnt(0)
	v_add_f32_e32 v6, v3, v6
	v_cndmask_b32_e64 v3, v3, v6, s[0:1]
	v_cmp_gt_u32_e64 s[0:1], 56, v4
	s_nop 1
	v_cndmask_b32_e64 v6, 0, 8, s[0:1]
	v_add_lshl_u32 v6, v6, v1, 2
	ds_bpermute_b32 v6, v6, v3
	v_cmp_lt_u32_e64 s[0:1], v7, v5
	v_add_u32_e32 v7, 16, v4
	s_waitcnt lgkmcnt(0)
	v_add_f32_e32 v6, v3, v6
	v_cndmask_b32_e64 v3, v3, v6, s[0:1]
	v_cmp_gt_u32_e64 s[0:1], 48, v4
	v_add_u32_e32 v4, 32, v4
	s_nop 0
	v_cndmask_b32_e64 v6, 0, 16, s[0:1]
	v_add_lshl_u32 v6, v6, v1, 2
	ds_bpermute_b32 v6, v6, v3
	v_cmp_lt_u32_e64 s[0:1], v7, v5
	s_waitcnt lgkmcnt(0)
	v_add_f32_e32 v6, v3, v6
	v_cndmask_b32_e64 v6, v3, v6, s[0:1]
	v_lshlrev_b32_e32 v3, 2, v1
	v_or_b32_e32 v7, 0x80, v3
	ds_bpermute_b32 v7, v7, v6
	v_cmp_lt_u32_e64 s[0:1], v4, v5
	s_waitcnt lgkmcnt(0)
	v_add_f32_e32 v7, v6, v7
	v_cndmask_b32_e64 v4, v6, v7, s[0:1]
	v_cndmask_b32_e32 v2, v2, v4, vcc
	v_cmp_eq_u32_e32 vcc, 0, v1
	s_and_saveexec_b64 s[0:1], vcc
; %bb.16:
	v_lshrrev_b32_e32 v4, 4, v0
	v_and_b32_e32 v4, 12, v4
	ds_write_b32 v4, v2 offset:16
; %bb.17:
	s_or_b64 exec, exec, s[0:1]
	v_cmp_gt_u32_e32 vcc, 4, v0
	s_waitcnt lgkmcnt(0)
	s_barrier
	s_and_saveexec_b64 s[4:5], vcc
	s_cbranch_execz .LBB405_19
; %bb.18:
	ds_read_b32 v2, v3 offset:16
	v_and_b32_e32 v4, 3, v1
	v_cmp_ne_u32_e32 vcc, 3, v4
	s_add_i32 s6, s6, 63
	s_lshr_b32 s0, s6, 6
	v_addc_co_u32_e32 v1, vcc, 0, v1, vcc
	v_lshlrev_b32_e32 v1, 2, v1
	s_waitcnt lgkmcnt(0)
	ds_bpermute_b32 v1, v1, v2
	v_add_u32_e32 v5, 1, v4
	v_cmp_gt_u32_e32 vcc, s0, v5
	v_or_b32_e32 v3, 8, v3
	v_add_u32_e32 v4, 2, v4
	s_waitcnt lgkmcnt(0)
	v_add_f32_e32 v1, v2, v1
	v_cndmask_b32_e32 v1, v2, v1, vcc
	ds_bpermute_b32 v3, v3, v1
	v_cmp_gt_u32_e64 s[0:1], s0, v4
	s_waitcnt lgkmcnt(0)
	v_add_f32_e32 v3, v1, v3
	v_cndmask_b32_e64 v1, v1, v3, s[0:1]
	v_cndmask_b32_e32 v2, v2, v1, vcc
.LBB405_19:
	s_or_b64 exec, exec, s[4:5]
.LBB405_20:
	v_cmp_eq_u32_e32 vcc, 0, v0
	s_and_saveexec_b64 s[0:1], vcc
	s_cbranch_execnz .LBB405_22
; %bb.21:
	s_endpgm
.LBB405_22:
	s_mul_i32 s0, s14, s13
	s_mul_hi_u32 s1, s14, s12
	s_add_i32 s0, s1, s0
	s_mul_i32 s1, s15, s12
	s_add_i32 s1, s0, s1
	s_mul_i32 s0, s14, s12
	s_lshl_b64 s[0:1], s[0:1], 2
	s_add_u32 s4, s10, s0
	s_addc_u32 s5, s11, s1
	s_cmp_eq_u64 s[8:9], 0
	s_cselect_b64 vcc, -1, 0
	s_lshl_b64 s[0:1], s[2:3], 2
	s_waitcnt lgkmcnt(0)
	v_mov_b32_e32 v0, s18
	s_add_u32 s0, s4, s0
	v_cndmask_b32_e32 v0, v2, v0, vcc
	s_addc_u32 s1, s5, s1
	v_mov_b32_e32 v1, 0
	global_store_dword v1, v0, s[0:1]
	s_endpgm
	.section	.rodata,"a",@progbits
	.p2align	6, 0x0
	.amdhsa_kernel _ZN7rocprim17ROCPRIM_400000_NS6detail17trampoline_kernelINS0_14default_configENS1_22reduce_config_selectorIjEEZNS1_11reduce_implILb1ES3_N6thrust23THRUST_200600_302600_NS6detail15normal_iteratorINS8_10device_ptrIjEEEEPffNS8_4plusIfEEEE10hipError_tPvRmT1_T2_T3_mT4_P12ihipStream_tbEUlT_E0_NS1_11comp_targetILNS1_3genE0ELNS1_11target_archE4294967295ELNS1_3gpuE0ELNS1_3repE0EEENS1_30default_config_static_selectorELNS0_4arch9wavefront6targetE1EEEvSK_
		.amdhsa_group_segment_fixed_size 32
		.amdhsa_private_segment_fixed_size 0
		.amdhsa_kernarg_size 56
		.amdhsa_user_sgpr_count 2
		.amdhsa_user_sgpr_dispatch_ptr 0
		.amdhsa_user_sgpr_queue_ptr 0
		.amdhsa_user_sgpr_kernarg_segment_ptr 1
		.amdhsa_user_sgpr_dispatch_id 0
		.amdhsa_user_sgpr_kernarg_preload_length 0
		.amdhsa_user_sgpr_kernarg_preload_offset 0
		.amdhsa_user_sgpr_private_segment_size 0
		.amdhsa_uses_dynamic_stack 0
		.amdhsa_enable_private_segment 0
		.amdhsa_system_sgpr_workgroup_id_x 1
		.amdhsa_system_sgpr_workgroup_id_y 0
		.amdhsa_system_sgpr_workgroup_id_z 0
		.amdhsa_system_sgpr_workgroup_info 0
		.amdhsa_system_vgpr_workitem_id 0
		.amdhsa_next_free_vgpr 12
		.amdhsa_next_free_sgpr 20
		.amdhsa_accum_offset 12
		.amdhsa_reserve_vcc 1
		.amdhsa_float_round_mode_32 0
		.amdhsa_float_round_mode_16_64 0
		.amdhsa_float_denorm_mode_32 3
		.amdhsa_float_denorm_mode_16_64 3
		.amdhsa_dx10_clamp 1
		.amdhsa_ieee_mode 1
		.amdhsa_fp16_overflow 0
		.amdhsa_tg_split 0
		.amdhsa_exception_fp_ieee_invalid_op 0
		.amdhsa_exception_fp_denorm_src 0
		.amdhsa_exception_fp_ieee_div_zero 0
		.amdhsa_exception_fp_ieee_overflow 0
		.amdhsa_exception_fp_ieee_underflow 0
		.amdhsa_exception_fp_ieee_inexact 0
		.amdhsa_exception_int_div_zero 0
	.end_amdhsa_kernel
	.section	.text._ZN7rocprim17ROCPRIM_400000_NS6detail17trampoline_kernelINS0_14default_configENS1_22reduce_config_selectorIjEEZNS1_11reduce_implILb1ES3_N6thrust23THRUST_200600_302600_NS6detail15normal_iteratorINS8_10device_ptrIjEEEEPffNS8_4plusIfEEEE10hipError_tPvRmT1_T2_T3_mT4_P12ihipStream_tbEUlT_E0_NS1_11comp_targetILNS1_3genE0ELNS1_11target_archE4294967295ELNS1_3gpuE0ELNS1_3repE0EEENS1_30default_config_static_selectorELNS0_4arch9wavefront6targetE1EEEvSK_,"axG",@progbits,_ZN7rocprim17ROCPRIM_400000_NS6detail17trampoline_kernelINS0_14default_configENS1_22reduce_config_selectorIjEEZNS1_11reduce_implILb1ES3_N6thrust23THRUST_200600_302600_NS6detail15normal_iteratorINS8_10device_ptrIjEEEEPffNS8_4plusIfEEEE10hipError_tPvRmT1_T2_T3_mT4_P12ihipStream_tbEUlT_E0_NS1_11comp_targetILNS1_3genE0ELNS1_11target_archE4294967295ELNS1_3gpuE0ELNS1_3repE0EEENS1_30default_config_static_selectorELNS0_4arch9wavefront6targetE1EEEvSK_,comdat
.Lfunc_end405:
	.size	_ZN7rocprim17ROCPRIM_400000_NS6detail17trampoline_kernelINS0_14default_configENS1_22reduce_config_selectorIjEEZNS1_11reduce_implILb1ES3_N6thrust23THRUST_200600_302600_NS6detail15normal_iteratorINS8_10device_ptrIjEEEEPffNS8_4plusIfEEEE10hipError_tPvRmT1_T2_T3_mT4_P12ihipStream_tbEUlT_E0_NS1_11comp_targetILNS1_3genE0ELNS1_11target_archE4294967295ELNS1_3gpuE0ELNS1_3repE0EEENS1_30default_config_static_selectorELNS0_4arch9wavefront6targetE1EEEvSK_, .Lfunc_end405-_ZN7rocprim17ROCPRIM_400000_NS6detail17trampoline_kernelINS0_14default_configENS1_22reduce_config_selectorIjEEZNS1_11reduce_implILb1ES3_N6thrust23THRUST_200600_302600_NS6detail15normal_iteratorINS8_10device_ptrIjEEEEPffNS8_4plusIfEEEE10hipError_tPvRmT1_T2_T3_mT4_P12ihipStream_tbEUlT_E0_NS1_11comp_targetILNS1_3genE0ELNS1_11target_archE4294967295ELNS1_3gpuE0ELNS1_3repE0EEENS1_30default_config_static_selectorELNS0_4arch9wavefront6targetE1EEEvSK_
                                        ; -- End function
	.set _ZN7rocprim17ROCPRIM_400000_NS6detail17trampoline_kernelINS0_14default_configENS1_22reduce_config_selectorIjEEZNS1_11reduce_implILb1ES3_N6thrust23THRUST_200600_302600_NS6detail15normal_iteratorINS8_10device_ptrIjEEEEPffNS8_4plusIfEEEE10hipError_tPvRmT1_T2_T3_mT4_P12ihipStream_tbEUlT_E0_NS1_11comp_targetILNS1_3genE0ELNS1_11target_archE4294967295ELNS1_3gpuE0ELNS1_3repE0EEENS1_30default_config_static_selectorELNS0_4arch9wavefront6targetE1EEEvSK_.num_vgpr, 12
	.set _ZN7rocprim17ROCPRIM_400000_NS6detail17trampoline_kernelINS0_14default_configENS1_22reduce_config_selectorIjEEZNS1_11reduce_implILb1ES3_N6thrust23THRUST_200600_302600_NS6detail15normal_iteratorINS8_10device_ptrIjEEEEPffNS8_4plusIfEEEE10hipError_tPvRmT1_T2_T3_mT4_P12ihipStream_tbEUlT_E0_NS1_11comp_targetILNS1_3genE0ELNS1_11target_archE4294967295ELNS1_3gpuE0ELNS1_3repE0EEENS1_30default_config_static_selectorELNS0_4arch9wavefront6targetE1EEEvSK_.num_agpr, 0
	.set _ZN7rocprim17ROCPRIM_400000_NS6detail17trampoline_kernelINS0_14default_configENS1_22reduce_config_selectorIjEEZNS1_11reduce_implILb1ES3_N6thrust23THRUST_200600_302600_NS6detail15normal_iteratorINS8_10device_ptrIjEEEEPffNS8_4plusIfEEEE10hipError_tPvRmT1_T2_T3_mT4_P12ihipStream_tbEUlT_E0_NS1_11comp_targetILNS1_3genE0ELNS1_11target_archE4294967295ELNS1_3gpuE0ELNS1_3repE0EEENS1_30default_config_static_selectorELNS0_4arch9wavefront6targetE1EEEvSK_.numbered_sgpr, 20
	.set _ZN7rocprim17ROCPRIM_400000_NS6detail17trampoline_kernelINS0_14default_configENS1_22reduce_config_selectorIjEEZNS1_11reduce_implILb1ES3_N6thrust23THRUST_200600_302600_NS6detail15normal_iteratorINS8_10device_ptrIjEEEEPffNS8_4plusIfEEEE10hipError_tPvRmT1_T2_T3_mT4_P12ihipStream_tbEUlT_E0_NS1_11comp_targetILNS1_3genE0ELNS1_11target_archE4294967295ELNS1_3gpuE0ELNS1_3repE0EEENS1_30default_config_static_selectorELNS0_4arch9wavefront6targetE1EEEvSK_.num_named_barrier, 0
	.set _ZN7rocprim17ROCPRIM_400000_NS6detail17trampoline_kernelINS0_14default_configENS1_22reduce_config_selectorIjEEZNS1_11reduce_implILb1ES3_N6thrust23THRUST_200600_302600_NS6detail15normal_iteratorINS8_10device_ptrIjEEEEPffNS8_4plusIfEEEE10hipError_tPvRmT1_T2_T3_mT4_P12ihipStream_tbEUlT_E0_NS1_11comp_targetILNS1_3genE0ELNS1_11target_archE4294967295ELNS1_3gpuE0ELNS1_3repE0EEENS1_30default_config_static_selectorELNS0_4arch9wavefront6targetE1EEEvSK_.private_seg_size, 0
	.set _ZN7rocprim17ROCPRIM_400000_NS6detail17trampoline_kernelINS0_14default_configENS1_22reduce_config_selectorIjEEZNS1_11reduce_implILb1ES3_N6thrust23THRUST_200600_302600_NS6detail15normal_iteratorINS8_10device_ptrIjEEEEPffNS8_4plusIfEEEE10hipError_tPvRmT1_T2_T3_mT4_P12ihipStream_tbEUlT_E0_NS1_11comp_targetILNS1_3genE0ELNS1_11target_archE4294967295ELNS1_3gpuE0ELNS1_3repE0EEENS1_30default_config_static_selectorELNS0_4arch9wavefront6targetE1EEEvSK_.uses_vcc, 1
	.set _ZN7rocprim17ROCPRIM_400000_NS6detail17trampoline_kernelINS0_14default_configENS1_22reduce_config_selectorIjEEZNS1_11reduce_implILb1ES3_N6thrust23THRUST_200600_302600_NS6detail15normal_iteratorINS8_10device_ptrIjEEEEPffNS8_4plusIfEEEE10hipError_tPvRmT1_T2_T3_mT4_P12ihipStream_tbEUlT_E0_NS1_11comp_targetILNS1_3genE0ELNS1_11target_archE4294967295ELNS1_3gpuE0ELNS1_3repE0EEENS1_30default_config_static_selectorELNS0_4arch9wavefront6targetE1EEEvSK_.uses_flat_scratch, 0
	.set _ZN7rocprim17ROCPRIM_400000_NS6detail17trampoline_kernelINS0_14default_configENS1_22reduce_config_selectorIjEEZNS1_11reduce_implILb1ES3_N6thrust23THRUST_200600_302600_NS6detail15normal_iteratorINS8_10device_ptrIjEEEEPffNS8_4plusIfEEEE10hipError_tPvRmT1_T2_T3_mT4_P12ihipStream_tbEUlT_E0_NS1_11comp_targetILNS1_3genE0ELNS1_11target_archE4294967295ELNS1_3gpuE0ELNS1_3repE0EEENS1_30default_config_static_selectorELNS0_4arch9wavefront6targetE1EEEvSK_.has_dyn_sized_stack, 0
	.set _ZN7rocprim17ROCPRIM_400000_NS6detail17trampoline_kernelINS0_14default_configENS1_22reduce_config_selectorIjEEZNS1_11reduce_implILb1ES3_N6thrust23THRUST_200600_302600_NS6detail15normal_iteratorINS8_10device_ptrIjEEEEPffNS8_4plusIfEEEE10hipError_tPvRmT1_T2_T3_mT4_P12ihipStream_tbEUlT_E0_NS1_11comp_targetILNS1_3genE0ELNS1_11target_archE4294967295ELNS1_3gpuE0ELNS1_3repE0EEENS1_30default_config_static_selectorELNS0_4arch9wavefront6targetE1EEEvSK_.has_recursion, 0
	.set _ZN7rocprim17ROCPRIM_400000_NS6detail17trampoline_kernelINS0_14default_configENS1_22reduce_config_selectorIjEEZNS1_11reduce_implILb1ES3_N6thrust23THRUST_200600_302600_NS6detail15normal_iteratorINS8_10device_ptrIjEEEEPffNS8_4plusIfEEEE10hipError_tPvRmT1_T2_T3_mT4_P12ihipStream_tbEUlT_E0_NS1_11comp_targetILNS1_3genE0ELNS1_11target_archE4294967295ELNS1_3gpuE0ELNS1_3repE0EEENS1_30default_config_static_selectorELNS0_4arch9wavefront6targetE1EEEvSK_.has_indirect_call, 0
	.section	.AMDGPU.csdata,"",@progbits
; Kernel info:
; codeLenInByte = 1332
; TotalNumSgprs: 26
; NumVgprs: 12
; NumAgprs: 0
; TotalNumVgprs: 12
; ScratchSize: 0
; MemoryBound: 0
; FloatMode: 240
; IeeeMode: 1
; LDSByteSize: 32 bytes/workgroup (compile time only)
; SGPRBlocks: 3
; VGPRBlocks: 1
; NumSGPRsForWavesPerEU: 26
; NumVGPRsForWavesPerEU: 12
; AccumOffset: 12
; Occupancy: 8
; WaveLimiterHint : 1
; COMPUTE_PGM_RSRC2:SCRATCH_EN: 0
; COMPUTE_PGM_RSRC2:USER_SGPR: 2
; COMPUTE_PGM_RSRC2:TRAP_HANDLER: 0
; COMPUTE_PGM_RSRC2:TGID_X_EN: 1
; COMPUTE_PGM_RSRC2:TGID_Y_EN: 0
; COMPUTE_PGM_RSRC2:TGID_Z_EN: 0
; COMPUTE_PGM_RSRC2:TIDIG_COMP_CNT: 0
; COMPUTE_PGM_RSRC3_GFX90A:ACCUM_OFFSET: 2
; COMPUTE_PGM_RSRC3_GFX90A:TG_SPLIT: 0
	.section	.text._ZN7rocprim17ROCPRIM_400000_NS6detail17trampoline_kernelINS0_14default_configENS1_22reduce_config_selectorIjEEZNS1_11reduce_implILb1ES3_N6thrust23THRUST_200600_302600_NS6detail15normal_iteratorINS8_10device_ptrIjEEEEPffNS8_4plusIfEEEE10hipError_tPvRmT1_T2_T3_mT4_P12ihipStream_tbEUlT_E0_NS1_11comp_targetILNS1_3genE5ELNS1_11target_archE942ELNS1_3gpuE9ELNS1_3repE0EEENS1_30default_config_static_selectorELNS0_4arch9wavefront6targetE1EEEvSK_,"axG",@progbits,_ZN7rocprim17ROCPRIM_400000_NS6detail17trampoline_kernelINS0_14default_configENS1_22reduce_config_selectorIjEEZNS1_11reduce_implILb1ES3_N6thrust23THRUST_200600_302600_NS6detail15normal_iteratorINS8_10device_ptrIjEEEEPffNS8_4plusIfEEEE10hipError_tPvRmT1_T2_T3_mT4_P12ihipStream_tbEUlT_E0_NS1_11comp_targetILNS1_3genE5ELNS1_11target_archE942ELNS1_3gpuE9ELNS1_3repE0EEENS1_30default_config_static_selectorELNS0_4arch9wavefront6targetE1EEEvSK_,comdat
	.protected	_ZN7rocprim17ROCPRIM_400000_NS6detail17trampoline_kernelINS0_14default_configENS1_22reduce_config_selectorIjEEZNS1_11reduce_implILb1ES3_N6thrust23THRUST_200600_302600_NS6detail15normal_iteratorINS8_10device_ptrIjEEEEPffNS8_4plusIfEEEE10hipError_tPvRmT1_T2_T3_mT4_P12ihipStream_tbEUlT_E0_NS1_11comp_targetILNS1_3genE5ELNS1_11target_archE942ELNS1_3gpuE9ELNS1_3repE0EEENS1_30default_config_static_selectorELNS0_4arch9wavefront6targetE1EEEvSK_ ; -- Begin function _ZN7rocprim17ROCPRIM_400000_NS6detail17trampoline_kernelINS0_14default_configENS1_22reduce_config_selectorIjEEZNS1_11reduce_implILb1ES3_N6thrust23THRUST_200600_302600_NS6detail15normal_iteratorINS8_10device_ptrIjEEEEPffNS8_4plusIfEEEE10hipError_tPvRmT1_T2_T3_mT4_P12ihipStream_tbEUlT_E0_NS1_11comp_targetILNS1_3genE5ELNS1_11target_archE942ELNS1_3gpuE9ELNS1_3repE0EEENS1_30default_config_static_selectorELNS0_4arch9wavefront6targetE1EEEvSK_
	.globl	_ZN7rocprim17ROCPRIM_400000_NS6detail17trampoline_kernelINS0_14default_configENS1_22reduce_config_selectorIjEEZNS1_11reduce_implILb1ES3_N6thrust23THRUST_200600_302600_NS6detail15normal_iteratorINS8_10device_ptrIjEEEEPffNS8_4plusIfEEEE10hipError_tPvRmT1_T2_T3_mT4_P12ihipStream_tbEUlT_E0_NS1_11comp_targetILNS1_3genE5ELNS1_11target_archE942ELNS1_3gpuE9ELNS1_3repE0EEENS1_30default_config_static_selectorELNS0_4arch9wavefront6targetE1EEEvSK_
	.p2align	8
	.type	_ZN7rocprim17ROCPRIM_400000_NS6detail17trampoline_kernelINS0_14default_configENS1_22reduce_config_selectorIjEEZNS1_11reduce_implILb1ES3_N6thrust23THRUST_200600_302600_NS6detail15normal_iteratorINS8_10device_ptrIjEEEEPffNS8_4plusIfEEEE10hipError_tPvRmT1_T2_T3_mT4_P12ihipStream_tbEUlT_E0_NS1_11comp_targetILNS1_3genE5ELNS1_11target_archE942ELNS1_3gpuE9ELNS1_3repE0EEENS1_30default_config_static_selectorELNS0_4arch9wavefront6targetE1EEEvSK_,@function
_ZN7rocprim17ROCPRIM_400000_NS6detail17trampoline_kernelINS0_14default_configENS1_22reduce_config_selectorIjEEZNS1_11reduce_implILb1ES3_N6thrust23THRUST_200600_302600_NS6detail15normal_iteratorINS8_10device_ptrIjEEEEPffNS8_4plusIfEEEE10hipError_tPvRmT1_T2_T3_mT4_P12ihipStream_tbEUlT_E0_NS1_11comp_targetILNS1_3genE5ELNS1_11target_archE942ELNS1_3gpuE9ELNS1_3repE0EEENS1_30default_config_static_selectorELNS0_4arch9wavefront6targetE1EEEvSK_: ; @_ZN7rocprim17ROCPRIM_400000_NS6detail17trampoline_kernelINS0_14default_configENS1_22reduce_config_selectorIjEEZNS1_11reduce_implILb1ES3_N6thrust23THRUST_200600_302600_NS6detail15normal_iteratorINS8_10device_ptrIjEEEEPffNS8_4plusIfEEEE10hipError_tPvRmT1_T2_T3_mT4_P12ihipStream_tbEUlT_E0_NS1_11comp_targetILNS1_3genE5ELNS1_11target_archE942ELNS1_3gpuE9ELNS1_3repE0EEENS1_30default_config_static_selectorELNS0_4arch9wavefront6targetE1EEEvSK_
; %bb.0:
	.section	.rodata,"a",@progbits
	.p2align	6, 0x0
	.amdhsa_kernel _ZN7rocprim17ROCPRIM_400000_NS6detail17trampoline_kernelINS0_14default_configENS1_22reduce_config_selectorIjEEZNS1_11reduce_implILb1ES3_N6thrust23THRUST_200600_302600_NS6detail15normal_iteratorINS8_10device_ptrIjEEEEPffNS8_4plusIfEEEE10hipError_tPvRmT1_T2_T3_mT4_P12ihipStream_tbEUlT_E0_NS1_11comp_targetILNS1_3genE5ELNS1_11target_archE942ELNS1_3gpuE9ELNS1_3repE0EEENS1_30default_config_static_selectorELNS0_4arch9wavefront6targetE1EEEvSK_
		.amdhsa_group_segment_fixed_size 0
		.amdhsa_private_segment_fixed_size 0
		.amdhsa_kernarg_size 56
		.amdhsa_user_sgpr_count 2
		.amdhsa_user_sgpr_dispatch_ptr 0
		.amdhsa_user_sgpr_queue_ptr 0
		.amdhsa_user_sgpr_kernarg_segment_ptr 1
		.amdhsa_user_sgpr_dispatch_id 0
		.amdhsa_user_sgpr_kernarg_preload_length 0
		.amdhsa_user_sgpr_kernarg_preload_offset 0
		.amdhsa_user_sgpr_private_segment_size 0
		.amdhsa_uses_dynamic_stack 0
		.amdhsa_enable_private_segment 0
		.amdhsa_system_sgpr_workgroup_id_x 1
		.amdhsa_system_sgpr_workgroup_id_y 0
		.amdhsa_system_sgpr_workgroup_id_z 0
		.amdhsa_system_sgpr_workgroup_info 0
		.amdhsa_system_vgpr_workitem_id 0
		.amdhsa_next_free_vgpr 1
		.amdhsa_next_free_sgpr 0
		.amdhsa_accum_offset 4
		.amdhsa_reserve_vcc 0
		.amdhsa_float_round_mode_32 0
		.amdhsa_float_round_mode_16_64 0
		.amdhsa_float_denorm_mode_32 3
		.amdhsa_float_denorm_mode_16_64 3
		.amdhsa_dx10_clamp 1
		.amdhsa_ieee_mode 1
		.amdhsa_fp16_overflow 0
		.amdhsa_tg_split 0
		.amdhsa_exception_fp_ieee_invalid_op 0
		.amdhsa_exception_fp_denorm_src 0
		.amdhsa_exception_fp_ieee_div_zero 0
		.amdhsa_exception_fp_ieee_overflow 0
		.amdhsa_exception_fp_ieee_underflow 0
		.amdhsa_exception_fp_ieee_inexact 0
		.amdhsa_exception_int_div_zero 0
	.end_amdhsa_kernel
	.section	.text._ZN7rocprim17ROCPRIM_400000_NS6detail17trampoline_kernelINS0_14default_configENS1_22reduce_config_selectorIjEEZNS1_11reduce_implILb1ES3_N6thrust23THRUST_200600_302600_NS6detail15normal_iteratorINS8_10device_ptrIjEEEEPffNS8_4plusIfEEEE10hipError_tPvRmT1_T2_T3_mT4_P12ihipStream_tbEUlT_E0_NS1_11comp_targetILNS1_3genE5ELNS1_11target_archE942ELNS1_3gpuE9ELNS1_3repE0EEENS1_30default_config_static_selectorELNS0_4arch9wavefront6targetE1EEEvSK_,"axG",@progbits,_ZN7rocprim17ROCPRIM_400000_NS6detail17trampoline_kernelINS0_14default_configENS1_22reduce_config_selectorIjEEZNS1_11reduce_implILb1ES3_N6thrust23THRUST_200600_302600_NS6detail15normal_iteratorINS8_10device_ptrIjEEEEPffNS8_4plusIfEEEE10hipError_tPvRmT1_T2_T3_mT4_P12ihipStream_tbEUlT_E0_NS1_11comp_targetILNS1_3genE5ELNS1_11target_archE942ELNS1_3gpuE9ELNS1_3repE0EEENS1_30default_config_static_selectorELNS0_4arch9wavefront6targetE1EEEvSK_,comdat
.Lfunc_end406:
	.size	_ZN7rocprim17ROCPRIM_400000_NS6detail17trampoline_kernelINS0_14default_configENS1_22reduce_config_selectorIjEEZNS1_11reduce_implILb1ES3_N6thrust23THRUST_200600_302600_NS6detail15normal_iteratorINS8_10device_ptrIjEEEEPffNS8_4plusIfEEEE10hipError_tPvRmT1_T2_T3_mT4_P12ihipStream_tbEUlT_E0_NS1_11comp_targetILNS1_3genE5ELNS1_11target_archE942ELNS1_3gpuE9ELNS1_3repE0EEENS1_30default_config_static_selectorELNS0_4arch9wavefront6targetE1EEEvSK_, .Lfunc_end406-_ZN7rocprim17ROCPRIM_400000_NS6detail17trampoline_kernelINS0_14default_configENS1_22reduce_config_selectorIjEEZNS1_11reduce_implILb1ES3_N6thrust23THRUST_200600_302600_NS6detail15normal_iteratorINS8_10device_ptrIjEEEEPffNS8_4plusIfEEEE10hipError_tPvRmT1_T2_T3_mT4_P12ihipStream_tbEUlT_E0_NS1_11comp_targetILNS1_3genE5ELNS1_11target_archE942ELNS1_3gpuE9ELNS1_3repE0EEENS1_30default_config_static_selectorELNS0_4arch9wavefront6targetE1EEEvSK_
                                        ; -- End function
	.set _ZN7rocprim17ROCPRIM_400000_NS6detail17trampoline_kernelINS0_14default_configENS1_22reduce_config_selectorIjEEZNS1_11reduce_implILb1ES3_N6thrust23THRUST_200600_302600_NS6detail15normal_iteratorINS8_10device_ptrIjEEEEPffNS8_4plusIfEEEE10hipError_tPvRmT1_T2_T3_mT4_P12ihipStream_tbEUlT_E0_NS1_11comp_targetILNS1_3genE5ELNS1_11target_archE942ELNS1_3gpuE9ELNS1_3repE0EEENS1_30default_config_static_selectorELNS0_4arch9wavefront6targetE1EEEvSK_.num_vgpr, 0
	.set _ZN7rocprim17ROCPRIM_400000_NS6detail17trampoline_kernelINS0_14default_configENS1_22reduce_config_selectorIjEEZNS1_11reduce_implILb1ES3_N6thrust23THRUST_200600_302600_NS6detail15normal_iteratorINS8_10device_ptrIjEEEEPffNS8_4plusIfEEEE10hipError_tPvRmT1_T2_T3_mT4_P12ihipStream_tbEUlT_E0_NS1_11comp_targetILNS1_3genE5ELNS1_11target_archE942ELNS1_3gpuE9ELNS1_3repE0EEENS1_30default_config_static_selectorELNS0_4arch9wavefront6targetE1EEEvSK_.num_agpr, 0
	.set _ZN7rocprim17ROCPRIM_400000_NS6detail17trampoline_kernelINS0_14default_configENS1_22reduce_config_selectorIjEEZNS1_11reduce_implILb1ES3_N6thrust23THRUST_200600_302600_NS6detail15normal_iteratorINS8_10device_ptrIjEEEEPffNS8_4plusIfEEEE10hipError_tPvRmT1_T2_T3_mT4_P12ihipStream_tbEUlT_E0_NS1_11comp_targetILNS1_3genE5ELNS1_11target_archE942ELNS1_3gpuE9ELNS1_3repE0EEENS1_30default_config_static_selectorELNS0_4arch9wavefront6targetE1EEEvSK_.numbered_sgpr, 0
	.set _ZN7rocprim17ROCPRIM_400000_NS6detail17trampoline_kernelINS0_14default_configENS1_22reduce_config_selectorIjEEZNS1_11reduce_implILb1ES3_N6thrust23THRUST_200600_302600_NS6detail15normal_iteratorINS8_10device_ptrIjEEEEPffNS8_4plusIfEEEE10hipError_tPvRmT1_T2_T3_mT4_P12ihipStream_tbEUlT_E0_NS1_11comp_targetILNS1_3genE5ELNS1_11target_archE942ELNS1_3gpuE9ELNS1_3repE0EEENS1_30default_config_static_selectorELNS0_4arch9wavefront6targetE1EEEvSK_.num_named_barrier, 0
	.set _ZN7rocprim17ROCPRIM_400000_NS6detail17trampoline_kernelINS0_14default_configENS1_22reduce_config_selectorIjEEZNS1_11reduce_implILb1ES3_N6thrust23THRUST_200600_302600_NS6detail15normal_iteratorINS8_10device_ptrIjEEEEPffNS8_4plusIfEEEE10hipError_tPvRmT1_T2_T3_mT4_P12ihipStream_tbEUlT_E0_NS1_11comp_targetILNS1_3genE5ELNS1_11target_archE942ELNS1_3gpuE9ELNS1_3repE0EEENS1_30default_config_static_selectorELNS0_4arch9wavefront6targetE1EEEvSK_.private_seg_size, 0
	.set _ZN7rocprim17ROCPRIM_400000_NS6detail17trampoline_kernelINS0_14default_configENS1_22reduce_config_selectorIjEEZNS1_11reduce_implILb1ES3_N6thrust23THRUST_200600_302600_NS6detail15normal_iteratorINS8_10device_ptrIjEEEEPffNS8_4plusIfEEEE10hipError_tPvRmT1_T2_T3_mT4_P12ihipStream_tbEUlT_E0_NS1_11comp_targetILNS1_3genE5ELNS1_11target_archE942ELNS1_3gpuE9ELNS1_3repE0EEENS1_30default_config_static_selectorELNS0_4arch9wavefront6targetE1EEEvSK_.uses_vcc, 0
	.set _ZN7rocprim17ROCPRIM_400000_NS6detail17trampoline_kernelINS0_14default_configENS1_22reduce_config_selectorIjEEZNS1_11reduce_implILb1ES3_N6thrust23THRUST_200600_302600_NS6detail15normal_iteratorINS8_10device_ptrIjEEEEPffNS8_4plusIfEEEE10hipError_tPvRmT1_T2_T3_mT4_P12ihipStream_tbEUlT_E0_NS1_11comp_targetILNS1_3genE5ELNS1_11target_archE942ELNS1_3gpuE9ELNS1_3repE0EEENS1_30default_config_static_selectorELNS0_4arch9wavefront6targetE1EEEvSK_.uses_flat_scratch, 0
	.set _ZN7rocprim17ROCPRIM_400000_NS6detail17trampoline_kernelINS0_14default_configENS1_22reduce_config_selectorIjEEZNS1_11reduce_implILb1ES3_N6thrust23THRUST_200600_302600_NS6detail15normal_iteratorINS8_10device_ptrIjEEEEPffNS8_4plusIfEEEE10hipError_tPvRmT1_T2_T3_mT4_P12ihipStream_tbEUlT_E0_NS1_11comp_targetILNS1_3genE5ELNS1_11target_archE942ELNS1_3gpuE9ELNS1_3repE0EEENS1_30default_config_static_selectorELNS0_4arch9wavefront6targetE1EEEvSK_.has_dyn_sized_stack, 0
	.set _ZN7rocprim17ROCPRIM_400000_NS6detail17trampoline_kernelINS0_14default_configENS1_22reduce_config_selectorIjEEZNS1_11reduce_implILb1ES3_N6thrust23THRUST_200600_302600_NS6detail15normal_iteratorINS8_10device_ptrIjEEEEPffNS8_4plusIfEEEE10hipError_tPvRmT1_T2_T3_mT4_P12ihipStream_tbEUlT_E0_NS1_11comp_targetILNS1_3genE5ELNS1_11target_archE942ELNS1_3gpuE9ELNS1_3repE0EEENS1_30default_config_static_selectorELNS0_4arch9wavefront6targetE1EEEvSK_.has_recursion, 0
	.set _ZN7rocprim17ROCPRIM_400000_NS6detail17trampoline_kernelINS0_14default_configENS1_22reduce_config_selectorIjEEZNS1_11reduce_implILb1ES3_N6thrust23THRUST_200600_302600_NS6detail15normal_iteratorINS8_10device_ptrIjEEEEPffNS8_4plusIfEEEE10hipError_tPvRmT1_T2_T3_mT4_P12ihipStream_tbEUlT_E0_NS1_11comp_targetILNS1_3genE5ELNS1_11target_archE942ELNS1_3gpuE9ELNS1_3repE0EEENS1_30default_config_static_selectorELNS0_4arch9wavefront6targetE1EEEvSK_.has_indirect_call, 0
	.section	.AMDGPU.csdata,"",@progbits
; Kernel info:
; codeLenInByte = 0
; TotalNumSgprs: 6
; NumVgprs: 0
; NumAgprs: 0
; TotalNumVgprs: 0
; ScratchSize: 0
; MemoryBound: 0
; FloatMode: 240
; IeeeMode: 1
; LDSByteSize: 0 bytes/workgroup (compile time only)
; SGPRBlocks: 0
; VGPRBlocks: 0
; NumSGPRsForWavesPerEU: 6
; NumVGPRsForWavesPerEU: 1
; AccumOffset: 4
; Occupancy: 8
; WaveLimiterHint : 0
; COMPUTE_PGM_RSRC2:SCRATCH_EN: 0
; COMPUTE_PGM_RSRC2:USER_SGPR: 2
; COMPUTE_PGM_RSRC2:TRAP_HANDLER: 0
; COMPUTE_PGM_RSRC2:TGID_X_EN: 1
; COMPUTE_PGM_RSRC2:TGID_Y_EN: 0
; COMPUTE_PGM_RSRC2:TGID_Z_EN: 0
; COMPUTE_PGM_RSRC2:TIDIG_COMP_CNT: 0
; COMPUTE_PGM_RSRC3_GFX90A:ACCUM_OFFSET: 0
; COMPUTE_PGM_RSRC3_GFX90A:TG_SPLIT: 0
	.section	.text._ZN7rocprim17ROCPRIM_400000_NS6detail17trampoline_kernelINS0_14default_configENS1_22reduce_config_selectorIjEEZNS1_11reduce_implILb1ES3_N6thrust23THRUST_200600_302600_NS6detail15normal_iteratorINS8_10device_ptrIjEEEEPffNS8_4plusIfEEEE10hipError_tPvRmT1_T2_T3_mT4_P12ihipStream_tbEUlT_E0_NS1_11comp_targetILNS1_3genE4ELNS1_11target_archE910ELNS1_3gpuE8ELNS1_3repE0EEENS1_30default_config_static_selectorELNS0_4arch9wavefront6targetE1EEEvSK_,"axG",@progbits,_ZN7rocprim17ROCPRIM_400000_NS6detail17trampoline_kernelINS0_14default_configENS1_22reduce_config_selectorIjEEZNS1_11reduce_implILb1ES3_N6thrust23THRUST_200600_302600_NS6detail15normal_iteratorINS8_10device_ptrIjEEEEPffNS8_4plusIfEEEE10hipError_tPvRmT1_T2_T3_mT4_P12ihipStream_tbEUlT_E0_NS1_11comp_targetILNS1_3genE4ELNS1_11target_archE910ELNS1_3gpuE8ELNS1_3repE0EEENS1_30default_config_static_selectorELNS0_4arch9wavefront6targetE1EEEvSK_,comdat
	.protected	_ZN7rocprim17ROCPRIM_400000_NS6detail17trampoline_kernelINS0_14default_configENS1_22reduce_config_selectorIjEEZNS1_11reduce_implILb1ES3_N6thrust23THRUST_200600_302600_NS6detail15normal_iteratorINS8_10device_ptrIjEEEEPffNS8_4plusIfEEEE10hipError_tPvRmT1_T2_T3_mT4_P12ihipStream_tbEUlT_E0_NS1_11comp_targetILNS1_3genE4ELNS1_11target_archE910ELNS1_3gpuE8ELNS1_3repE0EEENS1_30default_config_static_selectorELNS0_4arch9wavefront6targetE1EEEvSK_ ; -- Begin function _ZN7rocprim17ROCPRIM_400000_NS6detail17trampoline_kernelINS0_14default_configENS1_22reduce_config_selectorIjEEZNS1_11reduce_implILb1ES3_N6thrust23THRUST_200600_302600_NS6detail15normal_iteratorINS8_10device_ptrIjEEEEPffNS8_4plusIfEEEE10hipError_tPvRmT1_T2_T3_mT4_P12ihipStream_tbEUlT_E0_NS1_11comp_targetILNS1_3genE4ELNS1_11target_archE910ELNS1_3gpuE8ELNS1_3repE0EEENS1_30default_config_static_selectorELNS0_4arch9wavefront6targetE1EEEvSK_
	.globl	_ZN7rocprim17ROCPRIM_400000_NS6detail17trampoline_kernelINS0_14default_configENS1_22reduce_config_selectorIjEEZNS1_11reduce_implILb1ES3_N6thrust23THRUST_200600_302600_NS6detail15normal_iteratorINS8_10device_ptrIjEEEEPffNS8_4plusIfEEEE10hipError_tPvRmT1_T2_T3_mT4_P12ihipStream_tbEUlT_E0_NS1_11comp_targetILNS1_3genE4ELNS1_11target_archE910ELNS1_3gpuE8ELNS1_3repE0EEENS1_30default_config_static_selectorELNS0_4arch9wavefront6targetE1EEEvSK_
	.p2align	8
	.type	_ZN7rocprim17ROCPRIM_400000_NS6detail17trampoline_kernelINS0_14default_configENS1_22reduce_config_selectorIjEEZNS1_11reduce_implILb1ES3_N6thrust23THRUST_200600_302600_NS6detail15normal_iteratorINS8_10device_ptrIjEEEEPffNS8_4plusIfEEEE10hipError_tPvRmT1_T2_T3_mT4_P12ihipStream_tbEUlT_E0_NS1_11comp_targetILNS1_3genE4ELNS1_11target_archE910ELNS1_3gpuE8ELNS1_3repE0EEENS1_30default_config_static_selectorELNS0_4arch9wavefront6targetE1EEEvSK_,@function
_ZN7rocprim17ROCPRIM_400000_NS6detail17trampoline_kernelINS0_14default_configENS1_22reduce_config_selectorIjEEZNS1_11reduce_implILb1ES3_N6thrust23THRUST_200600_302600_NS6detail15normal_iteratorINS8_10device_ptrIjEEEEPffNS8_4plusIfEEEE10hipError_tPvRmT1_T2_T3_mT4_P12ihipStream_tbEUlT_E0_NS1_11comp_targetILNS1_3genE4ELNS1_11target_archE910ELNS1_3gpuE8ELNS1_3repE0EEENS1_30default_config_static_selectorELNS0_4arch9wavefront6targetE1EEEvSK_: ; @_ZN7rocprim17ROCPRIM_400000_NS6detail17trampoline_kernelINS0_14default_configENS1_22reduce_config_selectorIjEEZNS1_11reduce_implILb1ES3_N6thrust23THRUST_200600_302600_NS6detail15normal_iteratorINS8_10device_ptrIjEEEEPffNS8_4plusIfEEEE10hipError_tPvRmT1_T2_T3_mT4_P12ihipStream_tbEUlT_E0_NS1_11comp_targetILNS1_3genE4ELNS1_11target_archE910ELNS1_3gpuE8ELNS1_3repE0EEENS1_30default_config_static_selectorELNS0_4arch9wavefront6targetE1EEEvSK_
; %bb.0:
	.section	.rodata,"a",@progbits
	.p2align	6, 0x0
	.amdhsa_kernel _ZN7rocprim17ROCPRIM_400000_NS6detail17trampoline_kernelINS0_14default_configENS1_22reduce_config_selectorIjEEZNS1_11reduce_implILb1ES3_N6thrust23THRUST_200600_302600_NS6detail15normal_iteratorINS8_10device_ptrIjEEEEPffNS8_4plusIfEEEE10hipError_tPvRmT1_T2_T3_mT4_P12ihipStream_tbEUlT_E0_NS1_11comp_targetILNS1_3genE4ELNS1_11target_archE910ELNS1_3gpuE8ELNS1_3repE0EEENS1_30default_config_static_selectorELNS0_4arch9wavefront6targetE1EEEvSK_
		.amdhsa_group_segment_fixed_size 0
		.amdhsa_private_segment_fixed_size 0
		.amdhsa_kernarg_size 56
		.amdhsa_user_sgpr_count 2
		.amdhsa_user_sgpr_dispatch_ptr 0
		.amdhsa_user_sgpr_queue_ptr 0
		.amdhsa_user_sgpr_kernarg_segment_ptr 1
		.amdhsa_user_sgpr_dispatch_id 0
		.amdhsa_user_sgpr_kernarg_preload_length 0
		.amdhsa_user_sgpr_kernarg_preload_offset 0
		.amdhsa_user_sgpr_private_segment_size 0
		.amdhsa_uses_dynamic_stack 0
		.amdhsa_enable_private_segment 0
		.amdhsa_system_sgpr_workgroup_id_x 1
		.amdhsa_system_sgpr_workgroup_id_y 0
		.amdhsa_system_sgpr_workgroup_id_z 0
		.amdhsa_system_sgpr_workgroup_info 0
		.amdhsa_system_vgpr_workitem_id 0
		.amdhsa_next_free_vgpr 1
		.amdhsa_next_free_sgpr 0
		.amdhsa_accum_offset 4
		.amdhsa_reserve_vcc 0
		.amdhsa_float_round_mode_32 0
		.amdhsa_float_round_mode_16_64 0
		.amdhsa_float_denorm_mode_32 3
		.amdhsa_float_denorm_mode_16_64 3
		.amdhsa_dx10_clamp 1
		.amdhsa_ieee_mode 1
		.amdhsa_fp16_overflow 0
		.amdhsa_tg_split 0
		.amdhsa_exception_fp_ieee_invalid_op 0
		.amdhsa_exception_fp_denorm_src 0
		.amdhsa_exception_fp_ieee_div_zero 0
		.amdhsa_exception_fp_ieee_overflow 0
		.amdhsa_exception_fp_ieee_underflow 0
		.amdhsa_exception_fp_ieee_inexact 0
		.amdhsa_exception_int_div_zero 0
	.end_amdhsa_kernel
	.section	.text._ZN7rocprim17ROCPRIM_400000_NS6detail17trampoline_kernelINS0_14default_configENS1_22reduce_config_selectorIjEEZNS1_11reduce_implILb1ES3_N6thrust23THRUST_200600_302600_NS6detail15normal_iteratorINS8_10device_ptrIjEEEEPffNS8_4plusIfEEEE10hipError_tPvRmT1_T2_T3_mT4_P12ihipStream_tbEUlT_E0_NS1_11comp_targetILNS1_3genE4ELNS1_11target_archE910ELNS1_3gpuE8ELNS1_3repE0EEENS1_30default_config_static_selectorELNS0_4arch9wavefront6targetE1EEEvSK_,"axG",@progbits,_ZN7rocprim17ROCPRIM_400000_NS6detail17trampoline_kernelINS0_14default_configENS1_22reduce_config_selectorIjEEZNS1_11reduce_implILb1ES3_N6thrust23THRUST_200600_302600_NS6detail15normal_iteratorINS8_10device_ptrIjEEEEPffNS8_4plusIfEEEE10hipError_tPvRmT1_T2_T3_mT4_P12ihipStream_tbEUlT_E0_NS1_11comp_targetILNS1_3genE4ELNS1_11target_archE910ELNS1_3gpuE8ELNS1_3repE0EEENS1_30default_config_static_selectorELNS0_4arch9wavefront6targetE1EEEvSK_,comdat
.Lfunc_end407:
	.size	_ZN7rocprim17ROCPRIM_400000_NS6detail17trampoline_kernelINS0_14default_configENS1_22reduce_config_selectorIjEEZNS1_11reduce_implILb1ES3_N6thrust23THRUST_200600_302600_NS6detail15normal_iteratorINS8_10device_ptrIjEEEEPffNS8_4plusIfEEEE10hipError_tPvRmT1_T2_T3_mT4_P12ihipStream_tbEUlT_E0_NS1_11comp_targetILNS1_3genE4ELNS1_11target_archE910ELNS1_3gpuE8ELNS1_3repE0EEENS1_30default_config_static_selectorELNS0_4arch9wavefront6targetE1EEEvSK_, .Lfunc_end407-_ZN7rocprim17ROCPRIM_400000_NS6detail17trampoline_kernelINS0_14default_configENS1_22reduce_config_selectorIjEEZNS1_11reduce_implILb1ES3_N6thrust23THRUST_200600_302600_NS6detail15normal_iteratorINS8_10device_ptrIjEEEEPffNS8_4plusIfEEEE10hipError_tPvRmT1_T2_T3_mT4_P12ihipStream_tbEUlT_E0_NS1_11comp_targetILNS1_3genE4ELNS1_11target_archE910ELNS1_3gpuE8ELNS1_3repE0EEENS1_30default_config_static_selectorELNS0_4arch9wavefront6targetE1EEEvSK_
                                        ; -- End function
	.set _ZN7rocprim17ROCPRIM_400000_NS6detail17trampoline_kernelINS0_14default_configENS1_22reduce_config_selectorIjEEZNS1_11reduce_implILb1ES3_N6thrust23THRUST_200600_302600_NS6detail15normal_iteratorINS8_10device_ptrIjEEEEPffNS8_4plusIfEEEE10hipError_tPvRmT1_T2_T3_mT4_P12ihipStream_tbEUlT_E0_NS1_11comp_targetILNS1_3genE4ELNS1_11target_archE910ELNS1_3gpuE8ELNS1_3repE0EEENS1_30default_config_static_selectorELNS0_4arch9wavefront6targetE1EEEvSK_.num_vgpr, 0
	.set _ZN7rocprim17ROCPRIM_400000_NS6detail17trampoline_kernelINS0_14default_configENS1_22reduce_config_selectorIjEEZNS1_11reduce_implILb1ES3_N6thrust23THRUST_200600_302600_NS6detail15normal_iteratorINS8_10device_ptrIjEEEEPffNS8_4plusIfEEEE10hipError_tPvRmT1_T2_T3_mT4_P12ihipStream_tbEUlT_E0_NS1_11comp_targetILNS1_3genE4ELNS1_11target_archE910ELNS1_3gpuE8ELNS1_3repE0EEENS1_30default_config_static_selectorELNS0_4arch9wavefront6targetE1EEEvSK_.num_agpr, 0
	.set _ZN7rocprim17ROCPRIM_400000_NS6detail17trampoline_kernelINS0_14default_configENS1_22reduce_config_selectorIjEEZNS1_11reduce_implILb1ES3_N6thrust23THRUST_200600_302600_NS6detail15normal_iteratorINS8_10device_ptrIjEEEEPffNS8_4plusIfEEEE10hipError_tPvRmT1_T2_T3_mT4_P12ihipStream_tbEUlT_E0_NS1_11comp_targetILNS1_3genE4ELNS1_11target_archE910ELNS1_3gpuE8ELNS1_3repE0EEENS1_30default_config_static_selectorELNS0_4arch9wavefront6targetE1EEEvSK_.numbered_sgpr, 0
	.set _ZN7rocprim17ROCPRIM_400000_NS6detail17trampoline_kernelINS0_14default_configENS1_22reduce_config_selectorIjEEZNS1_11reduce_implILb1ES3_N6thrust23THRUST_200600_302600_NS6detail15normal_iteratorINS8_10device_ptrIjEEEEPffNS8_4plusIfEEEE10hipError_tPvRmT1_T2_T3_mT4_P12ihipStream_tbEUlT_E0_NS1_11comp_targetILNS1_3genE4ELNS1_11target_archE910ELNS1_3gpuE8ELNS1_3repE0EEENS1_30default_config_static_selectorELNS0_4arch9wavefront6targetE1EEEvSK_.num_named_barrier, 0
	.set _ZN7rocprim17ROCPRIM_400000_NS6detail17trampoline_kernelINS0_14default_configENS1_22reduce_config_selectorIjEEZNS1_11reduce_implILb1ES3_N6thrust23THRUST_200600_302600_NS6detail15normal_iteratorINS8_10device_ptrIjEEEEPffNS8_4plusIfEEEE10hipError_tPvRmT1_T2_T3_mT4_P12ihipStream_tbEUlT_E0_NS1_11comp_targetILNS1_3genE4ELNS1_11target_archE910ELNS1_3gpuE8ELNS1_3repE0EEENS1_30default_config_static_selectorELNS0_4arch9wavefront6targetE1EEEvSK_.private_seg_size, 0
	.set _ZN7rocprim17ROCPRIM_400000_NS6detail17trampoline_kernelINS0_14default_configENS1_22reduce_config_selectorIjEEZNS1_11reduce_implILb1ES3_N6thrust23THRUST_200600_302600_NS6detail15normal_iteratorINS8_10device_ptrIjEEEEPffNS8_4plusIfEEEE10hipError_tPvRmT1_T2_T3_mT4_P12ihipStream_tbEUlT_E0_NS1_11comp_targetILNS1_3genE4ELNS1_11target_archE910ELNS1_3gpuE8ELNS1_3repE0EEENS1_30default_config_static_selectorELNS0_4arch9wavefront6targetE1EEEvSK_.uses_vcc, 0
	.set _ZN7rocprim17ROCPRIM_400000_NS6detail17trampoline_kernelINS0_14default_configENS1_22reduce_config_selectorIjEEZNS1_11reduce_implILb1ES3_N6thrust23THRUST_200600_302600_NS6detail15normal_iteratorINS8_10device_ptrIjEEEEPffNS8_4plusIfEEEE10hipError_tPvRmT1_T2_T3_mT4_P12ihipStream_tbEUlT_E0_NS1_11comp_targetILNS1_3genE4ELNS1_11target_archE910ELNS1_3gpuE8ELNS1_3repE0EEENS1_30default_config_static_selectorELNS0_4arch9wavefront6targetE1EEEvSK_.uses_flat_scratch, 0
	.set _ZN7rocprim17ROCPRIM_400000_NS6detail17trampoline_kernelINS0_14default_configENS1_22reduce_config_selectorIjEEZNS1_11reduce_implILb1ES3_N6thrust23THRUST_200600_302600_NS6detail15normal_iteratorINS8_10device_ptrIjEEEEPffNS8_4plusIfEEEE10hipError_tPvRmT1_T2_T3_mT4_P12ihipStream_tbEUlT_E0_NS1_11comp_targetILNS1_3genE4ELNS1_11target_archE910ELNS1_3gpuE8ELNS1_3repE0EEENS1_30default_config_static_selectorELNS0_4arch9wavefront6targetE1EEEvSK_.has_dyn_sized_stack, 0
	.set _ZN7rocprim17ROCPRIM_400000_NS6detail17trampoline_kernelINS0_14default_configENS1_22reduce_config_selectorIjEEZNS1_11reduce_implILb1ES3_N6thrust23THRUST_200600_302600_NS6detail15normal_iteratorINS8_10device_ptrIjEEEEPffNS8_4plusIfEEEE10hipError_tPvRmT1_T2_T3_mT4_P12ihipStream_tbEUlT_E0_NS1_11comp_targetILNS1_3genE4ELNS1_11target_archE910ELNS1_3gpuE8ELNS1_3repE0EEENS1_30default_config_static_selectorELNS0_4arch9wavefront6targetE1EEEvSK_.has_recursion, 0
	.set _ZN7rocprim17ROCPRIM_400000_NS6detail17trampoline_kernelINS0_14default_configENS1_22reduce_config_selectorIjEEZNS1_11reduce_implILb1ES3_N6thrust23THRUST_200600_302600_NS6detail15normal_iteratorINS8_10device_ptrIjEEEEPffNS8_4plusIfEEEE10hipError_tPvRmT1_T2_T3_mT4_P12ihipStream_tbEUlT_E0_NS1_11comp_targetILNS1_3genE4ELNS1_11target_archE910ELNS1_3gpuE8ELNS1_3repE0EEENS1_30default_config_static_selectorELNS0_4arch9wavefront6targetE1EEEvSK_.has_indirect_call, 0
	.section	.AMDGPU.csdata,"",@progbits
; Kernel info:
; codeLenInByte = 0
; TotalNumSgprs: 6
; NumVgprs: 0
; NumAgprs: 0
; TotalNumVgprs: 0
; ScratchSize: 0
; MemoryBound: 0
; FloatMode: 240
; IeeeMode: 1
; LDSByteSize: 0 bytes/workgroup (compile time only)
; SGPRBlocks: 0
; VGPRBlocks: 0
; NumSGPRsForWavesPerEU: 6
; NumVGPRsForWavesPerEU: 1
; AccumOffset: 4
; Occupancy: 8
; WaveLimiterHint : 0
; COMPUTE_PGM_RSRC2:SCRATCH_EN: 0
; COMPUTE_PGM_RSRC2:USER_SGPR: 2
; COMPUTE_PGM_RSRC2:TRAP_HANDLER: 0
; COMPUTE_PGM_RSRC2:TGID_X_EN: 1
; COMPUTE_PGM_RSRC2:TGID_Y_EN: 0
; COMPUTE_PGM_RSRC2:TGID_Z_EN: 0
; COMPUTE_PGM_RSRC2:TIDIG_COMP_CNT: 0
; COMPUTE_PGM_RSRC3_GFX90A:ACCUM_OFFSET: 0
; COMPUTE_PGM_RSRC3_GFX90A:TG_SPLIT: 0
	.section	.text._ZN7rocprim17ROCPRIM_400000_NS6detail17trampoline_kernelINS0_14default_configENS1_22reduce_config_selectorIjEEZNS1_11reduce_implILb1ES3_N6thrust23THRUST_200600_302600_NS6detail15normal_iteratorINS8_10device_ptrIjEEEEPffNS8_4plusIfEEEE10hipError_tPvRmT1_T2_T3_mT4_P12ihipStream_tbEUlT_E0_NS1_11comp_targetILNS1_3genE3ELNS1_11target_archE908ELNS1_3gpuE7ELNS1_3repE0EEENS1_30default_config_static_selectorELNS0_4arch9wavefront6targetE1EEEvSK_,"axG",@progbits,_ZN7rocprim17ROCPRIM_400000_NS6detail17trampoline_kernelINS0_14default_configENS1_22reduce_config_selectorIjEEZNS1_11reduce_implILb1ES3_N6thrust23THRUST_200600_302600_NS6detail15normal_iteratorINS8_10device_ptrIjEEEEPffNS8_4plusIfEEEE10hipError_tPvRmT1_T2_T3_mT4_P12ihipStream_tbEUlT_E0_NS1_11comp_targetILNS1_3genE3ELNS1_11target_archE908ELNS1_3gpuE7ELNS1_3repE0EEENS1_30default_config_static_selectorELNS0_4arch9wavefront6targetE1EEEvSK_,comdat
	.protected	_ZN7rocprim17ROCPRIM_400000_NS6detail17trampoline_kernelINS0_14default_configENS1_22reduce_config_selectorIjEEZNS1_11reduce_implILb1ES3_N6thrust23THRUST_200600_302600_NS6detail15normal_iteratorINS8_10device_ptrIjEEEEPffNS8_4plusIfEEEE10hipError_tPvRmT1_T2_T3_mT4_P12ihipStream_tbEUlT_E0_NS1_11comp_targetILNS1_3genE3ELNS1_11target_archE908ELNS1_3gpuE7ELNS1_3repE0EEENS1_30default_config_static_selectorELNS0_4arch9wavefront6targetE1EEEvSK_ ; -- Begin function _ZN7rocprim17ROCPRIM_400000_NS6detail17trampoline_kernelINS0_14default_configENS1_22reduce_config_selectorIjEEZNS1_11reduce_implILb1ES3_N6thrust23THRUST_200600_302600_NS6detail15normal_iteratorINS8_10device_ptrIjEEEEPffNS8_4plusIfEEEE10hipError_tPvRmT1_T2_T3_mT4_P12ihipStream_tbEUlT_E0_NS1_11comp_targetILNS1_3genE3ELNS1_11target_archE908ELNS1_3gpuE7ELNS1_3repE0EEENS1_30default_config_static_selectorELNS0_4arch9wavefront6targetE1EEEvSK_
	.globl	_ZN7rocprim17ROCPRIM_400000_NS6detail17trampoline_kernelINS0_14default_configENS1_22reduce_config_selectorIjEEZNS1_11reduce_implILb1ES3_N6thrust23THRUST_200600_302600_NS6detail15normal_iteratorINS8_10device_ptrIjEEEEPffNS8_4plusIfEEEE10hipError_tPvRmT1_T2_T3_mT4_P12ihipStream_tbEUlT_E0_NS1_11comp_targetILNS1_3genE3ELNS1_11target_archE908ELNS1_3gpuE7ELNS1_3repE0EEENS1_30default_config_static_selectorELNS0_4arch9wavefront6targetE1EEEvSK_
	.p2align	8
	.type	_ZN7rocprim17ROCPRIM_400000_NS6detail17trampoline_kernelINS0_14default_configENS1_22reduce_config_selectorIjEEZNS1_11reduce_implILb1ES3_N6thrust23THRUST_200600_302600_NS6detail15normal_iteratorINS8_10device_ptrIjEEEEPffNS8_4plusIfEEEE10hipError_tPvRmT1_T2_T3_mT4_P12ihipStream_tbEUlT_E0_NS1_11comp_targetILNS1_3genE3ELNS1_11target_archE908ELNS1_3gpuE7ELNS1_3repE0EEENS1_30default_config_static_selectorELNS0_4arch9wavefront6targetE1EEEvSK_,@function
_ZN7rocprim17ROCPRIM_400000_NS6detail17trampoline_kernelINS0_14default_configENS1_22reduce_config_selectorIjEEZNS1_11reduce_implILb1ES3_N6thrust23THRUST_200600_302600_NS6detail15normal_iteratorINS8_10device_ptrIjEEEEPffNS8_4plusIfEEEE10hipError_tPvRmT1_T2_T3_mT4_P12ihipStream_tbEUlT_E0_NS1_11comp_targetILNS1_3genE3ELNS1_11target_archE908ELNS1_3gpuE7ELNS1_3repE0EEENS1_30default_config_static_selectorELNS0_4arch9wavefront6targetE1EEEvSK_: ; @_ZN7rocprim17ROCPRIM_400000_NS6detail17trampoline_kernelINS0_14default_configENS1_22reduce_config_selectorIjEEZNS1_11reduce_implILb1ES3_N6thrust23THRUST_200600_302600_NS6detail15normal_iteratorINS8_10device_ptrIjEEEEPffNS8_4plusIfEEEE10hipError_tPvRmT1_T2_T3_mT4_P12ihipStream_tbEUlT_E0_NS1_11comp_targetILNS1_3genE3ELNS1_11target_archE908ELNS1_3gpuE7ELNS1_3repE0EEENS1_30default_config_static_selectorELNS0_4arch9wavefront6targetE1EEEvSK_
; %bb.0:
	.section	.rodata,"a",@progbits
	.p2align	6, 0x0
	.amdhsa_kernel _ZN7rocprim17ROCPRIM_400000_NS6detail17trampoline_kernelINS0_14default_configENS1_22reduce_config_selectorIjEEZNS1_11reduce_implILb1ES3_N6thrust23THRUST_200600_302600_NS6detail15normal_iteratorINS8_10device_ptrIjEEEEPffNS8_4plusIfEEEE10hipError_tPvRmT1_T2_T3_mT4_P12ihipStream_tbEUlT_E0_NS1_11comp_targetILNS1_3genE3ELNS1_11target_archE908ELNS1_3gpuE7ELNS1_3repE0EEENS1_30default_config_static_selectorELNS0_4arch9wavefront6targetE1EEEvSK_
		.amdhsa_group_segment_fixed_size 0
		.amdhsa_private_segment_fixed_size 0
		.amdhsa_kernarg_size 56
		.amdhsa_user_sgpr_count 2
		.amdhsa_user_sgpr_dispatch_ptr 0
		.amdhsa_user_sgpr_queue_ptr 0
		.amdhsa_user_sgpr_kernarg_segment_ptr 1
		.amdhsa_user_sgpr_dispatch_id 0
		.amdhsa_user_sgpr_kernarg_preload_length 0
		.amdhsa_user_sgpr_kernarg_preload_offset 0
		.amdhsa_user_sgpr_private_segment_size 0
		.amdhsa_uses_dynamic_stack 0
		.amdhsa_enable_private_segment 0
		.amdhsa_system_sgpr_workgroup_id_x 1
		.amdhsa_system_sgpr_workgroup_id_y 0
		.amdhsa_system_sgpr_workgroup_id_z 0
		.amdhsa_system_sgpr_workgroup_info 0
		.amdhsa_system_vgpr_workitem_id 0
		.amdhsa_next_free_vgpr 1
		.amdhsa_next_free_sgpr 0
		.amdhsa_accum_offset 4
		.amdhsa_reserve_vcc 0
		.amdhsa_float_round_mode_32 0
		.amdhsa_float_round_mode_16_64 0
		.amdhsa_float_denorm_mode_32 3
		.amdhsa_float_denorm_mode_16_64 3
		.amdhsa_dx10_clamp 1
		.amdhsa_ieee_mode 1
		.amdhsa_fp16_overflow 0
		.amdhsa_tg_split 0
		.amdhsa_exception_fp_ieee_invalid_op 0
		.amdhsa_exception_fp_denorm_src 0
		.amdhsa_exception_fp_ieee_div_zero 0
		.amdhsa_exception_fp_ieee_overflow 0
		.amdhsa_exception_fp_ieee_underflow 0
		.amdhsa_exception_fp_ieee_inexact 0
		.amdhsa_exception_int_div_zero 0
	.end_amdhsa_kernel
	.section	.text._ZN7rocprim17ROCPRIM_400000_NS6detail17trampoline_kernelINS0_14default_configENS1_22reduce_config_selectorIjEEZNS1_11reduce_implILb1ES3_N6thrust23THRUST_200600_302600_NS6detail15normal_iteratorINS8_10device_ptrIjEEEEPffNS8_4plusIfEEEE10hipError_tPvRmT1_T2_T3_mT4_P12ihipStream_tbEUlT_E0_NS1_11comp_targetILNS1_3genE3ELNS1_11target_archE908ELNS1_3gpuE7ELNS1_3repE0EEENS1_30default_config_static_selectorELNS0_4arch9wavefront6targetE1EEEvSK_,"axG",@progbits,_ZN7rocprim17ROCPRIM_400000_NS6detail17trampoline_kernelINS0_14default_configENS1_22reduce_config_selectorIjEEZNS1_11reduce_implILb1ES3_N6thrust23THRUST_200600_302600_NS6detail15normal_iteratorINS8_10device_ptrIjEEEEPffNS8_4plusIfEEEE10hipError_tPvRmT1_T2_T3_mT4_P12ihipStream_tbEUlT_E0_NS1_11comp_targetILNS1_3genE3ELNS1_11target_archE908ELNS1_3gpuE7ELNS1_3repE0EEENS1_30default_config_static_selectorELNS0_4arch9wavefront6targetE1EEEvSK_,comdat
.Lfunc_end408:
	.size	_ZN7rocprim17ROCPRIM_400000_NS6detail17trampoline_kernelINS0_14default_configENS1_22reduce_config_selectorIjEEZNS1_11reduce_implILb1ES3_N6thrust23THRUST_200600_302600_NS6detail15normal_iteratorINS8_10device_ptrIjEEEEPffNS8_4plusIfEEEE10hipError_tPvRmT1_T2_T3_mT4_P12ihipStream_tbEUlT_E0_NS1_11comp_targetILNS1_3genE3ELNS1_11target_archE908ELNS1_3gpuE7ELNS1_3repE0EEENS1_30default_config_static_selectorELNS0_4arch9wavefront6targetE1EEEvSK_, .Lfunc_end408-_ZN7rocprim17ROCPRIM_400000_NS6detail17trampoline_kernelINS0_14default_configENS1_22reduce_config_selectorIjEEZNS1_11reduce_implILb1ES3_N6thrust23THRUST_200600_302600_NS6detail15normal_iteratorINS8_10device_ptrIjEEEEPffNS8_4plusIfEEEE10hipError_tPvRmT1_T2_T3_mT4_P12ihipStream_tbEUlT_E0_NS1_11comp_targetILNS1_3genE3ELNS1_11target_archE908ELNS1_3gpuE7ELNS1_3repE0EEENS1_30default_config_static_selectorELNS0_4arch9wavefront6targetE1EEEvSK_
                                        ; -- End function
	.set _ZN7rocprim17ROCPRIM_400000_NS6detail17trampoline_kernelINS0_14default_configENS1_22reduce_config_selectorIjEEZNS1_11reduce_implILb1ES3_N6thrust23THRUST_200600_302600_NS6detail15normal_iteratorINS8_10device_ptrIjEEEEPffNS8_4plusIfEEEE10hipError_tPvRmT1_T2_T3_mT4_P12ihipStream_tbEUlT_E0_NS1_11comp_targetILNS1_3genE3ELNS1_11target_archE908ELNS1_3gpuE7ELNS1_3repE0EEENS1_30default_config_static_selectorELNS0_4arch9wavefront6targetE1EEEvSK_.num_vgpr, 0
	.set _ZN7rocprim17ROCPRIM_400000_NS6detail17trampoline_kernelINS0_14default_configENS1_22reduce_config_selectorIjEEZNS1_11reduce_implILb1ES3_N6thrust23THRUST_200600_302600_NS6detail15normal_iteratorINS8_10device_ptrIjEEEEPffNS8_4plusIfEEEE10hipError_tPvRmT1_T2_T3_mT4_P12ihipStream_tbEUlT_E0_NS1_11comp_targetILNS1_3genE3ELNS1_11target_archE908ELNS1_3gpuE7ELNS1_3repE0EEENS1_30default_config_static_selectorELNS0_4arch9wavefront6targetE1EEEvSK_.num_agpr, 0
	.set _ZN7rocprim17ROCPRIM_400000_NS6detail17trampoline_kernelINS0_14default_configENS1_22reduce_config_selectorIjEEZNS1_11reduce_implILb1ES3_N6thrust23THRUST_200600_302600_NS6detail15normal_iteratorINS8_10device_ptrIjEEEEPffNS8_4plusIfEEEE10hipError_tPvRmT1_T2_T3_mT4_P12ihipStream_tbEUlT_E0_NS1_11comp_targetILNS1_3genE3ELNS1_11target_archE908ELNS1_3gpuE7ELNS1_3repE0EEENS1_30default_config_static_selectorELNS0_4arch9wavefront6targetE1EEEvSK_.numbered_sgpr, 0
	.set _ZN7rocprim17ROCPRIM_400000_NS6detail17trampoline_kernelINS0_14default_configENS1_22reduce_config_selectorIjEEZNS1_11reduce_implILb1ES3_N6thrust23THRUST_200600_302600_NS6detail15normal_iteratorINS8_10device_ptrIjEEEEPffNS8_4plusIfEEEE10hipError_tPvRmT1_T2_T3_mT4_P12ihipStream_tbEUlT_E0_NS1_11comp_targetILNS1_3genE3ELNS1_11target_archE908ELNS1_3gpuE7ELNS1_3repE0EEENS1_30default_config_static_selectorELNS0_4arch9wavefront6targetE1EEEvSK_.num_named_barrier, 0
	.set _ZN7rocprim17ROCPRIM_400000_NS6detail17trampoline_kernelINS0_14default_configENS1_22reduce_config_selectorIjEEZNS1_11reduce_implILb1ES3_N6thrust23THRUST_200600_302600_NS6detail15normal_iteratorINS8_10device_ptrIjEEEEPffNS8_4plusIfEEEE10hipError_tPvRmT1_T2_T3_mT4_P12ihipStream_tbEUlT_E0_NS1_11comp_targetILNS1_3genE3ELNS1_11target_archE908ELNS1_3gpuE7ELNS1_3repE0EEENS1_30default_config_static_selectorELNS0_4arch9wavefront6targetE1EEEvSK_.private_seg_size, 0
	.set _ZN7rocprim17ROCPRIM_400000_NS6detail17trampoline_kernelINS0_14default_configENS1_22reduce_config_selectorIjEEZNS1_11reduce_implILb1ES3_N6thrust23THRUST_200600_302600_NS6detail15normal_iteratorINS8_10device_ptrIjEEEEPffNS8_4plusIfEEEE10hipError_tPvRmT1_T2_T3_mT4_P12ihipStream_tbEUlT_E0_NS1_11comp_targetILNS1_3genE3ELNS1_11target_archE908ELNS1_3gpuE7ELNS1_3repE0EEENS1_30default_config_static_selectorELNS0_4arch9wavefront6targetE1EEEvSK_.uses_vcc, 0
	.set _ZN7rocprim17ROCPRIM_400000_NS6detail17trampoline_kernelINS0_14default_configENS1_22reduce_config_selectorIjEEZNS1_11reduce_implILb1ES3_N6thrust23THRUST_200600_302600_NS6detail15normal_iteratorINS8_10device_ptrIjEEEEPffNS8_4plusIfEEEE10hipError_tPvRmT1_T2_T3_mT4_P12ihipStream_tbEUlT_E0_NS1_11comp_targetILNS1_3genE3ELNS1_11target_archE908ELNS1_3gpuE7ELNS1_3repE0EEENS1_30default_config_static_selectorELNS0_4arch9wavefront6targetE1EEEvSK_.uses_flat_scratch, 0
	.set _ZN7rocprim17ROCPRIM_400000_NS6detail17trampoline_kernelINS0_14default_configENS1_22reduce_config_selectorIjEEZNS1_11reduce_implILb1ES3_N6thrust23THRUST_200600_302600_NS6detail15normal_iteratorINS8_10device_ptrIjEEEEPffNS8_4plusIfEEEE10hipError_tPvRmT1_T2_T3_mT4_P12ihipStream_tbEUlT_E0_NS1_11comp_targetILNS1_3genE3ELNS1_11target_archE908ELNS1_3gpuE7ELNS1_3repE0EEENS1_30default_config_static_selectorELNS0_4arch9wavefront6targetE1EEEvSK_.has_dyn_sized_stack, 0
	.set _ZN7rocprim17ROCPRIM_400000_NS6detail17trampoline_kernelINS0_14default_configENS1_22reduce_config_selectorIjEEZNS1_11reduce_implILb1ES3_N6thrust23THRUST_200600_302600_NS6detail15normal_iteratorINS8_10device_ptrIjEEEEPffNS8_4plusIfEEEE10hipError_tPvRmT1_T2_T3_mT4_P12ihipStream_tbEUlT_E0_NS1_11comp_targetILNS1_3genE3ELNS1_11target_archE908ELNS1_3gpuE7ELNS1_3repE0EEENS1_30default_config_static_selectorELNS0_4arch9wavefront6targetE1EEEvSK_.has_recursion, 0
	.set _ZN7rocprim17ROCPRIM_400000_NS6detail17trampoline_kernelINS0_14default_configENS1_22reduce_config_selectorIjEEZNS1_11reduce_implILb1ES3_N6thrust23THRUST_200600_302600_NS6detail15normal_iteratorINS8_10device_ptrIjEEEEPffNS8_4plusIfEEEE10hipError_tPvRmT1_T2_T3_mT4_P12ihipStream_tbEUlT_E0_NS1_11comp_targetILNS1_3genE3ELNS1_11target_archE908ELNS1_3gpuE7ELNS1_3repE0EEENS1_30default_config_static_selectorELNS0_4arch9wavefront6targetE1EEEvSK_.has_indirect_call, 0
	.section	.AMDGPU.csdata,"",@progbits
; Kernel info:
; codeLenInByte = 0
; TotalNumSgprs: 6
; NumVgprs: 0
; NumAgprs: 0
; TotalNumVgprs: 0
; ScratchSize: 0
; MemoryBound: 0
; FloatMode: 240
; IeeeMode: 1
; LDSByteSize: 0 bytes/workgroup (compile time only)
; SGPRBlocks: 0
; VGPRBlocks: 0
; NumSGPRsForWavesPerEU: 6
; NumVGPRsForWavesPerEU: 1
; AccumOffset: 4
; Occupancy: 8
; WaveLimiterHint : 0
; COMPUTE_PGM_RSRC2:SCRATCH_EN: 0
; COMPUTE_PGM_RSRC2:USER_SGPR: 2
; COMPUTE_PGM_RSRC2:TRAP_HANDLER: 0
; COMPUTE_PGM_RSRC2:TGID_X_EN: 1
; COMPUTE_PGM_RSRC2:TGID_Y_EN: 0
; COMPUTE_PGM_RSRC2:TGID_Z_EN: 0
; COMPUTE_PGM_RSRC2:TIDIG_COMP_CNT: 0
; COMPUTE_PGM_RSRC3_GFX90A:ACCUM_OFFSET: 0
; COMPUTE_PGM_RSRC3_GFX90A:TG_SPLIT: 0
	.section	.text._ZN7rocprim17ROCPRIM_400000_NS6detail17trampoline_kernelINS0_14default_configENS1_22reduce_config_selectorIjEEZNS1_11reduce_implILb1ES3_N6thrust23THRUST_200600_302600_NS6detail15normal_iteratorINS8_10device_ptrIjEEEEPffNS8_4plusIfEEEE10hipError_tPvRmT1_T2_T3_mT4_P12ihipStream_tbEUlT_E0_NS1_11comp_targetILNS1_3genE2ELNS1_11target_archE906ELNS1_3gpuE6ELNS1_3repE0EEENS1_30default_config_static_selectorELNS0_4arch9wavefront6targetE1EEEvSK_,"axG",@progbits,_ZN7rocprim17ROCPRIM_400000_NS6detail17trampoline_kernelINS0_14default_configENS1_22reduce_config_selectorIjEEZNS1_11reduce_implILb1ES3_N6thrust23THRUST_200600_302600_NS6detail15normal_iteratorINS8_10device_ptrIjEEEEPffNS8_4plusIfEEEE10hipError_tPvRmT1_T2_T3_mT4_P12ihipStream_tbEUlT_E0_NS1_11comp_targetILNS1_3genE2ELNS1_11target_archE906ELNS1_3gpuE6ELNS1_3repE0EEENS1_30default_config_static_selectorELNS0_4arch9wavefront6targetE1EEEvSK_,comdat
	.protected	_ZN7rocprim17ROCPRIM_400000_NS6detail17trampoline_kernelINS0_14default_configENS1_22reduce_config_selectorIjEEZNS1_11reduce_implILb1ES3_N6thrust23THRUST_200600_302600_NS6detail15normal_iteratorINS8_10device_ptrIjEEEEPffNS8_4plusIfEEEE10hipError_tPvRmT1_T2_T3_mT4_P12ihipStream_tbEUlT_E0_NS1_11comp_targetILNS1_3genE2ELNS1_11target_archE906ELNS1_3gpuE6ELNS1_3repE0EEENS1_30default_config_static_selectorELNS0_4arch9wavefront6targetE1EEEvSK_ ; -- Begin function _ZN7rocprim17ROCPRIM_400000_NS6detail17trampoline_kernelINS0_14default_configENS1_22reduce_config_selectorIjEEZNS1_11reduce_implILb1ES3_N6thrust23THRUST_200600_302600_NS6detail15normal_iteratorINS8_10device_ptrIjEEEEPffNS8_4plusIfEEEE10hipError_tPvRmT1_T2_T3_mT4_P12ihipStream_tbEUlT_E0_NS1_11comp_targetILNS1_3genE2ELNS1_11target_archE906ELNS1_3gpuE6ELNS1_3repE0EEENS1_30default_config_static_selectorELNS0_4arch9wavefront6targetE1EEEvSK_
	.globl	_ZN7rocprim17ROCPRIM_400000_NS6detail17trampoline_kernelINS0_14default_configENS1_22reduce_config_selectorIjEEZNS1_11reduce_implILb1ES3_N6thrust23THRUST_200600_302600_NS6detail15normal_iteratorINS8_10device_ptrIjEEEEPffNS8_4plusIfEEEE10hipError_tPvRmT1_T2_T3_mT4_P12ihipStream_tbEUlT_E0_NS1_11comp_targetILNS1_3genE2ELNS1_11target_archE906ELNS1_3gpuE6ELNS1_3repE0EEENS1_30default_config_static_selectorELNS0_4arch9wavefront6targetE1EEEvSK_
	.p2align	8
	.type	_ZN7rocprim17ROCPRIM_400000_NS6detail17trampoline_kernelINS0_14default_configENS1_22reduce_config_selectorIjEEZNS1_11reduce_implILb1ES3_N6thrust23THRUST_200600_302600_NS6detail15normal_iteratorINS8_10device_ptrIjEEEEPffNS8_4plusIfEEEE10hipError_tPvRmT1_T2_T3_mT4_P12ihipStream_tbEUlT_E0_NS1_11comp_targetILNS1_3genE2ELNS1_11target_archE906ELNS1_3gpuE6ELNS1_3repE0EEENS1_30default_config_static_selectorELNS0_4arch9wavefront6targetE1EEEvSK_,@function
_ZN7rocprim17ROCPRIM_400000_NS6detail17trampoline_kernelINS0_14default_configENS1_22reduce_config_selectorIjEEZNS1_11reduce_implILb1ES3_N6thrust23THRUST_200600_302600_NS6detail15normal_iteratorINS8_10device_ptrIjEEEEPffNS8_4plusIfEEEE10hipError_tPvRmT1_T2_T3_mT4_P12ihipStream_tbEUlT_E0_NS1_11comp_targetILNS1_3genE2ELNS1_11target_archE906ELNS1_3gpuE6ELNS1_3repE0EEENS1_30default_config_static_selectorELNS0_4arch9wavefront6targetE1EEEvSK_: ; @_ZN7rocprim17ROCPRIM_400000_NS6detail17trampoline_kernelINS0_14default_configENS1_22reduce_config_selectorIjEEZNS1_11reduce_implILb1ES3_N6thrust23THRUST_200600_302600_NS6detail15normal_iteratorINS8_10device_ptrIjEEEEPffNS8_4plusIfEEEE10hipError_tPvRmT1_T2_T3_mT4_P12ihipStream_tbEUlT_E0_NS1_11comp_targetILNS1_3genE2ELNS1_11target_archE906ELNS1_3gpuE6ELNS1_3repE0EEENS1_30default_config_static_selectorELNS0_4arch9wavefront6targetE1EEEvSK_
; %bb.0:
	.section	.rodata,"a",@progbits
	.p2align	6, 0x0
	.amdhsa_kernel _ZN7rocprim17ROCPRIM_400000_NS6detail17trampoline_kernelINS0_14default_configENS1_22reduce_config_selectorIjEEZNS1_11reduce_implILb1ES3_N6thrust23THRUST_200600_302600_NS6detail15normal_iteratorINS8_10device_ptrIjEEEEPffNS8_4plusIfEEEE10hipError_tPvRmT1_T2_T3_mT4_P12ihipStream_tbEUlT_E0_NS1_11comp_targetILNS1_3genE2ELNS1_11target_archE906ELNS1_3gpuE6ELNS1_3repE0EEENS1_30default_config_static_selectorELNS0_4arch9wavefront6targetE1EEEvSK_
		.amdhsa_group_segment_fixed_size 0
		.amdhsa_private_segment_fixed_size 0
		.amdhsa_kernarg_size 56
		.amdhsa_user_sgpr_count 2
		.amdhsa_user_sgpr_dispatch_ptr 0
		.amdhsa_user_sgpr_queue_ptr 0
		.amdhsa_user_sgpr_kernarg_segment_ptr 1
		.amdhsa_user_sgpr_dispatch_id 0
		.amdhsa_user_sgpr_kernarg_preload_length 0
		.amdhsa_user_sgpr_kernarg_preload_offset 0
		.amdhsa_user_sgpr_private_segment_size 0
		.amdhsa_uses_dynamic_stack 0
		.amdhsa_enable_private_segment 0
		.amdhsa_system_sgpr_workgroup_id_x 1
		.amdhsa_system_sgpr_workgroup_id_y 0
		.amdhsa_system_sgpr_workgroup_id_z 0
		.amdhsa_system_sgpr_workgroup_info 0
		.amdhsa_system_vgpr_workitem_id 0
		.amdhsa_next_free_vgpr 1
		.amdhsa_next_free_sgpr 0
		.amdhsa_accum_offset 4
		.amdhsa_reserve_vcc 0
		.amdhsa_float_round_mode_32 0
		.amdhsa_float_round_mode_16_64 0
		.amdhsa_float_denorm_mode_32 3
		.amdhsa_float_denorm_mode_16_64 3
		.amdhsa_dx10_clamp 1
		.amdhsa_ieee_mode 1
		.amdhsa_fp16_overflow 0
		.amdhsa_tg_split 0
		.amdhsa_exception_fp_ieee_invalid_op 0
		.amdhsa_exception_fp_denorm_src 0
		.amdhsa_exception_fp_ieee_div_zero 0
		.amdhsa_exception_fp_ieee_overflow 0
		.amdhsa_exception_fp_ieee_underflow 0
		.amdhsa_exception_fp_ieee_inexact 0
		.amdhsa_exception_int_div_zero 0
	.end_amdhsa_kernel
	.section	.text._ZN7rocprim17ROCPRIM_400000_NS6detail17trampoline_kernelINS0_14default_configENS1_22reduce_config_selectorIjEEZNS1_11reduce_implILb1ES3_N6thrust23THRUST_200600_302600_NS6detail15normal_iteratorINS8_10device_ptrIjEEEEPffNS8_4plusIfEEEE10hipError_tPvRmT1_T2_T3_mT4_P12ihipStream_tbEUlT_E0_NS1_11comp_targetILNS1_3genE2ELNS1_11target_archE906ELNS1_3gpuE6ELNS1_3repE0EEENS1_30default_config_static_selectorELNS0_4arch9wavefront6targetE1EEEvSK_,"axG",@progbits,_ZN7rocprim17ROCPRIM_400000_NS6detail17trampoline_kernelINS0_14default_configENS1_22reduce_config_selectorIjEEZNS1_11reduce_implILb1ES3_N6thrust23THRUST_200600_302600_NS6detail15normal_iteratorINS8_10device_ptrIjEEEEPffNS8_4plusIfEEEE10hipError_tPvRmT1_T2_T3_mT4_P12ihipStream_tbEUlT_E0_NS1_11comp_targetILNS1_3genE2ELNS1_11target_archE906ELNS1_3gpuE6ELNS1_3repE0EEENS1_30default_config_static_selectorELNS0_4arch9wavefront6targetE1EEEvSK_,comdat
.Lfunc_end409:
	.size	_ZN7rocprim17ROCPRIM_400000_NS6detail17trampoline_kernelINS0_14default_configENS1_22reduce_config_selectorIjEEZNS1_11reduce_implILb1ES3_N6thrust23THRUST_200600_302600_NS6detail15normal_iteratorINS8_10device_ptrIjEEEEPffNS8_4plusIfEEEE10hipError_tPvRmT1_T2_T3_mT4_P12ihipStream_tbEUlT_E0_NS1_11comp_targetILNS1_3genE2ELNS1_11target_archE906ELNS1_3gpuE6ELNS1_3repE0EEENS1_30default_config_static_selectorELNS0_4arch9wavefront6targetE1EEEvSK_, .Lfunc_end409-_ZN7rocprim17ROCPRIM_400000_NS6detail17trampoline_kernelINS0_14default_configENS1_22reduce_config_selectorIjEEZNS1_11reduce_implILb1ES3_N6thrust23THRUST_200600_302600_NS6detail15normal_iteratorINS8_10device_ptrIjEEEEPffNS8_4plusIfEEEE10hipError_tPvRmT1_T2_T3_mT4_P12ihipStream_tbEUlT_E0_NS1_11comp_targetILNS1_3genE2ELNS1_11target_archE906ELNS1_3gpuE6ELNS1_3repE0EEENS1_30default_config_static_selectorELNS0_4arch9wavefront6targetE1EEEvSK_
                                        ; -- End function
	.set _ZN7rocprim17ROCPRIM_400000_NS6detail17trampoline_kernelINS0_14default_configENS1_22reduce_config_selectorIjEEZNS1_11reduce_implILb1ES3_N6thrust23THRUST_200600_302600_NS6detail15normal_iteratorINS8_10device_ptrIjEEEEPffNS8_4plusIfEEEE10hipError_tPvRmT1_T2_T3_mT4_P12ihipStream_tbEUlT_E0_NS1_11comp_targetILNS1_3genE2ELNS1_11target_archE906ELNS1_3gpuE6ELNS1_3repE0EEENS1_30default_config_static_selectorELNS0_4arch9wavefront6targetE1EEEvSK_.num_vgpr, 0
	.set _ZN7rocprim17ROCPRIM_400000_NS6detail17trampoline_kernelINS0_14default_configENS1_22reduce_config_selectorIjEEZNS1_11reduce_implILb1ES3_N6thrust23THRUST_200600_302600_NS6detail15normal_iteratorINS8_10device_ptrIjEEEEPffNS8_4plusIfEEEE10hipError_tPvRmT1_T2_T3_mT4_P12ihipStream_tbEUlT_E0_NS1_11comp_targetILNS1_3genE2ELNS1_11target_archE906ELNS1_3gpuE6ELNS1_3repE0EEENS1_30default_config_static_selectorELNS0_4arch9wavefront6targetE1EEEvSK_.num_agpr, 0
	.set _ZN7rocprim17ROCPRIM_400000_NS6detail17trampoline_kernelINS0_14default_configENS1_22reduce_config_selectorIjEEZNS1_11reduce_implILb1ES3_N6thrust23THRUST_200600_302600_NS6detail15normal_iteratorINS8_10device_ptrIjEEEEPffNS8_4plusIfEEEE10hipError_tPvRmT1_T2_T3_mT4_P12ihipStream_tbEUlT_E0_NS1_11comp_targetILNS1_3genE2ELNS1_11target_archE906ELNS1_3gpuE6ELNS1_3repE0EEENS1_30default_config_static_selectorELNS0_4arch9wavefront6targetE1EEEvSK_.numbered_sgpr, 0
	.set _ZN7rocprim17ROCPRIM_400000_NS6detail17trampoline_kernelINS0_14default_configENS1_22reduce_config_selectorIjEEZNS1_11reduce_implILb1ES3_N6thrust23THRUST_200600_302600_NS6detail15normal_iteratorINS8_10device_ptrIjEEEEPffNS8_4plusIfEEEE10hipError_tPvRmT1_T2_T3_mT4_P12ihipStream_tbEUlT_E0_NS1_11comp_targetILNS1_3genE2ELNS1_11target_archE906ELNS1_3gpuE6ELNS1_3repE0EEENS1_30default_config_static_selectorELNS0_4arch9wavefront6targetE1EEEvSK_.num_named_barrier, 0
	.set _ZN7rocprim17ROCPRIM_400000_NS6detail17trampoline_kernelINS0_14default_configENS1_22reduce_config_selectorIjEEZNS1_11reduce_implILb1ES3_N6thrust23THRUST_200600_302600_NS6detail15normal_iteratorINS8_10device_ptrIjEEEEPffNS8_4plusIfEEEE10hipError_tPvRmT1_T2_T3_mT4_P12ihipStream_tbEUlT_E0_NS1_11comp_targetILNS1_3genE2ELNS1_11target_archE906ELNS1_3gpuE6ELNS1_3repE0EEENS1_30default_config_static_selectorELNS0_4arch9wavefront6targetE1EEEvSK_.private_seg_size, 0
	.set _ZN7rocprim17ROCPRIM_400000_NS6detail17trampoline_kernelINS0_14default_configENS1_22reduce_config_selectorIjEEZNS1_11reduce_implILb1ES3_N6thrust23THRUST_200600_302600_NS6detail15normal_iteratorINS8_10device_ptrIjEEEEPffNS8_4plusIfEEEE10hipError_tPvRmT1_T2_T3_mT4_P12ihipStream_tbEUlT_E0_NS1_11comp_targetILNS1_3genE2ELNS1_11target_archE906ELNS1_3gpuE6ELNS1_3repE0EEENS1_30default_config_static_selectorELNS0_4arch9wavefront6targetE1EEEvSK_.uses_vcc, 0
	.set _ZN7rocprim17ROCPRIM_400000_NS6detail17trampoline_kernelINS0_14default_configENS1_22reduce_config_selectorIjEEZNS1_11reduce_implILb1ES3_N6thrust23THRUST_200600_302600_NS6detail15normal_iteratorINS8_10device_ptrIjEEEEPffNS8_4plusIfEEEE10hipError_tPvRmT1_T2_T3_mT4_P12ihipStream_tbEUlT_E0_NS1_11comp_targetILNS1_3genE2ELNS1_11target_archE906ELNS1_3gpuE6ELNS1_3repE0EEENS1_30default_config_static_selectorELNS0_4arch9wavefront6targetE1EEEvSK_.uses_flat_scratch, 0
	.set _ZN7rocprim17ROCPRIM_400000_NS6detail17trampoline_kernelINS0_14default_configENS1_22reduce_config_selectorIjEEZNS1_11reduce_implILb1ES3_N6thrust23THRUST_200600_302600_NS6detail15normal_iteratorINS8_10device_ptrIjEEEEPffNS8_4plusIfEEEE10hipError_tPvRmT1_T2_T3_mT4_P12ihipStream_tbEUlT_E0_NS1_11comp_targetILNS1_3genE2ELNS1_11target_archE906ELNS1_3gpuE6ELNS1_3repE0EEENS1_30default_config_static_selectorELNS0_4arch9wavefront6targetE1EEEvSK_.has_dyn_sized_stack, 0
	.set _ZN7rocprim17ROCPRIM_400000_NS6detail17trampoline_kernelINS0_14default_configENS1_22reduce_config_selectorIjEEZNS1_11reduce_implILb1ES3_N6thrust23THRUST_200600_302600_NS6detail15normal_iteratorINS8_10device_ptrIjEEEEPffNS8_4plusIfEEEE10hipError_tPvRmT1_T2_T3_mT4_P12ihipStream_tbEUlT_E0_NS1_11comp_targetILNS1_3genE2ELNS1_11target_archE906ELNS1_3gpuE6ELNS1_3repE0EEENS1_30default_config_static_selectorELNS0_4arch9wavefront6targetE1EEEvSK_.has_recursion, 0
	.set _ZN7rocprim17ROCPRIM_400000_NS6detail17trampoline_kernelINS0_14default_configENS1_22reduce_config_selectorIjEEZNS1_11reduce_implILb1ES3_N6thrust23THRUST_200600_302600_NS6detail15normal_iteratorINS8_10device_ptrIjEEEEPffNS8_4plusIfEEEE10hipError_tPvRmT1_T2_T3_mT4_P12ihipStream_tbEUlT_E0_NS1_11comp_targetILNS1_3genE2ELNS1_11target_archE906ELNS1_3gpuE6ELNS1_3repE0EEENS1_30default_config_static_selectorELNS0_4arch9wavefront6targetE1EEEvSK_.has_indirect_call, 0
	.section	.AMDGPU.csdata,"",@progbits
; Kernel info:
; codeLenInByte = 0
; TotalNumSgprs: 6
; NumVgprs: 0
; NumAgprs: 0
; TotalNumVgprs: 0
; ScratchSize: 0
; MemoryBound: 0
; FloatMode: 240
; IeeeMode: 1
; LDSByteSize: 0 bytes/workgroup (compile time only)
; SGPRBlocks: 0
; VGPRBlocks: 0
; NumSGPRsForWavesPerEU: 6
; NumVGPRsForWavesPerEU: 1
; AccumOffset: 4
; Occupancy: 8
; WaveLimiterHint : 0
; COMPUTE_PGM_RSRC2:SCRATCH_EN: 0
; COMPUTE_PGM_RSRC2:USER_SGPR: 2
; COMPUTE_PGM_RSRC2:TRAP_HANDLER: 0
; COMPUTE_PGM_RSRC2:TGID_X_EN: 1
; COMPUTE_PGM_RSRC2:TGID_Y_EN: 0
; COMPUTE_PGM_RSRC2:TGID_Z_EN: 0
; COMPUTE_PGM_RSRC2:TIDIG_COMP_CNT: 0
; COMPUTE_PGM_RSRC3_GFX90A:ACCUM_OFFSET: 0
; COMPUTE_PGM_RSRC3_GFX90A:TG_SPLIT: 0
	.section	.text._ZN7rocprim17ROCPRIM_400000_NS6detail17trampoline_kernelINS0_14default_configENS1_22reduce_config_selectorIjEEZNS1_11reduce_implILb1ES3_N6thrust23THRUST_200600_302600_NS6detail15normal_iteratorINS8_10device_ptrIjEEEEPffNS8_4plusIfEEEE10hipError_tPvRmT1_T2_T3_mT4_P12ihipStream_tbEUlT_E0_NS1_11comp_targetILNS1_3genE10ELNS1_11target_archE1201ELNS1_3gpuE5ELNS1_3repE0EEENS1_30default_config_static_selectorELNS0_4arch9wavefront6targetE1EEEvSK_,"axG",@progbits,_ZN7rocprim17ROCPRIM_400000_NS6detail17trampoline_kernelINS0_14default_configENS1_22reduce_config_selectorIjEEZNS1_11reduce_implILb1ES3_N6thrust23THRUST_200600_302600_NS6detail15normal_iteratorINS8_10device_ptrIjEEEEPffNS8_4plusIfEEEE10hipError_tPvRmT1_T2_T3_mT4_P12ihipStream_tbEUlT_E0_NS1_11comp_targetILNS1_3genE10ELNS1_11target_archE1201ELNS1_3gpuE5ELNS1_3repE0EEENS1_30default_config_static_selectorELNS0_4arch9wavefront6targetE1EEEvSK_,comdat
	.protected	_ZN7rocprim17ROCPRIM_400000_NS6detail17trampoline_kernelINS0_14default_configENS1_22reduce_config_selectorIjEEZNS1_11reduce_implILb1ES3_N6thrust23THRUST_200600_302600_NS6detail15normal_iteratorINS8_10device_ptrIjEEEEPffNS8_4plusIfEEEE10hipError_tPvRmT1_T2_T3_mT4_P12ihipStream_tbEUlT_E0_NS1_11comp_targetILNS1_3genE10ELNS1_11target_archE1201ELNS1_3gpuE5ELNS1_3repE0EEENS1_30default_config_static_selectorELNS0_4arch9wavefront6targetE1EEEvSK_ ; -- Begin function _ZN7rocprim17ROCPRIM_400000_NS6detail17trampoline_kernelINS0_14default_configENS1_22reduce_config_selectorIjEEZNS1_11reduce_implILb1ES3_N6thrust23THRUST_200600_302600_NS6detail15normal_iteratorINS8_10device_ptrIjEEEEPffNS8_4plusIfEEEE10hipError_tPvRmT1_T2_T3_mT4_P12ihipStream_tbEUlT_E0_NS1_11comp_targetILNS1_3genE10ELNS1_11target_archE1201ELNS1_3gpuE5ELNS1_3repE0EEENS1_30default_config_static_selectorELNS0_4arch9wavefront6targetE1EEEvSK_
	.globl	_ZN7rocprim17ROCPRIM_400000_NS6detail17trampoline_kernelINS0_14default_configENS1_22reduce_config_selectorIjEEZNS1_11reduce_implILb1ES3_N6thrust23THRUST_200600_302600_NS6detail15normal_iteratorINS8_10device_ptrIjEEEEPffNS8_4plusIfEEEE10hipError_tPvRmT1_T2_T3_mT4_P12ihipStream_tbEUlT_E0_NS1_11comp_targetILNS1_3genE10ELNS1_11target_archE1201ELNS1_3gpuE5ELNS1_3repE0EEENS1_30default_config_static_selectorELNS0_4arch9wavefront6targetE1EEEvSK_
	.p2align	8
	.type	_ZN7rocprim17ROCPRIM_400000_NS6detail17trampoline_kernelINS0_14default_configENS1_22reduce_config_selectorIjEEZNS1_11reduce_implILb1ES3_N6thrust23THRUST_200600_302600_NS6detail15normal_iteratorINS8_10device_ptrIjEEEEPffNS8_4plusIfEEEE10hipError_tPvRmT1_T2_T3_mT4_P12ihipStream_tbEUlT_E0_NS1_11comp_targetILNS1_3genE10ELNS1_11target_archE1201ELNS1_3gpuE5ELNS1_3repE0EEENS1_30default_config_static_selectorELNS0_4arch9wavefront6targetE1EEEvSK_,@function
_ZN7rocprim17ROCPRIM_400000_NS6detail17trampoline_kernelINS0_14default_configENS1_22reduce_config_selectorIjEEZNS1_11reduce_implILb1ES3_N6thrust23THRUST_200600_302600_NS6detail15normal_iteratorINS8_10device_ptrIjEEEEPffNS8_4plusIfEEEE10hipError_tPvRmT1_T2_T3_mT4_P12ihipStream_tbEUlT_E0_NS1_11comp_targetILNS1_3genE10ELNS1_11target_archE1201ELNS1_3gpuE5ELNS1_3repE0EEENS1_30default_config_static_selectorELNS0_4arch9wavefront6targetE1EEEvSK_: ; @_ZN7rocprim17ROCPRIM_400000_NS6detail17trampoline_kernelINS0_14default_configENS1_22reduce_config_selectorIjEEZNS1_11reduce_implILb1ES3_N6thrust23THRUST_200600_302600_NS6detail15normal_iteratorINS8_10device_ptrIjEEEEPffNS8_4plusIfEEEE10hipError_tPvRmT1_T2_T3_mT4_P12ihipStream_tbEUlT_E0_NS1_11comp_targetILNS1_3genE10ELNS1_11target_archE1201ELNS1_3gpuE5ELNS1_3repE0EEENS1_30default_config_static_selectorELNS0_4arch9wavefront6targetE1EEEvSK_
; %bb.0:
	.section	.rodata,"a",@progbits
	.p2align	6, 0x0
	.amdhsa_kernel _ZN7rocprim17ROCPRIM_400000_NS6detail17trampoline_kernelINS0_14default_configENS1_22reduce_config_selectorIjEEZNS1_11reduce_implILb1ES3_N6thrust23THRUST_200600_302600_NS6detail15normal_iteratorINS8_10device_ptrIjEEEEPffNS8_4plusIfEEEE10hipError_tPvRmT1_T2_T3_mT4_P12ihipStream_tbEUlT_E0_NS1_11comp_targetILNS1_3genE10ELNS1_11target_archE1201ELNS1_3gpuE5ELNS1_3repE0EEENS1_30default_config_static_selectorELNS0_4arch9wavefront6targetE1EEEvSK_
		.amdhsa_group_segment_fixed_size 0
		.amdhsa_private_segment_fixed_size 0
		.amdhsa_kernarg_size 56
		.amdhsa_user_sgpr_count 2
		.amdhsa_user_sgpr_dispatch_ptr 0
		.amdhsa_user_sgpr_queue_ptr 0
		.amdhsa_user_sgpr_kernarg_segment_ptr 1
		.amdhsa_user_sgpr_dispatch_id 0
		.amdhsa_user_sgpr_kernarg_preload_length 0
		.amdhsa_user_sgpr_kernarg_preload_offset 0
		.amdhsa_user_sgpr_private_segment_size 0
		.amdhsa_uses_dynamic_stack 0
		.amdhsa_enable_private_segment 0
		.amdhsa_system_sgpr_workgroup_id_x 1
		.amdhsa_system_sgpr_workgroup_id_y 0
		.amdhsa_system_sgpr_workgroup_id_z 0
		.amdhsa_system_sgpr_workgroup_info 0
		.amdhsa_system_vgpr_workitem_id 0
		.amdhsa_next_free_vgpr 1
		.amdhsa_next_free_sgpr 0
		.amdhsa_accum_offset 4
		.amdhsa_reserve_vcc 0
		.amdhsa_float_round_mode_32 0
		.amdhsa_float_round_mode_16_64 0
		.amdhsa_float_denorm_mode_32 3
		.amdhsa_float_denorm_mode_16_64 3
		.amdhsa_dx10_clamp 1
		.amdhsa_ieee_mode 1
		.amdhsa_fp16_overflow 0
		.amdhsa_tg_split 0
		.amdhsa_exception_fp_ieee_invalid_op 0
		.amdhsa_exception_fp_denorm_src 0
		.amdhsa_exception_fp_ieee_div_zero 0
		.amdhsa_exception_fp_ieee_overflow 0
		.amdhsa_exception_fp_ieee_underflow 0
		.amdhsa_exception_fp_ieee_inexact 0
		.amdhsa_exception_int_div_zero 0
	.end_amdhsa_kernel
	.section	.text._ZN7rocprim17ROCPRIM_400000_NS6detail17trampoline_kernelINS0_14default_configENS1_22reduce_config_selectorIjEEZNS1_11reduce_implILb1ES3_N6thrust23THRUST_200600_302600_NS6detail15normal_iteratorINS8_10device_ptrIjEEEEPffNS8_4plusIfEEEE10hipError_tPvRmT1_T2_T3_mT4_P12ihipStream_tbEUlT_E0_NS1_11comp_targetILNS1_3genE10ELNS1_11target_archE1201ELNS1_3gpuE5ELNS1_3repE0EEENS1_30default_config_static_selectorELNS0_4arch9wavefront6targetE1EEEvSK_,"axG",@progbits,_ZN7rocprim17ROCPRIM_400000_NS6detail17trampoline_kernelINS0_14default_configENS1_22reduce_config_selectorIjEEZNS1_11reduce_implILb1ES3_N6thrust23THRUST_200600_302600_NS6detail15normal_iteratorINS8_10device_ptrIjEEEEPffNS8_4plusIfEEEE10hipError_tPvRmT1_T2_T3_mT4_P12ihipStream_tbEUlT_E0_NS1_11comp_targetILNS1_3genE10ELNS1_11target_archE1201ELNS1_3gpuE5ELNS1_3repE0EEENS1_30default_config_static_selectorELNS0_4arch9wavefront6targetE1EEEvSK_,comdat
.Lfunc_end410:
	.size	_ZN7rocprim17ROCPRIM_400000_NS6detail17trampoline_kernelINS0_14default_configENS1_22reduce_config_selectorIjEEZNS1_11reduce_implILb1ES3_N6thrust23THRUST_200600_302600_NS6detail15normal_iteratorINS8_10device_ptrIjEEEEPffNS8_4plusIfEEEE10hipError_tPvRmT1_T2_T3_mT4_P12ihipStream_tbEUlT_E0_NS1_11comp_targetILNS1_3genE10ELNS1_11target_archE1201ELNS1_3gpuE5ELNS1_3repE0EEENS1_30default_config_static_selectorELNS0_4arch9wavefront6targetE1EEEvSK_, .Lfunc_end410-_ZN7rocprim17ROCPRIM_400000_NS6detail17trampoline_kernelINS0_14default_configENS1_22reduce_config_selectorIjEEZNS1_11reduce_implILb1ES3_N6thrust23THRUST_200600_302600_NS6detail15normal_iteratorINS8_10device_ptrIjEEEEPffNS8_4plusIfEEEE10hipError_tPvRmT1_T2_T3_mT4_P12ihipStream_tbEUlT_E0_NS1_11comp_targetILNS1_3genE10ELNS1_11target_archE1201ELNS1_3gpuE5ELNS1_3repE0EEENS1_30default_config_static_selectorELNS0_4arch9wavefront6targetE1EEEvSK_
                                        ; -- End function
	.set _ZN7rocprim17ROCPRIM_400000_NS6detail17trampoline_kernelINS0_14default_configENS1_22reduce_config_selectorIjEEZNS1_11reduce_implILb1ES3_N6thrust23THRUST_200600_302600_NS6detail15normal_iteratorINS8_10device_ptrIjEEEEPffNS8_4plusIfEEEE10hipError_tPvRmT1_T2_T3_mT4_P12ihipStream_tbEUlT_E0_NS1_11comp_targetILNS1_3genE10ELNS1_11target_archE1201ELNS1_3gpuE5ELNS1_3repE0EEENS1_30default_config_static_selectorELNS0_4arch9wavefront6targetE1EEEvSK_.num_vgpr, 0
	.set _ZN7rocprim17ROCPRIM_400000_NS6detail17trampoline_kernelINS0_14default_configENS1_22reduce_config_selectorIjEEZNS1_11reduce_implILb1ES3_N6thrust23THRUST_200600_302600_NS6detail15normal_iteratorINS8_10device_ptrIjEEEEPffNS8_4plusIfEEEE10hipError_tPvRmT1_T2_T3_mT4_P12ihipStream_tbEUlT_E0_NS1_11comp_targetILNS1_3genE10ELNS1_11target_archE1201ELNS1_3gpuE5ELNS1_3repE0EEENS1_30default_config_static_selectorELNS0_4arch9wavefront6targetE1EEEvSK_.num_agpr, 0
	.set _ZN7rocprim17ROCPRIM_400000_NS6detail17trampoline_kernelINS0_14default_configENS1_22reduce_config_selectorIjEEZNS1_11reduce_implILb1ES3_N6thrust23THRUST_200600_302600_NS6detail15normal_iteratorINS8_10device_ptrIjEEEEPffNS8_4plusIfEEEE10hipError_tPvRmT1_T2_T3_mT4_P12ihipStream_tbEUlT_E0_NS1_11comp_targetILNS1_3genE10ELNS1_11target_archE1201ELNS1_3gpuE5ELNS1_3repE0EEENS1_30default_config_static_selectorELNS0_4arch9wavefront6targetE1EEEvSK_.numbered_sgpr, 0
	.set _ZN7rocprim17ROCPRIM_400000_NS6detail17trampoline_kernelINS0_14default_configENS1_22reduce_config_selectorIjEEZNS1_11reduce_implILb1ES3_N6thrust23THRUST_200600_302600_NS6detail15normal_iteratorINS8_10device_ptrIjEEEEPffNS8_4plusIfEEEE10hipError_tPvRmT1_T2_T3_mT4_P12ihipStream_tbEUlT_E0_NS1_11comp_targetILNS1_3genE10ELNS1_11target_archE1201ELNS1_3gpuE5ELNS1_3repE0EEENS1_30default_config_static_selectorELNS0_4arch9wavefront6targetE1EEEvSK_.num_named_barrier, 0
	.set _ZN7rocprim17ROCPRIM_400000_NS6detail17trampoline_kernelINS0_14default_configENS1_22reduce_config_selectorIjEEZNS1_11reduce_implILb1ES3_N6thrust23THRUST_200600_302600_NS6detail15normal_iteratorINS8_10device_ptrIjEEEEPffNS8_4plusIfEEEE10hipError_tPvRmT1_T2_T3_mT4_P12ihipStream_tbEUlT_E0_NS1_11comp_targetILNS1_3genE10ELNS1_11target_archE1201ELNS1_3gpuE5ELNS1_3repE0EEENS1_30default_config_static_selectorELNS0_4arch9wavefront6targetE1EEEvSK_.private_seg_size, 0
	.set _ZN7rocprim17ROCPRIM_400000_NS6detail17trampoline_kernelINS0_14default_configENS1_22reduce_config_selectorIjEEZNS1_11reduce_implILb1ES3_N6thrust23THRUST_200600_302600_NS6detail15normal_iteratorINS8_10device_ptrIjEEEEPffNS8_4plusIfEEEE10hipError_tPvRmT1_T2_T3_mT4_P12ihipStream_tbEUlT_E0_NS1_11comp_targetILNS1_3genE10ELNS1_11target_archE1201ELNS1_3gpuE5ELNS1_3repE0EEENS1_30default_config_static_selectorELNS0_4arch9wavefront6targetE1EEEvSK_.uses_vcc, 0
	.set _ZN7rocprim17ROCPRIM_400000_NS6detail17trampoline_kernelINS0_14default_configENS1_22reduce_config_selectorIjEEZNS1_11reduce_implILb1ES3_N6thrust23THRUST_200600_302600_NS6detail15normal_iteratorINS8_10device_ptrIjEEEEPffNS8_4plusIfEEEE10hipError_tPvRmT1_T2_T3_mT4_P12ihipStream_tbEUlT_E0_NS1_11comp_targetILNS1_3genE10ELNS1_11target_archE1201ELNS1_3gpuE5ELNS1_3repE0EEENS1_30default_config_static_selectorELNS0_4arch9wavefront6targetE1EEEvSK_.uses_flat_scratch, 0
	.set _ZN7rocprim17ROCPRIM_400000_NS6detail17trampoline_kernelINS0_14default_configENS1_22reduce_config_selectorIjEEZNS1_11reduce_implILb1ES3_N6thrust23THRUST_200600_302600_NS6detail15normal_iteratorINS8_10device_ptrIjEEEEPffNS8_4plusIfEEEE10hipError_tPvRmT1_T2_T3_mT4_P12ihipStream_tbEUlT_E0_NS1_11comp_targetILNS1_3genE10ELNS1_11target_archE1201ELNS1_3gpuE5ELNS1_3repE0EEENS1_30default_config_static_selectorELNS0_4arch9wavefront6targetE1EEEvSK_.has_dyn_sized_stack, 0
	.set _ZN7rocprim17ROCPRIM_400000_NS6detail17trampoline_kernelINS0_14default_configENS1_22reduce_config_selectorIjEEZNS1_11reduce_implILb1ES3_N6thrust23THRUST_200600_302600_NS6detail15normal_iteratorINS8_10device_ptrIjEEEEPffNS8_4plusIfEEEE10hipError_tPvRmT1_T2_T3_mT4_P12ihipStream_tbEUlT_E0_NS1_11comp_targetILNS1_3genE10ELNS1_11target_archE1201ELNS1_3gpuE5ELNS1_3repE0EEENS1_30default_config_static_selectorELNS0_4arch9wavefront6targetE1EEEvSK_.has_recursion, 0
	.set _ZN7rocprim17ROCPRIM_400000_NS6detail17trampoline_kernelINS0_14default_configENS1_22reduce_config_selectorIjEEZNS1_11reduce_implILb1ES3_N6thrust23THRUST_200600_302600_NS6detail15normal_iteratorINS8_10device_ptrIjEEEEPffNS8_4plusIfEEEE10hipError_tPvRmT1_T2_T3_mT4_P12ihipStream_tbEUlT_E0_NS1_11comp_targetILNS1_3genE10ELNS1_11target_archE1201ELNS1_3gpuE5ELNS1_3repE0EEENS1_30default_config_static_selectorELNS0_4arch9wavefront6targetE1EEEvSK_.has_indirect_call, 0
	.section	.AMDGPU.csdata,"",@progbits
; Kernel info:
; codeLenInByte = 0
; TotalNumSgprs: 6
; NumVgprs: 0
; NumAgprs: 0
; TotalNumVgprs: 0
; ScratchSize: 0
; MemoryBound: 0
; FloatMode: 240
; IeeeMode: 1
; LDSByteSize: 0 bytes/workgroup (compile time only)
; SGPRBlocks: 0
; VGPRBlocks: 0
; NumSGPRsForWavesPerEU: 6
; NumVGPRsForWavesPerEU: 1
; AccumOffset: 4
; Occupancy: 8
; WaveLimiterHint : 0
; COMPUTE_PGM_RSRC2:SCRATCH_EN: 0
; COMPUTE_PGM_RSRC2:USER_SGPR: 2
; COMPUTE_PGM_RSRC2:TRAP_HANDLER: 0
; COMPUTE_PGM_RSRC2:TGID_X_EN: 1
; COMPUTE_PGM_RSRC2:TGID_Y_EN: 0
; COMPUTE_PGM_RSRC2:TGID_Z_EN: 0
; COMPUTE_PGM_RSRC2:TIDIG_COMP_CNT: 0
; COMPUTE_PGM_RSRC3_GFX90A:ACCUM_OFFSET: 0
; COMPUTE_PGM_RSRC3_GFX90A:TG_SPLIT: 0
	.section	.text._ZN7rocprim17ROCPRIM_400000_NS6detail17trampoline_kernelINS0_14default_configENS1_22reduce_config_selectorIjEEZNS1_11reduce_implILb1ES3_N6thrust23THRUST_200600_302600_NS6detail15normal_iteratorINS8_10device_ptrIjEEEEPffNS8_4plusIfEEEE10hipError_tPvRmT1_T2_T3_mT4_P12ihipStream_tbEUlT_E0_NS1_11comp_targetILNS1_3genE10ELNS1_11target_archE1200ELNS1_3gpuE4ELNS1_3repE0EEENS1_30default_config_static_selectorELNS0_4arch9wavefront6targetE1EEEvSK_,"axG",@progbits,_ZN7rocprim17ROCPRIM_400000_NS6detail17trampoline_kernelINS0_14default_configENS1_22reduce_config_selectorIjEEZNS1_11reduce_implILb1ES3_N6thrust23THRUST_200600_302600_NS6detail15normal_iteratorINS8_10device_ptrIjEEEEPffNS8_4plusIfEEEE10hipError_tPvRmT1_T2_T3_mT4_P12ihipStream_tbEUlT_E0_NS1_11comp_targetILNS1_3genE10ELNS1_11target_archE1200ELNS1_3gpuE4ELNS1_3repE0EEENS1_30default_config_static_selectorELNS0_4arch9wavefront6targetE1EEEvSK_,comdat
	.protected	_ZN7rocprim17ROCPRIM_400000_NS6detail17trampoline_kernelINS0_14default_configENS1_22reduce_config_selectorIjEEZNS1_11reduce_implILb1ES3_N6thrust23THRUST_200600_302600_NS6detail15normal_iteratorINS8_10device_ptrIjEEEEPffNS8_4plusIfEEEE10hipError_tPvRmT1_T2_T3_mT4_P12ihipStream_tbEUlT_E0_NS1_11comp_targetILNS1_3genE10ELNS1_11target_archE1200ELNS1_3gpuE4ELNS1_3repE0EEENS1_30default_config_static_selectorELNS0_4arch9wavefront6targetE1EEEvSK_ ; -- Begin function _ZN7rocprim17ROCPRIM_400000_NS6detail17trampoline_kernelINS0_14default_configENS1_22reduce_config_selectorIjEEZNS1_11reduce_implILb1ES3_N6thrust23THRUST_200600_302600_NS6detail15normal_iteratorINS8_10device_ptrIjEEEEPffNS8_4plusIfEEEE10hipError_tPvRmT1_T2_T3_mT4_P12ihipStream_tbEUlT_E0_NS1_11comp_targetILNS1_3genE10ELNS1_11target_archE1200ELNS1_3gpuE4ELNS1_3repE0EEENS1_30default_config_static_selectorELNS0_4arch9wavefront6targetE1EEEvSK_
	.globl	_ZN7rocprim17ROCPRIM_400000_NS6detail17trampoline_kernelINS0_14default_configENS1_22reduce_config_selectorIjEEZNS1_11reduce_implILb1ES3_N6thrust23THRUST_200600_302600_NS6detail15normal_iteratorINS8_10device_ptrIjEEEEPffNS8_4plusIfEEEE10hipError_tPvRmT1_T2_T3_mT4_P12ihipStream_tbEUlT_E0_NS1_11comp_targetILNS1_3genE10ELNS1_11target_archE1200ELNS1_3gpuE4ELNS1_3repE0EEENS1_30default_config_static_selectorELNS0_4arch9wavefront6targetE1EEEvSK_
	.p2align	8
	.type	_ZN7rocprim17ROCPRIM_400000_NS6detail17trampoline_kernelINS0_14default_configENS1_22reduce_config_selectorIjEEZNS1_11reduce_implILb1ES3_N6thrust23THRUST_200600_302600_NS6detail15normal_iteratorINS8_10device_ptrIjEEEEPffNS8_4plusIfEEEE10hipError_tPvRmT1_T2_T3_mT4_P12ihipStream_tbEUlT_E0_NS1_11comp_targetILNS1_3genE10ELNS1_11target_archE1200ELNS1_3gpuE4ELNS1_3repE0EEENS1_30default_config_static_selectorELNS0_4arch9wavefront6targetE1EEEvSK_,@function
_ZN7rocprim17ROCPRIM_400000_NS6detail17trampoline_kernelINS0_14default_configENS1_22reduce_config_selectorIjEEZNS1_11reduce_implILb1ES3_N6thrust23THRUST_200600_302600_NS6detail15normal_iteratorINS8_10device_ptrIjEEEEPffNS8_4plusIfEEEE10hipError_tPvRmT1_T2_T3_mT4_P12ihipStream_tbEUlT_E0_NS1_11comp_targetILNS1_3genE10ELNS1_11target_archE1200ELNS1_3gpuE4ELNS1_3repE0EEENS1_30default_config_static_selectorELNS0_4arch9wavefront6targetE1EEEvSK_: ; @_ZN7rocprim17ROCPRIM_400000_NS6detail17trampoline_kernelINS0_14default_configENS1_22reduce_config_selectorIjEEZNS1_11reduce_implILb1ES3_N6thrust23THRUST_200600_302600_NS6detail15normal_iteratorINS8_10device_ptrIjEEEEPffNS8_4plusIfEEEE10hipError_tPvRmT1_T2_T3_mT4_P12ihipStream_tbEUlT_E0_NS1_11comp_targetILNS1_3genE10ELNS1_11target_archE1200ELNS1_3gpuE4ELNS1_3repE0EEENS1_30default_config_static_selectorELNS0_4arch9wavefront6targetE1EEEvSK_
; %bb.0:
	.section	.rodata,"a",@progbits
	.p2align	6, 0x0
	.amdhsa_kernel _ZN7rocprim17ROCPRIM_400000_NS6detail17trampoline_kernelINS0_14default_configENS1_22reduce_config_selectorIjEEZNS1_11reduce_implILb1ES3_N6thrust23THRUST_200600_302600_NS6detail15normal_iteratorINS8_10device_ptrIjEEEEPffNS8_4plusIfEEEE10hipError_tPvRmT1_T2_T3_mT4_P12ihipStream_tbEUlT_E0_NS1_11comp_targetILNS1_3genE10ELNS1_11target_archE1200ELNS1_3gpuE4ELNS1_3repE0EEENS1_30default_config_static_selectorELNS0_4arch9wavefront6targetE1EEEvSK_
		.amdhsa_group_segment_fixed_size 0
		.amdhsa_private_segment_fixed_size 0
		.amdhsa_kernarg_size 56
		.amdhsa_user_sgpr_count 2
		.amdhsa_user_sgpr_dispatch_ptr 0
		.amdhsa_user_sgpr_queue_ptr 0
		.amdhsa_user_sgpr_kernarg_segment_ptr 1
		.amdhsa_user_sgpr_dispatch_id 0
		.amdhsa_user_sgpr_kernarg_preload_length 0
		.amdhsa_user_sgpr_kernarg_preload_offset 0
		.amdhsa_user_sgpr_private_segment_size 0
		.amdhsa_uses_dynamic_stack 0
		.amdhsa_enable_private_segment 0
		.amdhsa_system_sgpr_workgroup_id_x 1
		.amdhsa_system_sgpr_workgroup_id_y 0
		.amdhsa_system_sgpr_workgroup_id_z 0
		.amdhsa_system_sgpr_workgroup_info 0
		.amdhsa_system_vgpr_workitem_id 0
		.amdhsa_next_free_vgpr 1
		.amdhsa_next_free_sgpr 0
		.amdhsa_accum_offset 4
		.amdhsa_reserve_vcc 0
		.amdhsa_float_round_mode_32 0
		.amdhsa_float_round_mode_16_64 0
		.amdhsa_float_denorm_mode_32 3
		.amdhsa_float_denorm_mode_16_64 3
		.amdhsa_dx10_clamp 1
		.amdhsa_ieee_mode 1
		.amdhsa_fp16_overflow 0
		.amdhsa_tg_split 0
		.amdhsa_exception_fp_ieee_invalid_op 0
		.amdhsa_exception_fp_denorm_src 0
		.amdhsa_exception_fp_ieee_div_zero 0
		.amdhsa_exception_fp_ieee_overflow 0
		.amdhsa_exception_fp_ieee_underflow 0
		.amdhsa_exception_fp_ieee_inexact 0
		.amdhsa_exception_int_div_zero 0
	.end_amdhsa_kernel
	.section	.text._ZN7rocprim17ROCPRIM_400000_NS6detail17trampoline_kernelINS0_14default_configENS1_22reduce_config_selectorIjEEZNS1_11reduce_implILb1ES3_N6thrust23THRUST_200600_302600_NS6detail15normal_iteratorINS8_10device_ptrIjEEEEPffNS8_4plusIfEEEE10hipError_tPvRmT1_T2_T3_mT4_P12ihipStream_tbEUlT_E0_NS1_11comp_targetILNS1_3genE10ELNS1_11target_archE1200ELNS1_3gpuE4ELNS1_3repE0EEENS1_30default_config_static_selectorELNS0_4arch9wavefront6targetE1EEEvSK_,"axG",@progbits,_ZN7rocprim17ROCPRIM_400000_NS6detail17trampoline_kernelINS0_14default_configENS1_22reduce_config_selectorIjEEZNS1_11reduce_implILb1ES3_N6thrust23THRUST_200600_302600_NS6detail15normal_iteratorINS8_10device_ptrIjEEEEPffNS8_4plusIfEEEE10hipError_tPvRmT1_T2_T3_mT4_P12ihipStream_tbEUlT_E0_NS1_11comp_targetILNS1_3genE10ELNS1_11target_archE1200ELNS1_3gpuE4ELNS1_3repE0EEENS1_30default_config_static_selectorELNS0_4arch9wavefront6targetE1EEEvSK_,comdat
.Lfunc_end411:
	.size	_ZN7rocprim17ROCPRIM_400000_NS6detail17trampoline_kernelINS0_14default_configENS1_22reduce_config_selectorIjEEZNS1_11reduce_implILb1ES3_N6thrust23THRUST_200600_302600_NS6detail15normal_iteratorINS8_10device_ptrIjEEEEPffNS8_4plusIfEEEE10hipError_tPvRmT1_T2_T3_mT4_P12ihipStream_tbEUlT_E0_NS1_11comp_targetILNS1_3genE10ELNS1_11target_archE1200ELNS1_3gpuE4ELNS1_3repE0EEENS1_30default_config_static_selectorELNS0_4arch9wavefront6targetE1EEEvSK_, .Lfunc_end411-_ZN7rocprim17ROCPRIM_400000_NS6detail17trampoline_kernelINS0_14default_configENS1_22reduce_config_selectorIjEEZNS1_11reduce_implILb1ES3_N6thrust23THRUST_200600_302600_NS6detail15normal_iteratorINS8_10device_ptrIjEEEEPffNS8_4plusIfEEEE10hipError_tPvRmT1_T2_T3_mT4_P12ihipStream_tbEUlT_E0_NS1_11comp_targetILNS1_3genE10ELNS1_11target_archE1200ELNS1_3gpuE4ELNS1_3repE0EEENS1_30default_config_static_selectorELNS0_4arch9wavefront6targetE1EEEvSK_
                                        ; -- End function
	.set _ZN7rocprim17ROCPRIM_400000_NS6detail17trampoline_kernelINS0_14default_configENS1_22reduce_config_selectorIjEEZNS1_11reduce_implILb1ES3_N6thrust23THRUST_200600_302600_NS6detail15normal_iteratorINS8_10device_ptrIjEEEEPffNS8_4plusIfEEEE10hipError_tPvRmT1_T2_T3_mT4_P12ihipStream_tbEUlT_E0_NS1_11comp_targetILNS1_3genE10ELNS1_11target_archE1200ELNS1_3gpuE4ELNS1_3repE0EEENS1_30default_config_static_selectorELNS0_4arch9wavefront6targetE1EEEvSK_.num_vgpr, 0
	.set _ZN7rocprim17ROCPRIM_400000_NS6detail17trampoline_kernelINS0_14default_configENS1_22reduce_config_selectorIjEEZNS1_11reduce_implILb1ES3_N6thrust23THRUST_200600_302600_NS6detail15normal_iteratorINS8_10device_ptrIjEEEEPffNS8_4plusIfEEEE10hipError_tPvRmT1_T2_T3_mT4_P12ihipStream_tbEUlT_E0_NS1_11comp_targetILNS1_3genE10ELNS1_11target_archE1200ELNS1_3gpuE4ELNS1_3repE0EEENS1_30default_config_static_selectorELNS0_4arch9wavefront6targetE1EEEvSK_.num_agpr, 0
	.set _ZN7rocprim17ROCPRIM_400000_NS6detail17trampoline_kernelINS0_14default_configENS1_22reduce_config_selectorIjEEZNS1_11reduce_implILb1ES3_N6thrust23THRUST_200600_302600_NS6detail15normal_iteratorINS8_10device_ptrIjEEEEPffNS8_4plusIfEEEE10hipError_tPvRmT1_T2_T3_mT4_P12ihipStream_tbEUlT_E0_NS1_11comp_targetILNS1_3genE10ELNS1_11target_archE1200ELNS1_3gpuE4ELNS1_3repE0EEENS1_30default_config_static_selectorELNS0_4arch9wavefront6targetE1EEEvSK_.numbered_sgpr, 0
	.set _ZN7rocprim17ROCPRIM_400000_NS6detail17trampoline_kernelINS0_14default_configENS1_22reduce_config_selectorIjEEZNS1_11reduce_implILb1ES3_N6thrust23THRUST_200600_302600_NS6detail15normal_iteratorINS8_10device_ptrIjEEEEPffNS8_4plusIfEEEE10hipError_tPvRmT1_T2_T3_mT4_P12ihipStream_tbEUlT_E0_NS1_11comp_targetILNS1_3genE10ELNS1_11target_archE1200ELNS1_3gpuE4ELNS1_3repE0EEENS1_30default_config_static_selectorELNS0_4arch9wavefront6targetE1EEEvSK_.num_named_barrier, 0
	.set _ZN7rocprim17ROCPRIM_400000_NS6detail17trampoline_kernelINS0_14default_configENS1_22reduce_config_selectorIjEEZNS1_11reduce_implILb1ES3_N6thrust23THRUST_200600_302600_NS6detail15normal_iteratorINS8_10device_ptrIjEEEEPffNS8_4plusIfEEEE10hipError_tPvRmT1_T2_T3_mT4_P12ihipStream_tbEUlT_E0_NS1_11comp_targetILNS1_3genE10ELNS1_11target_archE1200ELNS1_3gpuE4ELNS1_3repE0EEENS1_30default_config_static_selectorELNS0_4arch9wavefront6targetE1EEEvSK_.private_seg_size, 0
	.set _ZN7rocprim17ROCPRIM_400000_NS6detail17trampoline_kernelINS0_14default_configENS1_22reduce_config_selectorIjEEZNS1_11reduce_implILb1ES3_N6thrust23THRUST_200600_302600_NS6detail15normal_iteratorINS8_10device_ptrIjEEEEPffNS8_4plusIfEEEE10hipError_tPvRmT1_T2_T3_mT4_P12ihipStream_tbEUlT_E0_NS1_11comp_targetILNS1_3genE10ELNS1_11target_archE1200ELNS1_3gpuE4ELNS1_3repE0EEENS1_30default_config_static_selectorELNS0_4arch9wavefront6targetE1EEEvSK_.uses_vcc, 0
	.set _ZN7rocprim17ROCPRIM_400000_NS6detail17trampoline_kernelINS0_14default_configENS1_22reduce_config_selectorIjEEZNS1_11reduce_implILb1ES3_N6thrust23THRUST_200600_302600_NS6detail15normal_iteratorINS8_10device_ptrIjEEEEPffNS8_4plusIfEEEE10hipError_tPvRmT1_T2_T3_mT4_P12ihipStream_tbEUlT_E0_NS1_11comp_targetILNS1_3genE10ELNS1_11target_archE1200ELNS1_3gpuE4ELNS1_3repE0EEENS1_30default_config_static_selectorELNS0_4arch9wavefront6targetE1EEEvSK_.uses_flat_scratch, 0
	.set _ZN7rocprim17ROCPRIM_400000_NS6detail17trampoline_kernelINS0_14default_configENS1_22reduce_config_selectorIjEEZNS1_11reduce_implILb1ES3_N6thrust23THRUST_200600_302600_NS6detail15normal_iteratorINS8_10device_ptrIjEEEEPffNS8_4plusIfEEEE10hipError_tPvRmT1_T2_T3_mT4_P12ihipStream_tbEUlT_E0_NS1_11comp_targetILNS1_3genE10ELNS1_11target_archE1200ELNS1_3gpuE4ELNS1_3repE0EEENS1_30default_config_static_selectorELNS0_4arch9wavefront6targetE1EEEvSK_.has_dyn_sized_stack, 0
	.set _ZN7rocprim17ROCPRIM_400000_NS6detail17trampoline_kernelINS0_14default_configENS1_22reduce_config_selectorIjEEZNS1_11reduce_implILb1ES3_N6thrust23THRUST_200600_302600_NS6detail15normal_iteratorINS8_10device_ptrIjEEEEPffNS8_4plusIfEEEE10hipError_tPvRmT1_T2_T3_mT4_P12ihipStream_tbEUlT_E0_NS1_11comp_targetILNS1_3genE10ELNS1_11target_archE1200ELNS1_3gpuE4ELNS1_3repE0EEENS1_30default_config_static_selectorELNS0_4arch9wavefront6targetE1EEEvSK_.has_recursion, 0
	.set _ZN7rocprim17ROCPRIM_400000_NS6detail17trampoline_kernelINS0_14default_configENS1_22reduce_config_selectorIjEEZNS1_11reduce_implILb1ES3_N6thrust23THRUST_200600_302600_NS6detail15normal_iteratorINS8_10device_ptrIjEEEEPffNS8_4plusIfEEEE10hipError_tPvRmT1_T2_T3_mT4_P12ihipStream_tbEUlT_E0_NS1_11comp_targetILNS1_3genE10ELNS1_11target_archE1200ELNS1_3gpuE4ELNS1_3repE0EEENS1_30default_config_static_selectorELNS0_4arch9wavefront6targetE1EEEvSK_.has_indirect_call, 0
	.section	.AMDGPU.csdata,"",@progbits
; Kernel info:
; codeLenInByte = 0
; TotalNumSgprs: 6
; NumVgprs: 0
; NumAgprs: 0
; TotalNumVgprs: 0
; ScratchSize: 0
; MemoryBound: 0
; FloatMode: 240
; IeeeMode: 1
; LDSByteSize: 0 bytes/workgroup (compile time only)
; SGPRBlocks: 0
; VGPRBlocks: 0
; NumSGPRsForWavesPerEU: 6
; NumVGPRsForWavesPerEU: 1
; AccumOffset: 4
; Occupancy: 8
; WaveLimiterHint : 0
; COMPUTE_PGM_RSRC2:SCRATCH_EN: 0
; COMPUTE_PGM_RSRC2:USER_SGPR: 2
; COMPUTE_PGM_RSRC2:TRAP_HANDLER: 0
; COMPUTE_PGM_RSRC2:TGID_X_EN: 1
; COMPUTE_PGM_RSRC2:TGID_Y_EN: 0
; COMPUTE_PGM_RSRC2:TGID_Z_EN: 0
; COMPUTE_PGM_RSRC2:TIDIG_COMP_CNT: 0
; COMPUTE_PGM_RSRC3_GFX90A:ACCUM_OFFSET: 0
; COMPUTE_PGM_RSRC3_GFX90A:TG_SPLIT: 0
	.section	.text._ZN7rocprim17ROCPRIM_400000_NS6detail17trampoline_kernelINS0_14default_configENS1_22reduce_config_selectorIjEEZNS1_11reduce_implILb1ES3_N6thrust23THRUST_200600_302600_NS6detail15normal_iteratorINS8_10device_ptrIjEEEEPffNS8_4plusIfEEEE10hipError_tPvRmT1_T2_T3_mT4_P12ihipStream_tbEUlT_E0_NS1_11comp_targetILNS1_3genE9ELNS1_11target_archE1100ELNS1_3gpuE3ELNS1_3repE0EEENS1_30default_config_static_selectorELNS0_4arch9wavefront6targetE1EEEvSK_,"axG",@progbits,_ZN7rocprim17ROCPRIM_400000_NS6detail17trampoline_kernelINS0_14default_configENS1_22reduce_config_selectorIjEEZNS1_11reduce_implILb1ES3_N6thrust23THRUST_200600_302600_NS6detail15normal_iteratorINS8_10device_ptrIjEEEEPffNS8_4plusIfEEEE10hipError_tPvRmT1_T2_T3_mT4_P12ihipStream_tbEUlT_E0_NS1_11comp_targetILNS1_3genE9ELNS1_11target_archE1100ELNS1_3gpuE3ELNS1_3repE0EEENS1_30default_config_static_selectorELNS0_4arch9wavefront6targetE1EEEvSK_,comdat
	.protected	_ZN7rocprim17ROCPRIM_400000_NS6detail17trampoline_kernelINS0_14default_configENS1_22reduce_config_selectorIjEEZNS1_11reduce_implILb1ES3_N6thrust23THRUST_200600_302600_NS6detail15normal_iteratorINS8_10device_ptrIjEEEEPffNS8_4plusIfEEEE10hipError_tPvRmT1_T2_T3_mT4_P12ihipStream_tbEUlT_E0_NS1_11comp_targetILNS1_3genE9ELNS1_11target_archE1100ELNS1_3gpuE3ELNS1_3repE0EEENS1_30default_config_static_selectorELNS0_4arch9wavefront6targetE1EEEvSK_ ; -- Begin function _ZN7rocprim17ROCPRIM_400000_NS6detail17trampoline_kernelINS0_14default_configENS1_22reduce_config_selectorIjEEZNS1_11reduce_implILb1ES3_N6thrust23THRUST_200600_302600_NS6detail15normal_iteratorINS8_10device_ptrIjEEEEPffNS8_4plusIfEEEE10hipError_tPvRmT1_T2_T3_mT4_P12ihipStream_tbEUlT_E0_NS1_11comp_targetILNS1_3genE9ELNS1_11target_archE1100ELNS1_3gpuE3ELNS1_3repE0EEENS1_30default_config_static_selectorELNS0_4arch9wavefront6targetE1EEEvSK_
	.globl	_ZN7rocprim17ROCPRIM_400000_NS6detail17trampoline_kernelINS0_14default_configENS1_22reduce_config_selectorIjEEZNS1_11reduce_implILb1ES3_N6thrust23THRUST_200600_302600_NS6detail15normal_iteratorINS8_10device_ptrIjEEEEPffNS8_4plusIfEEEE10hipError_tPvRmT1_T2_T3_mT4_P12ihipStream_tbEUlT_E0_NS1_11comp_targetILNS1_3genE9ELNS1_11target_archE1100ELNS1_3gpuE3ELNS1_3repE0EEENS1_30default_config_static_selectorELNS0_4arch9wavefront6targetE1EEEvSK_
	.p2align	8
	.type	_ZN7rocprim17ROCPRIM_400000_NS6detail17trampoline_kernelINS0_14default_configENS1_22reduce_config_selectorIjEEZNS1_11reduce_implILb1ES3_N6thrust23THRUST_200600_302600_NS6detail15normal_iteratorINS8_10device_ptrIjEEEEPffNS8_4plusIfEEEE10hipError_tPvRmT1_T2_T3_mT4_P12ihipStream_tbEUlT_E0_NS1_11comp_targetILNS1_3genE9ELNS1_11target_archE1100ELNS1_3gpuE3ELNS1_3repE0EEENS1_30default_config_static_selectorELNS0_4arch9wavefront6targetE1EEEvSK_,@function
_ZN7rocprim17ROCPRIM_400000_NS6detail17trampoline_kernelINS0_14default_configENS1_22reduce_config_selectorIjEEZNS1_11reduce_implILb1ES3_N6thrust23THRUST_200600_302600_NS6detail15normal_iteratorINS8_10device_ptrIjEEEEPffNS8_4plusIfEEEE10hipError_tPvRmT1_T2_T3_mT4_P12ihipStream_tbEUlT_E0_NS1_11comp_targetILNS1_3genE9ELNS1_11target_archE1100ELNS1_3gpuE3ELNS1_3repE0EEENS1_30default_config_static_selectorELNS0_4arch9wavefront6targetE1EEEvSK_: ; @_ZN7rocprim17ROCPRIM_400000_NS6detail17trampoline_kernelINS0_14default_configENS1_22reduce_config_selectorIjEEZNS1_11reduce_implILb1ES3_N6thrust23THRUST_200600_302600_NS6detail15normal_iteratorINS8_10device_ptrIjEEEEPffNS8_4plusIfEEEE10hipError_tPvRmT1_T2_T3_mT4_P12ihipStream_tbEUlT_E0_NS1_11comp_targetILNS1_3genE9ELNS1_11target_archE1100ELNS1_3gpuE3ELNS1_3repE0EEENS1_30default_config_static_selectorELNS0_4arch9wavefront6targetE1EEEvSK_
; %bb.0:
	.section	.rodata,"a",@progbits
	.p2align	6, 0x0
	.amdhsa_kernel _ZN7rocprim17ROCPRIM_400000_NS6detail17trampoline_kernelINS0_14default_configENS1_22reduce_config_selectorIjEEZNS1_11reduce_implILb1ES3_N6thrust23THRUST_200600_302600_NS6detail15normal_iteratorINS8_10device_ptrIjEEEEPffNS8_4plusIfEEEE10hipError_tPvRmT1_T2_T3_mT4_P12ihipStream_tbEUlT_E0_NS1_11comp_targetILNS1_3genE9ELNS1_11target_archE1100ELNS1_3gpuE3ELNS1_3repE0EEENS1_30default_config_static_selectorELNS0_4arch9wavefront6targetE1EEEvSK_
		.amdhsa_group_segment_fixed_size 0
		.amdhsa_private_segment_fixed_size 0
		.amdhsa_kernarg_size 56
		.amdhsa_user_sgpr_count 2
		.amdhsa_user_sgpr_dispatch_ptr 0
		.amdhsa_user_sgpr_queue_ptr 0
		.amdhsa_user_sgpr_kernarg_segment_ptr 1
		.amdhsa_user_sgpr_dispatch_id 0
		.amdhsa_user_sgpr_kernarg_preload_length 0
		.amdhsa_user_sgpr_kernarg_preload_offset 0
		.amdhsa_user_sgpr_private_segment_size 0
		.amdhsa_uses_dynamic_stack 0
		.amdhsa_enable_private_segment 0
		.amdhsa_system_sgpr_workgroup_id_x 1
		.amdhsa_system_sgpr_workgroup_id_y 0
		.amdhsa_system_sgpr_workgroup_id_z 0
		.amdhsa_system_sgpr_workgroup_info 0
		.amdhsa_system_vgpr_workitem_id 0
		.amdhsa_next_free_vgpr 1
		.amdhsa_next_free_sgpr 0
		.amdhsa_accum_offset 4
		.amdhsa_reserve_vcc 0
		.amdhsa_float_round_mode_32 0
		.amdhsa_float_round_mode_16_64 0
		.amdhsa_float_denorm_mode_32 3
		.amdhsa_float_denorm_mode_16_64 3
		.amdhsa_dx10_clamp 1
		.amdhsa_ieee_mode 1
		.amdhsa_fp16_overflow 0
		.amdhsa_tg_split 0
		.amdhsa_exception_fp_ieee_invalid_op 0
		.amdhsa_exception_fp_denorm_src 0
		.amdhsa_exception_fp_ieee_div_zero 0
		.amdhsa_exception_fp_ieee_overflow 0
		.amdhsa_exception_fp_ieee_underflow 0
		.amdhsa_exception_fp_ieee_inexact 0
		.amdhsa_exception_int_div_zero 0
	.end_amdhsa_kernel
	.section	.text._ZN7rocprim17ROCPRIM_400000_NS6detail17trampoline_kernelINS0_14default_configENS1_22reduce_config_selectorIjEEZNS1_11reduce_implILb1ES3_N6thrust23THRUST_200600_302600_NS6detail15normal_iteratorINS8_10device_ptrIjEEEEPffNS8_4plusIfEEEE10hipError_tPvRmT1_T2_T3_mT4_P12ihipStream_tbEUlT_E0_NS1_11comp_targetILNS1_3genE9ELNS1_11target_archE1100ELNS1_3gpuE3ELNS1_3repE0EEENS1_30default_config_static_selectorELNS0_4arch9wavefront6targetE1EEEvSK_,"axG",@progbits,_ZN7rocprim17ROCPRIM_400000_NS6detail17trampoline_kernelINS0_14default_configENS1_22reduce_config_selectorIjEEZNS1_11reduce_implILb1ES3_N6thrust23THRUST_200600_302600_NS6detail15normal_iteratorINS8_10device_ptrIjEEEEPffNS8_4plusIfEEEE10hipError_tPvRmT1_T2_T3_mT4_P12ihipStream_tbEUlT_E0_NS1_11comp_targetILNS1_3genE9ELNS1_11target_archE1100ELNS1_3gpuE3ELNS1_3repE0EEENS1_30default_config_static_selectorELNS0_4arch9wavefront6targetE1EEEvSK_,comdat
.Lfunc_end412:
	.size	_ZN7rocprim17ROCPRIM_400000_NS6detail17trampoline_kernelINS0_14default_configENS1_22reduce_config_selectorIjEEZNS1_11reduce_implILb1ES3_N6thrust23THRUST_200600_302600_NS6detail15normal_iteratorINS8_10device_ptrIjEEEEPffNS8_4plusIfEEEE10hipError_tPvRmT1_T2_T3_mT4_P12ihipStream_tbEUlT_E0_NS1_11comp_targetILNS1_3genE9ELNS1_11target_archE1100ELNS1_3gpuE3ELNS1_3repE0EEENS1_30default_config_static_selectorELNS0_4arch9wavefront6targetE1EEEvSK_, .Lfunc_end412-_ZN7rocprim17ROCPRIM_400000_NS6detail17trampoline_kernelINS0_14default_configENS1_22reduce_config_selectorIjEEZNS1_11reduce_implILb1ES3_N6thrust23THRUST_200600_302600_NS6detail15normal_iteratorINS8_10device_ptrIjEEEEPffNS8_4plusIfEEEE10hipError_tPvRmT1_T2_T3_mT4_P12ihipStream_tbEUlT_E0_NS1_11comp_targetILNS1_3genE9ELNS1_11target_archE1100ELNS1_3gpuE3ELNS1_3repE0EEENS1_30default_config_static_selectorELNS0_4arch9wavefront6targetE1EEEvSK_
                                        ; -- End function
	.set _ZN7rocprim17ROCPRIM_400000_NS6detail17trampoline_kernelINS0_14default_configENS1_22reduce_config_selectorIjEEZNS1_11reduce_implILb1ES3_N6thrust23THRUST_200600_302600_NS6detail15normal_iteratorINS8_10device_ptrIjEEEEPffNS8_4plusIfEEEE10hipError_tPvRmT1_T2_T3_mT4_P12ihipStream_tbEUlT_E0_NS1_11comp_targetILNS1_3genE9ELNS1_11target_archE1100ELNS1_3gpuE3ELNS1_3repE0EEENS1_30default_config_static_selectorELNS0_4arch9wavefront6targetE1EEEvSK_.num_vgpr, 0
	.set _ZN7rocprim17ROCPRIM_400000_NS6detail17trampoline_kernelINS0_14default_configENS1_22reduce_config_selectorIjEEZNS1_11reduce_implILb1ES3_N6thrust23THRUST_200600_302600_NS6detail15normal_iteratorINS8_10device_ptrIjEEEEPffNS8_4plusIfEEEE10hipError_tPvRmT1_T2_T3_mT4_P12ihipStream_tbEUlT_E0_NS1_11comp_targetILNS1_3genE9ELNS1_11target_archE1100ELNS1_3gpuE3ELNS1_3repE0EEENS1_30default_config_static_selectorELNS0_4arch9wavefront6targetE1EEEvSK_.num_agpr, 0
	.set _ZN7rocprim17ROCPRIM_400000_NS6detail17trampoline_kernelINS0_14default_configENS1_22reduce_config_selectorIjEEZNS1_11reduce_implILb1ES3_N6thrust23THRUST_200600_302600_NS6detail15normal_iteratorINS8_10device_ptrIjEEEEPffNS8_4plusIfEEEE10hipError_tPvRmT1_T2_T3_mT4_P12ihipStream_tbEUlT_E0_NS1_11comp_targetILNS1_3genE9ELNS1_11target_archE1100ELNS1_3gpuE3ELNS1_3repE0EEENS1_30default_config_static_selectorELNS0_4arch9wavefront6targetE1EEEvSK_.numbered_sgpr, 0
	.set _ZN7rocprim17ROCPRIM_400000_NS6detail17trampoline_kernelINS0_14default_configENS1_22reduce_config_selectorIjEEZNS1_11reduce_implILb1ES3_N6thrust23THRUST_200600_302600_NS6detail15normal_iteratorINS8_10device_ptrIjEEEEPffNS8_4plusIfEEEE10hipError_tPvRmT1_T2_T3_mT4_P12ihipStream_tbEUlT_E0_NS1_11comp_targetILNS1_3genE9ELNS1_11target_archE1100ELNS1_3gpuE3ELNS1_3repE0EEENS1_30default_config_static_selectorELNS0_4arch9wavefront6targetE1EEEvSK_.num_named_barrier, 0
	.set _ZN7rocprim17ROCPRIM_400000_NS6detail17trampoline_kernelINS0_14default_configENS1_22reduce_config_selectorIjEEZNS1_11reduce_implILb1ES3_N6thrust23THRUST_200600_302600_NS6detail15normal_iteratorINS8_10device_ptrIjEEEEPffNS8_4plusIfEEEE10hipError_tPvRmT1_T2_T3_mT4_P12ihipStream_tbEUlT_E0_NS1_11comp_targetILNS1_3genE9ELNS1_11target_archE1100ELNS1_3gpuE3ELNS1_3repE0EEENS1_30default_config_static_selectorELNS0_4arch9wavefront6targetE1EEEvSK_.private_seg_size, 0
	.set _ZN7rocprim17ROCPRIM_400000_NS6detail17trampoline_kernelINS0_14default_configENS1_22reduce_config_selectorIjEEZNS1_11reduce_implILb1ES3_N6thrust23THRUST_200600_302600_NS6detail15normal_iteratorINS8_10device_ptrIjEEEEPffNS8_4plusIfEEEE10hipError_tPvRmT1_T2_T3_mT4_P12ihipStream_tbEUlT_E0_NS1_11comp_targetILNS1_3genE9ELNS1_11target_archE1100ELNS1_3gpuE3ELNS1_3repE0EEENS1_30default_config_static_selectorELNS0_4arch9wavefront6targetE1EEEvSK_.uses_vcc, 0
	.set _ZN7rocprim17ROCPRIM_400000_NS6detail17trampoline_kernelINS0_14default_configENS1_22reduce_config_selectorIjEEZNS1_11reduce_implILb1ES3_N6thrust23THRUST_200600_302600_NS6detail15normal_iteratorINS8_10device_ptrIjEEEEPffNS8_4plusIfEEEE10hipError_tPvRmT1_T2_T3_mT4_P12ihipStream_tbEUlT_E0_NS1_11comp_targetILNS1_3genE9ELNS1_11target_archE1100ELNS1_3gpuE3ELNS1_3repE0EEENS1_30default_config_static_selectorELNS0_4arch9wavefront6targetE1EEEvSK_.uses_flat_scratch, 0
	.set _ZN7rocprim17ROCPRIM_400000_NS6detail17trampoline_kernelINS0_14default_configENS1_22reduce_config_selectorIjEEZNS1_11reduce_implILb1ES3_N6thrust23THRUST_200600_302600_NS6detail15normal_iteratorINS8_10device_ptrIjEEEEPffNS8_4plusIfEEEE10hipError_tPvRmT1_T2_T3_mT4_P12ihipStream_tbEUlT_E0_NS1_11comp_targetILNS1_3genE9ELNS1_11target_archE1100ELNS1_3gpuE3ELNS1_3repE0EEENS1_30default_config_static_selectorELNS0_4arch9wavefront6targetE1EEEvSK_.has_dyn_sized_stack, 0
	.set _ZN7rocprim17ROCPRIM_400000_NS6detail17trampoline_kernelINS0_14default_configENS1_22reduce_config_selectorIjEEZNS1_11reduce_implILb1ES3_N6thrust23THRUST_200600_302600_NS6detail15normal_iteratorINS8_10device_ptrIjEEEEPffNS8_4plusIfEEEE10hipError_tPvRmT1_T2_T3_mT4_P12ihipStream_tbEUlT_E0_NS1_11comp_targetILNS1_3genE9ELNS1_11target_archE1100ELNS1_3gpuE3ELNS1_3repE0EEENS1_30default_config_static_selectorELNS0_4arch9wavefront6targetE1EEEvSK_.has_recursion, 0
	.set _ZN7rocprim17ROCPRIM_400000_NS6detail17trampoline_kernelINS0_14default_configENS1_22reduce_config_selectorIjEEZNS1_11reduce_implILb1ES3_N6thrust23THRUST_200600_302600_NS6detail15normal_iteratorINS8_10device_ptrIjEEEEPffNS8_4plusIfEEEE10hipError_tPvRmT1_T2_T3_mT4_P12ihipStream_tbEUlT_E0_NS1_11comp_targetILNS1_3genE9ELNS1_11target_archE1100ELNS1_3gpuE3ELNS1_3repE0EEENS1_30default_config_static_selectorELNS0_4arch9wavefront6targetE1EEEvSK_.has_indirect_call, 0
	.section	.AMDGPU.csdata,"",@progbits
; Kernel info:
; codeLenInByte = 0
; TotalNumSgprs: 6
; NumVgprs: 0
; NumAgprs: 0
; TotalNumVgprs: 0
; ScratchSize: 0
; MemoryBound: 0
; FloatMode: 240
; IeeeMode: 1
; LDSByteSize: 0 bytes/workgroup (compile time only)
; SGPRBlocks: 0
; VGPRBlocks: 0
; NumSGPRsForWavesPerEU: 6
; NumVGPRsForWavesPerEU: 1
; AccumOffset: 4
; Occupancy: 8
; WaveLimiterHint : 0
; COMPUTE_PGM_RSRC2:SCRATCH_EN: 0
; COMPUTE_PGM_RSRC2:USER_SGPR: 2
; COMPUTE_PGM_RSRC2:TRAP_HANDLER: 0
; COMPUTE_PGM_RSRC2:TGID_X_EN: 1
; COMPUTE_PGM_RSRC2:TGID_Y_EN: 0
; COMPUTE_PGM_RSRC2:TGID_Z_EN: 0
; COMPUTE_PGM_RSRC2:TIDIG_COMP_CNT: 0
; COMPUTE_PGM_RSRC3_GFX90A:ACCUM_OFFSET: 0
; COMPUTE_PGM_RSRC3_GFX90A:TG_SPLIT: 0
	.section	.text._ZN7rocprim17ROCPRIM_400000_NS6detail17trampoline_kernelINS0_14default_configENS1_22reduce_config_selectorIjEEZNS1_11reduce_implILb1ES3_N6thrust23THRUST_200600_302600_NS6detail15normal_iteratorINS8_10device_ptrIjEEEEPffNS8_4plusIfEEEE10hipError_tPvRmT1_T2_T3_mT4_P12ihipStream_tbEUlT_E0_NS1_11comp_targetILNS1_3genE8ELNS1_11target_archE1030ELNS1_3gpuE2ELNS1_3repE0EEENS1_30default_config_static_selectorELNS0_4arch9wavefront6targetE1EEEvSK_,"axG",@progbits,_ZN7rocprim17ROCPRIM_400000_NS6detail17trampoline_kernelINS0_14default_configENS1_22reduce_config_selectorIjEEZNS1_11reduce_implILb1ES3_N6thrust23THRUST_200600_302600_NS6detail15normal_iteratorINS8_10device_ptrIjEEEEPffNS8_4plusIfEEEE10hipError_tPvRmT1_T2_T3_mT4_P12ihipStream_tbEUlT_E0_NS1_11comp_targetILNS1_3genE8ELNS1_11target_archE1030ELNS1_3gpuE2ELNS1_3repE0EEENS1_30default_config_static_selectorELNS0_4arch9wavefront6targetE1EEEvSK_,comdat
	.protected	_ZN7rocprim17ROCPRIM_400000_NS6detail17trampoline_kernelINS0_14default_configENS1_22reduce_config_selectorIjEEZNS1_11reduce_implILb1ES3_N6thrust23THRUST_200600_302600_NS6detail15normal_iteratorINS8_10device_ptrIjEEEEPffNS8_4plusIfEEEE10hipError_tPvRmT1_T2_T3_mT4_P12ihipStream_tbEUlT_E0_NS1_11comp_targetILNS1_3genE8ELNS1_11target_archE1030ELNS1_3gpuE2ELNS1_3repE0EEENS1_30default_config_static_selectorELNS0_4arch9wavefront6targetE1EEEvSK_ ; -- Begin function _ZN7rocprim17ROCPRIM_400000_NS6detail17trampoline_kernelINS0_14default_configENS1_22reduce_config_selectorIjEEZNS1_11reduce_implILb1ES3_N6thrust23THRUST_200600_302600_NS6detail15normal_iteratorINS8_10device_ptrIjEEEEPffNS8_4plusIfEEEE10hipError_tPvRmT1_T2_T3_mT4_P12ihipStream_tbEUlT_E0_NS1_11comp_targetILNS1_3genE8ELNS1_11target_archE1030ELNS1_3gpuE2ELNS1_3repE0EEENS1_30default_config_static_selectorELNS0_4arch9wavefront6targetE1EEEvSK_
	.globl	_ZN7rocprim17ROCPRIM_400000_NS6detail17trampoline_kernelINS0_14default_configENS1_22reduce_config_selectorIjEEZNS1_11reduce_implILb1ES3_N6thrust23THRUST_200600_302600_NS6detail15normal_iteratorINS8_10device_ptrIjEEEEPffNS8_4plusIfEEEE10hipError_tPvRmT1_T2_T3_mT4_P12ihipStream_tbEUlT_E0_NS1_11comp_targetILNS1_3genE8ELNS1_11target_archE1030ELNS1_3gpuE2ELNS1_3repE0EEENS1_30default_config_static_selectorELNS0_4arch9wavefront6targetE1EEEvSK_
	.p2align	8
	.type	_ZN7rocprim17ROCPRIM_400000_NS6detail17trampoline_kernelINS0_14default_configENS1_22reduce_config_selectorIjEEZNS1_11reduce_implILb1ES3_N6thrust23THRUST_200600_302600_NS6detail15normal_iteratorINS8_10device_ptrIjEEEEPffNS8_4plusIfEEEE10hipError_tPvRmT1_T2_T3_mT4_P12ihipStream_tbEUlT_E0_NS1_11comp_targetILNS1_3genE8ELNS1_11target_archE1030ELNS1_3gpuE2ELNS1_3repE0EEENS1_30default_config_static_selectorELNS0_4arch9wavefront6targetE1EEEvSK_,@function
_ZN7rocprim17ROCPRIM_400000_NS6detail17trampoline_kernelINS0_14default_configENS1_22reduce_config_selectorIjEEZNS1_11reduce_implILb1ES3_N6thrust23THRUST_200600_302600_NS6detail15normal_iteratorINS8_10device_ptrIjEEEEPffNS8_4plusIfEEEE10hipError_tPvRmT1_T2_T3_mT4_P12ihipStream_tbEUlT_E0_NS1_11comp_targetILNS1_3genE8ELNS1_11target_archE1030ELNS1_3gpuE2ELNS1_3repE0EEENS1_30default_config_static_selectorELNS0_4arch9wavefront6targetE1EEEvSK_: ; @_ZN7rocprim17ROCPRIM_400000_NS6detail17trampoline_kernelINS0_14default_configENS1_22reduce_config_selectorIjEEZNS1_11reduce_implILb1ES3_N6thrust23THRUST_200600_302600_NS6detail15normal_iteratorINS8_10device_ptrIjEEEEPffNS8_4plusIfEEEE10hipError_tPvRmT1_T2_T3_mT4_P12ihipStream_tbEUlT_E0_NS1_11comp_targetILNS1_3genE8ELNS1_11target_archE1030ELNS1_3gpuE2ELNS1_3repE0EEENS1_30default_config_static_selectorELNS0_4arch9wavefront6targetE1EEEvSK_
; %bb.0:
	.section	.rodata,"a",@progbits
	.p2align	6, 0x0
	.amdhsa_kernel _ZN7rocprim17ROCPRIM_400000_NS6detail17trampoline_kernelINS0_14default_configENS1_22reduce_config_selectorIjEEZNS1_11reduce_implILb1ES3_N6thrust23THRUST_200600_302600_NS6detail15normal_iteratorINS8_10device_ptrIjEEEEPffNS8_4plusIfEEEE10hipError_tPvRmT1_T2_T3_mT4_P12ihipStream_tbEUlT_E0_NS1_11comp_targetILNS1_3genE8ELNS1_11target_archE1030ELNS1_3gpuE2ELNS1_3repE0EEENS1_30default_config_static_selectorELNS0_4arch9wavefront6targetE1EEEvSK_
		.amdhsa_group_segment_fixed_size 0
		.amdhsa_private_segment_fixed_size 0
		.amdhsa_kernarg_size 56
		.amdhsa_user_sgpr_count 2
		.amdhsa_user_sgpr_dispatch_ptr 0
		.amdhsa_user_sgpr_queue_ptr 0
		.amdhsa_user_sgpr_kernarg_segment_ptr 1
		.amdhsa_user_sgpr_dispatch_id 0
		.amdhsa_user_sgpr_kernarg_preload_length 0
		.amdhsa_user_sgpr_kernarg_preload_offset 0
		.amdhsa_user_sgpr_private_segment_size 0
		.amdhsa_uses_dynamic_stack 0
		.amdhsa_enable_private_segment 0
		.amdhsa_system_sgpr_workgroup_id_x 1
		.amdhsa_system_sgpr_workgroup_id_y 0
		.amdhsa_system_sgpr_workgroup_id_z 0
		.amdhsa_system_sgpr_workgroup_info 0
		.amdhsa_system_vgpr_workitem_id 0
		.amdhsa_next_free_vgpr 1
		.amdhsa_next_free_sgpr 0
		.amdhsa_accum_offset 4
		.amdhsa_reserve_vcc 0
		.amdhsa_float_round_mode_32 0
		.amdhsa_float_round_mode_16_64 0
		.amdhsa_float_denorm_mode_32 3
		.amdhsa_float_denorm_mode_16_64 3
		.amdhsa_dx10_clamp 1
		.amdhsa_ieee_mode 1
		.amdhsa_fp16_overflow 0
		.amdhsa_tg_split 0
		.amdhsa_exception_fp_ieee_invalid_op 0
		.amdhsa_exception_fp_denorm_src 0
		.amdhsa_exception_fp_ieee_div_zero 0
		.amdhsa_exception_fp_ieee_overflow 0
		.amdhsa_exception_fp_ieee_underflow 0
		.amdhsa_exception_fp_ieee_inexact 0
		.amdhsa_exception_int_div_zero 0
	.end_amdhsa_kernel
	.section	.text._ZN7rocprim17ROCPRIM_400000_NS6detail17trampoline_kernelINS0_14default_configENS1_22reduce_config_selectorIjEEZNS1_11reduce_implILb1ES3_N6thrust23THRUST_200600_302600_NS6detail15normal_iteratorINS8_10device_ptrIjEEEEPffNS8_4plusIfEEEE10hipError_tPvRmT1_T2_T3_mT4_P12ihipStream_tbEUlT_E0_NS1_11comp_targetILNS1_3genE8ELNS1_11target_archE1030ELNS1_3gpuE2ELNS1_3repE0EEENS1_30default_config_static_selectorELNS0_4arch9wavefront6targetE1EEEvSK_,"axG",@progbits,_ZN7rocprim17ROCPRIM_400000_NS6detail17trampoline_kernelINS0_14default_configENS1_22reduce_config_selectorIjEEZNS1_11reduce_implILb1ES3_N6thrust23THRUST_200600_302600_NS6detail15normal_iteratorINS8_10device_ptrIjEEEEPffNS8_4plusIfEEEE10hipError_tPvRmT1_T2_T3_mT4_P12ihipStream_tbEUlT_E0_NS1_11comp_targetILNS1_3genE8ELNS1_11target_archE1030ELNS1_3gpuE2ELNS1_3repE0EEENS1_30default_config_static_selectorELNS0_4arch9wavefront6targetE1EEEvSK_,comdat
.Lfunc_end413:
	.size	_ZN7rocprim17ROCPRIM_400000_NS6detail17trampoline_kernelINS0_14default_configENS1_22reduce_config_selectorIjEEZNS1_11reduce_implILb1ES3_N6thrust23THRUST_200600_302600_NS6detail15normal_iteratorINS8_10device_ptrIjEEEEPffNS8_4plusIfEEEE10hipError_tPvRmT1_T2_T3_mT4_P12ihipStream_tbEUlT_E0_NS1_11comp_targetILNS1_3genE8ELNS1_11target_archE1030ELNS1_3gpuE2ELNS1_3repE0EEENS1_30default_config_static_selectorELNS0_4arch9wavefront6targetE1EEEvSK_, .Lfunc_end413-_ZN7rocprim17ROCPRIM_400000_NS6detail17trampoline_kernelINS0_14default_configENS1_22reduce_config_selectorIjEEZNS1_11reduce_implILb1ES3_N6thrust23THRUST_200600_302600_NS6detail15normal_iteratorINS8_10device_ptrIjEEEEPffNS8_4plusIfEEEE10hipError_tPvRmT1_T2_T3_mT4_P12ihipStream_tbEUlT_E0_NS1_11comp_targetILNS1_3genE8ELNS1_11target_archE1030ELNS1_3gpuE2ELNS1_3repE0EEENS1_30default_config_static_selectorELNS0_4arch9wavefront6targetE1EEEvSK_
                                        ; -- End function
	.set _ZN7rocprim17ROCPRIM_400000_NS6detail17trampoline_kernelINS0_14default_configENS1_22reduce_config_selectorIjEEZNS1_11reduce_implILb1ES3_N6thrust23THRUST_200600_302600_NS6detail15normal_iteratorINS8_10device_ptrIjEEEEPffNS8_4plusIfEEEE10hipError_tPvRmT1_T2_T3_mT4_P12ihipStream_tbEUlT_E0_NS1_11comp_targetILNS1_3genE8ELNS1_11target_archE1030ELNS1_3gpuE2ELNS1_3repE0EEENS1_30default_config_static_selectorELNS0_4arch9wavefront6targetE1EEEvSK_.num_vgpr, 0
	.set _ZN7rocprim17ROCPRIM_400000_NS6detail17trampoline_kernelINS0_14default_configENS1_22reduce_config_selectorIjEEZNS1_11reduce_implILb1ES3_N6thrust23THRUST_200600_302600_NS6detail15normal_iteratorINS8_10device_ptrIjEEEEPffNS8_4plusIfEEEE10hipError_tPvRmT1_T2_T3_mT4_P12ihipStream_tbEUlT_E0_NS1_11comp_targetILNS1_3genE8ELNS1_11target_archE1030ELNS1_3gpuE2ELNS1_3repE0EEENS1_30default_config_static_selectorELNS0_4arch9wavefront6targetE1EEEvSK_.num_agpr, 0
	.set _ZN7rocprim17ROCPRIM_400000_NS6detail17trampoline_kernelINS0_14default_configENS1_22reduce_config_selectorIjEEZNS1_11reduce_implILb1ES3_N6thrust23THRUST_200600_302600_NS6detail15normal_iteratorINS8_10device_ptrIjEEEEPffNS8_4plusIfEEEE10hipError_tPvRmT1_T2_T3_mT4_P12ihipStream_tbEUlT_E0_NS1_11comp_targetILNS1_3genE8ELNS1_11target_archE1030ELNS1_3gpuE2ELNS1_3repE0EEENS1_30default_config_static_selectorELNS0_4arch9wavefront6targetE1EEEvSK_.numbered_sgpr, 0
	.set _ZN7rocprim17ROCPRIM_400000_NS6detail17trampoline_kernelINS0_14default_configENS1_22reduce_config_selectorIjEEZNS1_11reduce_implILb1ES3_N6thrust23THRUST_200600_302600_NS6detail15normal_iteratorINS8_10device_ptrIjEEEEPffNS8_4plusIfEEEE10hipError_tPvRmT1_T2_T3_mT4_P12ihipStream_tbEUlT_E0_NS1_11comp_targetILNS1_3genE8ELNS1_11target_archE1030ELNS1_3gpuE2ELNS1_3repE0EEENS1_30default_config_static_selectorELNS0_4arch9wavefront6targetE1EEEvSK_.num_named_barrier, 0
	.set _ZN7rocprim17ROCPRIM_400000_NS6detail17trampoline_kernelINS0_14default_configENS1_22reduce_config_selectorIjEEZNS1_11reduce_implILb1ES3_N6thrust23THRUST_200600_302600_NS6detail15normal_iteratorINS8_10device_ptrIjEEEEPffNS8_4plusIfEEEE10hipError_tPvRmT1_T2_T3_mT4_P12ihipStream_tbEUlT_E0_NS1_11comp_targetILNS1_3genE8ELNS1_11target_archE1030ELNS1_3gpuE2ELNS1_3repE0EEENS1_30default_config_static_selectorELNS0_4arch9wavefront6targetE1EEEvSK_.private_seg_size, 0
	.set _ZN7rocprim17ROCPRIM_400000_NS6detail17trampoline_kernelINS0_14default_configENS1_22reduce_config_selectorIjEEZNS1_11reduce_implILb1ES3_N6thrust23THRUST_200600_302600_NS6detail15normal_iteratorINS8_10device_ptrIjEEEEPffNS8_4plusIfEEEE10hipError_tPvRmT1_T2_T3_mT4_P12ihipStream_tbEUlT_E0_NS1_11comp_targetILNS1_3genE8ELNS1_11target_archE1030ELNS1_3gpuE2ELNS1_3repE0EEENS1_30default_config_static_selectorELNS0_4arch9wavefront6targetE1EEEvSK_.uses_vcc, 0
	.set _ZN7rocprim17ROCPRIM_400000_NS6detail17trampoline_kernelINS0_14default_configENS1_22reduce_config_selectorIjEEZNS1_11reduce_implILb1ES3_N6thrust23THRUST_200600_302600_NS6detail15normal_iteratorINS8_10device_ptrIjEEEEPffNS8_4plusIfEEEE10hipError_tPvRmT1_T2_T3_mT4_P12ihipStream_tbEUlT_E0_NS1_11comp_targetILNS1_3genE8ELNS1_11target_archE1030ELNS1_3gpuE2ELNS1_3repE0EEENS1_30default_config_static_selectorELNS0_4arch9wavefront6targetE1EEEvSK_.uses_flat_scratch, 0
	.set _ZN7rocprim17ROCPRIM_400000_NS6detail17trampoline_kernelINS0_14default_configENS1_22reduce_config_selectorIjEEZNS1_11reduce_implILb1ES3_N6thrust23THRUST_200600_302600_NS6detail15normal_iteratorINS8_10device_ptrIjEEEEPffNS8_4plusIfEEEE10hipError_tPvRmT1_T2_T3_mT4_P12ihipStream_tbEUlT_E0_NS1_11comp_targetILNS1_3genE8ELNS1_11target_archE1030ELNS1_3gpuE2ELNS1_3repE0EEENS1_30default_config_static_selectorELNS0_4arch9wavefront6targetE1EEEvSK_.has_dyn_sized_stack, 0
	.set _ZN7rocprim17ROCPRIM_400000_NS6detail17trampoline_kernelINS0_14default_configENS1_22reduce_config_selectorIjEEZNS1_11reduce_implILb1ES3_N6thrust23THRUST_200600_302600_NS6detail15normal_iteratorINS8_10device_ptrIjEEEEPffNS8_4plusIfEEEE10hipError_tPvRmT1_T2_T3_mT4_P12ihipStream_tbEUlT_E0_NS1_11comp_targetILNS1_3genE8ELNS1_11target_archE1030ELNS1_3gpuE2ELNS1_3repE0EEENS1_30default_config_static_selectorELNS0_4arch9wavefront6targetE1EEEvSK_.has_recursion, 0
	.set _ZN7rocprim17ROCPRIM_400000_NS6detail17trampoline_kernelINS0_14default_configENS1_22reduce_config_selectorIjEEZNS1_11reduce_implILb1ES3_N6thrust23THRUST_200600_302600_NS6detail15normal_iteratorINS8_10device_ptrIjEEEEPffNS8_4plusIfEEEE10hipError_tPvRmT1_T2_T3_mT4_P12ihipStream_tbEUlT_E0_NS1_11comp_targetILNS1_3genE8ELNS1_11target_archE1030ELNS1_3gpuE2ELNS1_3repE0EEENS1_30default_config_static_selectorELNS0_4arch9wavefront6targetE1EEEvSK_.has_indirect_call, 0
	.section	.AMDGPU.csdata,"",@progbits
; Kernel info:
; codeLenInByte = 0
; TotalNumSgprs: 6
; NumVgprs: 0
; NumAgprs: 0
; TotalNumVgprs: 0
; ScratchSize: 0
; MemoryBound: 0
; FloatMode: 240
; IeeeMode: 1
; LDSByteSize: 0 bytes/workgroup (compile time only)
; SGPRBlocks: 0
; VGPRBlocks: 0
; NumSGPRsForWavesPerEU: 6
; NumVGPRsForWavesPerEU: 1
; AccumOffset: 4
; Occupancy: 8
; WaveLimiterHint : 0
; COMPUTE_PGM_RSRC2:SCRATCH_EN: 0
; COMPUTE_PGM_RSRC2:USER_SGPR: 2
; COMPUTE_PGM_RSRC2:TRAP_HANDLER: 0
; COMPUTE_PGM_RSRC2:TGID_X_EN: 1
; COMPUTE_PGM_RSRC2:TGID_Y_EN: 0
; COMPUTE_PGM_RSRC2:TGID_Z_EN: 0
; COMPUTE_PGM_RSRC2:TIDIG_COMP_CNT: 0
; COMPUTE_PGM_RSRC3_GFX90A:ACCUM_OFFSET: 0
; COMPUTE_PGM_RSRC3_GFX90A:TG_SPLIT: 0
	.section	.text._ZN7rocprim17ROCPRIM_400000_NS6detail17trampoline_kernelINS0_14default_configENS1_22reduce_config_selectorIjEEZNS1_11reduce_implILb1ES3_N6thrust23THRUST_200600_302600_NS6detail15normal_iteratorINS8_10device_ptrIjEEEEPffNS8_4plusIfEEEE10hipError_tPvRmT1_T2_T3_mT4_P12ihipStream_tbEUlT_E1_NS1_11comp_targetILNS1_3genE0ELNS1_11target_archE4294967295ELNS1_3gpuE0ELNS1_3repE0EEENS1_30default_config_static_selectorELNS0_4arch9wavefront6targetE1EEEvSK_,"axG",@progbits,_ZN7rocprim17ROCPRIM_400000_NS6detail17trampoline_kernelINS0_14default_configENS1_22reduce_config_selectorIjEEZNS1_11reduce_implILb1ES3_N6thrust23THRUST_200600_302600_NS6detail15normal_iteratorINS8_10device_ptrIjEEEEPffNS8_4plusIfEEEE10hipError_tPvRmT1_T2_T3_mT4_P12ihipStream_tbEUlT_E1_NS1_11comp_targetILNS1_3genE0ELNS1_11target_archE4294967295ELNS1_3gpuE0ELNS1_3repE0EEENS1_30default_config_static_selectorELNS0_4arch9wavefront6targetE1EEEvSK_,comdat
	.protected	_ZN7rocprim17ROCPRIM_400000_NS6detail17trampoline_kernelINS0_14default_configENS1_22reduce_config_selectorIjEEZNS1_11reduce_implILb1ES3_N6thrust23THRUST_200600_302600_NS6detail15normal_iteratorINS8_10device_ptrIjEEEEPffNS8_4plusIfEEEE10hipError_tPvRmT1_T2_T3_mT4_P12ihipStream_tbEUlT_E1_NS1_11comp_targetILNS1_3genE0ELNS1_11target_archE4294967295ELNS1_3gpuE0ELNS1_3repE0EEENS1_30default_config_static_selectorELNS0_4arch9wavefront6targetE1EEEvSK_ ; -- Begin function _ZN7rocprim17ROCPRIM_400000_NS6detail17trampoline_kernelINS0_14default_configENS1_22reduce_config_selectorIjEEZNS1_11reduce_implILb1ES3_N6thrust23THRUST_200600_302600_NS6detail15normal_iteratorINS8_10device_ptrIjEEEEPffNS8_4plusIfEEEE10hipError_tPvRmT1_T2_T3_mT4_P12ihipStream_tbEUlT_E1_NS1_11comp_targetILNS1_3genE0ELNS1_11target_archE4294967295ELNS1_3gpuE0ELNS1_3repE0EEENS1_30default_config_static_selectorELNS0_4arch9wavefront6targetE1EEEvSK_
	.globl	_ZN7rocprim17ROCPRIM_400000_NS6detail17trampoline_kernelINS0_14default_configENS1_22reduce_config_selectorIjEEZNS1_11reduce_implILb1ES3_N6thrust23THRUST_200600_302600_NS6detail15normal_iteratorINS8_10device_ptrIjEEEEPffNS8_4plusIfEEEE10hipError_tPvRmT1_T2_T3_mT4_P12ihipStream_tbEUlT_E1_NS1_11comp_targetILNS1_3genE0ELNS1_11target_archE4294967295ELNS1_3gpuE0ELNS1_3repE0EEENS1_30default_config_static_selectorELNS0_4arch9wavefront6targetE1EEEvSK_
	.p2align	8
	.type	_ZN7rocprim17ROCPRIM_400000_NS6detail17trampoline_kernelINS0_14default_configENS1_22reduce_config_selectorIjEEZNS1_11reduce_implILb1ES3_N6thrust23THRUST_200600_302600_NS6detail15normal_iteratorINS8_10device_ptrIjEEEEPffNS8_4plusIfEEEE10hipError_tPvRmT1_T2_T3_mT4_P12ihipStream_tbEUlT_E1_NS1_11comp_targetILNS1_3genE0ELNS1_11target_archE4294967295ELNS1_3gpuE0ELNS1_3repE0EEENS1_30default_config_static_selectorELNS0_4arch9wavefront6targetE1EEEvSK_,@function
_ZN7rocprim17ROCPRIM_400000_NS6detail17trampoline_kernelINS0_14default_configENS1_22reduce_config_selectorIjEEZNS1_11reduce_implILb1ES3_N6thrust23THRUST_200600_302600_NS6detail15normal_iteratorINS8_10device_ptrIjEEEEPffNS8_4plusIfEEEE10hipError_tPvRmT1_T2_T3_mT4_P12ihipStream_tbEUlT_E1_NS1_11comp_targetILNS1_3genE0ELNS1_11target_archE4294967295ELNS1_3gpuE0ELNS1_3repE0EEENS1_30default_config_static_selectorELNS0_4arch9wavefront6targetE1EEEvSK_: ; @_ZN7rocprim17ROCPRIM_400000_NS6detail17trampoline_kernelINS0_14default_configENS1_22reduce_config_selectorIjEEZNS1_11reduce_implILb1ES3_N6thrust23THRUST_200600_302600_NS6detail15normal_iteratorINS8_10device_ptrIjEEEEPffNS8_4plusIfEEEE10hipError_tPvRmT1_T2_T3_mT4_P12ihipStream_tbEUlT_E1_NS1_11comp_targetILNS1_3genE0ELNS1_11target_archE4294967295ELNS1_3gpuE0ELNS1_3repE0EEENS1_30default_config_static_selectorELNS0_4arch9wavefront6targetE1EEEvSK_
; %bb.0:
	s_load_dword s33, s[0:1], 0x4
	s_load_dwordx4 s[68:71], s[0:1], 0x8
	s_waitcnt lgkmcnt(0)
	s_cmp_lt_i32 s33, 8
	s_cbranch_scc1 .LBB414_11
; %bb.1:
	s_cmp_gt_i32 s33, 15
	s_cbranch_scc0 .LBB414_12
; %bb.2:
	s_cmp_gt_i32 s33, 31
	s_cbranch_scc0 .LBB414_13
; %bb.3:
	s_cmp_eq_u32 s33, 32
	s_mov_b64 s[66:67], 0
	s_cbranch_scc0 .LBB414_14
; %bb.4:
	s_mov_b32 s3, 0
	s_lshl_b32 s4, s2, 13
	s_mov_b32 s5, s3
	s_lshr_b64 s[6:7], s[70:71], 13
	s_lshl_b64 s[8:9], s[4:5], 2
	s_add_u32 s72, s68, s8
	s_addc_u32 s73, s69, s9
	s_cmp_lg_u64 s[6:7], s[2:3]
	s_cbranch_scc0 .LBB414_23
; %bb.5:
	v_lshlrev_b32_e32 v2, 2, v0
	global_load_dword v1, v2, s[72:73]
	global_load_dword v8, v2, s[72:73] offset:1024
	global_load_dword v9, v2, s[72:73] offset:2048
	;; [unrolled: 1-line block ×3, first 2 shown]
	v_mov_b32_e32 v3, 0
	v_lshl_add_u64 v[4:5], s[72:73], 0, v[2:3]
	v_add_co_u32_e32 v2, vcc, 0x1000, v4
	s_waitcnt vmcnt(3)
	v_cvt_f32_u32_e32 v1, v1
	v_addc_co_u32_e32 v3, vcc, 0, v5, vcc
	v_add_co_u32_e32 v6, vcc, 0x2000, v4
	s_nop 1
	v_addc_co_u32_e32 v7, vcc, 0, v5, vcc
	global_load_dword v11, v[2:3], off
	global_load_dword v12, v[2:3], off offset:1024
	global_load_dword v13, v[2:3], off offset:2048
	global_load_dword v14, v[2:3], off offset:3072
	global_load_dword v15, v[6:7], off
	global_load_dword v16, v[6:7], off offset:1024
	global_load_dword v17, v[6:7], off offset:2048
	global_load_dword v18, v[6:7], off offset:3072
	v_add_co_u32_e32 v2, vcc, 0x3000, v4
	s_nop 1
	v_addc_co_u32_e32 v3, vcc, 0, v5, vcc
	v_add_co_u32_e32 v6, vcc, 0x4000, v4
	s_nop 1
	v_addc_co_u32_e32 v7, vcc, 0, v5, vcc
	global_load_dword v19, v[2:3], off
	global_load_dword v20, v[2:3], off offset:1024
	global_load_dword v21, v[2:3], off offset:2048
	global_load_dword v22, v[2:3], off offset:3072
	global_load_dword v23, v[6:7], off
	global_load_dword v24, v[6:7], off offset:1024
	global_load_dword v25, v[6:7], off offset:2048
	global_load_dword v26, v[6:7], off offset:3072
	v_add_co_u32_e32 v2, vcc, 0x5000, v4
	s_nop 1
	;; [unrolled: 14-line block ×3, first 2 shown]
	v_addc_co_u32_e32 v3, vcc, 0, v5, vcc
	global_load_dword v4, v[2:3], off
	global_load_dword v5, v[2:3], off offset:1024
	global_load_dword v6, v[2:3], off offset:2048
	;; [unrolled: 1-line block ×3, first 2 shown]
	s_waitcnt vmcnt(30)
	v_cvt_f32_u32_e32 v2, v8
	s_waitcnt vmcnt(29)
	v_cvt_f32_u32_e32 v3, v9
	;; [unrolled: 2-line block ×3, first 2 shown]
	v_add_f32_e32 v1, v1, v2
	v_add_f32_e32 v1, v1, v3
	v_add_f32_e32 v1, v1, v8
	v_mbcnt_lo_u32_b32 v2, -1, 0
	v_mbcnt_hi_u32_b32 v2, -1, v2
	v_lshlrev_b32_e32 v3, 2, v2
	v_cmp_eq_u32_e32 vcc, 0, v2
	s_waitcnt vmcnt(27)
	v_cvt_f32_u32_e32 v9, v11
	s_waitcnt vmcnt(26)
	v_cvt_f32_u32_e32 v10, v12
	;; [unrolled: 2-line block ×5, first 2 shown]
	v_add_f32_e32 v1, v1, v9
	s_waitcnt vmcnt(22)
	v_cvt_f32_u32_e32 v14, v16
	v_add_f32_e32 v1, v1, v10
	s_waitcnt vmcnt(21)
	v_cvt_f32_u32_e32 v15, v17
	;; [unrolled: 3-line block ×23, first 2 shown]
	v_add_f32_e32 v1, v1, v32
	v_add_f32_e32 v1, v1, v4
	;; [unrolled: 1-line block ×5, first 2 shown]
	v_or_b32_e32 v4, 0xfc, v3
	s_nop 0
	v_add_f32_dpp v1, v1, v1 quad_perm:[1,0,3,2] row_mask:0xf bank_mask:0xf bound_ctrl:1
	s_nop 1
	v_add_f32_dpp v1, v1, v1 quad_perm:[2,3,0,1] row_mask:0xf bank_mask:0xf bound_ctrl:1
	s_nop 1
	v_add_f32_dpp v1, v1, v1 row_ror:4 row_mask:0xf bank_mask:0xf bound_ctrl:1
	s_nop 1
	v_add_f32_dpp v1, v1, v1 row_ror:8 row_mask:0xf bank_mask:0xf bound_ctrl:1
	s_nop 1
	v_add_f32_dpp v1, v1, v1 row_bcast:15 row_mask:0xf bank_mask:0xf bound_ctrl:1
	s_nop 1
	v_add_f32_dpp v1, v1, v1 row_bcast:31 row_mask:0xf bank_mask:0xf bound_ctrl:1
	ds_bpermute_b32 v1, v4, v1
	s_and_saveexec_b64 s[6:7], vcc
	s_cbranch_execz .LBB414_7
; %bb.6:
	v_lshrrev_b32_e32 v4, 4, v0
	v_and_b32_e32 v4, 12, v4
	s_waitcnt lgkmcnt(0)
	ds_write_b32 v4, v1 offset:48
.LBB414_7:
	s_or_b64 exec, exec, s[6:7]
	v_cmp_gt_u32_e32 vcc, 64, v0
	s_waitcnt lgkmcnt(0)
	s_barrier
	s_and_saveexec_b64 s[6:7], vcc
	s_cbranch_execz .LBB414_9
; %bb.8:
	v_and_b32_e32 v1, 3, v2
	v_lshlrev_b32_e32 v4, 2, v1
	ds_read_b32 v4, v4 offset:48
	v_cmp_ne_u32_e32 vcc, 3, v1
	s_nop 1
	v_addc_co_u32_e32 v1, vcc, 0, v2, vcc
	v_lshlrev_b32_e32 v1, 2, v1
	s_waitcnt lgkmcnt(0)
	ds_bpermute_b32 v1, v1, v4
	v_or_b32_e32 v2, 8, v3
	s_waitcnt lgkmcnt(0)
	v_add_f32_e32 v1, v4, v1
	ds_bpermute_b32 v2, v2, v1
	s_waitcnt lgkmcnt(0)
	v_add_f32_e32 v1, v1, v2
.LBB414_9:
	s_or_b64 exec, exec, s[6:7]
.LBB414_10:
	v_cmp_eq_u32_e64 s[4:5], 0, v0
	s_and_b64 vcc, exec, s[66:67]
	s_cbranch_vccnz .LBB414_15
	s_branch .LBB414_93
.LBB414_11:
	s_mov_b64 s[4:5], 0
                                        ; implicit-def: $vgpr1
	s_cbranch_execnz .LBB414_166
	s_branch .LBB414_224
.LBB414_12:
	s_mov_b64 s[4:5], 0
                                        ; implicit-def: $vgpr1
	s_cbranch_execnz .LBB414_134
	s_branch .LBB414_142
.LBB414_13:
	s_mov_b64 s[66:67], -1
.LBB414_14:
	s_mov_b64 s[4:5], 0
                                        ; implicit-def: $vgpr1
	s_and_b64 vcc, exec, s[66:67]
	s_cbranch_vccz .LBB414_93
.LBB414_15:
	s_cmp_eq_u32 s33, 16
	s_cbranch_scc0 .LBB414_22
; %bb.16:
	s_mov_b32 s3, 0
	s_lshl_b32 s4, s2, 12
	s_mov_b32 s5, s3
	s_lshr_b64 s[6:7], s[70:71], 12
	s_lshl_b64 s[8:9], s[4:5], 2
	s_add_u32 s34, s68, s8
	s_addc_u32 s35, s69, s9
	s_cmp_lg_u64 s[6:7], s[2:3]
	s_cbranch_scc0 .LBB414_94
; %bb.17:
	v_lshlrev_b32_e32 v2, 2, v0
	global_load_dword v1, v2, s[34:35]
	global_load_dword v8, v2, s[34:35] offset:1024
	global_load_dword v9, v2, s[34:35] offset:2048
	global_load_dword v10, v2, s[34:35] offset:3072
	v_mov_b32_e32 v3, 0
	v_lshl_add_u64 v[4:5], s[34:35], 0, v[2:3]
	v_add_co_u32_e32 v2, vcc, 0x1000, v4
	s_waitcnt vmcnt(3)
	v_cvt_f32_u32_e32 v1, v1
	v_addc_co_u32_e32 v3, vcc, 0, v5, vcc
	v_add_co_u32_e32 v6, vcc, 0x2000, v4
	s_waitcnt vmcnt(2)
	v_cvt_f32_u32_e32 v8, v8
	v_addc_co_u32_e32 v7, vcc, 0, v5, vcc
	global_load_dword v11, v[2:3], off
	global_load_dword v12, v[2:3], off offset:1024
	global_load_dword v13, v[2:3], off offset:2048
	;; [unrolled: 1-line block ×3, first 2 shown]
	global_load_dword v15, v[6:7], off
	global_load_dword v16, v[6:7], off offset:1024
	global_load_dword v17, v[6:7], off offset:2048
	;; [unrolled: 1-line block ×3, first 2 shown]
	v_add_co_u32_e32 v2, vcc, 0x3000, v4
	s_waitcnt vmcnt(9)
	v_cvt_f32_u32_e32 v9, v9
	v_addc_co_u32_e32 v3, vcc, 0, v5, vcc
	global_load_dword v4, v[2:3], off
	global_load_dword v5, v[2:3], off offset:1024
	global_load_dword v6, v[2:3], off offset:2048
	;; [unrolled: 1-line block ×3, first 2 shown]
	s_waitcnt vmcnt(12)
	v_cvt_f32_u32_e32 v10, v10
	v_add_f32_e32 v1, v1, v8
	v_add_f32_e32 v1, v1, v9
	v_mbcnt_lo_u32_b32 v2, -1, 0
	v_add_f32_e32 v1, v1, v10
	v_mbcnt_hi_u32_b32 v2, -1, v2
	v_lshlrev_b32_e32 v3, 2, v2
	v_cmp_eq_u32_e32 vcc, 0, v2
	s_waitcnt vmcnt(11)
	v_cvt_f32_u32_e32 v11, v11
	s_waitcnt vmcnt(10)
	v_cvt_f32_u32_e32 v12, v12
	;; [unrolled: 2-line block ×5, first 2 shown]
	v_add_f32_e32 v1, v1, v11
	s_waitcnt vmcnt(6)
	v_cvt_f32_u32_e32 v16, v16
	v_add_f32_e32 v1, v1, v12
	s_waitcnt vmcnt(5)
	v_cvt_f32_u32_e32 v17, v17
	;; [unrolled: 3-line block ×7, first 2 shown]
	v_add_f32_e32 v1, v1, v18
	v_add_f32_e32 v1, v1, v4
	;; [unrolled: 1-line block ×5, first 2 shown]
	v_or_b32_e32 v4, 0xfc, v3
	s_nop 0
	v_add_f32_dpp v1, v1, v1 quad_perm:[1,0,3,2] row_mask:0xf bank_mask:0xf bound_ctrl:1
	s_nop 1
	v_add_f32_dpp v1, v1, v1 quad_perm:[2,3,0,1] row_mask:0xf bank_mask:0xf bound_ctrl:1
	s_nop 1
	v_add_f32_dpp v1, v1, v1 row_ror:4 row_mask:0xf bank_mask:0xf bound_ctrl:1
	s_nop 1
	v_add_f32_dpp v1, v1, v1 row_ror:8 row_mask:0xf bank_mask:0xf bound_ctrl:1
	s_nop 1
	v_add_f32_dpp v1, v1, v1 row_bcast:15 row_mask:0xf bank_mask:0xf bound_ctrl:1
	s_nop 1
	v_add_f32_dpp v1, v1, v1 row_bcast:31 row_mask:0xf bank_mask:0xf bound_ctrl:1
	ds_bpermute_b32 v1, v4, v1
	s_and_saveexec_b64 s[6:7], vcc
	s_cbranch_execz .LBB414_19
; %bb.18:
	v_lshrrev_b32_e32 v4, 4, v0
	v_and_b32_e32 v4, 12, v4
	s_waitcnt lgkmcnt(0)
	ds_write_b32 v4, v1
.LBB414_19:
	s_or_b64 exec, exec, s[6:7]
	v_cmp_gt_u32_e32 vcc, 64, v0
	s_waitcnt lgkmcnt(0)
	s_barrier
	s_and_saveexec_b64 s[6:7], vcc
	s_cbranch_execz .LBB414_21
; %bb.20:
	v_and_b32_e32 v1, 3, v2
	v_lshlrev_b32_e32 v4, 2, v1
	ds_read_b32 v4, v4
	v_cmp_ne_u32_e32 vcc, 3, v1
	s_nop 1
	v_addc_co_u32_e32 v1, vcc, 0, v2, vcc
	v_lshlrev_b32_e32 v1, 2, v1
	s_waitcnt lgkmcnt(0)
	ds_bpermute_b32 v1, v1, v4
	v_or_b32_e32 v2, 8, v3
	s_waitcnt lgkmcnt(0)
	v_add_f32_e32 v1, v4, v1
	ds_bpermute_b32 v2, v2, v1
	s_waitcnt lgkmcnt(0)
	v_add_f32_e32 v1, v1, v2
.LBB414_21:
	s_or_b64 exec, exec, s[6:7]
	s_mov_b64 s[6:7], 0
	s_branch .LBB414_95
.LBB414_22:
                                        ; implicit-def: $vgpr1
	s_branch .LBB414_142
.LBB414_23:
                                        ; implicit-def: $vgpr1
	s_cbranch_execz .LBB414_10
; %bb.24:
	s_sub_i32 s76, s70, s4
	v_mov_b32_e32 v2, 0
	v_cmp_gt_u32_e32 vcc, s76, v0
	v_mov_b32_e32 v3, v2
	v_mov_b32_e32 v4, v2
	;; [unrolled: 1-line block ×31, first 2 shown]
	s_and_saveexec_b64 s[4:5], vcc
	s_cbranch_execz .LBB414_26
; %bb.25:
	v_lshlrev_b32_e32 v1, 2, v0
	global_load_dword v1, v1, s[72:73]
	v_mov_b32_e32 v5, v2
	v_mov_b32_e32 v6, v2
	;; [unrolled: 1-line block ×31, first 2 shown]
	s_waitcnt vmcnt(0)
	v_cvt_f32_u32_e32 v4, v1
	v_mov_b64_e32 v[2:3], v[4:5]
	v_mov_b64_e32 v[4:5], v[6:7]
	;; [unrolled: 1-line block ×16, first 2 shown]
.LBB414_26:
	s_or_b64 exec, exec, s[4:5]
	v_or_b32_e32 v1, 0x100, v0
	v_cmp_gt_u32_e32 vcc, s76, v1
	s_and_saveexec_b64 s[4:5], vcc
	s_cbranch_execz .LBB414_28
; %bb.27:
	v_lshlrev_b32_e32 v1, 2, v0
	global_load_dword v1, v1, s[72:73] offset:1024
	s_waitcnt vmcnt(0)
	v_cvt_f32_u32_e32 v3, v1
.LBB414_28:
	s_or_b64 exec, exec, s[4:5]
	v_or_b32_e32 v1, 0x200, v0
	v_cmp_gt_u32_e64 s[4:5], s76, v1
	s_and_saveexec_b64 s[6:7], s[4:5]
	s_cbranch_execz .LBB414_30
; %bb.29:
	v_lshlrev_b32_e32 v1, 2, v0
	global_load_dword v1, v1, s[72:73] offset:2048
	s_waitcnt vmcnt(0)
	v_cvt_f32_u32_e32 v4, v1
.LBB414_30:
	s_or_b64 exec, exec, s[6:7]
	v_or_b32_e32 v1, 0x300, v0
	v_cmp_gt_u32_e64 s[6:7], s76, v1
	s_and_saveexec_b64 s[8:9], s[6:7]
	;; [unrolled: 11-line block ×3, first 2 shown]
	s_cbranch_execz .LBB414_34
; %bb.33:
	v_lshlrev_b32_e32 v1, 2, v1
	global_load_dword v1, v1, s[72:73]
	s_waitcnt vmcnt(0)
	v_cvt_f32_u32_e32 v6, v1
.LBB414_34:
	s_or_b64 exec, exec, s[10:11]
	v_or_b32_e32 v1, 0x500, v0
	v_cmp_gt_u32_e64 s[10:11], s76, v1
	s_and_saveexec_b64 s[12:13], s[10:11]
	s_cbranch_execz .LBB414_36
; %bb.35:
	v_lshlrev_b32_e32 v1, 2, v1
	global_load_dword v1, v1, s[72:73]
	s_waitcnt vmcnt(0)
	v_cvt_f32_u32_e32 v7, v1
.LBB414_36:
	s_or_b64 exec, exec, s[12:13]
	v_or_b32_e32 v1, 0x600, v0
	v_cmp_gt_u32_e64 s[12:13], s76, v1
	s_and_saveexec_b64 s[14:15], s[12:13]
	;; [unrolled: 11-line block ×27, first 2 shown]
	s_cbranch_execz .LBB414_88
; %bb.87:
	v_lshlrev_b32_e32 v1, 2, v1
	global_load_dword v1, v1, s[72:73]
	s_waitcnt vmcnt(0)
	v_cvt_f32_u32_e32 v33, v1
.LBB414_88:
	s_or_b64 exec, exec, s[74:75]
	v_add_f32_e32 v1, v2, v3
	v_cndmask_b32_e32 v1, v2, v1, vcc
	v_add_f32_e32 v2, v4, v1
	v_cndmask_b32_e64 v1, v1, v2, s[4:5]
	v_add_f32_e32 v2, v5, v1
	v_cndmask_b32_e64 v1, v1, v2, s[6:7]
	;; [unrolled: 2-line block ×30, first 2 shown]
	v_mbcnt_lo_u32_b32 v2, -1, 0
	v_mbcnt_hi_u32_b32 v2, -1, v2
	v_and_b32_e32 v4, 63, v2
	v_cmp_ne_u32_e32 vcc, 63, v4
	s_min_u32 s8, s76, 0x100
	v_and_b32_e32 v5, 0xc0, v0
	v_addc_co_u32_e32 v3, vcc, 0, v2, vcc
	v_lshlrev_b32_e32 v3, 2, v3
	ds_bpermute_b32 v3, v3, v1
	v_sub_u32_e64 v5, s8, v5 clamp
	v_add_u32_e32 v6, 1, v4
	v_cmp_gt_u32_e64 s[4:5], 62, v4
	v_cmp_lt_u32_e32 vcc, v6, v5
	s_waitcnt lgkmcnt(0)
	v_add_f32_e32 v3, v1, v3
	v_cndmask_b32_e64 v6, 0, 2, s[4:5]
	v_cndmask_b32_e32 v3, v1, v3, vcc
	v_add_lshl_u32 v6, v6, v2, 2
	ds_bpermute_b32 v6, v6, v3
	v_add_u32_e32 v7, 2, v4
	v_cmp_lt_u32_e64 s[4:5], v7, v5
	v_add_u32_e32 v7, 4, v4
	s_waitcnt lgkmcnt(0)
	v_add_f32_e32 v6, v3, v6
	v_cndmask_b32_e64 v3, v3, v6, s[4:5]
	v_cmp_gt_u32_e64 s[4:5], 60, v4
	s_nop 1
	v_cndmask_b32_e64 v6, 0, 4, s[4:5]
	v_add_lshl_u32 v6, v6, v2, 2
	ds_bpermute_b32 v6, v6, v3
	v_cmp_lt_u32_e64 s[4:5], v7, v5
	v_add_u32_e32 v7, 8, v4
	s_waitcnt lgkmcnt(0)
	v_add_f32_e32 v6, v3, v6
	v_cndmask_b32_e64 v3, v3, v6, s[4:5]
	v_cmp_gt_u32_e64 s[4:5], 56, v4
	s_nop 1
	v_cndmask_b32_e64 v6, 0, 8, s[4:5]
	v_add_lshl_u32 v6, v6, v2, 2
	ds_bpermute_b32 v6, v6, v3
	v_cmp_lt_u32_e64 s[4:5], v7, v5
	v_add_u32_e32 v7, 16, v4
	s_waitcnt lgkmcnt(0)
	v_add_f32_e32 v6, v3, v6
	v_cndmask_b32_e64 v3, v3, v6, s[4:5]
	v_cmp_gt_u32_e64 s[4:5], 48, v4
	v_add_u32_e32 v4, 32, v4
	s_nop 0
	v_cndmask_b32_e64 v6, 0, 16, s[4:5]
	v_add_lshl_u32 v6, v6, v2, 2
	ds_bpermute_b32 v6, v6, v3
	v_cmp_lt_u32_e64 s[4:5], v7, v5
	s_waitcnt lgkmcnt(0)
	v_add_f32_e32 v6, v3, v6
	v_cndmask_b32_e64 v6, v3, v6, s[4:5]
	v_lshlrev_b32_e32 v3, 2, v2
	v_or_b32_e32 v7, 0x80, v3
	ds_bpermute_b32 v7, v7, v6
	v_cmp_lt_u32_e64 s[4:5], v4, v5
	s_waitcnt lgkmcnt(0)
	v_add_f32_e32 v7, v6, v7
	v_cndmask_b32_e64 v4, v6, v7, s[4:5]
	v_cndmask_b32_e32 v1, v1, v4, vcc
	v_cmp_eq_u32_e32 vcc, 0, v2
	s_and_saveexec_b64 s[4:5], vcc
; %bb.89:
	v_lshrrev_b32_e32 v4, 4, v0
	v_and_b32_e32 v4, 12, v4
	ds_write_b32 v4, v1 offset:96
; %bb.90:
	s_or_b64 exec, exec, s[4:5]
	v_cmp_gt_u32_e32 vcc, 4, v0
	s_waitcnt lgkmcnt(0)
	s_barrier
	s_and_saveexec_b64 s[6:7], vcc
	s_cbranch_execz .LBB414_92
; %bb.91:
	ds_read_b32 v1, v3 offset:96
	v_and_b32_e32 v4, 3, v2
	v_cmp_ne_u32_e32 vcc, 3, v4
	s_add_i32 s8, s8, 63
	s_lshr_b32 s4, s8, 6
	v_addc_co_u32_e32 v2, vcc, 0, v2, vcc
	v_lshlrev_b32_e32 v2, 2, v2
	s_waitcnt lgkmcnt(0)
	ds_bpermute_b32 v2, v2, v1
	v_add_u32_e32 v5, 1, v4
	v_cmp_gt_u32_e32 vcc, s4, v5
	v_or_b32_e32 v3, 8, v3
	v_add_u32_e32 v4, 2, v4
	s_waitcnt lgkmcnt(0)
	v_add_f32_e32 v2, v1, v2
	v_cndmask_b32_e32 v2, v1, v2, vcc
	ds_bpermute_b32 v3, v3, v2
	v_cmp_gt_u32_e64 s[4:5], s4, v4
	s_waitcnt lgkmcnt(0)
	v_add_f32_e32 v3, v2, v3
	v_cndmask_b32_e64 v2, v2, v3, s[4:5]
	v_cndmask_b32_e32 v1, v1, v2, vcc
.LBB414_92:
	s_or_b64 exec, exec, s[6:7]
	v_cmp_eq_u32_e64 s[4:5], 0, v0
	s_and_b64 vcc, exec, s[66:67]
	s_cbranch_vccnz .LBB414_15
.LBB414_93:
	s_branch .LBB414_142
.LBB414_94:
	s_mov_b64 s[6:7], -1
                                        ; implicit-def: $vgpr1
.LBB414_95:
	s_and_b64 vcc, exec, s[6:7]
	s_cbranch_vccz .LBB414_133
; %bb.96:
	s_sub_i32 s38, s70, s4
	v_mov_b32_e32 v2, 0
	v_cmp_gt_u32_e32 vcc, s38, v0
	v_mov_b32_e32 v3, v2
	v_mov_b32_e32 v4, v2
	;; [unrolled: 1-line block ×15, first 2 shown]
	s_and_saveexec_b64 s[4:5], vcc
	s_cbranch_execz .LBB414_98
; %bb.97:
	v_lshlrev_b32_e32 v1, 2, v0
	global_load_dword v1, v1, s[34:35]
	v_mov_b32_e32 v5, v2
	v_mov_b32_e32 v6, v2
	;; [unrolled: 1-line block ×15, first 2 shown]
	s_waitcnt vmcnt(0)
	v_cvt_f32_u32_e32 v4, v1
	v_mov_b64_e32 v[2:3], v[4:5]
	v_mov_b64_e32 v[4:5], v[6:7]
	;; [unrolled: 1-line block ×8, first 2 shown]
.LBB414_98:
	s_or_b64 exec, exec, s[4:5]
	v_or_b32_e32 v1, 0x100, v0
	v_cmp_gt_u32_e32 vcc, s38, v1
	s_and_saveexec_b64 s[4:5], vcc
	s_cbranch_execz .LBB414_100
; %bb.99:
	v_lshlrev_b32_e32 v1, 2, v0
	global_load_dword v1, v1, s[34:35] offset:1024
	s_waitcnt vmcnt(0)
	v_cvt_f32_u32_e32 v3, v1
.LBB414_100:
	s_or_b64 exec, exec, s[4:5]
	v_or_b32_e32 v1, 0x200, v0
	v_cmp_gt_u32_e64 s[4:5], s38, v1
	s_and_saveexec_b64 s[6:7], s[4:5]
	s_cbranch_execz .LBB414_102
; %bb.101:
	v_lshlrev_b32_e32 v1, 2, v0
	global_load_dword v1, v1, s[34:35] offset:2048
	s_waitcnt vmcnt(0)
	v_cvt_f32_u32_e32 v4, v1
.LBB414_102:
	s_or_b64 exec, exec, s[6:7]
	v_or_b32_e32 v1, 0x300, v0
	v_cmp_gt_u32_e64 s[6:7], s38, v1
	s_and_saveexec_b64 s[8:9], s[6:7]
	s_cbranch_execz .LBB414_104
; %bb.103:
	v_lshlrev_b32_e32 v1, 2, v0
	global_load_dword v1, v1, s[34:35] offset:3072
	s_waitcnt vmcnt(0)
	v_cvt_f32_u32_e32 v5, v1
.LBB414_104:
	s_or_b64 exec, exec, s[8:9]
	v_or_b32_e32 v1, 0x400, v0
	v_cmp_gt_u32_e64 s[8:9], s38, v1
	s_and_saveexec_b64 s[10:11], s[8:9]
	s_cbranch_execz .LBB414_106
; %bb.105:
	v_lshlrev_b32_e32 v1, 2, v1
	global_load_dword v1, v1, s[34:35]
	s_waitcnt vmcnt(0)
	v_cvt_f32_u32_e32 v6, v1
.LBB414_106:
	s_or_b64 exec, exec, s[10:11]
	v_or_b32_e32 v1, 0x500, v0
	v_cmp_gt_u32_e64 s[10:11], s38, v1
	s_and_saveexec_b64 s[12:13], s[10:11]
	s_cbranch_execz .LBB414_108
; %bb.107:
	v_lshlrev_b32_e32 v1, 2, v1
	global_load_dword v1, v1, s[34:35]
	s_waitcnt vmcnt(0)
	v_cvt_f32_u32_e32 v7, v1
.LBB414_108:
	s_or_b64 exec, exec, s[12:13]
	v_or_b32_e32 v1, 0x600, v0
	v_cmp_gt_u32_e64 s[12:13], s38, v1
	s_and_saveexec_b64 s[14:15], s[12:13]
	;; [unrolled: 11-line block ×11, first 2 shown]
	s_cbranch_execz .LBB414_128
; %bb.127:
	v_lshlrev_b32_e32 v1, 2, v1
	global_load_dword v1, v1, s[34:35]
	s_waitcnt vmcnt(0)
	v_cvt_f32_u32_e32 v17, v1
.LBB414_128:
	s_or_b64 exec, exec, s[36:37]
	v_add_f32_e32 v1, v2, v3
	v_cndmask_b32_e32 v1, v2, v1, vcc
	v_add_f32_e32 v2, v4, v1
	v_cndmask_b32_e64 v1, v1, v2, s[4:5]
	v_add_f32_e32 v2, v5, v1
	v_cndmask_b32_e64 v1, v1, v2, s[6:7]
	;; [unrolled: 2-line block ×14, first 2 shown]
	v_mbcnt_lo_u32_b32 v2, -1, 0
	v_mbcnt_hi_u32_b32 v2, -1, v2
	v_and_b32_e32 v4, 63, v2
	v_cmp_ne_u32_e32 vcc, 63, v4
	s_min_u32 s8, s38, 0x100
	v_and_b32_e32 v5, 0xc0, v0
	v_addc_co_u32_e32 v3, vcc, 0, v2, vcc
	v_lshlrev_b32_e32 v3, 2, v3
	ds_bpermute_b32 v3, v3, v1
	v_sub_u32_e64 v5, s8, v5 clamp
	v_add_u32_e32 v6, 1, v4
	v_cmp_gt_u32_e64 s[4:5], 62, v4
	v_cmp_lt_u32_e32 vcc, v6, v5
	s_waitcnt lgkmcnt(0)
	v_add_f32_e32 v3, v1, v3
	v_cndmask_b32_e64 v6, 0, 2, s[4:5]
	v_cndmask_b32_e32 v3, v1, v3, vcc
	v_add_lshl_u32 v6, v6, v2, 2
	ds_bpermute_b32 v6, v6, v3
	v_add_u32_e32 v7, 2, v4
	v_cmp_lt_u32_e64 s[4:5], v7, v5
	v_add_u32_e32 v7, 4, v4
	s_waitcnt lgkmcnt(0)
	v_add_f32_e32 v6, v3, v6
	v_cndmask_b32_e64 v3, v3, v6, s[4:5]
	v_cmp_gt_u32_e64 s[4:5], 60, v4
	s_nop 1
	v_cndmask_b32_e64 v6, 0, 4, s[4:5]
	v_add_lshl_u32 v6, v6, v2, 2
	ds_bpermute_b32 v6, v6, v3
	v_cmp_lt_u32_e64 s[4:5], v7, v5
	v_add_u32_e32 v7, 8, v4
	s_waitcnt lgkmcnt(0)
	v_add_f32_e32 v6, v3, v6
	v_cndmask_b32_e64 v3, v3, v6, s[4:5]
	v_cmp_gt_u32_e64 s[4:5], 56, v4
	s_nop 1
	v_cndmask_b32_e64 v6, 0, 8, s[4:5]
	v_add_lshl_u32 v6, v6, v2, 2
	ds_bpermute_b32 v6, v6, v3
	v_cmp_lt_u32_e64 s[4:5], v7, v5
	v_add_u32_e32 v7, 16, v4
	s_waitcnt lgkmcnt(0)
	v_add_f32_e32 v6, v3, v6
	v_cndmask_b32_e64 v3, v3, v6, s[4:5]
	v_cmp_gt_u32_e64 s[4:5], 48, v4
	v_add_u32_e32 v4, 32, v4
	s_nop 0
	v_cndmask_b32_e64 v6, 0, 16, s[4:5]
	v_add_lshl_u32 v6, v6, v2, 2
	ds_bpermute_b32 v6, v6, v3
	v_cmp_lt_u32_e64 s[4:5], v7, v5
	s_waitcnt lgkmcnt(0)
	v_add_f32_e32 v6, v3, v6
	v_cndmask_b32_e64 v6, v3, v6, s[4:5]
	v_lshlrev_b32_e32 v3, 2, v2
	v_or_b32_e32 v7, 0x80, v3
	ds_bpermute_b32 v7, v7, v6
	v_cmp_lt_u32_e64 s[4:5], v4, v5
	s_waitcnt lgkmcnt(0)
	v_add_f32_e32 v7, v6, v7
	v_cndmask_b32_e64 v4, v6, v7, s[4:5]
	v_cndmask_b32_e32 v1, v1, v4, vcc
	v_cmp_eq_u32_e32 vcc, 0, v2
	s_and_saveexec_b64 s[4:5], vcc
; %bb.129:
	v_lshrrev_b32_e32 v4, 4, v0
	v_and_b32_e32 v4, 12, v4
	ds_write_b32 v4, v1 offset:96
; %bb.130:
	s_or_b64 exec, exec, s[4:5]
	v_cmp_gt_u32_e32 vcc, 4, v0
	s_waitcnt lgkmcnt(0)
	s_barrier
	s_and_saveexec_b64 s[6:7], vcc
	s_cbranch_execz .LBB414_132
; %bb.131:
	ds_read_b32 v1, v3 offset:96
	v_and_b32_e32 v4, 3, v2
	v_cmp_ne_u32_e32 vcc, 3, v4
	s_add_i32 s8, s8, 63
	s_lshr_b32 s4, s8, 6
	v_addc_co_u32_e32 v2, vcc, 0, v2, vcc
	v_lshlrev_b32_e32 v2, 2, v2
	s_waitcnt lgkmcnt(0)
	ds_bpermute_b32 v2, v2, v1
	v_add_u32_e32 v5, 1, v4
	v_cmp_gt_u32_e32 vcc, s4, v5
	v_or_b32_e32 v3, 8, v3
	v_add_u32_e32 v4, 2, v4
	s_waitcnt lgkmcnt(0)
	v_add_f32_e32 v2, v1, v2
	v_cndmask_b32_e32 v2, v1, v2, vcc
	ds_bpermute_b32 v3, v3, v2
	v_cmp_gt_u32_e64 s[4:5], s4, v4
	s_waitcnt lgkmcnt(0)
	v_add_f32_e32 v3, v2, v3
	v_cndmask_b32_e64 v2, v2, v3, s[4:5]
	v_cndmask_b32_e32 v1, v1, v2, vcc
.LBB414_132:
	s_or_b64 exec, exec, s[6:7]
.LBB414_133:
	v_cmp_eq_u32_e64 s[4:5], 0, v0
	s_branch .LBB414_142
.LBB414_134:
	s_cmp_eq_u32 s33, 8
	s_cbranch_scc0 .LBB414_141
; %bb.135:
	s_mov_b32 s3, 0
	s_lshl_b32 s4, s2, 11
	s_mov_b32 s5, s3
	s_lshr_b64 s[6:7], s[70:71], 11
	s_lshl_b64 s[8:9], s[4:5], 2
	s_add_u32 s16, s68, s8
	s_addc_u32 s17, s69, s9
	s_cmp_lg_u64 s[6:7], s[2:3]
	s_cbranch_scc0 .LBB414_143
; %bb.136:
	v_lshlrev_b32_e32 v2, 2, v0
	v_mov_b32_e32 v3, 0
	v_lshl_add_u64 v[4:5], s[16:17], 0, v[2:3]
	v_add_co_u32_e32 v4, vcc, 0x1000, v4
	s_nop 1
	v_addc_co_u32_e32 v5, vcc, 0, v5, vcc
	global_load_dword v1, v2, s[16:17]
	global_load_dword v6, v2, s[16:17] offset:1024
	global_load_dword v7, v2, s[16:17] offset:2048
	;; [unrolled: 1-line block ×3, first 2 shown]
	global_load_dword v9, v[4:5], off
	global_load_dword v10, v[4:5], off offset:1024
	global_load_dword v11, v[4:5], off offset:2048
	;; [unrolled: 1-line block ×3, first 2 shown]
	v_mbcnt_lo_u32_b32 v2, -1, 0
	v_mbcnt_hi_u32_b32 v2, -1, v2
	v_lshlrev_b32_e32 v3, 2, v2
	v_cmp_eq_u32_e32 vcc, 0, v2
	s_waitcnt vmcnt(7)
	v_cvt_f32_u32_e32 v1, v1
	s_waitcnt vmcnt(6)
	v_cvt_f32_u32_e32 v4, v6
	;; [unrolled: 2-line block ×6, first 2 shown]
	v_add_f32_e32 v1, v1, v4
	s_waitcnt vmcnt(1)
	v_cvt_f32_u32_e32 v9, v11
	v_add_f32_e32 v1, v1, v5
	s_waitcnt vmcnt(0)
	v_cvt_f32_u32_e32 v10, v12
	v_add_f32_e32 v1, v1, v6
	v_add_f32_e32 v1, v1, v7
	;; [unrolled: 1-line block ×5, first 2 shown]
	v_or_b32_e32 v4, 0xfc, v3
	s_nop 0
	v_add_f32_dpp v1, v1, v1 quad_perm:[1,0,3,2] row_mask:0xf bank_mask:0xf bound_ctrl:1
	s_nop 1
	v_add_f32_dpp v1, v1, v1 quad_perm:[2,3,0,1] row_mask:0xf bank_mask:0xf bound_ctrl:1
	s_nop 1
	v_add_f32_dpp v1, v1, v1 row_ror:4 row_mask:0xf bank_mask:0xf bound_ctrl:1
	s_nop 1
	v_add_f32_dpp v1, v1, v1 row_ror:8 row_mask:0xf bank_mask:0xf bound_ctrl:1
	s_nop 1
	v_add_f32_dpp v1, v1, v1 row_bcast:15 row_mask:0xf bank_mask:0xf bound_ctrl:1
	s_nop 1
	v_add_f32_dpp v1, v1, v1 row_bcast:31 row_mask:0xf bank_mask:0xf bound_ctrl:1
	ds_bpermute_b32 v1, v4, v1
	s_and_saveexec_b64 s[6:7], vcc
	s_cbranch_execz .LBB414_138
; %bb.137:
	v_lshrrev_b32_e32 v4, 4, v0
	v_and_b32_e32 v4, 12, v4
	s_waitcnt lgkmcnt(0)
	ds_write_b32 v4, v1 offset:80
.LBB414_138:
	s_or_b64 exec, exec, s[6:7]
	v_cmp_gt_u32_e32 vcc, 64, v0
	s_waitcnt lgkmcnt(0)
	s_barrier
	s_and_saveexec_b64 s[6:7], vcc
	s_cbranch_execz .LBB414_140
; %bb.139:
	v_and_b32_e32 v1, 3, v2
	v_lshlrev_b32_e32 v4, 2, v1
	ds_read_b32 v4, v4 offset:80
	v_cmp_ne_u32_e32 vcc, 3, v1
	s_nop 1
	v_addc_co_u32_e32 v1, vcc, 0, v2, vcc
	v_lshlrev_b32_e32 v1, 2, v1
	s_waitcnt lgkmcnt(0)
	ds_bpermute_b32 v1, v1, v4
	v_or_b32_e32 v2, 8, v3
	s_waitcnt lgkmcnt(0)
	v_add_f32_e32 v1, v4, v1
	ds_bpermute_b32 v2, v2, v1
	s_waitcnt lgkmcnt(0)
	v_add_f32_e32 v1, v1, v2
.LBB414_140:
	s_or_b64 exec, exec, s[6:7]
	s_branch .LBB414_165
.LBB414_141:
                                        ; implicit-def: $vgpr1
.LBB414_142:
	s_branch .LBB414_224
.LBB414_143:
                                        ; implicit-def: $vgpr1
	s_cbranch_execz .LBB414_165
; %bb.144:
	s_sub_i32 s20, s70, s4
	v_mov_b32_e32 v2, 0
	v_cmp_gt_u32_e32 vcc, s20, v0
	v_mov_b32_e32 v3, v2
	v_mov_b32_e32 v4, v2
	;; [unrolled: 1-line block ×7, first 2 shown]
	s_and_saveexec_b64 s[4:5], vcc
	s_cbranch_execz .LBB414_146
; %bb.145:
	v_lshlrev_b32_e32 v1, 2, v0
	global_load_dword v1, v1, s[16:17]
	v_mov_b32_e32 v5, v2
	v_mov_b32_e32 v6, v2
	;; [unrolled: 1-line block ×7, first 2 shown]
	s_waitcnt vmcnt(0)
	v_cvt_f32_u32_e32 v4, v1
	v_mov_b64_e32 v[2:3], v[4:5]
	v_mov_b64_e32 v[4:5], v[6:7]
	;; [unrolled: 1-line block ×4, first 2 shown]
.LBB414_146:
	s_or_b64 exec, exec, s[4:5]
	v_or_b32_e32 v1, 0x100, v0
	v_cmp_gt_u32_e32 vcc, s20, v1
	s_and_saveexec_b64 s[4:5], vcc
	s_cbranch_execz .LBB414_148
; %bb.147:
	v_lshlrev_b32_e32 v1, 2, v0
	global_load_dword v1, v1, s[16:17] offset:1024
	s_waitcnt vmcnt(0)
	v_cvt_f32_u32_e32 v3, v1
.LBB414_148:
	s_or_b64 exec, exec, s[4:5]
	v_or_b32_e32 v1, 0x200, v0
	v_cmp_gt_u32_e64 s[4:5], s20, v1
	s_and_saveexec_b64 s[6:7], s[4:5]
	s_cbranch_execz .LBB414_150
; %bb.149:
	v_lshlrev_b32_e32 v1, 2, v0
	global_load_dword v1, v1, s[16:17] offset:2048
	s_waitcnt vmcnt(0)
	v_cvt_f32_u32_e32 v4, v1
.LBB414_150:
	s_or_b64 exec, exec, s[6:7]
	v_or_b32_e32 v1, 0x300, v0
	v_cmp_gt_u32_e64 s[6:7], s20, v1
	s_and_saveexec_b64 s[8:9], s[6:7]
	;; [unrolled: 11-line block ×3, first 2 shown]
	s_cbranch_execz .LBB414_154
; %bb.153:
	v_lshlrev_b32_e32 v1, 2, v1
	global_load_dword v1, v1, s[16:17]
	s_waitcnt vmcnt(0)
	v_cvt_f32_u32_e32 v6, v1
.LBB414_154:
	s_or_b64 exec, exec, s[10:11]
	v_or_b32_e32 v1, 0x500, v0
	v_cmp_gt_u32_e64 s[10:11], s20, v1
	s_and_saveexec_b64 s[12:13], s[10:11]
	s_cbranch_execz .LBB414_156
; %bb.155:
	v_lshlrev_b32_e32 v1, 2, v1
	global_load_dword v1, v1, s[16:17]
	s_waitcnt vmcnt(0)
	v_cvt_f32_u32_e32 v7, v1
.LBB414_156:
	s_or_b64 exec, exec, s[12:13]
	v_or_b32_e32 v1, 0x600, v0
	v_cmp_gt_u32_e64 s[12:13], s20, v1
	s_and_saveexec_b64 s[14:15], s[12:13]
	;; [unrolled: 11-line block ×3, first 2 shown]
	s_cbranch_execz .LBB414_160
; %bb.159:
	v_lshlrev_b32_e32 v1, 2, v1
	global_load_dword v1, v1, s[16:17]
	s_waitcnt vmcnt(0)
	v_cvt_f32_u32_e32 v9, v1
.LBB414_160:
	s_or_b64 exec, exec, s[18:19]
	v_add_f32_e32 v1, v2, v3
	v_cndmask_b32_e32 v1, v2, v1, vcc
	v_add_f32_e32 v2, v4, v1
	v_cndmask_b32_e64 v1, v1, v2, s[4:5]
	v_add_f32_e32 v2, v5, v1
	v_cndmask_b32_e64 v1, v1, v2, s[6:7]
	;; [unrolled: 2-line block ×6, first 2 shown]
	v_mbcnt_lo_u32_b32 v2, -1, 0
	v_mbcnt_hi_u32_b32 v2, -1, v2
	v_and_b32_e32 v4, 63, v2
	v_cmp_ne_u32_e32 vcc, 63, v4
	s_min_u32 s8, s20, 0x100
	v_and_b32_e32 v5, 0xc0, v0
	v_addc_co_u32_e32 v3, vcc, 0, v2, vcc
	v_lshlrev_b32_e32 v3, 2, v3
	ds_bpermute_b32 v3, v3, v1
	v_sub_u32_e64 v5, s8, v5 clamp
	v_add_u32_e32 v6, 1, v4
	v_cmp_gt_u32_e64 s[4:5], 62, v4
	v_cmp_lt_u32_e32 vcc, v6, v5
	s_waitcnt lgkmcnt(0)
	v_add_f32_e32 v3, v1, v3
	v_cndmask_b32_e64 v6, 0, 2, s[4:5]
	v_cndmask_b32_e32 v3, v1, v3, vcc
	v_add_lshl_u32 v6, v6, v2, 2
	ds_bpermute_b32 v6, v6, v3
	v_add_u32_e32 v7, 2, v4
	v_cmp_lt_u32_e64 s[4:5], v7, v5
	v_add_u32_e32 v7, 4, v4
	s_waitcnt lgkmcnt(0)
	v_add_f32_e32 v6, v3, v6
	v_cndmask_b32_e64 v3, v3, v6, s[4:5]
	v_cmp_gt_u32_e64 s[4:5], 60, v4
	s_nop 1
	v_cndmask_b32_e64 v6, 0, 4, s[4:5]
	v_add_lshl_u32 v6, v6, v2, 2
	ds_bpermute_b32 v6, v6, v3
	v_cmp_lt_u32_e64 s[4:5], v7, v5
	v_add_u32_e32 v7, 8, v4
	s_waitcnt lgkmcnt(0)
	v_add_f32_e32 v6, v3, v6
	v_cndmask_b32_e64 v3, v3, v6, s[4:5]
	v_cmp_gt_u32_e64 s[4:5], 56, v4
	s_nop 1
	v_cndmask_b32_e64 v6, 0, 8, s[4:5]
	v_add_lshl_u32 v6, v6, v2, 2
	ds_bpermute_b32 v6, v6, v3
	v_cmp_lt_u32_e64 s[4:5], v7, v5
	v_add_u32_e32 v7, 16, v4
	s_waitcnt lgkmcnt(0)
	v_add_f32_e32 v6, v3, v6
	v_cndmask_b32_e64 v3, v3, v6, s[4:5]
	v_cmp_gt_u32_e64 s[4:5], 48, v4
	v_add_u32_e32 v4, 32, v4
	s_nop 0
	v_cndmask_b32_e64 v6, 0, 16, s[4:5]
	v_add_lshl_u32 v6, v6, v2, 2
	ds_bpermute_b32 v6, v6, v3
	v_cmp_lt_u32_e64 s[4:5], v7, v5
	s_waitcnt lgkmcnt(0)
	v_add_f32_e32 v6, v3, v6
	v_cndmask_b32_e64 v6, v3, v6, s[4:5]
	v_lshlrev_b32_e32 v3, 2, v2
	v_or_b32_e32 v7, 0x80, v3
	ds_bpermute_b32 v7, v7, v6
	v_cmp_lt_u32_e64 s[4:5], v4, v5
	s_waitcnt lgkmcnt(0)
	v_add_f32_e32 v7, v6, v7
	v_cndmask_b32_e64 v4, v6, v7, s[4:5]
	v_cndmask_b32_e32 v1, v1, v4, vcc
	v_cmp_eq_u32_e32 vcc, 0, v2
	s_and_saveexec_b64 s[4:5], vcc
; %bb.161:
	v_lshrrev_b32_e32 v4, 4, v0
	v_and_b32_e32 v4, 12, v4
	ds_write_b32 v4, v1 offset:96
; %bb.162:
	s_or_b64 exec, exec, s[4:5]
	v_cmp_gt_u32_e32 vcc, 4, v0
	s_waitcnt lgkmcnt(0)
	s_barrier
	s_and_saveexec_b64 s[6:7], vcc
	s_cbranch_execz .LBB414_164
; %bb.163:
	ds_read_b32 v1, v3 offset:96
	v_and_b32_e32 v4, 3, v2
	v_cmp_ne_u32_e32 vcc, 3, v4
	s_add_i32 s8, s8, 63
	s_lshr_b32 s4, s8, 6
	v_addc_co_u32_e32 v2, vcc, 0, v2, vcc
	v_lshlrev_b32_e32 v2, 2, v2
	s_waitcnt lgkmcnt(0)
	ds_bpermute_b32 v2, v2, v1
	v_add_u32_e32 v5, 1, v4
	v_cmp_gt_u32_e32 vcc, s4, v5
	v_or_b32_e32 v3, 8, v3
	v_add_u32_e32 v4, 2, v4
	s_waitcnt lgkmcnt(0)
	v_add_f32_e32 v2, v1, v2
	v_cndmask_b32_e32 v2, v1, v2, vcc
	ds_bpermute_b32 v3, v3, v2
	v_cmp_gt_u32_e64 s[4:5], s4, v4
	s_waitcnt lgkmcnt(0)
	v_add_f32_e32 v3, v2, v3
	v_cndmask_b32_e64 v2, v2, v3, s[4:5]
	v_cndmask_b32_e32 v1, v1, v2, vcc
.LBB414_164:
	s_or_b64 exec, exec, s[6:7]
.LBB414_165:
	v_cmp_eq_u32_e64 s[4:5], 0, v0
	s_branch .LBB414_224
.LBB414_166:
	s_cmp_gt_i32 s33, 1
	s_cbranch_scc0 .LBB414_175
; %bb.167:
	s_cmp_gt_i32 s33, 3
	s_cbranch_scc0 .LBB414_176
; %bb.168:
	s_cmp_eq_u32 s33, 4
	s_cbranch_scc0 .LBB414_177
; %bb.169:
	s_mov_b32 s3, 0
	s_lshl_b32 s4, s2, 10
	s_mov_b32 s5, s3
	s_lshr_b64 s[6:7], s[70:71], 10
	s_lshl_b64 s[8:9], s[4:5], 2
	s_add_u32 s8, s68, s8
	s_addc_u32 s9, s69, s9
	s_cmp_lg_u64 s[6:7], s[2:3]
	s_cbranch_scc0 .LBB414_179
; %bb.170:
	v_lshlrev_b32_e32 v1, 2, v0
	global_load_dword v3, v1, s[8:9]
	global_load_dword v4, v1, s[8:9] offset:1024
	global_load_dword v5, v1, s[8:9] offset:2048
	;; [unrolled: 1-line block ×3, first 2 shown]
	v_mbcnt_lo_u32_b32 v1, -1, 0
	v_mbcnt_hi_u32_b32 v2, -1, v1
	v_cmp_eq_u32_e32 vcc, 0, v2
	s_waitcnt vmcnt(3)
	v_cvt_f32_u32_e32 v1, v3
	s_waitcnt vmcnt(2)
	v_cvt_f32_u32_e32 v4, v4
	;; [unrolled: 2-line block ×4, first 2 shown]
	v_lshlrev_b32_e32 v3, 2, v2
	v_add_f32_e32 v1, v1, v4
	v_add_f32_e32 v1, v1, v5
	;; [unrolled: 1-line block ×3, first 2 shown]
	v_or_b32_e32 v4, 0xfc, v3
	s_nop 0
	v_add_f32_dpp v1, v1, v1 quad_perm:[1,0,3,2] row_mask:0xf bank_mask:0xf bound_ctrl:1
	s_nop 1
	v_add_f32_dpp v1, v1, v1 quad_perm:[2,3,0,1] row_mask:0xf bank_mask:0xf bound_ctrl:1
	s_nop 1
	v_add_f32_dpp v1, v1, v1 row_ror:4 row_mask:0xf bank_mask:0xf bound_ctrl:1
	s_nop 1
	v_add_f32_dpp v1, v1, v1 row_ror:8 row_mask:0xf bank_mask:0xf bound_ctrl:1
	s_nop 1
	v_add_f32_dpp v1, v1, v1 row_bcast:15 row_mask:0xf bank_mask:0xf bound_ctrl:1
	s_nop 1
	v_add_f32_dpp v1, v1, v1 row_bcast:31 row_mask:0xf bank_mask:0xf bound_ctrl:1
	ds_bpermute_b32 v1, v4, v1
	s_and_saveexec_b64 s[6:7], vcc
	s_cbranch_execz .LBB414_172
; %bb.171:
	v_lshrrev_b32_e32 v4, 4, v0
	v_and_b32_e32 v4, 12, v4
	s_waitcnt lgkmcnt(0)
	ds_write_b32 v4, v1 offset:64
.LBB414_172:
	s_or_b64 exec, exec, s[6:7]
	v_cmp_gt_u32_e32 vcc, 64, v0
	s_waitcnt lgkmcnt(0)
	s_barrier
	s_and_saveexec_b64 s[6:7], vcc
	s_cbranch_execz .LBB414_174
; %bb.173:
	v_and_b32_e32 v1, 3, v2
	v_lshlrev_b32_e32 v4, 2, v1
	ds_read_b32 v4, v4 offset:64
	v_cmp_ne_u32_e32 vcc, 3, v1
	s_nop 1
	v_addc_co_u32_e32 v1, vcc, 0, v2, vcc
	v_lshlrev_b32_e32 v1, 2, v1
	s_waitcnt lgkmcnt(0)
	ds_bpermute_b32 v1, v1, v4
	v_or_b32_e32 v2, 8, v3
	s_waitcnt lgkmcnt(0)
	v_add_f32_e32 v1, v4, v1
	ds_bpermute_b32 v2, v2, v1
	s_waitcnt lgkmcnt(0)
	v_add_f32_e32 v1, v1, v2
.LBB414_174:
	s_or_b64 exec, exec, s[6:7]
	s_mov_b64 s[6:7], 0
	s_branch .LBB414_180
.LBB414_175:
                                        ; implicit-def: $vgpr1
	s_cbranch_execnz .LBB414_215
	s_branch .LBB414_224
.LBB414_176:
                                        ; implicit-def: $vgpr1
	s_cbranch_execz .LBB414_178
	s_branch .LBB414_195
.LBB414_177:
                                        ; implicit-def: $vgpr1
.LBB414_178:
	s_branch .LBB414_224
.LBB414_179:
	s_mov_b64 s[6:7], -1
                                        ; implicit-def: $vgpr1
.LBB414_180:
	s_and_b64 vcc, exec, s[6:7]
	s_cbranch_vccz .LBB414_194
; %bb.181:
	s_sub_i32 s12, s70, s4
	v_mov_b32_e32 v2, 0
	v_cmp_gt_u32_e32 vcc, s12, v0
	v_mov_b32_e32 v3, v2
	v_mov_b32_e32 v4, v2
	;; [unrolled: 1-line block ×3, first 2 shown]
	s_and_saveexec_b64 s[4:5], vcc
	s_cbranch_execz .LBB414_183
; %bb.182:
	v_lshlrev_b32_e32 v1, 2, v0
	global_load_dword v1, v1, s[8:9]
	v_mov_b32_e32 v5, v2
	v_mov_b32_e32 v6, v2
	;; [unrolled: 1-line block ×3, first 2 shown]
	s_waitcnt vmcnt(0)
	v_cvt_f32_u32_e32 v4, v1
	v_mov_b64_e32 v[2:3], v[4:5]
	v_mov_b64_e32 v[4:5], v[6:7]
.LBB414_183:
	s_or_b64 exec, exec, s[4:5]
	v_or_b32_e32 v1, 0x100, v0
	v_cmp_gt_u32_e32 vcc, s12, v1
	s_and_saveexec_b64 s[4:5], vcc
	s_cbranch_execz .LBB414_185
; %bb.184:
	v_lshlrev_b32_e32 v1, 2, v0
	global_load_dword v1, v1, s[8:9] offset:1024
	s_waitcnt vmcnt(0)
	v_cvt_f32_u32_e32 v3, v1
.LBB414_185:
	s_or_b64 exec, exec, s[4:5]
	v_or_b32_e32 v1, 0x200, v0
	v_cmp_gt_u32_e64 s[4:5], s12, v1
	s_and_saveexec_b64 s[6:7], s[4:5]
	s_cbranch_execz .LBB414_187
; %bb.186:
	v_lshlrev_b32_e32 v1, 2, v0
	global_load_dword v1, v1, s[8:9] offset:2048
	s_waitcnt vmcnt(0)
	v_cvt_f32_u32_e32 v4, v1
.LBB414_187:
	s_or_b64 exec, exec, s[6:7]
	v_or_b32_e32 v1, 0x300, v0
	v_cmp_gt_u32_e64 s[6:7], s12, v1
	s_and_saveexec_b64 s[10:11], s[6:7]
	s_cbranch_execz .LBB414_189
; %bb.188:
	v_lshlrev_b32_e32 v1, 2, v0
	global_load_dword v1, v1, s[8:9] offset:3072
	s_waitcnt vmcnt(0)
	v_cvt_f32_u32_e32 v5, v1
.LBB414_189:
	s_or_b64 exec, exec, s[10:11]
	v_add_f32_e32 v1, v2, v3
	v_cndmask_b32_e32 v1, v2, v1, vcc
	v_add_f32_e32 v2, v4, v1
	v_cndmask_b32_e64 v1, v1, v2, s[4:5]
	v_add_f32_e32 v2, v5, v1
	v_cndmask_b32_e64 v1, v1, v2, s[6:7]
	v_mbcnt_lo_u32_b32 v2, -1, 0
	v_mbcnt_hi_u32_b32 v2, -1, v2
	v_and_b32_e32 v4, 63, v2
	v_cmp_ne_u32_e32 vcc, 63, v4
	s_min_u32 s8, s12, 0x100
	v_and_b32_e32 v5, 0xc0, v0
	v_addc_co_u32_e32 v3, vcc, 0, v2, vcc
	v_lshlrev_b32_e32 v3, 2, v3
	ds_bpermute_b32 v3, v3, v1
	v_sub_u32_e64 v5, s8, v5 clamp
	v_add_u32_e32 v6, 1, v4
	v_cmp_gt_u32_e64 s[4:5], 62, v4
	v_cmp_lt_u32_e32 vcc, v6, v5
	s_waitcnt lgkmcnt(0)
	v_add_f32_e32 v3, v1, v3
	v_cndmask_b32_e64 v6, 0, 2, s[4:5]
	v_cndmask_b32_e32 v3, v1, v3, vcc
	v_add_lshl_u32 v6, v6, v2, 2
	ds_bpermute_b32 v6, v6, v3
	v_add_u32_e32 v7, 2, v4
	v_cmp_lt_u32_e64 s[4:5], v7, v5
	v_add_u32_e32 v7, 4, v4
	s_waitcnt lgkmcnt(0)
	v_add_f32_e32 v6, v3, v6
	v_cndmask_b32_e64 v3, v3, v6, s[4:5]
	v_cmp_gt_u32_e64 s[4:5], 60, v4
	s_nop 1
	v_cndmask_b32_e64 v6, 0, 4, s[4:5]
	v_add_lshl_u32 v6, v6, v2, 2
	ds_bpermute_b32 v6, v6, v3
	v_cmp_lt_u32_e64 s[4:5], v7, v5
	v_add_u32_e32 v7, 8, v4
	s_waitcnt lgkmcnt(0)
	v_add_f32_e32 v6, v3, v6
	v_cndmask_b32_e64 v3, v3, v6, s[4:5]
	v_cmp_gt_u32_e64 s[4:5], 56, v4
	s_nop 1
	v_cndmask_b32_e64 v6, 0, 8, s[4:5]
	v_add_lshl_u32 v6, v6, v2, 2
	ds_bpermute_b32 v6, v6, v3
	v_cmp_lt_u32_e64 s[4:5], v7, v5
	v_add_u32_e32 v7, 16, v4
	s_waitcnt lgkmcnt(0)
	v_add_f32_e32 v6, v3, v6
	v_cndmask_b32_e64 v3, v3, v6, s[4:5]
	v_cmp_gt_u32_e64 s[4:5], 48, v4
	v_add_u32_e32 v4, 32, v4
	s_nop 0
	v_cndmask_b32_e64 v6, 0, 16, s[4:5]
	v_add_lshl_u32 v6, v6, v2, 2
	ds_bpermute_b32 v6, v6, v3
	v_cmp_lt_u32_e64 s[4:5], v7, v5
	s_waitcnt lgkmcnt(0)
	v_add_f32_e32 v6, v3, v6
	v_cndmask_b32_e64 v6, v3, v6, s[4:5]
	v_lshlrev_b32_e32 v3, 2, v2
	v_or_b32_e32 v7, 0x80, v3
	ds_bpermute_b32 v7, v7, v6
	v_cmp_lt_u32_e64 s[4:5], v4, v5
	s_waitcnt lgkmcnt(0)
	v_add_f32_e32 v7, v6, v7
	v_cndmask_b32_e64 v4, v6, v7, s[4:5]
	v_cndmask_b32_e32 v1, v1, v4, vcc
	v_cmp_eq_u32_e32 vcc, 0, v2
	s_and_saveexec_b64 s[4:5], vcc
; %bb.190:
	v_lshrrev_b32_e32 v4, 4, v0
	v_and_b32_e32 v4, 12, v4
	ds_write_b32 v4, v1 offset:96
; %bb.191:
	s_or_b64 exec, exec, s[4:5]
	v_cmp_gt_u32_e32 vcc, 4, v0
	s_waitcnt lgkmcnt(0)
	s_barrier
	s_and_saveexec_b64 s[6:7], vcc
	s_cbranch_execz .LBB414_193
; %bb.192:
	ds_read_b32 v1, v3 offset:96
	v_and_b32_e32 v4, 3, v2
	v_cmp_ne_u32_e32 vcc, 3, v4
	s_add_i32 s8, s8, 63
	s_lshr_b32 s4, s8, 6
	v_addc_co_u32_e32 v2, vcc, 0, v2, vcc
	v_lshlrev_b32_e32 v2, 2, v2
	s_waitcnt lgkmcnt(0)
	ds_bpermute_b32 v2, v2, v1
	v_add_u32_e32 v5, 1, v4
	v_cmp_gt_u32_e32 vcc, s4, v5
	v_or_b32_e32 v3, 8, v3
	v_add_u32_e32 v4, 2, v4
	s_waitcnt lgkmcnt(0)
	v_add_f32_e32 v2, v1, v2
	v_cndmask_b32_e32 v2, v1, v2, vcc
	ds_bpermute_b32 v3, v3, v2
	v_cmp_gt_u32_e64 s[4:5], s4, v4
	s_waitcnt lgkmcnt(0)
	v_add_f32_e32 v3, v2, v3
	v_cndmask_b32_e64 v2, v2, v3, s[4:5]
	v_cndmask_b32_e32 v1, v1, v2, vcc
.LBB414_193:
	s_or_b64 exec, exec, s[6:7]
.LBB414_194:
	v_cmp_eq_u32_e64 s[4:5], 0, v0
	s_branch .LBB414_178
.LBB414_195:
	s_cmp_eq_u32 s33, 2
	s_cbranch_scc0 .LBB414_202
; %bb.196:
	s_mov_b32 s3, 0
	s_lshl_b32 s6, s2, 9
	s_mov_b32 s7, s3
	s_lshr_b64 s[8:9], s[70:71], 9
	s_lshl_b64 s[4:5], s[6:7], 2
	s_add_u32 s4, s68, s4
	s_addc_u32 s5, s69, s5
	s_cmp_lg_u64 s[8:9], s[2:3]
	s_cbranch_scc0 .LBB414_203
; %bb.197:
	v_lshlrev_b32_e32 v1, 2, v0
	global_load_dword v2, v1, s[4:5]
	global_load_dword v3, v1, s[4:5] offset:1024
	s_waitcnt vmcnt(1)
	v_cvt_f32_u32_e32 v1, v2
	s_waitcnt vmcnt(0)
	v_cvt_f32_u32_e32 v4, v3
	v_mbcnt_lo_u32_b32 v2, -1, 0
	v_mbcnt_hi_u32_b32 v2, -1, v2
	v_lshlrev_b32_e32 v3, 2, v2
	v_add_f32_e32 v1, v1, v4
	v_or_b32_e32 v4, 0xfc, v3
	v_cmp_eq_u32_e32 vcc, 0, v2
	v_add_f32_dpp v1, v1, v1 quad_perm:[1,0,3,2] row_mask:0xf bank_mask:0xf bound_ctrl:1
	s_nop 1
	v_add_f32_dpp v1, v1, v1 quad_perm:[2,3,0,1] row_mask:0xf bank_mask:0xf bound_ctrl:1
	s_nop 1
	v_add_f32_dpp v1, v1, v1 row_ror:4 row_mask:0xf bank_mask:0xf bound_ctrl:1
	s_nop 1
	v_add_f32_dpp v1, v1, v1 row_ror:8 row_mask:0xf bank_mask:0xf bound_ctrl:1
	s_nop 1
	v_add_f32_dpp v1, v1, v1 row_bcast:15 row_mask:0xf bank_mask:0xf bound_ctrl:1
	s_nop 1
	v_add_f32_dpp v1, v1, v1 row_bcast:31 row_mask:0xf bank_mask:0xf bound_ctrl:1
	ds_bpermute_b32 v1, v4, v1
	s_and_saveexec_b64 s[8:9], vcc
	s_cbranch_execz .LBB414_199
; %bb.198:
	v_lshrrev_b32_e32 v4, 4, v0
	v_and_b32_e32 v4, 12, v4
	s_waitcnt lgkmcnt(0)
	ds_write_b32 v4, v1 offset:32
.LBB414_199:
	s_or_b64 exec, exec, s[8:9]
	v_cmp_gt_u32_e32 vcc, 64, v0
	s_waitcnt lgkmcnt(0)
	s_barrier
	s_and_saveexec_b64 s[8:9], vcc
	s_cbranch_execz .LBB414_201
; %bb.200:
	v_and_b32_e32 v1, 3, v2
	v_lshlrev_b32_e32 v4, 2, v1
	ds_read_b32 v4, v4 offset:32
	v_cmp_ne_u32_e32 vcc, 3, v1
	s_nop 1
	v_addc_co_u32_e32 v1, vcc, 0, v2, vcc
	v_lshlrev_b32_e32 v1, 2, v1
	s_waitcnt lgkmcnt(0)
	ds_bpermute_b32 v1, v1, v4
	v_or_b32_e32 v2, 8, v3
	s_waitcnt lgkmcnt(0)
	v_add_f32_e32 v1, v4, v1
	ds_bpermute_b32 v2, v2, v1
	s_waitcnt lgkmcnt(0)
	v_add_f32_e32 v1, v1, v2
.LBB414_201:
	s_or_b64 exec, exec, s[8:9]
	s_mov_b64 s[8:9], 0
	s_branch .LBB414_204
.LBB414_202:
                                        ; implicit-def: $vgpr1
	s_branch .LBB414_224
.LBB414_203:
	s_mov_b64 s[8:9], -1
                                        ; implicit-def: $vgpr1
.LBB414_204:
	s_and_b64 vcc, exec, s[8:9]
	s_cbranch_vccz .LBB414_214
; %bb.205:
	s_sub_i32 s8, s70, s6
	v_mov_b32_e32 v2, 0
	v_cmp_gt_u32_e32 vcc, s8, v0
	v_mov_b32_e32 v3, v2
	s_and_saveexec_b64 s[6:7], vcc
	s_cbranch_execz .LBB414_207
; %bb.206:
	v_lshlrev_b32_e32 v1, 2, v0
	global_load_dword v1, v1, s[4:5]
	v_mov_b32_e32 v5, v2
	s_waitcnt vmcnt(0)
	v_cvt_f32_u32_e32 v4, v1
	v_mov_b64_e32 v[2:3], v[4:5]
.LBB414_207:
	s_or_b64 exec, exec, s[6:7]
	v_or_b32_e32 v1, 0x100, v0
	v_cmp_gt_u32_e32 vcc, s8, v1
	s_and_saveexec_b64 s[6:7], vcc
	s_cbranch_execz .LBB414_209
; %bb.208:
	v_lshlrev_b32_e32 v1, 2, v0
	global_load_dword v1, v1, s[4:5] offset:1024
	s_waitcnt vmcnt(0)
	v_cvt_f32_u32_e32 v3, v1
.LBB414_209:
	s_or_b64 exec, exec, s[6:7]
	v_add_f32_e32 v1, v3, v2
	v_cndmask_b32_e32 v1, v2, v1, vcc
	v_mbcnt_lo_u32_b32 v2, -1, 0
	v_mbcnt_hi_u32_b32 v2, -1, v2
	v_and_b32_e32 v4, 63, v2
	v_cmp_ne_u32_e32 vcc, 63, v4
	s_min_u32 s8, s8, 0x100
	v_and_b32_e32 v5, 0xc0, v0
	v_addc_co_u32_e32 v3, vcc, 0, v2, vcc
	v_lshlrev_b32_e32 v3, 2, v3
	ds_bpermute_b32 v3, v3, v1
	v_sub_u32_e64 v5, s8, v5 clamp
	v_add_u32_e32 v6, 1, v4
	v_cmp_gt_u32_e64 s[4:5], 62, v4
	v_cmp_lt_u32_e32 vcc, v6, v5
	s_waitcnt lgkmcnt(0)
	v_add_f32_e32 v3, v1, v3
	v_cndmask_b32_e64 v6, 0, 2, s[4:5]
	v_cndmask_b32_e32 v3, v1, v3, vcc
	v_add_lshl_u32 v6, v6, v2, 2
	ds_bpermute_b32 v6, v6, v3
	v_add_u32_e32 v7, 2, v4
	v_cmp_lt_u32_e64 s[4:5], v7, v5
	v_add_u32_e32 v7, 4, v4
	s_waitcnt lgkmcnt(0)
	v_add_f32_e32 v6, v3, v6
	v_cndmask_b32_e64 v3, v3, v6, s[4:5]
	v_cmp_gt_u32_e64 s[4:5], 60, v4
	s_nop 1
	v_cndmask_b32_e64 v6, 0, 4, s[4:5]
	v_add_lshl_u32 v6, v6, v2, 2
	ds_bpermute_b32 v6, v6, v3
	v_cmp_lt_u32_e64 s[4:5], v7, v5
	v_add_u32_e32 v7, 8, v4
	s_waitcnt lgkmcnt(0)
	v_add_f32_e32 v6, v3, v6
	v_cndmask_b32_e64 v3, v3, v6, s[4:5]
	v_cmp_gt_u32_e64 s[4:5], 56, v4
	s_nop 1
	v_cndmask_b32_e64 v6, 0, 8, s[4:5]
	v_add_lshl_u32 v6, v6, v2, 2
	ds_bpermute_b32 v6, v6, v3
	v_cmp_lt_u32_e64 s[4:5], v7, v5
	v_add_u32_e32 v7, 16, v4
	s_waitcnt lgkmcnt(0)
	v_add_f32_e32 v6, v3, v6
	v_cndmask_b32_e64 v3, v3, v6, s[4:5]
	v_cmp_gt_u32_e64 s[4:5], 48, v4
	v_add_u32_e32 v4, 32, v4
	s_nop 0
	v_cndmask_b32_e64 v6, 0, 16, s[4:5]
	v_add_lshl_u32 v6, v6, v2, 2
	ds_bpermute_b32 v6, v6, v3
	v_cmp_lt_u32_e64 s[4:5], v7, v5
	s_waitcnt lgkmcnt(0)
	v_add_f32_e32 v6, v3, v6
	v_cndmask_b32_e64 v6, v3, v6, s[4:5]
	v_lshlrev_b32_e32 v3, 2, v2
	v_or_b32_e32 v7, 0x80, v3
	ds_bpermute_b32 v7, v7, v6
	v_cmp_lt_u32_e64 s[4:5], v4, v5
	s_waitcnt lgkmcnt(0)
	v_add_f32_e32 v7, v6, v7
	v_cndmask_b32_e64 v4, v6, v7, s[4:5]
	v_cndmask_b32_e32 v1, v1, v4, vcc
	v_cmp_eq_u32_e32 vcc, 0, v2
	s_and_saveexec_b64 s[4:5], vcc
; %bb.210:
	v_lshrrev_b32_e32 v4, 4, v0
	v_and_b32_e32 v4, 12, v4
	ds_write_b32 v4, v1 offset:96
; %bb.211:
	s_or_b64 exec, exec, s[4:5]
	v_cmp_gt_u32_e32 vcc, 4, v0
	s_waitcnt lgkmcnt(0)
	s_barrier
	s_and_saveexec_b64 s[6:7], vcc
	s_cbranch_execz .LBB414_213
; %bb.212:
	ds_read_b32 v1, v3 offset:96
	v_and_b32_e32 v4, 3, v2
	v_cmp_ne_u32_e32 vcc, 3, v4
	s_add_i32 s8, s8, 63
	s_lshr_b32 s4, s8, 6
	v_addc_co_u32_e32 v2, vcc, 0, v2, vcc
	v_lshlrev_b32_e32 v2, 2, v2
	s_waitcnt lgkmcnt(0)
	ds_bpermute_b32 v2, v2, v1
	v_add_u32_e32 v5, 1, v4
	v_cmp_gt_u32_e32 vcc, s4, v5
	v_or_b32_e32 v3, 8, v3
	v_add_u32_e32 v4, 2, v4
	s_waitcnt lgkmcnt(0)
	v_add_f32_e32 v2, v1, v2
	v_cndmask_b32_e32 v2, v1, v2, vcc
	ds_bpermute_b32 v3, v3, v2
	v_cmp_gt_u32_e64 s[4:5], s4, v4
	s_waitcnt lgkmcnt(0)
	v_add_f32_e32 v3, v2, v3
	v_cndmask_b32_e64 v2, v2, v3, s[4:5]
	v_cndmask_b32_e32 v1, v1, v2, vcc
.LBB414_213:
	s_or_b64 exec, exec, s[6:7]
.LBB414_214:
	v_cmp_eq_u32_e64 s[4:5], 0, v0
	s_branch .LBB414_224
.LBB414_215:
	s_cmp_eq_u32 s33, 1
	s_cbranch_scc0 .LBB414_223
; %bb.216:
	s_mov_b32 s5, 0
	s_lshl_b32 s4, s2, 8
	s_mov_b32 s3, s5
	s_lshr_b64 s[6:7], s[70:71], 8
	s_cmp_lg_u64 s[6:7], s[2:3]
	v_mbcnt_lo_u32_b32 v2, -1, 0
	s_cbranch_scc0 .LBB414_227
; %bb.217:
	s_lshl_b64 s[6:7], s[4:5], 2
	s_add_u32 s6, s68, s6
	s_addc_u32 s7, s69, s7
	v_lshlrev_b32_e32 v1, 2, v0
	global_load_dword v1, v1, s[6:7]
	v_mbcnt_hi_u32_b32 v3, -1, v2
	v_lshlrev_b32_e32 v4, 2, v3
	v_or_b32_e32 v5, 0xfc, v4
	v_cmp_eq_u32_e32 vcc, 0, v3
	s_waitcnt vmcnt(0)
	v_cvt_f32_u32_e32 v1, v1
	s_nop 1
	v_add_f32_dpp v1, v1, v1 quad_perm:[1,0,3,2] row_mask:0xf bank_mask:0xf bound_ctrl:1
	s_nop 1
	v_add_f32_dpp v1, v1, v1 quad_perm:[2,3,0,1] row_mask:0xf bank_mask:0xf bound_ctrl:1
	s_nop 1
	v_add_f32_dpp v1, v1, v1 row_ror:4 row_mask:0xf bank_mask:0xf bound_ctrl:1
	s_nop 1
	v_add_f32_dpp v1, v1, v1 row_ror:8 row_mask:0xf bank_mask:0xf bound_ctrl:1
	s_nop 1
	v_add_f32_dpp v1, v1, v1 row_bcast:15 row_mask:0xf bank_mask:0xf bound_ctrl:1
	s_nop 1
	v_add_f32_dpp v1, v1, v1 row_bcast:31 row_mask:0xf bank_mask:0xf bound_ctrl:1
	ds_bpermute_b32 v1, v5, v1
	s_and_saveexec_b64 s[6:7], vcc
	s_cbranch_execz .LBB414_219
; %bb.218:
	v_lshrrev_b32_e32 v5, 4, v0
	v_and_b32_e32 v5, 12, v5
	s_waitcnt lgkmcnt(0)
	ds_write_b32 v5, v1 offset:16
.LBB414_219:
	s_or_b64 exec, exec, s[6:7]
	v_cmp_gt_u32_e32 vcc, 64, v0
	s_waitcnt lgkmcnt(0)
	s_barrier
	s_and_saveexec_b64 s[6:7], vcc
	s_cbranch_execz .LBB414_221
; %bb.220:
	v_and_b32_e32 v1, 3, v3
	v_lshlrev_b32_e32 v5, 2, v1
	ds_read_b32 v5, v5 offset:16
	v_cmp_ne_u32_e32 vcc, 3, v1
	s_nop 1
	v_addc_co_u32_e32 v1, vcc, 0, v3, vcc
	v_lshlrev_b32_e32 v1, 2, v1
	s_waitcnt lgkmcnt(0)
	ds_bpermute_b32 v1, v1, v5
	v_or_b32_e32 v3, 8, v4
	s_waitcnt lgkmcnt(0)
	v_add_f32_e32 v1, v5, v1
	ds_bpermute_b32 v3, v3, v1
	s_waitcnt lgkmcnt(0)
	v_add_f32_e32 v1, v1, v3
.LBB414_221:
	s_or_b64 exec, exec, s[6:7]
.LBB414_222:
	v_cmp_eq_u32_e64 s[4:5], 0, v0
	s_and_saveexec_b64 s[6:7], s[4:5]
	s_cbranch_execnz .LBB414_225
	s_branch .LBB414_226
.LBB414_223:
                                        ; implicit-def: $vgpr1
                                        ; implicit-def: $sgpr2_sgpr3
.LBB414_224:
	s_and_saveexec_b64 s[6:7], s[4:5]
	s_cbranch_execz .LBB414_226
.LBB414_225:
	s_load_dwordx2 s[4:5], s[0:1], 0x18
	s_load_dword s6, s[0:1], 0x20
	s_lshl_b64 s[0:1], s[2:3], 2
	v_mov_b32_e32 v0, 0
	s_waitcnt lgkmcnt(0)
	s_add_u32 s0, s4, s0
	s_addc_u32 s1, s5, s1
	s_cmp_eq_u64 s[70:71], 0
	v_add_f32_e32 v1, s6, v1
	v_mov_b32_e32 v2, s6
	s_cselect_b64 vcc, -1, 0
	v_cndmask_b32_e32 v1, v1, v2, vcc
	global_store_dword v0, v1, s[0:1]
.LBB414_226:
	s_endpgm
.LBB414_227:
                                        ; implicit-def: $vgpr1
	s_cbranch_execz .LBB414_222
; %bb.228:
	s_sub_i32 s8, s70, s4
	v_cmp_gt_u32_e32 vcc, s8, v0
                                        ; implicit-def: $vgpr1
	s_and_saveexec_b64 s[6:7], vcc
	s_cbranch_execz .LBB414_230
; %bb.229:
	s_lshl_b64 s[4:5], s[4:5], 2
	s_add_u32 s4, s68, s4
	s_addc_u32 s5, s69, s5
	v_lshlrev_b32_e32 v1, 2, v0
	global_load_dword v1, v1, s[4:5]
	s_waitcnt vmcnt(0)
	v_cvt_f32_u32_e32 v1, v1
.LBB414_230:
	s_or_b64 exec, exec, s[6:7]
	v_mbcnt_hi_u32_b32 v2, -1, v2
	v_and_b32_e32 v4, 63, v2
	v_cmp_ne_u32_e32 vcc, 63, v4
	s_min_u32 s8, s8, 0x100
	v_and_b32_e32 v5, 0xc0, v0
	v_addc_co_u32_e32 v3, vcc, 0, v2, vcc
	v_lshlrev_b32_e32 v3, 2, v3
	ds_bpermute_b32 v3, v3, v1
	v_sub_u32_e64 v5, s8, v5 clamp
	v_add_u32_e32 v6, 1, v4
	v_cmp_gt_u32_e64 s[4:5], 62, v4
	v_cmp_lt_u32_e32 vcc, v6, v5
	s_waitcnt lgkmcnt(0)
	v_add_f32_e32 v3, v1, v3
	v_cndmask_b32_e64 v6, 0, 2, s[4:5]
	v_cndmask_b32_e32 v3, v1, v3, vcc
	v_add_lshl_u32 v6, v6, v2, 2
	ds_bpermute_b32 v6, v6, v3
	v_add_u32_e32 v7, 2, v4
	v_cmp_lt_u32_e64 s[4:5], v7, v5
	v_add_u32_e32 v7, 4, v4
	s_waitcnt lgkmcnt(0)
	v_add_f32_e32 v6, v3, v6
	v_cndmask_b32_e64 v3, v3, v6, s[4:5]
	v_cmp_gt_u32_e64 s[4:5], 60, v4
	s_nop 1
	v_cndmask_b32_e64 v6, 0, 4, s[4:5]
	v_add_lshl_u32 v6, v6, v2, 2
	ds_bpermute_b32 v6, v6, v3
	v_cmp_lt_u32_e64 s[4:5], v7, v5
	v_add_u32_e32 v7, 8, v4
	s_waitcnt lgkmcnt(0)
	v_add_f32_e32 v6, v3, v6
	v_cndmask_b32_e64 v3, v3, v6, s[4:5]
	v_cmp_gt_u32_e64 s[4:5], 56, v4
	s_nop 1
	v_cndmask_b32_e64 v6, 0, 8, s[4:5]
	v_add_lshl_u32 v6, v6, v2, 2
	ds_bpermute_b32 v6, v6, v3
	v_cmp_lt_u32_e64 s[4:5], v7, v5
	v_add_u32_e32 v7, 16, v4
	s_waitcnt lgkmcnt(0)
	v_add_f32_e32 v6, v3, v6
	v_cndmask_b32_e64 v3, v3, v6, s[4:5]
	v_cmp_gt_u32_e64 s[4:5], 48, v4
	v_add_u32_e32 v4, 32, v4
	s_nop 0
	v_cndmask_b32_e64 v6, 0, 16, s[4:5]
	v_add_lshl_u32 v6, v6, v2, 2
	ds_bpermute_b32 v6, v6, v3
	v_cmp_lt_u32_e64 s[4:5], v7, v5
	s_waitcnt lgkmcnt(0)
	v_add_f32_e32 v6, v3, v6
	v_cndmask_b32_e64 v6, v3, v6, s[4:5]
	v_lshlrev_b32_e32 v3, 2, v2
	v_or_b32_e32 v7, 0x80, v3
	ds_bpermute_b32 v7, v7, v6
	v_cmp_lt_u32_e64 s[4:5], v4, v5
	s_waitcnt lgkmcnt(0)
	v_add_f32_e32 v7, v6, v7
	v_cndmask_b32_e64 v4, v6, v7, s[4:5]
	v_cndmask_b32_e32 v1, v1, v4, vcc
	v_cmp_eq_u32_e32 vcc, 0, v2
	s_and_saveexec_b64 s[4:5], vcc
; %bb.231:
	v_lshrrev_b32_e32 v4, 4, v0
	v_and_b32_e32 v4, 12, v4
	ds_write_b32 v4, v1 offset:96
; %bb.232:
	s_or_b64 exec, exec, s[4:5]
	v_cmp_gt_u32_e32 vcc, 4, v0
	s_waitcnt lgkmcnt(0)
	s_barrier
	s_and_saveexec_b64 s[6:7], vcc
	s_cbranch_execz .LBB414_234
; %bb.233:
	ds_read_b32 v1, v3 offset:96
	v_and_b32_e32 v4, 3, v2
	v_cmp_ne_u32_e32 vcc, 3, v4
	s_add_i32 s8, s8, 63
	s_lshr_b32 s4, s8, 6
	v_addc_co_u32_e32 v2, vcc, 0, v2, vcc
	v_lshlrev_b32_e32 v2, 2, v2
	s_waitcnt lgkmcnt(0)
	ds_bpermute_b32 v2, v2, v1
	v_add_u32_e32 v5, 1, v4
	v_cmp_gt_u32_e32 vcc, s4, v5
	v_or_b32_e32 v3, 8, v3
	v_add_u32_e32 v4, 2, v4
	s_waitcnt lgkmcnt(0)
	v_add_f32_e32 v2, v1, v2
	v_cndmask_b32_e32 v2, v1, v2, vcc
	ds_bpermute_b32 v3, v3, v2
	v_cmp_gt_u32_e64 s[4:5], s4, v4
	s_waitcnt lgkmcnt(0)
	v_add_f32_e32 v3, v2, v3
	v_cndmask_b32_e64 v2, v2, v3, s[4:5]
	v_cndmask_b32_e32 v1, v1, v2, vcc
.LBB414_234:
	s_or_b64 exec, exec, s[6:7]
	v_cmp_eq_u32_e64 s[4:5], 0, v0
	s_and_saveexec_b64 s[6:7], s[4:5]
	s_cbranch_execnz .LBB414_225
	s_branch .LBB414_226
	.section	.rodata,"a",@progbits
	.p2align	6, 0x0
	.amdhsa_kernel _ZN7rocprim17ROCPRIM_400000_NS6detail17trampoline_kernelINS0_14default_configENS1_22reduce_config_selectorIjEEZNS1_11reduce_implILb1ES3_N6thrust23THRUST_200600_302600_NS6detail15normal_iteratorINS8_10device_ptrIjEEEEPffNS8_4plusIfEEEE10hipError_tPvRmT1_T2_T3_mT4_P12ihipStream_tbEUlT_E1_NS1_11comp_targetILNS1_3genE0ELNS1_11target_archE4294967295ELNS1_3gpuE0ELNS1_3repE0EEENS1_30default_config_static_selectorELNS0_4arch9wavefront6targetE1EEEvSK_
		.amdhsa_group_segment_fixed_size 112
		.amdhsa_private_segment_fixed_size 0
		.amdhsa_kernarg_size 40
		.amdhsa_user_sgpr_count 2
		.amdhsa_user_sgpr_dispatch_ptr 0
		.amdhsa_user_sgpr_queue_ptr 0
		.amdhsa_user_sgpr_kernarg_segment_ptr 1
		.amdhsa_user_sgpr_dispatch_id 0
		.amdhsa_user_sgpr_kernarg_preload_length 0
		.amdhsa_user_sgpr_kernarg_preload_offset 0
		.amdhsa_user_sgpr_private_segment_size 0
		.amdhsa_uses_dynamic_stack 0
		.amdhsa_enable_private_segment 0
		.amdhsa_system_sgpr_workgroup_id_x 1
		.amdhsa_system_sgpr_workgroup_id_y 0
		.amdhsa_system_sgpr_workgroup_id_z 0
		.amdhsa_system_sgpr_workgroup_info 0
		.amdhsa_system_vgpr_workitem_id 0
		.amdhsa_next_free_vgpr 36
		.amdhsa_next_free_sgpr 77
		.amdhsa_accum_offset 36
		.amdhsa_reserve_vcc 1
		.amdhsa_float_round_mode_32 0
		.amdhsa_float_round_mode_16_64 0
		.amdhsa_float_denorm_mode_32 3
		.amdhsa_float_denorm_mode_16_64 3
		.amdhsa_dx10_clamp 1
		.amdhsa_ieee_mode 1
		.amdhsa_fp16_overflow 0
		.amdhsa_tg_split 0
		.amdhsa_exception_fp_ieee_invalid_op 0
		.amdhsa_exception_fp_denorm_src 0
		.amdhsa_exception_fp_ieee_div_zero 0
		.amdhsa_exception_fp_ieee_overflow 0
		.amdhsa_exception_fp_ieee_underflow 0
		.amdhsa_exception_fp_ieee_inexact 0
		.amdhsa_exception_int_div_zero 0
	.end_amdhsa_kernel
	.section	.text._ZN7rocprim17ROCPRIM_400000_NS6detail17trampoline_kernelINS0_14default_configENS1_22reduce_config_selectorIjEEZNS1_11reduce_implILb1ES3_N6thrust23THRUST_200600_302600_NS6detail15normal_iteratorINS8_10device_ptrIjEEEEPffNS8_4plusIfEEEE10hipError_tPvRmT1_T2_T3_mT4_P12ihipStream_tbEUlT_E1_NS1_11comp_targetILNS1_3genE0ELNS1_11target_archE4294967295ELNS1_3gpuE0ELNS1_3repE0EEENS1_30default_config_static_selectorELNS0_4arch9wavefront6targetE1EEEvSK_,"axG",@progbits,_ZN7rocprim17ROCPRIM_400000_NS6detail17trampoline_kernelINS0_14default_configENS1_22reduce_config_selectorIjEEZNS1_11reduce_implILb1ES3_N6thrust23THRUST_200600_302600_NS6detail15normal_iteratorINS8_10device_ptrIjEEEEPffNS8_4plusIfEEEE10hipError_tPvRmT1_T2_T3_mT4_P12ihipStream_tbEUlT_E1_NS1_11comp_targetILNS1_3genE0ELNS1_11target_archE4294967295ELNS1_3gpuE0ELNS1_3repE0EEENS1_30default_config_static_selectorELNS0_4arch9wavefront6targetE1EEEvSK_,comdat
.Lfunc_end414:
	.size	_ZN7rocprim17ROCPRIM_400000_NS6detail17trampoline_kernelINS0_14default_configENS1_22reduce_config_selectorIjEEZNS1_11reduce_implILb1ES3_N6thrust23THRUST_200600_302600_NS6detail15normal_iteratorINS8_10device_ptrIjEEEEPffNS8_4plusIfEEEE10hipError_tPvRmT1_T2_T3_mT4_P12ihipStream_tbEUlT_E1_NS1_11comp_targetILNS1_3genE0ELNS1_11target_archE4294967295ELNS1_3gpuE0ELNS1_3repE0EEENS1_30default_config_static_selectorELNS0_4arch9wavefront6targetE1EEEvSK_, .Lfunc_end414-_ZN7rocprim17ROCPRIM_400000_NS6detail17trampoline_kernelINS0_14default_configENS1_22reduce_config_selectorIjEEZNS1_11reduce_implILb1ES3_N6thrust23THRUST_200600_302600_NS6detail15normal_iteratorINS8_10device_ptrIjEEEEPffNS8_4plusIfEEEE10hipError_tPvRmT1_T2_T3_mT4_P12ihipStream_tbEUlT_E1_NS1_11comp_targetILNS1_3genE0ELNS1_11target_archE4294967295ELNS1_3gpuE0ELNS1_3repE0EEENS1_30default_config_static_selectorELNS0_4arch9wavefront6targetE1EEEvSK_
                                        ; -- End function
	.set _ZN7rocprim17ROCPRIM_400000_NS6detail17trampoline_kernelINS0_14default_configENS1_22reduce_config_selectorIjEEZNS1_11reduce_implILb1ES3_N6thrust23THRUST_200600_302600_NS6detail15normal_iteratorINS8_10device_ptrIjEEEEPffNS8_4plusIfEEEE10hipError_tPvRmT1_T2_T3_mT4_P12ihipStream_tbEUlT_E1_NS1_11comp_targetILNS1_3genE0ELNS1_11target_archE4294967295ELNS1_3gpuE0ELNS1_3repE0EEENS1_30default_config_static_selectorELNS0_4arch9wavefront6targetE1EEEvSK_.num_vgpr, 36
	.set _ZN7rocprim17ROCPRIM_400000_NS6detail17trampoline_kernelINS0_14default_configENS1_22reduce_config_selectorIjEEZNS1_11reduce_implILb1ES3_N6thrust23THRUST_200600_302600_NS6detail15normal_iteratorINS8_10device_ptrIjEEEEPffNS8_4plusIfEEEE10hipError_tPvRmT1_T2_T3_mT4_P12ihipStream_tbEUlT_E1_NS1_11comp_targetILNS1_3genE0ELNS1_11target_archE4294967295ELNS1_3gpuE0ELNS1_3repE0EEENS1_30default_config_static_selectorELNS0_4arch9wavefront6targetE1EEEvSK_.num_agpr, 0
	.set _ZN7rocprim17ROCPRIM_400000_NS6detail17trampoline_kernelINS0_14default_configENS1_22reduce_config_selectorIjEEZNS1_11reduce_implILb1ES3_N6thrust23THRUST_200600_302600_NS6detail15normal_iteratorINS8_10device_ptrIjEEEEPffNS8_4plusIfEEEE10hipError_tPvRmT1_T2_T3_mT4_P12ihipStream_tbEUlT_E1_NS1_11comp_targetILNS1_3genE0ELNS1_11target_archE4294967295ELNS1_3gpuE0ELNS1_3repE0EEENS1_30default_config_static_selectorELNS0_4arch9wavefront6targetE1EEEvSK_.numbered_sgpr, 77
	.set _ZN7rocprim17ROCPRIM_400000_NS6detail17trampoline_kernelINS0_14default_configENS1_22reduce_config_selectorIjEEZNS1_11reduce_implILb1ES3_N6thrust23THRUST_200600_302600_NS6detail15normal_iteratorINS8_10device_ptrIjEEEEPffNS8_4plusIfEEEE10hipError_tPvRmT1_T2_T3_mT4_P12ihipStream_tbEUlT_E1_NS1_11comp_targetILNS1_3genE0ELNS1_11target_archE4294967295ELNS1_3gpuE0ELNS1_3repE0EEENS1_30default_config_static_selectorELNS0_4arch9wavefront6targetE1EEEvSK_.num_named_barrier, 0
	.set _ZN7rocprim17ROCPRIM_400000_NS6detail17trampoline_kernelINS0_14default_configENS1_22reduce_config_selectorIjEEZNS1_11reduce_implILb1ES3_N6thrust23THRUST_200600_302600_NS6detail15normal_iteratorINS8_10device_ptrIjEEEEPffNS8_4plusIfEEEE10hipError_tPvRmT1_T2_T3_mT4_P12ihipStream_tbEUlT_E1_NS1_11comp_targetILNS1_3genE0ELNS1_11target_archE4294967295ELNS1_3gpuE0ELNS1_3repE0EEENS1_30default_config_static_selectorELNS0_4arch9wavefront6targetE1EEEvSK_.private_seg_size, 0
	.set _ZN7rocprim17ROCPRIM_400000_NS6detail17trampoline_kernelINS0_14default_configENS1_22reduce_config_selectorIjEEZNS1_11reduce_implILb1ES3_N6thrust23THRUST_200600_302600_NS6detail15normal_iteratorINS8_10device_ptrIjEEEEPffNS8_4plusIfEEEE10hipError_tPvRmT1_T2_T3_mT4_P12ihipStream_tbEUlT_E1_NS1_11comp_targetILNS1_3genE0ELNS1_11target_archE4294967295ELNS1_3gpuE0ELNS1_3repE0EEENS1_30default_config_static_selectorELNS0_4arch9wavefront6targetE1EEEvSK_.uses_vcc, 1
	.set _ZN7rocprim17ROCPRIM_400000_NS6detail17trampoline_kernelINS0_14default_configENS1_22reduce_config_selectorIjEEZNS1_11reduce_implILb1ES3_N6thrust23THRUST_200600_302600_NS6detail15normal_iteratorINS8_10device_ptrIjEEEEPffNS8_4plusIfEEEE10hipError_tPvRmT1_T2_T3_mT4_P12ihipStream_tbEUlT_E1_NS1_11comp_targetILNS1_3genE0ELNS1_11target_archE4294967295ELNS1_3gpuE0ELNS1_3repE0EEENS1_30default_config_static_selectorELNS0_4arch9wavefront6targetE1EEEvSK_.uses_flat_scratch, 0
	.set _ZN7rocprim17ROCPRIM_400000_NS6detail17trampoline_kernelINS0_14default_configENS1_22reduce_config_selectorIjEEZNS1_11reduce_implILb1ES3_N6thrust23THRUST_200600_302600_NS6detail15normal_iteratorINS8_10device_ptrIjEEEEPffNS8_4plusIfEEEE10hipError_tPvRmT1_T2_T3_mT4_P12ihipStream_tbEUlT_E1_NS1_11comp_targetILNS1_3genE0ELNS1_11target_archE4294967295ELNS1_3gpuE0ELNS1_3repE0EEENS1_30default_config_static_selectorELNS0_4arch9wavefront6targetE1EEEvSK_.has_dyn_sized_stack, 0
	.set _ZN7rocprim17ROCPRIM_400000_NS6detail17trampoline_kernelINS0_14default_configENS1_22reduce_config_selectorIjEEZNS1_11reduce_implILb1ES3_N6thrust23THRUST_200600_302600_NS6detail15normal_iteratorINS8_10device_ptrIjEEEEPffNS8_4plusIfEEEE10hipError_tPvRmT1_T2_T3_mT4_P12ihipStream_tbEUlT_E1_NS1_11comp_targetILNS1_3genE0ELNS1_11target_archE4294967295ELNS1_3gpuE0ELNS1_3repE0EEENS1_30default_config_static_selectorELNS0_4arch9wavefront6targetE1EEEvSK_.has_recursion, 0
	.set _ZN7rocprim17ROCPRIM_400000_NS6detail17trampoline_kernelINS0_14default_configENS1_22reduce_config_selectorIjEEZNS1_11reduce_implILb1ES3_N6thrust23THRUST_200600_302600_NS6detail15normal_iteratorINS8_10device_ptrIjEEEEPffNS8_4plusIfEEEE10hipError_tPvRmT1_T2_T3_mT4_P12ihipStream_tbEUlT_E1_NS1_11comp_targetILNS1_3genE0ELNS1_11target_archE4294967295ELNS1_3gpuE0ELNS1_3repE0EEENS1_30default_config_static_selectorELNS0_4arch9wavefront6targetE1EEEvSK_.has_indirect_call, 0
	.section	.AMDGPU.csdata,"",@progbits
; Kernel info:
; codeLenInByte = 11084
; TotalNumSgprs: 83
; NumVgprs: 36
; NumAgprs: 0
; TotalNumVgprs: 36
; ScratchSize: 0
; MemoryBound: 0
; FloatMode: 240
; IeeeMode: 1
; LDSByteSize: 112 bytes/workgroup (compile time only)
; SGPRBlocks: 10
; VGPRBlocks: 4
; NumSGPRsForWavesPerEU: 83
; NumVGPRsForWavesPerEU: 36
; AccumOffset: 36
; Occupancy: 8
; WaveLimiterHint : 1
; COMPUTE_PGM_RSRC2:SCRATCH_EN: 0
; COMPUTE_PGM_RSRC2:USER_SGPR: 2
; COMPUTE_PGM_RSRC2:TRAP_HANDLER: 0
; COMPUTE_PGM_RSRC2:TGID_X_EN: 1
; COMPUTE_PGM_RSRC2:TGID_Y_EN: 0
; COMPUTE_PGM_RSRC2:TGID_Z_EN: 0
; COMPUTE_PGM_RSRC2:TIDIG_COMP_CNT: 0
; COMPUTE_PGM_RSRC3_GFX90A:ACCUM_OFFSET: 8
; COMPUTE_PGM_RSRC3_GFX90A:TG_SPLIT: 0
	.section	.text._ZN7rocprim17ROCPRIM_400000_NS6detail17trampoline_kernelINS0_14default_configENS1_22reduce_config_selectorIjEEZNS1_11reduce_implILb1ES3_N6thrust23THRUST_200600_302600_NS6detail15normal_iteratorINS8_10device_ptrIjEEEEPffNS8_4plusIfEEEE10hipError_tPvRmT1_T2_T3_mT4_P12ihipStream_tbEUlT_E1_NS1_11comp_targetILNS1_3genE5ELNS1_11target_archE942ELNS1_3gpuE9ELNS1_3repE0EEENS1_30default_config_static_selectorELNS0_4arch9wavefront6targetE1EEEvSK_,"axG",@progbits,_ZN7rocprim17ROCPRIM_400000_NS6detail17trampoline_kernelINS0_14default_configENS1_22reduce_config_selectorIjEEZNS1_11reduce_implILb1ES3_N6thrust23THRUST_200600_302600_NS6detail15normal_iteratorINS8_10device_ptrIjEEEEPffNS8_4plusIfEEEE10hipError_tPvRmT1_T2_T3_mT4_P12ihipStream_tbEUlT_E1_NS1_11comp_targetILNS1_3genE5ELNS1_11target_archE942ELNS1_3gpuE9ELNS1_3repE0EEENS1_30default_config_static_selectorELNS0_4arch9wavefront6targetE1EEEvSK_,comdat
	.protected	_ZN7rocprim17ROCPRIM_400000_NS6detail17trampoline_kernelINS0_14default_configENS1_22reduce_config_selectorIjEEZNS1_11reduce_implILb1ES3_N6thrust23THRUST_200600_302600_NS6detail15normal_iteratorINS8_10device_ptrIjEEEEPffNS8_4plusIfEEEE10hipError_tPvRmT1_T2_T3_mT4_P12ihipStream_tbEUlT_E1_NS1_11comp_targetILNS1_3genE5ELNS1_11target_archE942ELNS1_3gpuE9ELNS1_3repE0EEENS1_30default_config_static_selectorELNS0_4arch9wavefront6targetE1EEEvSK_ ; -- Begin function _ZN7rocprim17ROCPRIM_400000_NS6detail17trampoline_kernelINS0_14default_configENS1_22reduce_config_selectorIjEEZNS1_11reduce_implILb1ES3_N6thrust23THRUST_200600_302600_NS6detail15normal_iteratorINS8_10device_ptrIjEEEEPffNS8_4plusIfEEEE10hipError_tPvRmT1_T2_T3_mT4_P12ihipStream_tbEUlT_E1_NS1_11comp_targetILNS1_3genE5ELNS1_11target_archE942ELNS1_3gpuE9ELNS1_3repE0EEENS1_30default_config_static_selectorELNS0_4arch9wavefront6targetE1EEEvSK_
	.globl	_ZN7rocprim17ROCPRIM_400000_NS6detail17trampoline_kernelINS0_14default_configENS1_22reduce_config_selectorIjEEZNS1_11reduce_implILb1ES3_N6thrust23THRUST_200600_302600_NS6detail15normal_iteratorINS8_10device_ptrIjEEEEPffNS8_4plusIfEEEE10hipError_tPvRmT1_T2_T3_mT4_P12ihipStream_tbEUlT_E1_NS1_11comp_targetILNS1_3genE5ELNS1_11target_archE942ELNS1_3gpuE9ELNS1_3repE0EEENS1_30default_config_static_selectorELNS0_4arch9wavefront6targetE1EEEvSK_
	.p2align	8
	.type	_ZN7rocprim17ROCPRIM_400000_NS6detail17trampoline_kernelINS0_14default_configENS1_22reduce_config_selectorIjEEZNS1_11reduce_implILb1ES3_N6thrust23THRUST_200600_302600_NS6detail15normal_iteratorINS8_10device_ptrIjEEEEPffNS8_4plusIfEEEE10hipError_tPvRmT1_T2_T3_mT4_P12ihipStream_tbEUlT_E1_NS1_11comp_targetILNS1_3genE5ELNS1_11target_archE942ELNS1_3gpuE9ELNS1_3repE0EEENS1_30default_config_static_selectorELNS0_4arch9wavefront6targetE1EEEvSK_,@function
_ZN7rocprim17ROCPRIM_400000_NS6detail17trampoline_kernelINS0_14default_configENS1_22reduce_config_selectorIjEEZNS1_11reduce_implILb1ES3_N6thrust23THRUST_200600_302600_NS6detail15normal_iteratorINS8_10device_ptrIjEEEEPffNS8_4plusIfEEEE10hipError_tPvRmT1_T2_T3_mT4_P12ihipStream_tbEUlT_E1_NS1_11comp_targetILNS1_3genE5ELNS1_11target_archE942ELNS1_3gpuE9ELNS1_3repE0EEENS1_30default_config_static_selectorELNS0_4arch9wavefront6targetE1EEEvSK_: ; @_ZN7rocprim17ROCPRIM_400000_NS6detail17trampoline_kernelINS0_14default_configENS1_22reduce_config_selectorIjEEZNS1_11reduce_implILb1ES3_N6thrust23THRUST_200600_302600_NS6detail15normal_iteratorINS8_10device_ptrIjEEEEPffNS8_4plusIfEEEE10hipError_tPvRmT1_T2_T3_mT4_P12ihipStream_tbEUlT_E1_NS1_11comp_targetILNS1_3genE5ELNS1_11target_archE942ELNS1_3gpuE9ELNS1_3repE0EEENS1_30default_config_static_selectorELNS0_4arch9wavefront6targetE1EEEvSK_
; %bb.0:
	.section	.rodata,"a",@progbits
	.p2align	6, 0x0
	.amdhsa_kernel _ZN7rocprim17ROCPRIM_400000_NS6detail17trampoline_kernelINS0_14default_configENS1_22reduce_config_selectorIjEEZNS1_11reduce_implILb1ES3_N6thrust23THRUST_200600_302600_NS6detail15normal_iteratorINS8_10device_ptrIjEEEEPffNS8_4plusIfEEEE10hipError_tPvRmT1_T2_T3_mT4_P12ihipStream_tbEUlT_E1_NS1_11comp_targetILNS1_3genE5ELNS1_11target_archE942ELNS1_3gpuE9ELNS1_3repE0EEENS1_30default_config_static_selectorELNS0_4arch9wavefront6targetE1EEEvSK_
		.amdhsa_group_segment_fixed_size 0
		.amdhsa_private_segment_fixed_size 0
		.amdhsa_kernarg_size 40
		.amdhsa_user_sgpr_count 2
		.amdhsa_user_sgpr_dispatch_ptr 0
		.amdhsa_user_sgpr_queue_ptr 0
		.amdhsa_user_sgpr_kernarg_segment_ptr 1
		.amdhsa_user_sgpr_dispatch_id 0
		.amdhsa_user_sgpr_kernarg_preload_length 0
		.amdhsa_user_sgpr_kernarg_preload_offset 0
		.amdhsa_user_sgpr_private_segment_size 0
		.amdhsa_uses_dynamic_stack 0
		.amdhsa_enable_private_segment 0
		.amdhsa_system_sgpr_workgroup_id_x 1
		.amdhsa_system_sgpr_workgroup_id_y 0
		.amdhsa_system_sgpr_workgroup_id_z 0
		.amdhsa_system_sgpr_workgroup_info 0
		.amdhsa_system_vgpr_workitem_id 0
		.amdhsa_next_free_vgpr 1
		.amdhsa_next_free_sgpr 0
		.amdhsa_accum_offset 4
		.amdhsa_reserve_vcc 0
		.amdhsa_float_round_mode_32 0
		.amdhsa_float_round_mode_16_64 0
		.amdhsa_float_denorm_mode_32 3
		.amdhsa_float_denorm_mode_16_64 3
		.amdhsa_dx10_clamp 1
		.amdhsa_ieee_mode 1
		.amdhsa_fp16_overflow 0
		.amdhsa_tg_split 0
		.amdhsa_exception_fp_ieee_invalid_op 0
		.amdhsa_exception_fp_denorm_src 0
		.amdhsa_exception_fp_ieee_div_zero 0
		.amdhsa_exception_fp_ieee_overflow 0
		.amdhsa_exception_fp_ieee_underflow 0
		.amdhsa_exception_fp_ieee_inexact 0
		.amdhsa_exception_int_div_zero 0
	.end_amdhsa_kernel
	.section	.text._ZN7rocprim17ROCPRIM_400000_NS6detail17trampoline_kernelINS0_14default_configENS1_22reduce_config_selectorIjEEZNS1_11reduce_implILb1ES3_N6thrust23THRUST_200600_302600_NS6detail15normal_iteratorINS8_10device_ptrIjEEEEPffNS8_4plusIfEEEE10hipError_tPvRmT1_T2_T3_mT4_P12ihipStream_tbEUlT_E1_NS1_11comp_targetILNS1_3genE5ELNS1_11target_archE942ELNS1_3gpuE9ELNS1_3repE0EEENS1_30default_config_static_selectorELNS0_4arch9wavefront6targetE1EEEvSK_,"axG",@progbits,_ZN7rocprim17ROCPRIM_400000_NS6detail17trampoline_kernelINS0_14default_configENS1_22reduce_config_selectorIjEEZNS1_11reduce_implILb1ES3_N6thrust23THRUST_200600_302600_NS6detail15normal_iteratorINS8_10device_ptrIjEEEEPffNS8_4plusIfEEEE10hipError_tPvRmT1_T2_T3_mT4_P12ihipStream_tbEUlT_E1_NS1_11comp_targetILNS1_3genE5ELNS1_11target_archE942ELNS1_3gpuE9ELNS1_3repE0EEENS1_30default_config_static_selectorELNS0_4arch9wavefront6targetE1EEEvSK_,comdat
.Lfunc_end415:
	.size	_ZN7rocprim17ROCPRIM_400000_NS6detail17trampoline_kernelINS0_14default_configENS1_22reduce_config_selectorIjEEZNS1_11reduce_implILb1ES3_N6thrust23THRUST_200600_302600_NS6detail15normal_iteratorINS8_10device_ptrIjEEEEPffNS8_4plusIfEEEE10hipError_tPvRmT1_T2_T3_mT4_P12ihipStream_tbEUlT_E1_NS1_11comp_targetILNS1_3genE5ELNS1_11target_archE942ELNS1_3gpuE9ELNS1_3repE0EEENS1_30default_config_static_selectorELNS0_4arch9wavefront6targetE1EEEvSK_, .Lfunc_end415-_ZN7rocprim17ROCPRIM_400000_NS6detail17trampoline_kernelINS0_14default_configENS1_22reduce_config_selectorIjEEZNS1_11reduce_implILb1ES3_N6thrust23THRUST_200600_302600_NS6detail15normal_iteratorINS8_10device_ptrIjEEEEPffNS8_4plusIfEEEE10hipError_tPvRmT1_T2_T3_mT4_P12ihipStream_tbEUlT_E1_NS1_11comp_targetILNS1_3genE5ELNS1_11target_archE942ELNS1_3gpuE9ELNS1_3repE0EEENS1_30default_config_static_selectorELNS0_4arch9wavefront6targetE1EEEvSK_
                                        ; -- End function
	.set _ZN7rocprim17ROCPRIM_400000_NS6detail17trampoline_kernelINS0_14default_configENS1_22reduce_config_selectorIjEEZNS1_11reduce_implILb1ES3_N6thrust23THRUST_200600_302600_NS6detail15normal_iteratorINS8_10device_ptrIjEEEEPffNS8_4plusIfEEEE10hipError_tPvRmT1_T2_T3_mT4_P12ihipStream_tbEUlT_E1_NS1_11comp_targetILNS1_3genE5ELNS1_11target_archE942ELNS1_3gpuE9ELNS1_3repE0EEENS1_30default_config_static_selectorELNS0_4arch9wavefront6targetE1EEEvSK_.num_vgpr, 0
	.set _ZN7rocprim17ROCPRIM_400000_NS6detail17trampoline_kernelINS0_14default_configENS1_22reduce_config_selectorIjEEZNS1_11reduce_implILb1ES3_N6thrust23THRUST_200600_302600_NS6detail15normal_iteratorINS8_10device_ptrIjEEEEPffNS8_4plusIfEEEE10hipError_tPvRmT1_T2_T3_mT4_P12ihipStream_tbEUlT_E1_NS1_11comp_targetILNS1_3genE5ELNS1_11target_archE942ELNS1_3gpuE9ELNS1_3repE0EEENS1_30default_config_static_selectorELNS0_4arch9wavefront6targetE1EEEvSK_.num_agpr, 0
	.set _ZN7rocprim17ROCPRIM_400000_NS6detail17trampoline_kernelINS0_14default_configENS1_22reduce_config_selectorIjEEZNS1_11reduce_implILb1ES3_N6thrust23THRUST_200600_302600_NS6detail15normal_iteratorINS8_10device_ptrIjEEEEPffNS8_4plusIfEEEE10hipError_tPvRmT1_T2_T3_mT4_P12ihipStream_tbEUlT_E1_NS1_11comp_targetILNS1_3genE5ELNS1_11target_archE942ELNS1_3gpuE9ELNS1_3repE0EEENS1_30default_config_static_selectorELNS0_4arch9wavefront6targetE1EEEvSK_.numbered_sgpr, 0
	.set _ZN7rocprim17ROCPRIM_400000_NS6detail17trampoline_kernelINS0_14default_configENS1_22reduce_config_selectorIjEEZNS1_11reduce_implILb1ES3_N6thrust23THRUST_200600_302600_NS6detail15normal_iteratorINS8_10device_ptrIjEEEEPffNS8_4plusIfEEEE10hipError_tPvRmT1_T2_T3_mT4_P12ihipStream_tbEUlT_E1_NS1_11comp_targetILNS1_3genE5ELNS1_11target_archE942ELNS1_3gpuE9ELNS1_3repE0EEENS1_30default_config_static_selectorELNS0_4arch9wavefront6targetE1EEEvSK_.num_named_barrier, 0
	.set _ZN7rocprim17ROCPRIM_400000_NS6detail17trampoline_kernelINS0_14default_configENS1_22reduce_config_selectorIjEEZNS1_11reduce_implILb1ES3_N6thrust23THRUST_200600_302600_NS6detail15normal_iteratorINS8_10device_ptrIjEEEEPffNS8_4plusIfEEEE10hipError_tPvRmT1_T2_T3_mT4_P12ihipStream_tbEUlT_E1_NS1_11comp_targetILNS1_3genE5ELNS1_11target_archE942ELNS1_3gpuE9ELNS1_3repE0EEENS1_30default_config_static_selectorELNS0_4arch9wavefront6targetE1EEEvSK_.private_seg_size, 0
	.set _ZN7rocprim17ROCPRIM_400000_NS6detail17trampoline_kernelINS0_14default_configENS1_22reduce_config_selectorIjEEZNS1_11reduce_implILb1ES3_N6thrust23THRUST_200600_302600_NS6detail15normal_iteratorINS8_10device_ptrIjEEEEPffNS8_4plusIfEEEE10hipError_tPvRmT1_T2_T3_mT4_P12ihipStream_tbEUlT_E1_NS1_11comp_targetILNS1_3genE5ELNS1_11target_archE942ELNS1_3gpuE9ELNS1_3repE0EEENS1_30default_config_static_selectorELNS0_4arch9wavefront6targetE1EEEvSK_.uses_vcc, 0
	.set _ZN7rocprim17ROCPRIM_400000_NS6detail17trampoline_kernelINS0_14default_configENS1_22reduce_config_selectorIjEEZNS1_11reduce_implILb1ES3_N6thrust23THRUST_200600_302600_NS6detail15normal_iteratorINS8_10device_ptrIjEEEEPffNS8_4plusIfEEEE10hipError_tPvRmT1_T2_T3_mT4_P12ihipStream_tbEUlT_E1_NS1_11comp_targetILNS1_3genE5ELNS1_11target_archE942ELNS1_3gpuE9ELNS1_3repE0EEENS1_30default_config_static_selectorELNS0_4arch9wavefront6targetE1EEEvSK_.uses_flat_scratch, 0
	.set _ZN7rocprim17ROCPRIM_400000_NS6detail17trampoline_kernelINS0_14default_configENS1_22reduce_config_selectorIjEEZNS1_11reduce_implILb1ES3_N6thrust23THRUST_200600_302600_NS6detail15normal_iteratorINS8_10device_ptrIjEEEEPffNS8_4plusIfEEEE10hipError_tPvRmT1_T2_T3_mT4_P12ihipStream_tbEUlT_E1_NS1_11comp_targetILNS1_3genE5ELNS1_11target_archE942ELNS1_3gpuE9ELNS1_3repE0EEENS1_30default_config_static_selectorELNS0_4arch9wavefront6targetE1EEEvSK_.has_dyn_sized_stack, 0
	.set _ZN7rocprim17ROCPRIM_400000_NS6detail17trampoline_kernelINS0_14default_configENS1_22reduce_config_selectorIjEEZNS1_11reduce_implILb1ES3_N6thrust23THRUST_200600_302600_NS6detail15normal_iteratorINS8_10device_ptrIjEEEEPffNS8_4plusIfEEEE10hipError_tPvRmT1_T2_T3_mT4_P12ihipStream_tbEUlT_E1_NS1_11comp_targetILNS1_3genE5ELNS1_11target_archE942ELNS1_3gpuE9ELNS1_3repE0EEENS1_30default_config_static_selectorELNS0_4arch9wavefront6targetE1EEEvSK_.has_recursion, 0
	.set _ZN7rocprim17ROCPRIM_400000_NS6detail17trampoline_kernelINS0_14default_configENS1_22reduce_config_selectorIjEEZNS1_11reduce_implILb1ES3_N6thrust23THRUST_200600_302600_NS6detail15normal_iteratorINS8_10device_ptrIjEEEEPffNS8_4plusIfEEEE10hipError_tPvRmT1_T2_T3_mT4_P12ihipStream_tbEUlT_E1_NS1_11comp_targetILNS1_3genE5ELNS1_11target_archE942ELNS1_3gpuE9ELNS1_3repE0EEENS1_30default_config_static_selectorELNS0_4arch9wavefront6targetE1EEEvSK_.has_indirect_call, 0
	.section	.AMDGPU.csdata,"",@progbits
; Kernel info:
; codeLenInByte = 0
; TotalNumSgprs: 6
; NumVgprs: 0
; NumAgprs: 0
; TotalNumVgprs: 0
; ScratchSize: 0
; MemoryBound: 0
; FloatMode: 240
; IeeeMode: 1
; LDSByteSize: 0 bytes/workgroup (compile time only)
; SGPRBlocks: 0
; VGPRBlocks: 0
; NumSGPRsForWavesPerEU: 6
; NumVGPRsForWavesPerEU: 1
; AccumOffset: 4
; Occupancy: 8
; WaveLimiterHint : 0
; COMPUTE_PGM_RSRC2:SCRATCH_EN: 0
; COMPUTE_PGM_RSRC2:USER_SGPR: 2
; COMPUTE_PGM_RSRC2:TRAP_HANDLER: 0
; COMPUTE_PGM_RSRC2:TGID_X_EN: 1
; COMPUTE_PGM_RSRC2:TGID_Y_EN: 0
; COMPUTE_PGM_RSRC2:TGID_Z_EN: 0
; COMPUTE_PGM_RSRC2:TIDIG_COMP_CNT: 0
; COMPUTE_PGM_RSRC3_GFX90A:ACCUM_OFFSET: 0
; COMPUTE_PGM_RSRC3_GFX90A:TG_SPLIT: 0
	.section	.text._ZN7rocprim17ROCPRIM_400000_NS6detail17trampoline_kernelINS0_14default_configENS1_22reduce_config_selectorIjEEZNS1_11reduce_implILb1ES3_N6thrust23THRUST_200600_302600_NS6detail15normal_iteratorINS8_10device_ptrIjEEEEPffNS8_4plusIfEEEE10hipError_tPvRmT1_T2_T3_mT4_P12ihipStream_tbEUlT_E1_NS1_11comp_targetILNS1_3genE4ELNS1_11target_archE910ELNS1_3gpuE8ELNS1_3repE0EEENS1_30default_config_static_selectorELNS0_4arch9wavefront6targetE1EEEvSK_,"axG",@progbits,_ZN7rocprim17ROCPRIM_400000_NS6detail17trampoline_kernelINS0_14default_configENS1_22reduce_config_selectorIjEEZNS1_11reduce_implILb1ES3_N6thrust23THRUST_200600_302600_NS6detail15normal_iteratorINS8_10device_ptrIjEEEEPffNS8_4plusIfEEEE10hipError_tPvRmT1_T2_T3_mT4_P12ihipStream_tbEUlT_E1_NS1_11comp_targetILNS1_3genE4ELNS1_11target_archE910ELNS1_3gpuE8ELNS1_3repE0EEENS1_30default_config_static_selectorELNS0_4arch9wavefront6targetE1EEEvSK_,comdat
	.protected	_ZN7rocprim17ROCPRIM_400000_NS6detail17trampoline_kernelINS0_14default_configENS1_22reduce_config_selectorIjEEZNS1_11reduce_implILb1ES3_N6thrust23THRUST_200600_302600_NS6detail15normal_iteratorINS8_10device_ptrIjEEEEPffNS8_4plusIfEEEE10hipError_tPvRmT1_T2_T3_mT4_P12ihipStream_tbEUlT_E1_NS1_11comp_targetILNS1_3genE4ELNS1_11target_archE910ELNS1_3gpuE8ELNS1_3repE0EEENS1_30default_config_static_selectorELNS0_4arch9wavefront6targetE1EEEvSK_ ; -- Begin function _ZN7rocprim17ROCPRIM_400000_NS6detail17trampoline_kernelINS0_14default_configENS1_22reduce_config_selectorIjEEZNS1_11reduce_implILb1ES3_N6thrust23THRUST_200600_302600_NS6detail15normal_iteratorINS8_10device_ptrIjEEEEPffNS8_4plusIfEEEE10hipError_tPvRmT1_T2_T3_mT4_P12ihipStream_tbEUlT_E1_NS1_11comp_targetILNS1_3genE4ELNS1_11target_archE910ELNS1_3gpuE8ELNS1_3repE0EEENS1_30default_config_static_selectorELNS0_4arch9wavefront6targetE1EEEvSK_
	.globl	_ZN7rocprim17ROCPRIM_400000_NS6detail17trampoline_kernelINS0_14default_configENS1_22reduce_config_selectorIjEEZNS1_11reduce_implILb1ES3_N6thrust23THRUST_200600_302600_NS6detail15normal_iteratorINS8_10device_ptrIjEEEEPffNS8_4plusIfEEEE10hipError_tPvRmT1_T2_T3_mT4_P12ihipStream_tbEUlT_E1_NS1_11comp_targetILNS1_3genE4ELNS1_11target_archE910ELNS1_3gpuE8ELNS1_3repE0EEENS1_30default_config_static_selectorELNS0_4arch9wavefront6targetE1EEEvSK_
	.p2align	8
	.type	_ZN7rocprim17ROCPRIM_400000_NS6detail17trampoline_kernelINS0_14default_configENS1_22reduce_config_selectorIjEEZNS1_11reduce_implILb1ES3_N6thrust23THRUST_200600_302600_NS6detail15normal_iteratorINS8_10device_ptrIjEEEEPffNS8_4plusIfEEEE10hipError_tPvRmT1_T2_T3_mT4_P12ihipStream_tbEUlT_E1_NS1_11comp_targetILNS1_3genE4ELNS1_11target_archE910ELNS1_3gpuE8ELNS1_3repE0EEENS1_30default_config_static_selectorELNS0_4arch9wavefront6targetE1EEEvSK_,@function
_ZN7rocprim17ROCPRIM_400000_NS6detail17trampoline_kernelINS0_14default_configENS1_22reduce_config_selectorIjEEZNS1_11reduce_implILb1ES3_N6thrust23THRUST_200600_302600_NS6detail15normal_iteratorINS8_10device_ptrIjEEEEPffNS8_4plusIfEEEE10hipError_tPvRmT1_T2_T3_mT4_P12ihipStream_tbEUlT_E1_NS1_11comp_targetILNS1_3genE4ELNS1_11target_archE910ELNS1_3gpuE8ELNS1_3repE0EEENS1_30default_config_static_selectorELNS0_4arch9wavefront6targetE1EEEvSK_: ; @_ZN7rocprim17ROCPRIM_400000_NS6detail17trampoline_kernelINS0_14default_configENS1_22reduce_config_selectorIjEEZNS1_11reduce_implILb1ES3_N6thrust23THRUST_200600_302600_NS6detail15normal_iteratorINS8_10device_ptrIjEEEEPffNS8_4plusIfEEEE10hipError_tPvRmT1_T2_T3_mT4_P12ihipStream_tbEUlT_E1_NS1_11comp_targetILNS1_3genE4ELNS1_11target_archE910ELNS1_3gpuE8ELNS1_3repE0EEENS1_30default_config_static_selectorELNS0_4arch9wavefront6targetE1EEEvSK_
; %bb.0:
	.section	.rodata,"a",@progbits
	.p2align	6, 0x0
	.amdhsa_kernel _ZN7rocprim17ROCPRIM_400000_NS6detail17trampoline_kernelINS0_14default_configENS1_22reduce_config_selectorIjEEZNS1_11reduce_implILb1ES3_N6thrust23THRUST_200600_302600_NS6detail15normal_iteratorINS8_10device_ptrIjEEEEPffNS8_4plusIfEEEE10hipError_tPvRmT1_T2_T3_mT4_P12ihipStream_tbEUlT_E1_NS1_11comp_targetILNS1_3genE4ELNS1_11target_archE910ELNS1_3gpuE8ELNS1_3repE0EEENS1_30default_config_static_selectorELNS0_4arch9wavefront6targetE1EEEvSK_
		.amdhsa_group_segment_fixed_size 0
		.amdhsa_private_segment_fixed_size 0
		.amdhsa_kernarg_size 40
		.amdhsa_user_sgpr_count 2
		.amdhsa_user_sgpr_dispatch_ptr 0
		.amdhsa_user_sgpr_queue_ptr 0
		.amdhsa_user_sgpr_kernarg_segment_ptr 1
		.amdhsa_user_sgpr_dispatch_id 0
		.amdhsa_user_sgpr_kernarg_preload_length 0
		.amdhsa_user_sgpr_kernarg_preload_offset 0
		.amdhsa_user_sgpr_private_segment_size 0
		.amdhsa_uses_dynamic_stack 0
		.amdhsa_enable_private_segment 0
		.amdhsa_system_sgpr_workgroup_id_x 1
		.amdhsa_system_sgpr_workgroup_id_y 0
		.amdhsa_system_sgpr_workgroup_id_z 0
		.amdhsa_system_sgpr_workgroup_info 0
		.amdhsa_system_vgpr_workitem_id 0
		.amdhsa_next_free_vgpr 1
		.amdhsa_next_free_sgpr 0
		.amdhsa_accum_offset 4
		.amdhsa_reserve_vcc 0
		.amdhsa_float_round_mode_32 0
		.amdhsa_float_round_mode_16_64 0
		.amdhsa_float_denorm_mode_32 3
		.amdhsa_float_denorm_mode_16_64 3
		.amdhsa_dx10_clamp 1
		.amdhsa_ieee_mode 1
		.amdhsa_fp16_overflow 0
		.amdhsa_tg_split 0
		.amdhsa_exception_fp_ieee_invalid_op 0
		.amdhsa_exception_fp_denorm_src 0
		.amdhsa_exception_fp_ieee_div_zero 0
		.amdhsa_exception_fp_ieee_overflow 0
		.amdhsa_exception_fp_ieee_underflow 0
		.amdhsa_exception_fp_ieee_inexact 0
		.amdhsa_exception_int_div_zero 0
	.end_amdhsa_kernel
	.section	.text._ZN7rocprim17ROCPRIM_400000_NS6detail17trampoline_kernelINS0_14default_configENS1_22reduce_config_selectorIjEEZNS1_11reduce_implILb1ES3_N6thrust23THRUST_200600_302600_NS6detail15normal_iteratorINS8_10device_ptrIjEEEEPffNS8_4plusIfEEEE10hipError_tPvRmT1_T2_T3_mT4_P12ihipStream_tbEUlT_E1_NS1_11comp_targetILNS1_3genE4ELNS1_11target_archE910ELNS1_3gpuE8ELNS1_3repE0EEENS1_30default_config_static_selectorELNS0_4arch9wavefront6targetE1EEEvSK_,"axG",@progbits,_ZN7rocprim17ROCPRIM_400000_NS6detail17trampoline_kernelINS0_14default_configENS1_22reduce_config_selectorIjEEZNS1_11reduce_implILb1ES3_N6thrust23THRUST_200600_302600_NS6detail15normal_iteratorINS8_10device_ptrIjEEEEPffNS8_4plusIfEEEE10hipError_tPvRmT1_T2_T3_mT4_P12ihipStream_tbEUlT_E1_NS1_11comp_targetILNS1_3genE4ELNS1_11target_archE910ELNS1_3gpuE8ELNS1_3repE0EEENS1_30default_config_static_selectorELNS0_4arch9wavefront6targetE1EEEvSK_,comdat
.Lfunc_end416:
	.size	_ZN7rocprim17ROCPRIM_400000_NS6detail17trampoline_kernelINS0_14default_configENS1_22reduce_config_selectorIjEEZNS1_11reduce_implILb1ES3_N6thrust23THRUST_200600_302600_NS6detail15normal_iteratorINS8_10device_ptrIjEEEEPffNS8_4plusIfEEEE10hipError_tPvRmT1_T2_T3_mT4_P12ihipStream_tbEUlT_E1_NS1_11comp_targetILNS1_3genE4ELNS1_11target_archE910ELNS1_3gpuE8ELNS1_3repE0EEENS1_30default_config_static_selectorELNS0_4arch9wavefront6targetE1EEEvSK_, .Lfunc_end416-_ZN7rocprim17ROCPRIM_400000_NS6detail17trampoline_kernelINS0_14default_configENS1_22reduce_config_selectorIjEEZNS1_11reduce_implILb1ES3_N6thrust23THRUST_200600_302600_NS6detail15normal_iteratorINS8_10device_ptrIjEEEEPffNS8_4plusIfEEEE10hipError_tPvRmT1_T2_T3_mT4_P12ihipStream_tbEUlT_E1_NS1_11comp_targetILNS1_3genE4ELNS1_11target_archE910ELNS1_3gpuE8ELNS1_3repE0EEENS1_30default_config_static_selectorELNS0_4arch9wavefront6targetE1EEEvSK_
                                        ; -- End function
	.set _ZN7rocprim17ROCPRIM_400000_NS6detail17trampoline_kernelINS0_14default_configENS1_22reduce_config_selectorIjEEZNS1_11reduce_implILb1ES3_N6thrust23THRUST_200600_302600_NS6detail15normal_iteratorINS8_10device_ptrIjEEEEPffNS8_4plusIfEEEE10hipError_tPvRmT1_T2_T3_mT4_P12ihipStream_tbEUlT_E1_NS1_11comp_targetILNS1_3genE4ELNS1_11target_archE910ELNS1_3gpuE8ELNS1_3repE0EEENS1_30default_config_static_selectorELNS0_4arch9wavefront6targetE1EEEvSK_.num_vgpr, 0
	.set _ZN7rocprim17ROCPRIM_400000_NS6detail17trampoline_kernelINS0_14default_configENS1_22reduce_config_selectorIjEEZNS1_11reduce_implILb1ES3_N6thrust23THRUST_200600_302600_NS6detail15normal_iteratorINS8_10device_ptrIjEEEEPffNS8_4plusIfEEEE10hipError_tPvRmT1_T2_T3_mT4_P12ihipStream_tbEUlT_E1_NS1_11comp_targetILNS1_3genE4ELNS1_11target_archE910ELNS1_3gpuE8ELNS1_3repE0EEENS1_30default_config_static_selectorELNS0_4arch9wavefront6targetE1EEEvSK_.num_agpr, 0
	.set _ZN7rocprim17ROCPRIM_400000_NS6detail17trampoline_kernelINS0_14default_configENS1_22reduce_config_selectorIjEEZNS1_11reduce_implILb1ES3_N6thrust23THRUST_200600_302600_NS6detail15normal_iteratorINS8_10device_ptrIjEEEEPffNS8_4plusIfEEEE10hipError_tPvRmT1_T2_T3_mT4_P12ihipStream_tbEUlT_E1_NS1_11comp_targetILNS1_3genE4ELNS1_11target_archE910ELNS1_3gpuE8ELNS1_3repE0EEENS1_30default_config_static_selectorELNS0_4arch9wavefront6targetE1EEEvSK_.numbered_sgpr, 0
	.set _ZN7rocprim17ROCPRIM_400000_NS6detail17trampoline_kernelINS0_14default_configENS1_22reduce_config_selectorIjEEZNS1_11reduce_implILb1ES3_N6thrust23THRUST_200600_302600_NS6detail15normal_iteratorINS8_10device_ptrIjEEEEPffNS8_4plusIfEEEE10hipError_tPvRmT1_T2_T3_mT4_P12ihipStream_tbEUlT_E1_NS1_11comp_targetILNS1_3genE4ELNS1_11target_archE910ELNS1_3gpuE8ELNS1_3repE0EEENS1_30default_config_static_selectorELNS0_4arch9wavefront6targetE1EEEvSK_.num_named_barrier, 0
	.set _ZN7rocprim17ROCPRIM_400000_NS6detail17trampoline_kernelINS0_14default_configENS1_22reduce_config_selectorIjEEZNS1_11reduce_implILb1ES3_N6thrust23THRUST_200600_302600_NS6detail15normal_iteratorINS8_10device_ptrIjEEEEPffNS8_4plusIfEEEE10hipError_tPvRmT1_T2_T3_mT4_P12ihipStream_tbEUlT_E1_NS1_11comp_targetILNS1_3genE4ELNS1_11target_archE910ELNS1_3gpuE8ELNS1_3repE0EEENS1_30default_config_static_selectorELNS0_4arch9wavefront6targetE1EEEvSK_.private_seg_size, 0
	.set _ZN7rocprim17ROCPRIM_400000_NS6detail17trampoline_kernelINS0_14default_configENS1_22reduce_config_selectorIjEEZNS1_11reduce_implILb1ES3_N6thrust23THRUST_200600_302600_NS6detail15normal_iteratorINS8_10device_ptrIjEEEEPffNS8_4plusIfEEEE10hipError_tPvRmT1_T2_T3_mT4_P12ihipStream_tbEUlT_E1_NS1_11comp_targetILNS1_3genE4ELNS1_11target_archE910ELNS1_3gpuE8ELNS1_3repE0EEENS1_30default_config_static_selectorELNS0_4arch9wavefront6targetE1EEEvSK_.uses_vcc, 0
	.set _ZN7rocprim17ROCPRIM_400000_NS6detail17trampoline_kernelINS0_14default_configENS1_22reduce_config_selectorIjEEZNS1_11reduce_implILb1ES3_N6thrust23THRUST_200600_302600_NS6detail15normal_iteratorINS8_10device_ptrIjEEEEPffNS8_4plusIfEEEE10hipError_tPvRmT1_T2_T3_mT4_P12ihipStream_tbEUlT_E1_NS1_11comp_targetILNS1_3genE4ELNS1_11target_archE910ELNS1_3gpuE8ELNS1_3repE0EEENS1_30default_config_static_selectorELNS0_4arch9wavefront6targetE1EEEvSK_.uses_flat_scratch, 0
	.set _ZN7rocprim17ROCPRIM_400000_NS6detail17trampoline_kernelINS0_14default_configENS1_22reduce_config_selectorIjEEZNS1_11reduce_implILb1ES3_N6thrust23THRUST_200600_302600_NS6detail15normal_iteratorINS8_10device_ptrIjEEEEPffNS8_4plusIfEEEE10hipError_tPvRmT1_T2_T3_mT4_P12ihipStream_tbEUlT_E1_NS1_11comp_targetILNS1_3genE4ELNS1_11target_archE910ELNS1_3gpuE8ELNS1_3repE0EEENS1_30default_config_static_selectorELNS0_4arch9wavefront6targetE1EEEvSK_.has_dyn_sized_stack, 0
	.set _ZN7rocprim17ROCPRIM_400000_NS6detail17trampoline_kernelINS0_14default_configENS1_22reduce_config_selectorIjEEZNS1_11reduce_implILb1ES3_N6thrust23THRUST_200600_302600_NS6detail15normal_iteratorINS8_10device_ptrIjEEEEPffNS8_4plusIfEEEE10hipError_tPvRmT1_T2_T3_mT4_P12ihipStream_tbEUlT_E1_NS1_11comp_targetILNS1_3genE4ELNS1_11target_archE910ELNS1_3gpuE8ELNS1_3repE0EEENS1_30default_config_static_selectorELNS0_4arch9wavefront6targetE1EEEvSK_.has_recursion, 0
	.set _ZN7rocprim17ROCPRIM_400000_NS6detail17trampoline_kernelINS0_14default_configENS1_22reduce_config_selectorIjEEZNS1_11reduce_implILb1ES3_N6thrust23THRUST_200600_302600_NS6detail15normal_iteratorINS8_10device_ptrIjEEEEPffNS8_4plusIfEEEE10hipError_tPvRmT1_T2_T3_mT4_P12ihipStream_tbEUlT_E1_NS1_11comp_targetILNS1_3genE4ELNS1_11target_archE910ELNS1_3gpuE8ELNS1_3repE0EEENS1_30default_config_static_selectorELNS0_4arch9wavefront6targetE1EEEvSK_.has_indirect_call, 0
	.section	.AMDGPU.csdata,"",@progbits
; Kernel info:
; codeLenInByte = 0
; TotalNumSgprs: 6
; NumVgprs: 0
; NumAgprs: 0
; TotalNumVgprs: 0
; ScratchSize: 0
; MemoryBound: 0
; FloatMode: 240
; IeeeMode: 1
; LDSByteSize: 0 bytes/workgroup (compile time only)
; SGPRBlocks: 0
; VGPRBlocks: 0
; NumSGPRsForWavesPerEU: 6
; NumVGPRsForWavesPerEU: 1
; AccumOffset: 4
; Occupancy: 8
; WaveLimiterHint : 0
; COMPUTE_PGM_RSRC2:SCRATCH_EN: 0
; COMPUTE_PGM_RSRC2:USER_SGPR: 2
; COMPUTE_PGM_RSRC2:TRAP_HANDLER: 0
; COMPUTE_PGM_RSRC2:TGID_X_EN: 1
; COMPUTE_PGM_RSRC2:TGID_Y_EN: 0
; COMPUTE_PGM_RSRC2:TGID_Z_EN: 0
; COMPUTE_PGM_RSRC2:TIDIG_COMP_CNT: 0
; COMPUTE_PGM_RSRC3_GFX90A:ACCUM_OFFSET: 0
; COMPUTE_PGM_RSRC3_GFX90A:TG_SPLIT: 0
	.section	.text._ZN7rocprim17ROCPRIM_400000_NS6detail17trampoline_kernelINS0_14default_configENS1_22reduce_config_selectorIjEEZNS1_11reduce_implILb1ES3_N6thrust23THRUST_200600_302600_NS6detail15normal_iteratorINS8_10device_ptrIjEEEEPffNS8_4plusIfEEEE10hipError_tPvRmT1_T2_T3_mT4_P12ihipStream_tbEUlT_E1_NS1_11comp_targetILNS1_3genE3ELNS1_11target_archE908ELNS1_3gpuE7ELNS1_3repE0EEENS1_30default_config_static_selectorELNS0_4arch9wavefront6targetE1EEEvSK_,"axG",@progbits,_ZN7rocprim17ROCPRIM_400000_NS6detail17trampoline_kernelINS0_14default_configENS1_22reduce_config_selectorIjEEZNS1_11reduce_implILb1ES3_N6thrust23THRUST_200600_302600_NS6detail15normal_iteratorINS8_10device_ptrIjEEEEPffNS8_4plusIfEEEE10hipError_tPvRmT1_T2_T3_mT4_P12ihipStream_tbEUlT_E1_NS1_11comp_targetILNS1_3genE3ELNS1_11target_archE908ELNS1_3gpuE7ELNS1_3repE0EEENS1_30default_config_static_selectorELNS0_4arch9wavefront6targetE1EEEvSK_,comdat
	.protected	_ZN7rocprim17ROCPRIM_400000_NS6detail17trampoline_kernelINS0_14default_configENS1_22reduce_config_selectorIjEEZNS1_11reduce_implILb1ES3_N6thrust23THRUST_200600_302600_NS6detail15normal_iteratorINS8_10device_ptrIjEEEEPffNS8_4plusIfEEEE10hipError_tPvRmT1_T2_T3_mT4_P12ihipStream_tbEUlT_E1_NS1_11comp_targetILNS1_3genE3ELNS1_11target_archE908ELNS1_3gpuE7ELNS1_3repE0EEENS1_30default_config_static_selectorELNS0_4arch9wavefront6targetE1EEEvSK_ ; -- Begin function _ZN7rocprim17ROCPRIM_400000_NS6detail17trampoline_kernelINS0_14default_configENS1_22reduce_config_selectorIjEEZNS1_11reduce_implILb1ES3_N6thrust23THRUST_200600_302600_NS6detail15normal_iteratorINS8_10device_ptrIjEEEEPffNS8_4plusIfEEEE10hipError_tPvRmT1_T2_T3_mT4_P12ihipStream_tbEUlT_E1_NS1_11comp_targetILNS1_3genE3ELNS1_11target_archE908ELNS1_3gpuE7ELNS1_3repE0EEENS1_30default_config_static_selectorELNS0_4arch9wavefront6targetE1EEEvSK_
	.globl	_ZN7rocprim17ROCPRIM_400000_NS6detail17trampoline_kernelINS0_14default_configENS1_22reduce_config_selectorIjEEZNS1_11reduce_implILb1ES3_N6thrust23THRUST_200600_302600_NS6detail15normal_iteratorINS8_10device_ptrIjEEEEPffNS8_4plusIfEEEE10hipError_tPvRmT1_T2_T3_mT4_P12ihipStream_tbEUlT_E1_NS1_11comp_targetILNS1_3genE3ELNS1_11target_archE908ELNS1_3gpuE7ELNS1_3repE0EEENS1_30default_config_static_selectorELNS0_4arch9wavefront6targetE1EEEvSK_
	.p2align	8
	.type	_ZN7rocprim17ROCPRIM_400000_NS6detail17trampoline_kernelINS0_14default_configENS1_22reduce_config_selectorIjEEZNS1_11reduce_implILb1ES3_N6thrust23THRUST_200600_302600_NS6detail15normal_iteratorINS8_10device_ptrIjEEEEPffNS8_4plusIfEEEE10hipError_tPvRmT1_T2_T3_mT4_P12ihipStream_tbEUlT_E1_NS1_11comp_targetILNS1_3genE3ELNS1_11target_archE908ELNS1_3gpuE7ELNS1_3repE0EEENS1_30default_config_static_selectorELNS0_4arch9wavefront6targetE1EEEvSK_,@function
_ZN7rocprim17ROCPRIM_400000_NS6detail17trampoline_kernelINS0_14default_configENS1_22reduce_config_selectorIjEEZNS1_11reduce_implILb1ES3_N6thrust23THRUST_200600_302600_NS6detail15normal_iteratorINS8_10device_ptrIjEEEEPffNS8_4plusIfEEEE10hipError_tPvRmT1_T2_T3_mT4_P12ihipStream_tbEUlT_E1_NS1_11comp_targetILNS1_3genE3ELNS1_11target_archE908ELNS1_3gpuE7ELNS1_3repE0EEENS1_30default_config_static_selectorELNS0_4arch9wavefront6targetE1EEEvSK_: ; @_ZN7rocprim17ROCPRIM_400000_NS6detail17trampoline_kernelINS0_14default_configENS1_22reduce_config_selectorIjEEZNS1_11reduce_implILb1ES3_N6thrust23THRUST_200600_302600_NS6detail15normal_iteratorINS8_10device_ptrIjEEEEPffNS8_4plusIfEEEE10hipError_tPvRmT1_T2_T3_mT4_P12ihipStream_tbEUlT_E1_NS1_11comp_targetILNS1_3genE3ELNS1_11target_archE908ELNS1_3gpuE7ELNS1_3repE0EEENS1_30default_config_static_selectorELNS0_4arch9wavefront6targetE1EEEvSK_
; %bb.0:
	.section	.rodata,"a",@progbits
	.p2align	6, 0x0
	.amdhsa_kernel _ZN7rocprim17ROCPRIM_400000_NS6detail17trampoline_kernelINS0_14default_configENS1_22reduce_config_selectorIjEEZNS1_11reduce_implILb1ES3_N6thrust23THRUST_200600_302600_NS6detail15normal_iteratorINS8_10device_ptrIjEEEEPffNS8_4plusIfEEEE10hipError_tPvRmT1_T2_T3_mT4_P12ihipStream_tbEUlT_E1_NS1_11comp_targetILNS1_3genE3ELNS1_11target_archE908ELNS1_3gpuE7ELNS1_3repE0EEENS1_30default_config_static_selectorELNS0_4arch9wavefront6targetE1EEEvSK_
		.amdhsa_group_segment_fixed_size 0
		.amdhsa_private_segment_fixed_size 0
		.amdhsa_kernarg_size 40
		.amdhsa_user_sgpr_count 2
		.amdhsa_user_sgpr_dispatch_ptr 0
		.amdhsa_user_sgpr_queue_ptr 0
		.amdhsa_user_sgpr_kernarg_segment_ptr 1
		.amdhsa_user_sgpr_dispatch_id 0
		.amdhsa_user_sgpr_kernarg_preload_length 0
		.amdhsa_user_sgpr_kernarg_preload_offset 0
		.amdhsa_user_sgpr_private_segment_size 0
		.amdhsa_uses_dynamic_stack 0
		.amdhsa_enable_private_segment 0
		.amdhsa_system_sgpr_workgroup_id_x 1
		.amdhsa_system_sgpr_workgroup_id_y 0
		.amdhsa_system_sgpr_workgroup_id_z 0
		.amdhsa_system_sgpr_workgroup_info 0
		.amdhsa_system_vgpr_workitem_id 0
		.amdhsa_next_free_vgpr 1
		.amdhsa_next_free_sgpr 0
		.amdhsa_accum_offset 4
		.amdhsa_reserve_vcc 0
		.amdhsa_float_round_mode_32 0
		.amdhsa_float_round_mode_16_64 0
		.amdhsa_float_denorm_mode_32 3
		.amdhsa_float_denorm_mode_16_64 3
		.amdhsa_dx10_clamp 1
		.amdhsa_ieee_mode 1
		.amdhsa_fp16_overflow 0
		.amdhsa_tg_split 0
		.amdhsa_exception_fp_ieee_invalid_op 0
		.amdhsa_exception_fp_denorm_src 0
		.amdhsa_exception_fp_ieee_div_zero 0
		.amdhsa_exception_fp_ieee_overflow 0
		.amdhsa_exception_fp_ieee_underflow 0
		.amdhsa_exception_fp_ieee_inexact 0
		.amdhsa_exception_int_div_zero 0
	.end_amdhsa_kernel
	.section	.text._ZN7rocprim17ROCPRIM_400000_NS6detail17trampoline_kernelINS0_14default_configENS1_22reduce_config_selectorIjEEZNS1_11reduce_implILb1ES3_N6thrust23THRUST_200600_302600_NS6detail15normal_iteratorINS8_10device_ptrIjEEEEPffNS8_4plusIfEEEE10hipError_tPvRmT1_T2_T3_mT4_P12ihipStream_tbEUlT_E1_NS1_11comp_targetILNS1_3genE3ELNS1_11target_archE908ELNS1_3gpuE7ELNS1_3repE0EEENS1_30default_config_static_selectorELNS0_4arch9wavefront6targetE1EEEvSK_,"axG",@progbits,_ZN7rocprim17ROCPRIM_400000_NS6detail17trampoline_kernelINS0_14default_configENS1_22reduce_config_selectorIjEEZNS1_11reduce_implILb1ES3_N6thrust23THRUST_200600_302600_NS6detail15normal_iteratorINS8_10device_ptrIjEEEEPffNS8_4plusIfEEEE10hipError_tPvRmT1_T2_T3_mT4_P12ihipStream_tbEUlT_E1_NS1_11comp_targetILNS1_3genE3ELNS1_11target_archE908ELNS1_3gpuE7ELNS1_3repE0EEENS1_30default_config_static_selectorELNS0_4arch9wavefront6targetE1EEEvSK_,comdat
.Lfunc_end417:
	.size	_ZN7rocprim17ROCPRIM_400000_NS6detail17trampoline_kernelINS0_14default_configENS1_22reduce_config_selectorIjEEZNS1_11reduce_implILb1ES3_N6thrust23THRUST_200600_302600_NS6detail15normal_iteratorINS8_10device_ptrIjEEEEPffNS8_4plusIfEEEE10hipError_tPvRmT1_T2_T3_mT4_P12ihipStream_tbEUlT_E1_NS1_11comp_targetILNS1_3genE3ELNS1_11target_archE908ELNS1_3gpuE7ELNS1_3repE0EEENS1_30default_config_static_selectorELNS0_4arch9wavefront6targetE1EEEvSK_, .Lfunc_end417-_ZN7rocprim17ROCPRIM_400000_NS6detail17trampoline_kernelINS0_14default_configENS1_22reduce_config_selectorIjEEZNS1_11reduce_implILb1ES3_N6thrust23THRUST_200600_302600_NS6detail15normal_iteratorINS8_10device_ptrIjEEEEPffNS8_4plusIfEEEE10hipError_tPvRmT1_T2_T3_mT4_P12ihipStream_tbEUlT_E1_NS1_11comp_targetILNS1_3genE3ELNS1_11target_archE908ELNS1_3gpuE7ELNS1_3repE0EEENS1_30default_config_static_selectorELNS0_4arch9wavefront6targetE1EEEvSK_
                                        ; -- End function
	.set _ZN7rocprim17ROCPRIM_400000_NS6detail17trampoline_kernelINS0_14default_configENS1_22reduce_config_selectorIjEEZNS1_11reduce_implILb1ES3_N6thrust23THRUST_200600_302600_NS6detail15normal_iteratorINS8_10device_ptrIjEEEEPffNS8_4plusIfEEEE10hipError_tPvRmT1_T2_T3_mT4_P12ihipStream_tbEUlT_E1_NS1_11comp_targetILNS1_3genE3ELNS1_11target_archE908ELNS1_3gpuE7ELNS1_3repE0EEENS1_30default_config_static_selectorELNS0_4arch9wavefront6targetE1EEEvSK_.num_vgpr, 0
	.set _ZN7rocprim17ROCPRIM_400000_NS6detail17trampoline_kernelINS0_14default_configENS1_22reduce_config_selectorIjEEZNS1_11reduce_implILb1ES3_N6thrust23THRUST_200600_302600_NS6detail15normal_iteratorINS8_10device_ptrIjEEEEPffNS8_4plusIfEEEE10hipError_tPvRmT1_T2_T3_mT4_P12ihipStream_tbEUlT_E1_NS1_11comp_targetILNS1_3genE3ELNS1_11target_archE908ELNS1_3gpuE7ELNS1_3repE0EEENS1_30default_config_static_selectorELNS0_4arch9wavefront6targetE1EEEvSK_.num_agpr, 0
	.set _ZN7rocprim17ROCPRIM_400000_NS6detail17trampoline_kernelINS0_14default_configENS1_22reduce_config_selectorIjEEZNS1_11reduce_implILb1ES3_N6thrust23THRUST_200600_302600_NS6detail15normal_iteratorINS8_10device_ptrIjEEEEPffNS8_4plusIfEEEE10hipError_tPvRmT1_T2_T3_mT4_P12ihipStream_tbEUlT_E1_NS1_11comp_targetILNS1_3genE3ELNS1_11target_archE908ELNS1_3gpuE7ELNS1_3repE0EEENS1_30default_config_static_selectorELNS0_4arch9wavefront6targetE1EEEvSK_.numbered_sgpr, 0
	.set _ZN7rocprim17ROCPRIM_400000_NS6detail17trampoline_kernelINS0_14default_configENS1_22reduce_config_selectorIjEEZNS1_11reduce_implILb1ES3_N6thrust23THRUST_200600_302600_NS6detail15normal_iteratorINS8_10device_ptrIjEEEEPffNS8_4plusIfEEEE10hipError_tPvRmT1_T2_T3_mT4_P12ihipStream_tbEUlT_E1_NS1_11comp_targetILNS1_3genE3ELNS1_11target_archE908ELNS1_3gpuE7ELNS1_3repE0EEENS1_30default_config_static_selectorELNS0_4arch9wavefront6targetE1EEEvSK_.num_named_barrier, 0
	.set _ZN7rocprim17ROCPRIM_400000_NS6detail17trampoline_kernelINS0_14default_configENS1_22reduce_config_selectorIjEEZNS1_11reduce_implILb1ES3_N6thrust23THRUST_200600_302600_NS6detail15normal_iteratorINS8_10device_ptrIjEEEEPffNS8_4plusIfEEEE10hipError_tPvRmT1_T2_T3_mT4_P12ihipStream_tbEUlT_E1_NS1_11comp_targetILNS1_3genE3ELNS1_11target_archE908ELNS1_3gpuE7ELNS1_3repE0EEENS1_30default_config_static_selectorELNS0_4arch9wavefront6targetE1EEEvSK_.private_seg_size, 0
	.set _ZN7rocprim17ROCPRIM_400000_NS6detail17trampoline_kernelINS0_14default_configENS1_22reduce_config_selectorIjEEZNS1_11reduce_implILb1ES3_N6thrust23THRUST_200600_302600_NS6detail15normal_iteratorINS8_10device_ptrIjEEEEPffNS8_4plusIfEEEE10hipError_tPvRmT1_T2_T3_mT4_P12ihipStream_tbEUlT_E1_NS1_11comp_targetILNS1_3genE3ELNS1_11target_archE908ELNS1_3gpuE7ELNS1_3repE0EEENS1_30default_config_static_selectorELNS0_4arch9wavefront6targetE1EEEvSK_.uses_vcc, 0
	.set _ZN7rocprim17ROCPRIM_400000_NS6detail17trampoline_kernelINS0_14default_configENS1_22reduce_config_selectorIjEEZNS1_11reduce_implILb1ES3_N6thrust23THRUST_200600_302600_NS6detail15normal_iteratorINS8_10device_ptrIjEEEEPffNS8_4plusIfEEEE10hipError_tPvRmT1_T2_T3_mT4_P12ihipStream_tbEUlT_E1_NS1_11comp_targetILNS1_3genE3ELNS1_11target_archE908ELNS1_3gpuE7ELNS1_3repE0EEENS1_30default_config_static_selectorELNS0_4arch9wavefront6targetE1EEEvSK_.uses_flat_scratch, 0
	.set _ZN7rocprim17ROCPRIM_400000_NS6detail17trampoline_kernelINS0_14default_configENS1_22reduce_config_selectorIjEEZNS1_11reduce_implILb1ES3_N6thrust23THRUST_200600_302600_NS6detail15normal_iteratorINS8_10device_ptrIjEEEEPffNS8_4plusIfEEEE10hipError_tPvRmT1_T2_T3_mT4_P12ihipStream_tbEUlT_E1_NS1_11comp_targetILNS1_3genE3ELNS1_11target_archE908ELNS1_3gpuE7ELNS1_3repE0EEENS1_30default_config_static_selectorELNS0_4arch9wavefront6targetE1EEEvSK_.has_dyn_sized_stack, 0
	.set _ZN7rocprim17ROCPRIM_400000_NS6detail17trampoline_kernelINS0_14default_configENS1_22reduce_config_selectorIjEEZNS1_11reduce_implILb1ES3_N6thrust23THRUST_200600_302600_NS6detail15normal_iteratorINS8_10device_ptrIjEEEEPffNS8_4plusIfEEEE10hipError_tPvRmT1_T2_T3_mT4_P12ihipStream_tbEUlT_E1_NS1_11comp_targetILNS1_3genE3ELNS1_11target_archE908ELNS1_3gpuE7ELNS1_3repE0EEENS1_30default_config_static_selectorELNS0_4arch9wavefront6targetE1EEEvSK_.has_recursion, 0
	.set _ZN7rocprim17ROCPRIM_400000_NS6detail17trampoline_kernelINS0_14default_configENS1_22reduce_config_selectorIjEEZNS1_11reduce_implILb1ES3_N6thrust23THRUST_200600_302600_NS6detail15normal_iteratorINS8_10device_ptrIjEEEEPffNS8_4plusIfEEEE10hipError_tPvRmT1_T2_T3_mT4_P12ihipStream_tbEUlT_E1_NS1_11comp_targetILNS1_3genE3ELNS1_11target_archE908ELNS1_3gpuE7ELNS1_3repE0EEENS1_30default_config_static_selectorELNS0_4arch9wavefront6targetE1EEEvSK_.has_indirect_call, 0
	.section	.AMDGPU.csdata,"",@progbits
; Kernel info:
; codeLenInByte = 0
; TotalNumSgprs: 6
; NumVgprs: 0
; NumAgprs: 0
; TotalNumVgprs: 0
; ScratchSize: 0
; MemoryBound: 0
; FloatMode: 240
; IeeeMode: 1
; LDSByteSize: 0 bytes/workgroup (compile time only)
; SGPRBlocks: 0
; VGPRBlocks: 0
; NumSGPRsForWavesPerEU: 6
; NumVGPRsForWavesPerEU: 1
; AccumOffset: 4
; Occupancy: 8
; WaveLimiterHint : 0
; COMPUTE_PGM_RSRC2:SCRATCH_EN: 0
; COMPUTE_PGM_RSRC2:USER_SGPR: 2
; COMPUTE_PGM_RSRC2:TRAP_HANDLER: 0
; COMPUTE_PGM_RSRC2:TGID_X_EN: 1
; COMPUTE_PGM_RSRC2:TGID_Y_EN: 0
; COMPUTE_PGM_RSRC2:TGID_Z_EN: 0
; COMPUTE_PGM_RSRC2:TIDIG_COMP_CNT: 0
; COMPUTE_PGM_RSRC3_GFX90A:ACCUM_OFFSET: 0
; COMPUTE_PGM_RSRC3_GFX90A:TG_SPLIT: 0
	.section	.text._ZN7rocprim17ROCPRIM_400000_NS6detail17trampoline_kernelINS0_14default_configENS1_22reduce_config_selectorIjEEZNS1_11reduce_implILb1ES3_N6thrust23THRUST_200600_302600_NS6detail15normal_iteratorINS8_10device_ptrIjEEEEPffNS8_4plusIfEEEE10hipError_tPvRmT1_T2_T3_mT4_P12ihipStream_tbEUlT_E1_NS1_11comp_targetILNS1_3genE2ELNS1_11target_archE906ELNS1_3gpuE6ELNS1_3repE0EEENS1_30default_config_static_selectorELNS0_4arch9wavefront6targetE1EEEvSK_,"axG",@progbits,_ZN7rocprim17ROCPRIM_400000_NS6detail17trampoline_kernelINS0_14default_configENS1_22reduce_config_selectorIjEEZNS1_11reduce_implILb1ES3_N6thrust23THRUST_200600_302600_NS6detail15normal_iteratorINS8_10device_ptrIjEEEEPffNS8_4plusIfEEEE10hipError_tPvRmT1_T2_T3_mT4_P12ihipStream_tbEUlT_E1_NS1_11comp_targetILNS1_3genE2ELNS1_11target_archE906ELNS1_3gpuE6ELNS1_3repE0EEENS1_30default_config_static_selectorELNS0_4arch9wavefront6targetE1EEEvSK_,comdat
	.protected	_ZN7rocprim17ROCPRIM_400000_NS6detail17trampoline_kernelINS0_14default_configENS1_22reduce_config_selectorIjEEZNS1_11reduce_implILb1ES3_N6thrust23THRUST_200600_302600_NS6detail15normal_iteratorINS8_10device_ptrIjEEEEPffNS8_4plusIfEEEE10hipError_tPvRmT1_T2_T3_mT4_P12ihipStream_tbEUlT_E1_NS1_11comp_targetILNS1_3genE2ELNS1_11target_archE906ELNS1_3gpuE6ELNS1_3repE0EEENS1_30default_config_static_selectorELNS0_4arch9wavefront6targetE1EEEvSK_ ; -- Begin function _ZN7rocprim17ROCPRIM_400000_NS6detail17trampoline_kernelINS0_14default_configENS1_22reduce_config_selectorIjEEZNS1_11reduce_implILb1ES3_N6thrust23THRUST_200600_302600_NS6detail15normal_iteratorINS8_10device_ptrIjEEEEPffNS8_4plusIfEEEE10hipError_tPvRmT1_T2_T3_mT4_P12ihipStream_tbEUlT_E1_NS1_11comp_targetILNS1_3genE2ELNS1_11target_archE906ELNS1_3gpuE6ELNS1_3repE0EEENS1_30default_config_static_selectorELNS0_4arch9wavefront6targetE1EEEvSK_
	.globl	_ZN7rocprim17ROCPRIM_400000_NS6detail17trampoline_kernelINS0_14default_configENS1_22reduce_config_selectorIjEEZNS1_11reduce_implILb1ES3_N6thrust23THRUST_200600_302600_NS6detail15normal_iteratorINS8_10device_ptrIjEEEEPffNS8_4plusIfEEEE10hipError_tPvRmT1_T2_T3_mT4_P12ihipStream_tbEUlT_E1_NS1_11comp_targetILNS1_3genE2ELNS1_11target_archE906ELNS1_3gpuE6ELNS1_3repE0EEENS1_30default_config_static_selectorELNS0_4arch9wavefront6targetE1EEEvSK_
	.p2align	8
	.type	_ZN7rocprim17ROCPRIM_400000_NS6detail17trampoline_kernelINS0_14default_configENS1_22reduce_config_selectorIjEEZNS1_11reduce_implILb1ES3_N6thrust23THRUST_200600_302600_NS6detail15normal_iteratorINS8_10device_ptrIjEEEEPffNS8_4plusIfEEEE10hipError_tPvRmT1_T2_T3_mT4_P12ihipStream_tbEUlT_E1_NS1_11comp_targetILNS1_3genE2ELNS1_11target_archE906ELNS1_3gpuE6ELNS1_3repE0EEENS1_30default_config_static_selectorELNS0_4arch9wavefront6targetE1EEEvSK_,@function
_ZN7rocprim17ROCPRIM_400000_NS6detail17trampoline_kernelINS0_14default_configENS1_22reduce_config_selectorIjEEZNS1_11reduce_implILb1ES3_N6thrust23THRUST_200600_302600_NS6detail15normal_iteratorINS8_10device_ptrIjEEEEPffNS8_4plusIfEEEE10hipError_tPvRmT1_T2_T3_mT4_P12ihipStream_tbEUlT_E1_NS1_11comp_targetILNS1_3genE2ELNS1_11target_archE906ELNS1_3gpuE6ELNS1_3repE0EEENS1_30default_config_static_selectorELNS0_4arch9wavefront6targetE1EEEvSK_: ; @_ZN7rocprim17ROCPRIM_400000_NS6detail17trampoline_kernelINS0_14default_configENS1_22reduce_config_selectorIjEEZNS1_11reduce_implILb1ES3_N6thrust23THRUST_200600_302600_NS6detail15normal_iteratorINS8_10device_ptrIjEEEEPffNS8_4plusIfEEEE10hipError_tPvRmT1_T2_T3_mT4_P12ihipStream_tbEUlT_E1_NS1_11comp_targetILNS1_3genE2ELNS1_11target_archE906ELNS1_3gpuE6ELNS1_3repE0EEENS1_30default_config_static_selectorELNS0_4arch9wavefront6targetE1EEEvSK_
; %bb.0:
	.section	.rodata,"a",@progbits
	.p2align	6, 0x0
	.amdhsa_kernel _ZN7rocprim17ROCPRIM_400000_NS6detail17trampoline_kernelINS0_14default_configENS1_22reduce_config_selectorIjEEZNS1_11reduce_implILb1ES3_N6thrust23THRUST_200600_302600_NS6detail15normal_iteratorINS8_10device_ptrIjEEEEPffNS8_4plusIfEEEE10hipError_tPvRmT1_T2_T3_mT4_P12ihipStream_tbEUlT_E1_NS1_11comp_targetILNS1_3genE2ELNS1_11target_archE906ELNS1_3gpuE6ELNS1_3repE0EEENS1_30default_config_static_selectorELNS0_4arch9wavefront6targetE1EEEvSK_
		.amdhsa_group_segment_fixed_size 0
		.amdhsa_private_segment_fixed_size 0
		.amdhsa_kernarg_size 40
		.amdhsa_user_sgpr_count 2
		.amdhsa_user_sgpr_dispatch_ptr 0
		.amdhsa_user_sgpr_queue_ptr 0
		.amdhsa_user_sgpr_kernarg_segment_ptr 1
		.amdhsa_user_sgpr_dispatch_id 0
		.amdhsa_user_sgpr_kernarg_preload_length 0
		.amdhsa_user_sgpr_kernarg_preload_offset 0
		.amdhsa_user_sgpr_private_segment_size 0
		.amdhsa_uses_dynamic_stack 0
		.amdhsa_enable_private_segment 0
		.amdhsa_system_sgpr_workgroup_id_x 1
		.amdhsa_system_sgpr_workgroup_id_y 0
		.amdhsa_system_sgpr_workgroup_id_z 0
		.amdhsa_system_sgpr_workgroup_info 0
		.amdhsa_system_vgpr_workitem_id 0
		.amdhsa_next_free_vgpr 1
		.amdhsa_next_free_sgpr 0
		.amdhsa_accum_offset 4
		.amdhsa_reserve_vcc 0
		.amdhsa_float_round_mode_32 0
		.amdhsa_float_round_mode_16_64 0
		.amdhsa_float_denorm_mode_32 3
		.amdhsa_float_denorm_mode_16_64 3
		.amdhsa_dx10_clamp 1
		.amdhsa_ieee_mode 1
		.amdhsa_fp16_overflow 0
		.amdhsa_tg_split 0
		.amdhsa_exception_fp_ieee_invalid_op 0
		.amdhsa_exception_fp_denorm_src 0
		.amdhsa_exception_fp_ieee_div_zero 0
		.amdhsa_exception_fp_ieee_overflow 0
		.amdhsa_exception_fp_ieee_underflow 0
		.amdhsa_exception_fp_ieee_inexact 0
		.amdhsa_exception_int_div_zero 0
	.end_amdhsa_kernel
	.section	.text._ZN7rocprim17ROCPRIM_400000_NS6detail17trampoline_kernelINS0_14default_configENS1_22reduce_config_selectorIjEEZNS1_11reduce_implILb1ES3_N6thrust23THRUST_200600_302600_NS6detail15normal_iteratorINS8_10device_ptrIjEEEEPffNS8_4plusIfEEEE10hipError_tPvRmT1_T2_T3_mT4_P12ihipStream_tbEUlT_E1_NS1_11comp_targetILNS1_3genE2ELNS1_11target_archE906ELNS1_3gpuE6ELNS1_3repE0EEENS1_30default_config_static_selectorELNS0_4arch9wavefront6targetE1EEEvSK_,"axG",@progbits,_ZN7rocprim17ROCPRIM_400000_NS6detail17trampoline_kernelINS0_14default_configENS1_22reduce_config_selectorIjEEZNS1_11reduce_implILb1ES3_N6thrust23THRUST_200600_302600_NS6detail15normal_iteratorINS8_10device_ptrIjEEEEPffNS8_4plusIfEEEE10hipError_tPvRmT1_T2_T3_mT4_P12ihipStream_tbEUlT_E1_NS1_11comp_targetILNS1_3genE2ELNS1_11target_archE906ELNS1_3gpuE6ELNS1_3repE0EEENS1_30default_config_static_selectorELNS0_4arch9wavefront6targetE1EEEvSK_,comdat
.Lfunc_end418:
	.size	_ZN7rocprim17ROCPRIM_400000_NS6detail17trampoline_kernelINS0_14default_configENS1_22reduce_config_selectorIjEEZNS1_11reduce_implILb1ES3_N6thrust23THRUST_200600_302600_NS6detail15normal_iteratorINS8_10device_ptrIjEEEEPffNS8_4plusIfEEEE10hipError_tPvRmT1_T2_T3_mT4_P12ihipStream_tbEUlT_E1_NS1_11comp_targetILNS1_3genE2ELNS1_11target_archE906ELNS1_3gpuE6ELNS1_3repE0EEENS1_30default_config_static_selectorELNS0_4arch9wavefront6targetE1EEEvSK_, .Lfunc_end418-_ZN7rocprim17ROCPRIM_400000_NS6detail17trampoline_kernelINS0_14default_configENS1_22reduce_config_selectorIjEEZNS1_11reduce_implILb1ES3_N6thrust23THRUST_200600_302600_NS6detail15normal_iteratorINS8_10device_ptrIjEEEEPffNS8_4plusIfEEEE10hipError_tPvRmT1_T2_T3_mT4_P12ihipStream_tbEUlT_E1_NS1_11comp_targetILNS1_3genE2ELNS1_11target_archE906ELNS1_3gpuE6ELNS1_3repE0EEENS1_30default_config_static_selectorELNS0_4arch9wavefront6targetE1EEEvSK_
                                        ; -- End function
	.set _ZN7rocprim17ROCPRIM_400000_NS6detail17trampoline_kernelINS0_14default_configENS1_22reduce_config_selectorIjEEZNS1_11reduce_implILb1ES3_N6thrust23THRUST_200600_302600_NS6detail15normal_iteratorINS8_10device_ptrIjEEEEPffNS8_4plusIfEEEE10hipError_tPvRmT1_T2_T3_mT4_P12ihipStream_tbEUlT_E1_NS1_11comp_targetILNS1_3genE2ELNS1_11target_archE906ELNS1_3gpuE6ELNS1_3repE0EEENS1_30default_config_static_selectorELNS0_4arch9wavefront6targetE1EEEvSK_.num_vgpr, 0
	.set _ZN7rocprim17ROCPRIM_400000_NS6detail17trampoline_kernelINS0_14default_configENS1_22reduce_config_selectorIjEEZNS1_11reduce_implILb1ES3_N6thrust23THRUST_200600_302600_NS6detail15normal_iteratorINS8_10device_ptrIjEEEEPffNS8_4plusIfEEEE10hipError_tPvRmT1_T2_T3_mT4_P12ihipStream_tbEUlT_E1_NS1_11comp_targetILNS1_3genE2ELNS1_11target_archE906ELNS1_3gpuE6ELNS1_3repE0EEENS1_30default_config_static_selectorELNS0_4arch9wavefront6targetE1EEEvSK_.num_agpr, 0
	.set _ZN7rocprim17ROCPRIM_400000_NS6detail17trampoline_kernelINS0_14default_configENS1_22reduce_config_selectorIjEEZNS1_11reduce_implILb1ES3_N6thrust23THRUST_200600_302600_NS6detail15normal_iteratorINS8_10device_ptrIjEEEEPffNS8_4plusIfEEEE10hipError_tPvRmT1_T2_T3_mT4_P12ihipStream_tbEUlT_E1_NS1_11comp_targetILNS1_3genE2ELNS1_11target_archE906ELNS1_3gpuE6ELNS1_3repE0EEENS1_30default_config_static_selectorELNS0_4arch9wavefront6targetE1EEEvSK_.numbered_sgpr, 0
	.set _ZN7rocprim17ROCPRIM_400000_NS6detail17trampoline_kernelINS0_14default_configENS1_22reduce_config_selectorIjEEZNS1_11reduce_implILb1ES3_N6thrust23THRUST_200600_302600_NS6detail15normal_iteratorINS8_10device_ptrIjEEEEPffNS8_4plusIfEEEE10hipError_tPvRmT1_T2_T3_mT4_P12ihipStream_tbEUlT_E1_NS1_11comp_targetILNS1_3genE2ELNS1_11target_archE906ELNS1_3gpuE6ELNS1_3repE0EEENS1_30default_config_static_selectorELNS0_4arch9wavefront6targetE1EEEvSK_.num_named_barrier, 0
	.set _ZN7rocprim17ROCPRIM_400000_NS6detail17trampoline_kernelINS0_14default_configENS1_22reduce_config_selectorIjEEZNS1_11reduce_implILb1ES3_N6thrust23THRUST_200600_302600_NS6detail15normal_iteratorINS8_10device_ptrIjEEEEPffNS8_4plusIfEEEE10hipError_tPvRmT1_T2_T3_mT4_P12ihipStream_tbEUlT_E1_NS1_11comp_targetILNS1_3genE2ELNS1_11target_archE906ELNS1_3gpuE6ELNS1_3repE0EEENS1_30default_config_static_selectorELNS0_4arch9wavefront6targetE1EEEvSK_.private_seg_size, 0
	.set _ZN7rocprim17ROCPRIM_400000_NS6detail17trampoline_kernelINS0_14default_configENS1_22reduce_config_selectorIjEEZNS1_11reduce_implILb1ES3_N6thrust23THRUST_200600_302600_NS6detail15normal_iteratorINS8_10device_ptrIjEEEEPffNS8_4plusIfEEEE10hipError_tPvRmT1_T2_T3_mT4_P12ihipStream_tbEUlT_E1_NS1_11comp_targetILNS1_3genE2ELNS1_11target_archE906ELNS1_3gpuE6ELNS1_3repE0EEENS1_30default_config_static_selectorELNS0_4arch9wavefront6targetE1EEEvSK_.uses_vcc, 0
	.set _ZN7rocprim17ROCPRIM_400000_NS6detail17trampoline_kernelINS0_14default_configENS1_22reduce_config_selectorIjEEZNS1_11reduce_implILb1ES3_N6thrust23THRUST_200600_302600_NS6detail15normal_iteratorINS8_10device_ptrIjEEEEPffNS8_4plusIfEEEE10hipError_tPvRmT1_T2_T3_mT4_P12ihipStream_tbEUlT_E1_NS1_11comp_targetILNS1_3genE2ELNS1_11target_archE906ELNS1_3gpuE6ELNS1_3repE0EEENS1_30default_config_static_selectorELNS0_4arch9wavefront6targetE1EEEvSK_.uses_flat_scratch, 0
	.set _ZN7rocprim17ROCPRIM_400000_NS6detail17trampoline_kernelINS0_14default_configENS1_22reduce_config_selectorIjEEZNS1_11reduce_implILb1ES3_N6thrust23THRUST_200600_302600_NS6detail15normal_iteratorINS8_10device_ptrIjEEEEPffNS8_4plusIfEEEE10hipError_tPvRmT1_T2_T3_mT4_P12ihipStream_tbEUlT_E1_NS1_11comp_targetILNS1_3genE2ELNS1_11target_archE906ELNS1_3gpuE6ELNS1_3repE0EEENS1_30default_config_static_selectorELNS0_4arch9wavefront6targetE1EEEvSK_.has_dyn_sized_stack, 0
	.set _ZN7rocprim17ROCPRIM_400000_NS6detail17trampoline_kernelINS0_14default_configENS1_22reduce_config_selectorIjEEZNS1_11reduce_implILb1ES3_N6thrust23THRUST_200600_302600_NS6detail15normal_iteratorINS8_10device_ptrIjEEEEPffNS8_4plusIfEEEE10hipError_tPvRmT1_T2_T3_mT4_P12ihipStream_tbEUlT_E1_NS1_11comp_targetILNS1_3genE2ELNS1_11target_archE906ELNS1_3gpuE6ELNS1_3repE0EEENS1_30default_config_static_selectorELNS0_4arch9wavefront6targetE1EEEvSK_.has_recursion, 0
	.set _ZN7rocprim17ROCPRIM_400000_NS6detail17trampoline_kernelINS0_14default_configENS1_22reduce_config_selectorIjEEZNS1_11reduce_implILb1ES3_N6thrust23THRUST_200600_302600_NS6detail15normal_iteratorINS8_10device_ptrIjEEEEPffNS8_4plusIfEEEE10hipError_tPvRmT1_T2_T3_mT4_P12ihipStream_tbEUlT_E1_NS1_11comp_targetILNS1_3genE2ELNS1_11target_archE906ELNS1_3gpuE6ELNS1_3repE0EEENS1_30default_config_static_selectorELNS0_4arch9wavefront6targetE1EEEvSK_.has_indirect_call, 0
	.section	.AMDGPU.csdata,"",@progbits
; Kernel info:
; codeLenInByte = 0
; TotalNumSgprs: 6
; NumVgprs: 0
; NumAgprs: 0
; TotalNumVgprs: 0
; ScratchSize: 0
; MemoryBound: 0
; FloatMode: 240
; IeeeMode: 1
; LDSByteSize: 0 bytes/workgroup (compile time only)
; SGPRBlocks: 0
; VGPRBlocks: 0
; NumSGPRsForWavesPerEU: 6
; NumVGPRsForWavesPerEU: 1
; AccumOffset: 4
; Occupancy: 8
; WaveLimiterHint : 0
; COMPUTE_PGM_RSRC2:SCRATCH_EN: 0
; COMPUTE_PGM_RSRC2:USER_SGPR: 2
; COMPUTE_PGM_RSRC2:TRAP_HANDLER: 0
; COMPUTE_PGM_RSRC2:TGID_X_EN: 1
; COMPUTE_PGM_RSRC2:TGID_Y_EN: 0
; COMPUTE_PGM_RSRC2:TGID_Z_EN: 0
; COMPUTE_PGM_RSRC2:TIDIG_COMP_CNT: 0
; COMPUTE_PGM_RSRC3_GFX90A:ACCUM_OFFSET: 0
; COMPUTE_PGM_RSRC3_GFX90A:TG_SPLIT: 0
	.section	.text._ZN7rocprim17ROCPRIM_400000_NS6detail17trampoline_kernelINS0_14default_configENS1_22reduce_config_selectorIjEEZNS1_11reduce_implILb1ES3_N6thrust23THRUST_200600_302600_NS6detail15normal_iteratorINS8_10device_ptrIjEEEEPffNS8_4plusIfEEEE10hipError_tPvRmT1_T2_T3_mT4_P12ihipStream_tbEUlT_E1_NS1_11comp_targetILNS1_3genE10ELNS1_11target_archE1201ELNS1_3gpuE5ELNS1_3repE0EEENS1_30default_config_static_selectorELNS0_4arch9wavefront6targetE1EEEvSK_,"axG",@progbits,_ZN7rocprim17ROCPRIM_400000_NS6detail17trampoline_kernelINS0_14default_configENS1_22reduce_config_selectorIjEEZNS1_11reduce_implILb1ES3_N6thrust23THRUST_200600_302600_NS6detail15normal_iteratorINS8_10device_ptrIjEEEEPffNS8_4plusIfEEEE10hipError_tPvRmT1_T2_T3_mT4_P12ihipStream_tbEUlT_E1_NS1_11comp_targetILNS1_3genE10ELNS1_11target_archE1201ELNS1_3gpuE5ELNS1_3repE0EEENS1_30default_config_static_selectorELNS0_4arch9wavefront6targetE1EEEvSK_,comdat
	.protected	_ZN7rocprim17ROCPRIM_400000_NS6detail17trampoline_kernelINS0_14default_configENS1_22reduce_config_selectorIjEEZNS1_11reduce_implILb1ES3_N6thrust23THRUST_200600_302600_NS6detail15normal_iteratorINS8_10device_ptrIjEEEEPffNS8_4plusIfEEEE10hipError_tPvRmT1_T2_T3_mT4_P12ihipStream_tbEUlT_E1_NS1_11comp_targetILNS1_3genE10ELNS1_11target_archE1201ELNS1_3gpuE5ELNS1_3repE0EEENS1_30default_config_static_selectorELNS0_4arch9wavefront6targetE1EEEvSK_ ; -- Begin function _ZN7rocprim17ROCPRIM_400000_NS6detail17trampoline_kernelINS0_14default_configENS1_22reduce_config_selectorIjEEZNS1_11reduce_implILb1ES3_N6thrust23THRUST_200600_302600_NS6detail15normal_iteratorINS8_10device_ptrIjEEEEPffNS8_4plusIfEEEE10hipError_tPvRmT1_T2_T3_mT4_P12ihipStream_tbEUlT_E1_NS1_11comp_targetILNS1_3genE10ELNS1_11target_archE1201ELNS1_3gpuE5ELNS1_3repE0EEENS1_30default_config_static_selectorELNS0_4arch9wavefront6targetE1EEEvSK_
	.globl	_ZN7rocprim17ROCPRIM_400000_NS6detail17trampoline_kernelINS0_14default_configENS1_22reduce_config_selectorIjEEZNS1_11reduce_implILb1ES3_N6thrust23THRUST_200600_302600_NS6detail15normal_iteratorINS8_10device_ptrIjEEEEPffNS8_4plusIfEEEE10hipError_tPvRmT1_T2_T3_mT4_P12ihipStream_tbEUlT_E1_NS1_11comp_targetILNS1_3genE10ELNS1_11target_archE1201ELNS1_3gpuE5ELNS1_3repE0EEENS1_30default_config_static_selectorELNS0_4arch9wavefront6targetE1EEEvSK_
	.p2align	8
	.type	_ZN7rocprim17ROCPRIM_400000_NS6detail17trampoline_kernelINS0_14default_configENS1_22reduce_config_selectorIjEEZNS1_11reduce_implILb1ES3_N6thrust23THRUST_200600_302600_NS6detail15normal_iteratorINS8_10device_ptrIjEEEEPffNS8_4plusIfEEEE10hipError_tPvRmT1_T2_T3_mT4_P12ihipStream_tbEUlT_E1_NS1_11comp_targetILNS1_3genE10ELNS1_11target_archE1201ELNS1_3gpuE5ELNS1_3repE0EEENS1_30default_config_static_selectorELNS0_4arch9wavefront6targetE1EEEvSK_,@function
_ZN7rocprim17ROCPRIM_400000_NS6detail17trampoline_kernelINS0_14default_configENS1_22reduce_config_selectorIjEEZNS1_11reduce_implILb1ES3_N6thrust23THRUST_200600_302600_NS6detail15normal_iteratorINS8_10device_ptrIjEEEEPffNS8_4plusIfEEEE10hipError_tPvRmT1_T2_T3_mT4_P12ihipStream_tbEUlT_E1_NS1_11comp_targetILNS1_3genE10ELNS1_11target_archE1201ELNS1_3gpuE5ELNS1_3repE0EEENS1_30default_config_static_selectorELNS0_4arch9wavefront6targetE1EEEvSK_: ; @_ZN7rocprim17ROCPRIM_400000_NS6detail17trampoline_kernelINS0_14default_configENS1_22reduce_config_selectorIjEEZNS1_11reduce_implILb1ES3_N6thrust23THRUST_200600_302600_NS6detail15normal_iteratorINS8_10device_ptrIjEEEEPffNS8_4plusIfEEEE10hipError_tPvRmT1_T2_T3_mT4_P12ihipStream_tbEUlT_E1_NS1_11comp_targetILNS1_3genE10ELNS1_11target_archE1201ELNS1_3gpuE5ELNS1_3repE0EEENS1_30default_config_static_selectorELNS0_4arch9wavefront6targetE1EEEvSK_
; %bb.0:
	.section	.rodata,"a",@progbits
	.p2align	6, 0x0
	.amdhsa_kernel _ZN7rocprim17ROCPRIM_400000_NS6detail17trampoline_kernelINS0_14default_configENS1_22reduce_config_selectorIjEEZNS1_11reduce_implILb1ES3_N6thrust23THRUST_200600_302600_NS6detail15normal_iteratorINS8_10device_ptrIjEEEEPffNS8_4plusIfEEEE10hipError_tPvRmT1_T2_T3_mT4_P12ihipStream_tbEUlT_E1_NS1_11comp_targetILNS1_3genE10ELNS1_11target_archE1201ELNS1_3gpuE5ELNS1_3repE0EEENS1_30default_config_static_selectorELNS0_4arch9wavefront6targetE1EEEvSK_
		.amdhsa_group_segment_fixed_size 0
		.amdhsa_private_segment_fixed_size 0
		.amdhsa_kernarg_size 40
		.amdhsa_user_sgpr_count 2
		.amdhsa_user_sgpr_dispatch_ptr 0
		.amdhsa_user_sgpr_queue_ptr 0
		.amdhsa_user_sgpr_kernarg_segment_ptr 1
		.amdhsa_user_sgpr_dispatch_id 0
		.amdhsa_user_sgpr_kernarg_preload_length 0
		.amdhsa_user_sgpr_kernarg_preload_offset 0
		.amdhsa_user_sgpr_private_segment_size 0
		.amdhsa_uses_dynamic_stack 0
		.amdhsa_enable_private_segment 0
		.amdhsa_system_sgpr_workgroup_id_x 1
		.amdhsa_system_sgpr_workgroup_id_y 0
		.amdhsa_system_sgpr_workgroup_id_z 0
		.amdhsa_system_sgpr_workgroup_info 0
		.amdhsa_system_vgpr_workitem_id 0
		.amdhsa_next_free_vgpr 1
		.amdhsa_next_free_sgpr 0
		.amdhsa_accum_offset 4
		.amdhsa_reserve_vcc 0
		.amdhsa_float_round_mode_32 0
		.amdhsa_float_round_mode_16_64 0
		.amdhsa_float_denorm_mode_32 3
		.amdhsa_float_denorm_mode_16_64 3
		.amdhsa_dx10_clamp 1
		.amdhsa_ieee_mode 1
		.amdhsa_fp16_overflow 0
		.amdhsa_tg_split 0
		.amdhsa_exception_fp_ieee_invalid_op 0
		.amdhsa_exception_fp_denorm_src 0
		.amdhsa_exception_fp_ieee_div_zero 0
		.amdhsa_exception_fp_ieee_overflow 0
		.amdhsa_exception_fp_ieee_underflow 0
		.amdhsa_exception_fp_ieee_inexact 0
		.amdhsa_exception_int_div_zero 0
	.end_amdhsa_kernel
	.section	.text._ZN7rocprim17ROCPRIM_400000_NS6detail17trampoline_kernelINS0_14default_configENS1_22reduce_config_selectorIjEEZNS1_11reduce_implILb1ES3_N6thrust23THRUST_200600_302600_NS6detail15normal_iteratorINS8_10device_ptrIjEEEEPffNS8_4plusIfEEEE10hipError_tPvRmT1_T2_T3_mT4_P12ihipStream_tbEUlT_E1_NS1_11comp_targetILNS1_3genE10ELNS1_11target_archE1201ELNS1_3gpuE5ELNS1_3repE0EEENS1_30default_config_static_selectorELNS0_4arch9wavefront6targetE1EEEvSK_,"axG",@progbits,_ZN7rocprim17ROCPRIM_400000_NS6detail17trampoline_kernelINS0_14default_configENS1_22reduce_config_selectorIjEEZNS1_11reduce_implILb1ES3_N6thrust23THRUST_200600_302600_NS6detail15normal_iteratorINS8_10device_ptrIjEEEEPffNS8_4plusIfEEEE10hipError_tPvRmT1_T2_T3_mT4_P12ihipStream_tbEUlT_E1_NS1_11comp_targetILNS1_3genE10ELNS1_11target_archE1201ELNS1_3gpuE5ELNS1_3repE0EEENS1_30default_config_static_selectorELNS0_4arch9wavefront6targetE1EEEvSK_,comdat
.Lfunc_end419:
	.size	_ZN7rocprim17ROCPRIM_400000_NS6detail17trampoline_kernelINS0_14default_configENS1_22reduce_config_selectorIjEEZNS1_11reduce_implILb1ES3_N6thrust23THRUST_200600_302600_NS6detail15normal_iteratorINS8_10device_ptrIjEEEEPffNS8_4plusIfEEEE10hipError_tPvRmT1_T2_T3_mT4_P12ihipStream_tbEUlT_E1_NS1_11comp_targetILNS1_3genE10ELNS1_11target_archE1201ELNS1_3gpuE5ELNS1_3repE0EEENS1_30default_config_static_selectorELNS0_4arch9wavefront6targetE1EEEvSK_, .Lfunc_end419-_ZN7rocprim17ROCPRIM_400000_NS6detail17trampoline_kernelINS0_14default_configENS1_22reduce_config_selectorIjEEZNS1_11reduce_implILb1ES3_N6thrust23THRUST_200600_302600_NS6detail15normal_iteratorINS8_10device_ptrIjEEEEPffNS8_4plusIfEEEE10hipError_tPvRmT1_T2_T3_mT4_P12ihipStream_tbEUlT_E1_NS1_11comp_targetILNS1_3genE10ELNS1_11target_archE1201ELNS1_3gpuE5ELNS1_3repE0EEENS1_30default_config_static_selectorELNS0_4arch9wavefront6targetE1EEEvSK_
                                        ; -- End function
	.set _ZN7rocprim17ROCPRIM_400000_NS6detail17trampoline_kernelINS0_14default_configENS1_22reduce_config_selectorIjEEZNS1_11reduce_implILb1ES3_N6thrust23THRUST_200600_302600_NS6detail15normal_iteratorINS8_10device_ptrIjEEEEPffNS8_4plusIfEEEE10hipError_tPvRmT1_T2_T3_mT4_P12ihipStream_tbEUlT_E1_NS1_11comp_targetILNS1_3genE10ELNS1_11target_archE1201ELNS1_3gpuE5ELNS1_3repE0EEENS1_30default_config_static_selectorELNS0_4arch9wavefront6targetE1EEEvSK_.num_vgpr, 0
	.set _ZN7rocprim17ROCPRIM_400000_NS6detail17trampoline_kernelINS0_14default_configENS1_22reduce_config_selectorIjEEZNS1_11reduce_implILb1ES3_N6thrust23THRUST_200600_302600_NS6detail15normal_iteratorINS8_10device_ptrIjEEEEPffNS8_4plusIfEEEE10hipError_tPvRmT1_T2_T3_mT4_P12ihipStream_tbEUlT_E1_NS1_11comp_targetILNS1_3genE10ELNS1_11target_archE1201ELNS1_3gpuE5ELNS1_3repE0EEENS1_30default_config_static_selectorELNS0_4arch9wavefront6targetE1EEEvSK_.num_agpr, 0
	.set _ZN7rocprim17ROCPRIM_400000_NS6detail17trampoline_kernelINS0_14default_configENS1_22reduce_config_selectorIjEEZNS1_11reduce_implILb1ES3_N6thrust23THRUST_200600_302600_NS6detail15normal_iteratorINS8_10device_ptrIjEEEEPffNS8_4plusIfEEEE10hipError_tPvRmT1_T2_T3_mT4_P12ihipStream_tbEUlT_E1_NS1_11comp_targetILNS1_3genE10ELNS1_11target_archE1201ELNS1_3gpuE5ELNS1_3repE0EEENS1_30default_config_static_selectorELNS0_4arch9wavefront6targetE1EEEvSK_.numbered_sgpr, 0
	.set _ZN7rocprim17ROCPRIM_400000_NS6detail17trampoline_kernelINS0_14default_configENS1_22reduce_config_selectorIjEEZNS1_11reduce_implILb1ES3_N6thrust23THRUST_200600_302600_NS6detail15normal_iteratorINS8_10device_ptrIjEEEEPffNS8_4plusIfEEEE10hipError_tPvRmT1_T2_T3_mT4_P12ihipStream_tbEUlT_E1_NS1_11comp_targetILNS1_3genE10ELNS1_11target_archE1201ELNS1_3gpuE5ELNS1_3repE0EEENS1_30default_config_static_selectorELNS0_4arch9wavefront6targetE1EEEvSK_.num_named_barrier, 0
	.set _ZN7rocprim17ROCPRIM_400000_NS6detail17trampoline_kernelINS0_14default_configENS1_22reduce_config_selectorIjEEZNS1_11reduce_implILb1ES3_N6thrust23THRUST_200600_302600_NS6detail15normal_iteratorINS8_10device_ptrIjEEEEPffNS8_4plusIfEEEE10hipError_tPvRmT1_T2_T3_mT4_P12ihipStream_tbEUlT_E1_NS1_11comp_targetILNS1_3genE10ELNS1_11target_archE1201ELNS1_3gpuE5ELNS1_3repE0EEENS1_30default_config_static_selectorELNS0_4arch9wavefront6targetE1EEEvSK_.private_seg_size, 0
	.set _ZN7rocprim17ROCPRIM_400000_NS6detail17trampoline_kernelINS0_14default_configENS1_22reduce_config_selectorIjEEZNS1_11reduce_implILb1ES3_N6thrust23THRUST_200600_302600_NS6detail15normal_iteratorINS8_10device_ptrIjEEEEPffNS8_4plusIfEEEE10hipError_tPvRmT1_T2_T3_mT4_P12ihipStream_tbEUlT_E1_NS1_11comp_targetILNS1_3genE10ELNS1_11target_archE1201ELNS1_3gpuE5ELNS1_3repE0EEENS1_30default_config_static_selectorELNS0_4arch9wavefront6targetE1EEEvSK_.uses_vcc, 0
	.set _ZN7rocprim17ROCPRIM_400000_NS6detail17trampoline_kernelINS0_14default_configENS1_22reduce_config_selectorIjEEZNS1_11reduce_implILb1ES3_N6thrust23THRUST_200600_302600_NS6detail15normal_iteratorINS8_10device_ptrIjEEEEPffNS8_4plusIfEEEE10hipError_tPvRmT1_T2_T3_mT4_P12ihipStream_tbEUlT_E1_NS1_11comp_targetILNS1_3genE10ELNS1_11target_archE1201ELNS1_3gpuE5ELNS1_3repE0EEENS1_30default_config_static_selectorELNS0_4arch9wavefront6targetE1EEEvSK_.uses_flat_scratch, 0
	.set _ZN7rocprim17ROCPRIM_400000_NS6detail17trampoline_kernelINS0_14default_configENS1_22reduce_config_selectorIjEEZNS1_11reduce_implILb1ES3_N6thrust23THRUST_200600_302600_NS6detail15normal_iteratorINS8_10device_ptrIjEEEEPffNS8_4plusIfEEEE10hipError_tPvRmT1_T2_T3_mT4_P12ihipStream_tbEUlT_E1_NS1_11comp_targetILNS1_3genE10ELNS1_11target_archE1201ELNS1_3gpuE5ELNS1_3repE0EEENS1_30default_config_static_selectorELNS0_4arch9wavefront6targetE1EEEvSK_.has_dyn_sized_stack, 0
	.set _ZN7rocprim17ROCPRIM_400000_NS6detail17trampoline_kernelINS0_14default_configENS1_22reduce_config_selectorIjEEZNS1_11reduce_implILb1ES3_N6thrust23THRUST_200600_302600_NS6detail15normal_iteratorINS8_10device_ptrIjEEEEPffNS8_4plusIfEEEE10hipError_tPvRmT1_T2_T3_mT4_P12ihipStream_tbEUlT_E1_NS1_11comp_targetILNS1_3genE10ELNS1_11target_archE1201ELNS1_3gpuE5ELNS1_3repE0EEENS1_30default_config_static_selectorELNS0_4arch9wavefront6targetE1EEEvSK_.has_recursion, 0
	.set _ZN7rocprim17ROCPRIM_400000_NS6detail17trampoline_kernelINS0_14default_configENS1_22reduce_config_selectorIjEEZNS1_11reduce_implILb1ES3_N6thrust23THRUST_200600_302600_NS6detail15normal_iteratorINS8_10device_ptrIjEEEEPffNS8_4plusIfEEEE10hipError_tPvRmT1_T2_T3_mT4_P12ihipStream_tbEUlT_E1_NS1_11comp_targetILNS1_3genE10ELNS1_11target_archE1201ELNS1_3gpuE5ELNS1_3repE0EEENS1_30default_config_static_selectorELNS0_4arch9wavefront6targetE1EEEvSK_.has_indirect_call, 0
	.section	.AMDGPU.csdata,"",@progbits
; Kernel info:
; codeLenInByte = 0
; TotalNumSgprs: 6
; NumVgprs: 0
; NumAgprs: 0
; TotalNumVgprs: 0
; ScratchSize: 0
; MemoryBound: 0
; FloatMode: 240
; IeeeMode: 1
; LDSByteSize: 0 bytes/workgroup (compile time only)
; SGPRBlocks: 0
; VGPRBlocks: 0
; NumSGPRsForWavesPerEU: 6
; NumVGPRsForWavesPerEU: 1
; AccumOffset: 4
; Occupancy: 8
; WaveLimiterHint : 0
; COMPUTE_PGM_RSRC2:SCRATCH_EN: 0
; COMPUTE_PGM_RSRC2:USER_SGPR: 2
; COMPUTE_PGM_RSRC2:TRAP_HANDLER: 0
; COMPUTE_PGM_RSRC2:TGID_X_EN: 1
; COMPUTE_PGM_RSRC2:TGID_Y_EN: 0
; COMPUTE_PGM_RSRC2:TGID_Z_EN: 0
; COMPUTE_PGM_RSRC2:TIDIG_COMP_CNT: 0
; COMPUTE_PGM_RSRC3_GFX90A:ACCUM_OFFSET: 0
; COMPUTE_PGM_RSRC3_GFX90A:TG_SPLIT: 0
	.section	.text._ZN7rocprim17ROCPRIM_400000_NS6detail17trampoline_kernelINS0_14default_configENS1_22reduce_config_selectorIjEEZNS1_11reduce_implILb1ES3_N6thrust23THRUST_200600_302600_NS6detail15normal_iteratorINS8_10device_ptrIjEEEEPffNS8_4plusIfEEEE10hipError_tPvRmT1_T2_T3_mT4_P12ihipStream_tbEUlT_E1_NS1_11comp_targetILNS1_3genE10ELNS1_11target_archE1200ELNS1_3gpuE4ELNS1_3repE0EEENS1_30default_config_static_selectorELNS0_4arch9wavefront6targetE1EEEvSK_,"axG",@progbits,_ZN7rocprim17ROCPRIM_400000_NS6detail17trampoline_kernelINS0_14default_configENS1_22reduce_config_selectorIjEEZNS1_11reduce_implILb1ES3_N6thrust23THRUST_200600_302600_NS6detail15normal_iteratorINS8_10device_ptrIjEEEEPffNS8_4plusIfEEEE10hipError_tPvRmT1_T2_T3_mT4_P12ihipStream_tbEUlT_E1_NS1_11comp_targetILNS1_3genE10ELNS1_11target_archE1200ELNS1_3gpuE4ELNS1_3repE0EEENS1_30default_config_static_selectorELNS0_4arch9wavefront6targetE1EEEvSK_,comdat
	.protected	_ZN7rocprim17ROCPRIM_400000_NS6detail17trampoline_kernelINS0_14default_configENS1_22reduce_config_selectorIjEEZNS1_11reduce_implILb1ES3_N6thrust23THRUST_200600_302600_NS6detail15normal_iteratorINS8_10device_ptrIjEEEEPffNS8_4plusIfEEEE10hipError_tPvRmT1_T2_T3_mT4_P12ihipStream_tbEUlT_E1_NS1_11comp_targetILNS1_3genE10ELNS1_11target_archE1200ELNS1_3gpuE4ELNS1_3repE0EEENS1_30default_config_static_selectorELNS0_4arch9wavefront6targetE1EEEvSK_ ; -- Begin function _ZN7rocprim17ROCPRIM_400000_NS6detail17trampoline_kernelINS0_14default_configENS1_22reduce_config_selectorIjEEZNS1_11reduce_implILb1ES3_N6thrust23THRUST_200600_302600_NS6detail15normal_iteratorINS8_10device_ptrIjEEEEPffNS8_4plusIfEEEE10hipError_tPvRmT1_T2_T3_mT4_P12ihipStream_tbEUlT_E1_NS1_11comp_targetILNS1_3genE10ELNS1_11target_archE1200ELNS1_3gpuE4ELNS1_3repE0EEENS1_30default_config_static_selectorELNS0_4arch9wavefront6targetE1EEEvSK_
	.globl	_ZN7rocprim17ROCPRIM_400000_NS6detail17trampoline_kernelINS0_14default_configENS1_22reduce_config_selectorIjEEZNS1_11reduce_implILb1ES3_N6thrust23THRUST_200600_302600_NS6detail15normal_iteratorINS8_10device_ptrIjEEEEPffNS8_4plusIfEEEE10hipError_tPvRmT1_T2_T3_mT4_P12ihipStream_tbEUlT_E1_NS1_11comp_targetILNS1_3genE10ELNS1_11target_archE1200ELNS1_3gpuE4ELNS1_3repE0EEENS1_30default_config_static_selectorELNS0_4arch9wavefront6targetE1EEEvSK_
	.p2align	8
	.type	_ZN7rocprim17ROCPRIM_400000_NS6detail17trampoline_kernelINS0_14default_configENS1_22reduce_config_selectorIjEEZNS1_11reduce_implILb1ES3_N6thrust23THRUST_200600_302600_NS6detail15normal_iteratorINS8_10device_ptrIjEEEEPffNS8_4plusIfEEEE10hipError_tPvRmT1_T2_T3_mT4_P12ihipStream_tbEUlT_E1_NS1_11comp_targetILNS1_3genE10ELNS1_11target_archE1200ELNS1_3gpuE4ELNS1_3repE0EEENS1_30default_config_static_selectorELNS0_4arch9wavefront6targetE1EEEvSK_,@function
_ZN7rocprim17ROCPRIM_400000_NS6detail17trampoline_kernelINS0_14default_configENS1_22reduce_config_selectorIjEEZNS1_11reduce_implILb1ES3_N6thrust23THRUST_200600_302600_NS6detail15normal_iteratorINS8_10device_ptrIjEEEEPffNS8_4plusIfEEEE10hipError_tPvRmT1_T2_T3_mT4_P12ihipStream_tbEUlT_E1_NS1_11comp_targetILNS1_3genE10ELNS1_11target_archE1200ELNS1_3gpuE4ELNS1_3repE0EEENS1_30default_config_static_selectorELNS0_4arch9wavefront6targetE1EEEvSK_: ; @_ZN7rocprim17ROCPRIM_400000_NS6detail17trampoline_kernelINS0_14default_configENS1_22reduce_config_selectorIjEEZNS1_11reduce_implILb1ES3_N6thrust23THRUST_200600_302600_NS6detail15normal_iteratorINS8_10device_ptrIjEEEEPffNS8_4plusIfEEEE10hipError_tPvRmT1_T2_T3_mT4_P12ihipStream_tbEUlT_E1_NS1_11comp_targetILNS1_3genE10ELNS1_11target_archE1200ELNS1_3gpuE4ELNS1_3repE0EEENS1_30default_config_static_selectorELNS0_4arch9wavefront6targetE1EEEvSK_
; %bb.0:
	.section	.rodata,"a",@progbits
	.p2align	6, 0x0
	.amdhsa_kernel _ZN7rocprim17ROCPRIM_400000_NS6detail17trampoline_kernelINS0_14default_configENS1_22reduce_config_selectorIjEEZNS1_11reduce_implILb1ES3_N6thrust23THRUST_200600_302600_NS6detail15normal_iteratorINS8_10device_ptrIjEEEEPffNS8_4plusIfEEEE10hipError_tPvRmT1_T2_T3_mT4_P12ihipStream_tbEUlT_E1_NS1_11comp_targetILNS1_3genE10ELNS1_11target_archE1200ELNS1_3gpuE4ELNS1_3repE0EEENS1_30default_config_static_selectorELNS0_4arch9wavefront6targetE1EEEvSK_
		.amdhsa_group_segment_fixed_size 0
		.amdhsa_private_segment_fixed_size 0
		.amdhsa_kernarg_size 40
		.amdhsa_user_sgpr_count 2
		.amdhsa_user_sgpr_dispatch_ptr 0
		.amdhsa_user_sgpr_queue_ptr 0
		.amdhsa_user_sgpr_kernarg_segment_ptr 1
		.amdhsa_user_sgpr_dispatch_id 0
		.amdhsa_user_sgpr_kernarg_preload_length 0
		.amdhsa_user_sgpr_kernarg_preload_offset 0
		.amdhsa_user_sgpr_private_segment_size 0
		.amdhsa_uses_dynamic_stack 0
		.amdhsa_enable_private_segment 0
		.amdhsa_system_sgpr_workgroup_id_x 1
		.amdhsa_system_sgpr_workgroup_id_y 0
		.amdhsa_system_sgpr_workgroup_id_z 0
		.amdhsa_system_sgpr_workgroup_info 0
		.amdhsa_system_vgpr_workitem_id 0
		.amdhsa_next_free_vgpr 1
		.amdhsa_next_free_sgpr 0
		.amdhsa_accum_offset 4
		.amdhsa_reserve_vcc 0
		.amdhsa_float_round_mode_32 0
		.amdhsa_float_round_mode_16_64 0
		.amdhsa_float_denorm_mode_32 3
		.amdhsa_float_denorm_mode_16_64 3
		.amdhsa_dx10_clamp 1
		.amdhsa_ieee_mode 1
		.amdhsa_fp16_overflow 0
		.amdhsa_tg_split 0
		.amdhsa_exception_fp_ieee_invalid_op 0
		.amdhsa_exception_fp_denorm_src 0
		.amdhsa_exception_fp_ieee_div_zero 0
		.amdhsa_exception_fp_ieee_overflow 0
		.amdhsa_exception_fp_ieee_underflow 0
		.amdhsa_exception_fp_ieee_inexact 0
		.amdhsa_exception_int_div_zero 0
	.end_amdhsa_kernel
	.section	.text._ZN7rocprim17ROCPRIM_400000_NS6detail17trampoline_kernelINS0_14default_configENS1_22reduce_config_selectorIjEEZNS1_11reduce_implILb1ES3_N6thrust23THRUST_200600_302600_NS6detail15normal_iteratorINS8_10device_ptrIjEEEEPffNS8_4plusIfEEEE10hipError_tPvRmT1_T2_T3_mT4_P12ihipStream_tbEUlT_E1_NS1_11comp_targetILNS1_3genE10ELNS1_11target_archE1200ELNS1_3gpuE4ELNS1_3repE0EEENS1_30default_config_static_selectorELNS0_4arch9wavefront6targetE1EEEvSK_,"axG",@progbits,_ZN7rocprim17ROCPRIM_400000_NS6detail17trampoline_kernelINS0_14default_configENS1_22reduce_config_selectorIjEEZNS1_11reduce_implILb1ES3_N6thrust23THRUST_200600_302600_NS6detail15normal_iteratorINS8_10device_ptrIjEEEEPffNS8_4plusIfEEEE10hipError_tPvRmT1_T2_T3_mT4_P12ihipStream_tbEUlT_E1_NS1_11comp_targetILNS1_3genE10ELNS1_11target_archE1200ELNS1_3gpuE4ELNS1_3repE0EEENS1_30default_config_static_selectorELNS0_4arch9wavefront6targetE1EEEvSK_,comdat
.Lfunc_end420:
	.size	_ZN7rocprim17ROCPRIM_400000_NS6detail17trampoline_kernelINS0_14default_configENS1_22reduce_config_selectorIjEEZNS1_11reduce_implILb1ES3_N6thrust23THRUST_200600_302600_NS6detail15normal_iteratorINS8_10device_ptrIjEEEEPffNS8_4plusIfEEEE10hipError_tPvRmT1_T2_T3_mT4_P12ihipStream_tbEUlT_E1_NS1_11comp_targetILNS1_3genE10ELNS1_11target_archE1200ELNS1_3gpuE4ELNS1_3repE0EEENS1_30default_config_static_selectorELNS0_4arch9wavefront6targetE1EEEvSK_, .Lfunc_end420-_ZN7rocprim17ROCPRIM_400000_NS6detail17trampoline_kernelINS0_14default_configENS1_22reduce_config_selectorIjEEZNS1_11reduce_implILb1ES3_N6thrust23THRUST_200600_302600_NS6detail15normal_iteratorINS8_10device_ptrIjEEEEPffNS8_4plusIfEEEE10hipError_tPvRmT1_T2_T3_mT4_P12ihipStream_tbEUlT_E1_NS1_11comp_targetILNS1_3genE10ELNS1_11target_archE1200ELNS1_3gpuE4ELNS1_3repE0EEENS1_30default_config_static_selectorELNS0_4arch9wavefront6targetE1EEEvSK_
                                        ; -- End function
	.set _ZN7rocprim17ROCPRIM_400000_NS6detail17trampoline_kernelINS0_14default_configENS1_22reduce_config_selectorIjEEZNS1_11reduce_implILb1ES3_N6thrust23THRUST_200600_302600_NS6detail15normal_iteratorINS8_10device_ptrIjEEEEPffNS8_4plusIfEEEE10hipError_tPvRmT1_T2_T3_mT4_P12ihipStream_tbEUlT_E1_NS1_11comp_targetILNS1_3genE10ELNS1_11target_archE1200ELNS1_3gpuE4ELNS1_3repE0EEENS1_30default_config_static_selectorELNS0_4arch9wavefront6targetE1EEEvSK_.num_vgpr, 0
	.set _ZN7rocprim17ROCPRIM_400000_NS6detail17trampoline_kernelINS0_14default_configENS1_22reduce_config_selectorIjEEZNS1_11reduce_implILb1ES3_N6thrust23THRUST_200600_302600_NS6detail15normal_iteratorINS8_10device_ptrIjEEEEPffNS8_4plusIfEEEE10hipError_tPvRmT1_T2_T3_mT4_P12ihipStream_tbEUlT_E1_NS1_11comp_targetILNS1_3genE10ELNS1_11target_archE1200ELNS1_3gpuE4ELNS1_3repE0EEENS1_30default_config_static_selectorELNS0_4arch9wavefront6targetE1EEEvSK_.num_agpr, 0
	.set _ZN7rocprim17ROCPRIM_400000_NS6detail17trampoline_kernelINS0_14default_configENS1_22reduce_config_selectorIjEEZNS1_11reduce_implILb1ES3_N6thrust23THRUST_200600_302600_NS6detail15normal_iteratorINS8_10device_ptrIjEEEEPffNS8_4plusIfEEEE10hipError_tPvRmT1_T2_T3_mT4_P12ihipStream_tbEUlT_E1_NS1_11comp_targetILNS1_3genE10ELNS1_11target_archE1200ELNS1_3gpuE4ELNS1_3repE0EEENS1_30default_config_static_selectorELNS0_4arch9wavefront6targetE1EEEvSK_.numbered_sgpr, 0
	.set _ZN7rocprim17ROCPRIM_400000_NS6detail17trampoline_kernelINS0_14default_configENS1_22reduce_config_selectorIjEEZNS1_11reduce_implILb1ES3_N6thrust23THRUST_200600_302600_NS6detail15normal_iteratorINS8_10device_ptrIjEEEEPffNS8_4plusIfEEEE10hipError_tPvRmT1_T2_T3_mT4_P12ihipStream_tbEUlT_E1_NS1_11comp_targetILNS1_3genE10ELNS1_11target_archE1200ELNS1_3gpuE4ELNS1_3repE0EEENS1_30default_config_static_selectorELNS0_4arch9wavefront6targetE1EEEvSK_.num_named_barrier, 0
	.set _ZN7rocprim17ROCPRIM_400000_NS6detail17trampoline_kernelINS0_14default_configENS1_22reduce_config_selectorIjEEZNS1_11reduce_implILb1ES3_N6thrust23THRUST_200600_302600_NS6detail15normal_iteratorINS8_10device_ptrIjEEEEPffNS8_4plusIfEEEE10hipError_tPvRmT1_T2_T3_mT4_P12ihipStream_tbEUlT_E1_NS1_11comp_targetILNS1_3genE10ELNS1_11target_archE1200ELNS1_3gpuE4ELNS1_3repE0EEENS1_30default_config_static_selectorELNS0_4arch9wavefront6targetE1EEEvSK_.private_seg_size, 0
	.set _ZN7rocprim17ROCPRIM_400000_NS6detail17trampoline_kernelINS0_14default_configENS1_22reduce_config_selectorIjEEZNS1_11reduce_implILb1ES3_N6thrust23THRUST_200600_302600_NS6detail15normal_iteratorINS8_10device_ptrIjEEEEPffNS8_4plusIfEEEE10hipError_tPvRmT1_T2_T3_mT4_P12ihipStream_tbEUlT_E1_NS1_11comp_targetILNS1_3genE10ELNS1_11target_archE1200ELNS1_3gpuE4ELNS1_3repE0EEENS1_30default_config_static_selectorELNS0_4arch9wavefront6targetE1EEEvSK_.uses_vcc, 0
	.set _ZN7rocprim17ROCPRIM_400000_NS6detail17trampoline_kernelINS0_14default_configENS1_22reduce_config_selectorIjEEZNS1_11reduce_implILb1ES3_N6thrust23THRUST_200600_302600_NS6detail15normal_iteratorINS8_10device_ptrIjEEEEPffNS8_4plusIfEEEE10hipError_tPvRmT1_T2_T3_mT4_P12ihipStream_tbEUlT_E1_NS1_11comp_targetILNS1_3genE10ELNS1_11target_archE1200ELNS1_3gpuE4ELNS1_3repE0EEENS1_30default_config_static_selectorELNS0_4arch9wavefront6targetE1EEEvSK_.uses_flat_scratch, 0
	.set _ZN7rocprim17ROCPRIM_400000_NS6detail17trampoline_kernelINS0_14default_configENS1_22reduce_config_selectorIjEEZNS1_11reduce_implILb1ES3_N6thrust23THRUST_200600_302600_NS6detail15normal_iteratorINS8_10device_ptrIjEEEEPffNS8_4plusIfEEEE10hipError_tPvRmT1_T2_T3_mT4_P12ihipStream_tbEUlT_E1_NS1_11comp_targetILNS1_3genE10ELNS1_11target_archE1200ELNS1_3gpuE4ELNS1_3repE0EEENS1_30default_config_static_selectorELNS0_4arch9wavefront6targetE1EEEvSK_.has_dyn_sized_stack, 0
	.set _ZN7rocprim17ROCPRIM_400000_NS6detail17trampoline_kernelINS0_14default_configENS1_22reduce_config_selectorIjEEZNS1_11reduce_implILb1ES3_N6thrust23THRUST_200600_302600_NS6detail15normal_iteratorINS8_10device_ptrIjEEEEPffNS8_4plusIfEEEE10hipError_tPvRmT1_T2_T3_mT4_P12ihipStream_tbEUlT_E1_NS1_11comp_targetILNS1_3genE10ELNS1_11target_archE1200ELNS1_3gpuE4ELNS1_3repE0EEENS1_30default_config_static_selectorELNS0_4arch9wavefront6targetE1EEEvSK_.has_recursion, 0
	.set _ZN7rocprim17ROCPRIM_400000_NS6detail17trampoline_kernelINS0_14default_configENS1_22reduce_config_selectorIjEEZNS1_11reduce_implILb1ES3_N6thrust23THRUST_200600_302600_NS6detail15normal_iteratorINS8_10device_ptrIjEEEEPffNS8_4plusIfEEEE10hipError_tPvRmT1_T2_T3_mT4_P12ihipStream_tbEUlT_E1_NS1_11comp_targetILNS1_3genE10ELNS1_11target_archE1200ELNS1_3gpuE4ELNS1_3repE0EEENS1_30default_config_static_selectorELNS0_4arch9wavefront6targetE1EEEvSK_.has_indirect_call, 0
	.section	.AMDGPU.csdata,"",@progbits
; Kernel info:
; codeLenInByte = 0
; TotalNumSgprs: 6
; NumVgprs: 0
; NumAgprs: 0
; TotalNumVgprs: 0
; ScratchSize: 0
; MemoryBound: 0
; FloatMode: 240
; IeeeMode: 1
; LDSByteSize: 0 bytes/workgroup (compile time only)
; SGPRBlocks: 0
; VGPRBlocks: 0
; NumSGPRsForWavesPerEU: 6
; NumVGPRsForWavesPerEU: 1
; AccumOffset: 4
; Occupancy: 8
; WaveLimiterHint : 0
; COMPUTE_PGM_RSRC2:SCRATCH_EN: 0
; COMPUTE_PGM_RSRC2:USER_SGPR: 2
; COMPUTE_PGM_RSRC2:TRAP_HANDLER: 0
; COMPUTE_PGM_RSRC2:TGID_X_EN: 1
; COMPUTE_PGM_RSRC2:TGID_Y_EN: 0
; COMPUTE_PGM_RSRC2:TGID_Z_EN: 0
; COMPUTE_PGM_RSRC2:TIDIG_COMP_CNT: 0
; COMPUTE_PGM_RSRC3_GFX90A:ACCUM_OFFSET: 0
; COMPUTE_PGM_RSRC3_GFX90A:TG_SPLIT: 0
	.section	.text._ZN7rocprim17ROCPRIM_400000_NS6detail17trampoline_kernelINS0_14default_configENS1_22reduce_config_selectorIjEEZNS1_11reduce_implILb1ES3_N6thrust23THRUST_200600_302600_NS6detail15normal_iteratorINS8_10device_ptrIjEEEEPffNS8_4plusIfEEEE10hipError_tPvRmT1_T2_T3_mT4_P12ihipStream_tbEUlT_E1_NS1_11comp_targetILNS1_3genE9ELNS1_11target_archE1100ELNS1_3gpuE3ELNS1_3repE0EEENS1_30default_config_static_selectorELNS0_4arch9wavefront6targetE1EEEvSK_,"axG",@progbits,_ZN7rocprim17ROCPRIM_400000_NS6detail17trampoline_kernelINS0_14default_configENS1_22reduce_config_selectorIjEEZNS1_11reduce_implILb1ES3_N6thrust23THRUST_200600_302600_NS6detail15normal_iteratorINS8_10device_ptrIjEEEEPffNS8_4plusIfEEEE10hipError_tPvRmT1_T2_T3_mT4_P12ihipStream_tbEUlT_E1_NS1_11comp_targetILNS1_3genE9ELNS1_11target_archE1100ELNS1_3gpuE3ELNS1_3repE0EEENS1_30default_config_static_selectorELNS0_4arch9wavefront6targetE1EEEvSK_,comdat
	.protected	_ZN7rocprim17ROCPRIM_400000_NS6detail17trampoline_kernelINS0_14default_configENS1_22reduce_config_selectorIjEEZNS1_11reduce_implILb1ES3_N6thrust23THRUST_200600_302600_NS6detail15normal_iteratorINS8_10device_ptrIjEEEEPffNS8_4plusIfEEEE10hipError_tPvRmT1_T2_T3_mT4_P12ihipStream_tbEUlT_E1_NS1_11comp_targetILNS1_3genE9ELNS1_11target_archE1100ELNS1_3gpuE3ELNS1_3repE0EEENS1_30default_config_static_selectorELNS0_4arch9wavefront6targetE1EEEvSK_ ; -- Begin function _ZN7rocprim17ROCPRIM_400000_NS6detail17trampoline_kernelINS0_14default_configENS1_22reduce_config_selectorIjEEZNS1_11reduce_implILb1ES3_N6thrust23THRUST_200600_302600_NS6detail15normal_iteratorINS8_10device_ptrIjEEEEPffNS8_4plusIfEEEE10hipError_tPvRmT1_T2_T3_mT4_P12ihipStream_tbEUlT_E1_NS1_11comp_targetILNS1_3genE9ELNS1_11target_archE1100ELNS1_3gpuE3ELNS1_3repE0EEENS1_30default_config_static_selectorELNS0_4arch9wavefront6targetE1EEEvSK_
	.globl	_ZN7rocprim17ROCPRIM_400000_NS6detail17trampoline_kernelINS0_14default_configENS1_22reduce_config_selectorIjEEZNS1_11reduce_implILb1ES3_N6thrust23THRUST_200600_302600_NS6detail15normal_iteratorINS8_10device_ptrIjEEEEPffNS8_4plusIfEEEE10hipError_tPvRmT1_T2_T3_mT4_P12ihipStream_tbEUlT_E1_NS1_11comp_targetILNS1_3genE9ELNS1_11target_archE1100ELNS1_3gpuE3ELNS1_3repE0EEENS1_30default_config_static_selectorELNS0_4arch9wavefront6targetE1EEEvSK_
	.p2align	8
	.type	_ZN7rocprim17ROCPRIM_400000_NS6detail17trampoline_kernelINS0_14default_configENS1_22reduce_config_selectorIjEEZNS1_11reduce_implILb1ES3_N6thrust23THRUST_200600_302600_NS6detail15normal_iteratorINS8_10device_ptrIjEEEEPffNS8_4plusIfEEEE10hipError_tPvRmT1_T2_T3_mT4_P12ihipStream_tbEUlT_E1_NS1_11comp_targetILNS1_3genE9ELNS1_11target_archE1100ELNS1_3gpuE3ELNS1_3repE0EEENS1_30default_config_static_selectorELNS0_4arch9wavefront6targetE1EEEvSK_,@function
_ZN7rocprim17ROCPRIM_400000_NS6detail17trampoline_kernelINS0_14default_configENS1_22reduce_config_selectorIjEEZNS1_11reduce_implILb1ES3_N6thrust23THRUST_200600_302600_NS6detail15normal_iteratorINS8_10device_ptrIjEEEEPffNS8_4plusIfEEEE10hipError_tPvRmT1_T2_T3_mT4_P12ihipStream_tbEUlT_E1_NS1_11comp_targetILNS1_3genE9ELNS1_11target_archE1100ELNS1_3gpuE3ELNS1_3repE0EEENS1_30default_config_static_selectorELNS0_4arch9wavefront6targetE1EEEvSK_: ; @_ZN7rocprim17ROCPRIM_400000_NS6detail17trampoline_kernelINS0_14default_configENS1_22reduce_config_selectorIjEEZNS1_11reduce_implILb1ES3_N6thrust23THRUST_200600_302600_NS6detail15normal_iteratorINS8_10device_ptrIjEEEEPffNS8_4plusIfEEEE10hipError_tPvRmT1_T2_T3_mT4_P12ihipStream_tbEUlT_E1_NS1_11comp_targetILNS1_3genE9ELNS1_11target_archE1100ELNS1_3gpuE3ELNS1_3repE0EEENS1_30default_config_static_selectorELNS0_4arch9wavefront6targetE1EEEvSK_
; %bb.0:
	.section	.rodata,"a",@progbits
	.p2align	6, 0x0
	.amdhsa_kernel _ZN7rocprim17ROCPRIM_400000_NS6detail17trampoline_kernelINS0_14default_configENS1_22reduce_config_selectorIjEEZNS1_11reduce_implILb1ES3_N6thrust23THRUST_200600_302600_NS6detail15normal_iteratorINS8_10device_ptrIjEEEEPffNS8_4plusIfEEEE10hipError_tPvRmT1_T2_T3_mT4_P12ihipStream_tbEUlT_E1_NS1_11comp_targetILNS1_3genE9ELNS1_11target_archE1100ELNS1_3gpuE3ELNS1_3repE0EEENS1_30default_config_static_selectorELNS0_4arch9wavefront6targetE1EEEvSK_
		.amdhsa_group_segment_fixed_size 0
		.amdhsa_private_segment_fixed_size 0
		.amdhsa_kernarg_size 40
		.amdhsa_user_sgpr_count 2
		.amdhsa_user_sgpr_dispatch_ptr 0
		.amdhsa_user_sgpr_queue_ptr 0
		.amdhsa_user_sgpr_kernarg_segment_ptr 1
		.amdhsa_user_sgpr_dispatch_id 0
		.amdhsa_user_sgpr_kernarg_preload_length 0
		.amdhsa_user_sgpr_kernarg_preload_offset 0
		.amdhsa_user_sgpr_private_segment_size 0
		.amdhsa_uses_dynamic_stack 0
		.amdhsa_enable_private_segment 0
		.amdhsa_system_sgpr_workgroup_id_x 1
		.amdhsa_system_sgpr_workgroup_id_y 0
		.amdhsa_system_sgpr_workgroup_id_z 0
		.amdhsa_system_sgpr_workgroup_info 0
		.amdhsa_system_vgpr_workitem_id 0
		.amdhsa_next_free_vgpr 1
		.amdhsa_next_free_sgpr 0
		.amdhsa_accum_offset 4
		.amdhsa_reserve_vcc 0
		.amdhsa_float_round_mode_32 0
		.amdhsa_float_round_mode_16_64 0
		.amdhsa_float_denorm_mode_32 3
		.amdhsa_float_denorm_mode_16_64 3
		.amdhsa_dx10_clamp 1
		.amdhsa_ieee_mode 1
		.amdhsa_fp16_overflow 0
		.amdhsa_tg_split 0
		.amdhsa_exception_fp_ieee_invalid_op 0
		.amdhsa_exception_fp_denorm_src 0
		.amdhsa_exception_fp_ieee_div_zero 0
		.amdhsa_exception_fp_ieee_overflow 0
		.amdhsa_exception_fp_ieee_underflow 0
		.amdhsa_exception_fp_ieee_inexact 0
		.amdhsa_exception_int_div_zero 0
	.end_amdhsa_kernel
	.section	.text._ZN7rocprim17ROCPRIM_400000_NS6detail17trampoline_kernelINS0_14default_configENS1_22reduce_config_selectorIjEEZNS1_11reduce_implILb1ES3_N6thrust23THRUST_200600_302600_NS6detail15normal_iteratorINS8_10device_ptrIjEEEEPffNS8_4plusIfEEEE10hipError_tPvRmT1_T2_T3_mT4_P12ihipStream_tbEUlT_E1_NS1_11comp_targetILNS1_3genE9ELNS1_11target_archE1100ELNS1_3gpuE3ELNS1_3repE0EEENS1_30default_config_static_selectorELNS0_4arch9wavefront6targetE1EEEvSK_,"axG",@progbits,_ZN7rocprim17ROCPRIM_400000_NS6detail17trampoline_kernelINS0_14default_configENS1_22reduce_config_selectorIjEEZNS1_11reduce_implILb1ES3_N6thrust23THRUST_200600_302600_NS6detail15normal_iteratorINS8_10device_ptrIjEEEEPffNS8_4plusIfEEEE10hipError_tPvRmT1_T2_T3_mT4_P12ihipStream_tbEUlT_E1_NS1_11comp_targetILNS1_3genE9ELNS1_11target_archE1100ELNS1_3gpuE3ELNS1_3repE0EEENS1_30default_config_static_selectorELNS0_4arch9wavefront6targetE1EEEvSK_,comdat
.Lfunc_end421:
	.size	_ZN7rocprim17ROCPRIM_400000_NS6detail17trampoline_kernelINS0_14default_configENS1_22reduce_config_selectorIjEEZNS1_11reduce_implILb1ES3_N6thrust23THRUST_200600_302600_NS6detail15normal_iteratorINS8_10device_ptrIjEEEEPffNS8_4plusIfEEEE10hipError_tPvRmT1_T2_T3_mT4_P12ihipStream_tbEUlT_E1_NS1_11comp_targetILNS1_3genE9ELNS1_11target_archE1100ELNS1_3gpuE3ELNS1_3repE0EEENS1_30default_config_static_selectorELNS0_4arch9wavefront6targetE1EEEvSK_, .Lfunc_end421-_ZN7rocprim17ROCPRIM_400000_NS6detail17trampoline_kernelINS0_14default_configENS1_22reduce_config_selectorIjEEZNS1_11reduce_implILb1ES3_N6thrust23THRUST_200600_302600_NS6detail15normal_iteratorINS8_10device_ptrIjEEEEPffNS8_4plusIfEEEE10hipError_tPvRmT1_T2_T3_mT4_P12ihipStream_tbEUlT_E1_NS1_11comp_targetILNS1_3genE9ELNS1_11target_archE1100ELNS1_3gpuE3ELNS1_3repE0EEENS1_30default_config_static_selectorELNS0_4arch9wavefront6targetE1EEEvSK_
                                        ; -- End function
	.set _ZN7rocprim17ROCPRIM_400000_NS6detail17trampoline_kernelINS0_14default_configENS1_22reduce_config_selectorIjEEZNS1_11reduce_implILb1ES3_N6thrust23THRUST_200600_302600_NS6detail15normal_iteratorINS8_10device_ptrIjEEEEPffNS8_4plusIfEEEE10hipError_tPvRmT1_T2_T3_mT4_P12ihipStream_tbEUlT_E1_NS1_11comp_targetILNS1_3genE9ELNS1_11target_archE1100ELNS1_3gpuE3ELNS1_3repE0EEENS1_30default_config_static_selectorELNS0_4arch9wavefront6targetE1EEEvSK_.num_vgpr, 0
	.set _ZN7rocprim17ROCPRIM_400000_NS6detail17trampoline_kernelINS0_14default_configENS1_22reduce_config_selectorIjEEZNS1_11reduce_implILb1ES3_N6thrust23THRUST_200600_302600_NS6detail15normal_iteratorINS8_10device_ptrIjEEEEPffNS8_4plusIfEEEE10hipError_tPvRmT1_T2_T3_mT4_P12ihipStream_tbEUlT_E1_NS1_11comp_targetILNS1_3genE9ELNS1_11target_archE1100ELNS1_3gpuE3ELNS1_3repE0EEENS1_30default_config_static_selectorELNS0_4arch9wavefront6targetE1EEEvSK_.num_agpr, 0
	.set _ZN7rocprim17ROCPRIM_400000_NS6detail17trampoline_kernelINS0_14default_configENS1_22reduce_config_selectorIjEEZNS1_11reduce_implILb1ES3_N6thrust23THRUST_200600_302600_NS6detail15normal_iteratorINS8_10device_ptrIjEEEEPffNS8_4plusIfEEEE10hipError_tPvRmT1_T2_T3_mT4_P12ihipStream_tbEUlT_E1_NS1_11comp_targetILNS1_3genE9ELNS1_11target_archE1100ELNS1_3gpuE3ELNS1_3repE0EEENS1_30default_config_static_selectorELNS0_4arch9wavefront6targetE1EEEvSK_.numbered_sgpr, 0
	.set _ZN7rocprim17ROCPRIM_400000_NS6detail17trampoline_kernelINS0_14default_configENS1_22reduce_config_selectorIjEEZNS1_11reduce_implILb1ES3_N6thrust23THRUST_200600_302600_NS6detail15normal_iteratorINS8_10device_ptrIjEEEEPffNS8_4plusIfEEEE10hipError_tPvRmT1_T2_T3_mT4_P12ihipStream_tbEUlT_E1_NS1_11comp_targetILNS1_3genE9ELNS1_11target_archE1100ELNS1_3gpuE3ELNS1_3repE0EEENS1_30default_config_static_selectorELNS0_4arch9wavefront6targetE1EEEvSK_.num_named_barrier, 0
	.set _ZN7rocprim17ROCPRIM_400000_NS6detail17trampoline_kernelINS0_14default_configENS1_22reduce_config_selectorIjEEZNS1_11reduce_implILb1ES3_N6thrust23THRUST_200600_302600_NS6detail15normal_iteratorINS8_10device_ptrIjEEEEPffNS8_4plusIfEEEE10hipError_tPvRmT1_T2_T3_mT4_P12ihipStream_tbEUlT_E1_NS1_11comp_targetILNS1_3genE9ELNS1_11target_archE1100ELNS1_3gpuE3ELNS1_3repE0EEENS1_30default_config_static_selectorELNS0_4arch9wavefront6targetE1EEEvSK_.private_seg_size, 0
	.set _ZN7rocprim17ROCPRIM_400000_NS6detail17trampoline_kernelINS0_14default_configENS1_22reduce_config_selectorIjEEZNS1_11reduce_implILb1ES3_N6thrust23THRUST_200600_302600_NS6detail15normal_iteratorINS8_10device_ptrIjEEEEPffNS8_4plusIfEEEE10hipError_tPvRmT1_T2_T3_mT4_P12ihipStream_tbEUlT_E1_NS1_11comp_targetILNS1_3genE9ELNS1_11target_archE1100ELNS1_3gpuE3ELNS1_3repE0EEENS1_30default_config_static_selectorELNS0_4arch9wavefront6targetE1EEEvSK_.uses_vcc, 0
	.set _ZN7rocprim17ROCPRIM_400000_NS6detail17trampoline_kernelINS0_14default_configENS1_22reduce_config_selectorIjEEZNS1_11reduce_implILb1ES3_N6thrust23THRUST_200600_302600_NS6detail15normal_iteratorINS8_10device_ptrIjEEEEPffNS8_4plusIfEEEE10hipError_tPvRmT1_T2_T3_mT4_P12ihipStream_tbEUlT_E1_NS1_11comp_targetILNS1_3genE9ELNS1_11target_archE1100ELNS1_3gpuE3ELNS1_3repE0EEENS1_30default_config_static_selectorELNS0_4arch9wavefront6targetE1EEEvSK_.uses_flat_scratch, 0
	.set _ZN7rocprim17ROCPRIM_400000_NS6detail17trampoline_kernelINS0_14default_configENS1_22reduce_config_selectorIjEEZNS1_11reduce_implILb1ES3_N6thrust23THRUST_200600_302600_NS6detail15normal_iteratorINS8_10device_ptrIjEEEEPffNS8_4plusIfEEEE10hipError_tPvRmT1_T2_T3_mT4_P12ihipStream_tbEUlT_E1_NS1_11comp_targetILNS1_3genE9ELNS1_11target_archE1100ELNS1_3gpuE3ELNS1_3repE0EEENS1_30default_config_static_selectorELNS0_4arch9wavefront6targetE1EEEvSK_.has_dyn_sized_stack, 0
	.set _ZN7rocprim17ROCPRIM_400000_NS6detail17trampoline_kernelINS0_14default_configENS1_22reduce_config_selectorIjEEZNS1_11reduce_implILb1ES3_N6thrust23THRUST_200600_302600_NS6detail15normal_iteratorINS8_10device_ptrIjEEEEPffNS8_4plusIfEEEE10hipError_tPvRmT1_T2_T3_mT4_P12ihipStream_tbEUlT_E1_NS1_11comp_targetILNS1_3genE9ELNS1_11target_archE1100ELNS1_3gpuE3ELNS1_3repE0EEENS1_30default_config_static_selectorELNS0_4arch9wavefront6targetE1EEEvSK_.has_recursion, 0
	.set _ZN7rocprim17ROCPRIM_400000_NS6detail17trampoline_kernelINS0_14default_configENS1_22reduce_config_selectorIjEEZNS1_11reduce_implILb1ES3_N6thrust23THRUST_200600_302600_NS6detail15normal_iteratorINS8_10device_ptrIjEEEEPffNS8_4plusIfEEEE10hipError_tPvRmT1_T2_T3_mT4_P12ihipStream_tbEUlT_E1_NS1_11comp_targetILNS1_3genE9ELNS1_11target_archE1100ELNS1_3gpuE3ELNS1_3repE0EEENS1_30default_config_static_selectorELNS0_4arch9wavefront6targetE1EEEvSK_.has_indirect_call, 0
	.section	.AMDGPU.csdata,"",@progbits
; Kernel info:
; codeLenInByte = 0
; TotalNumSgprs: 6
; NumVgprs: 0
; NumAgprs: 0
; TotalNumVgprs: 0
; ScratchSize: 0
; MemoryBound: 0
; FloatMode: 240
; IeeeMode: 1
; LDSByteSize: 0 bytes/workgroup (compile time only)
; SGPRBlocks: 0
; VGPRBlocks: 0
; NumSGPRsForWavesPerEU: 6
; NumVGPRsForWavesPerEU: 1
; AccumOffset: 4
; Occupancy: 8
; WaveLimiterHint : 0
; COMPUTE_PGM_RSRC2:SCRATCH_EN: 0
; COMPUTE_PGM_RSRC2:USER_SGPR: 2
; COMPUTE_PGM_RSRC2:TRAP_HANDLER: 0
; COMPUTE_PGM_RSRC2:TGID_X_EN: 1
; COMPUTE_PGM_RSRC2:TGID_Y_EN: 0
; COMPUTE_PGM_RSRC2:TGID_Z_EN: 0
; COMPUTE_PGM_RSRC2:TIDIG_COMP_CNT: 0
; COMPUTE_PGM_RSRC3_GFX90A:ACCUM_OFFSET: 0
; COMPUTE_PGM_RSRC3_GFX90A:TG_SPLIT: 0
	.section	.text._ZN7rocprim17ROCPRIM_400000_NS6detail17trampoline_kernelINS0_14default_configENS1_22reduce_config_selectorIjEEZNS1_11reduce_implILb1ES3_N6thrust23THRUST_200600_302600_NS6detail15normal_iteratorINS8_10device_ptrIjEEEEPffNS8_4plusIfEEEE10hipError_tPvRmT1_T2_T3_mT4_P12ihipStream_tbEUlT_E1_NS1_11comp_targetILNS1_3genE8ELNS1_11target_archE1030ELNS1_3gpuE2ELNS1_3repE0EEENS1_30default_config_static_selectorELNS0_4arch9wavefront6targetE1EEEvSK_,"axG",@progbits,_ZN7rocprim17ROCPRIM_400000_NS6detail17trampoline_kernelINS0_14default_configENS1_22reduce_config_selectorIjEEZNS1_11reduce_implILb1ES3_N6thrust23THRUST_200600_302600_NS6detail15normal_iteratorINS8_10device_ptrIjEEEEPffNS8_4plusIfEEEE10hipError_tPvRmT1_T2_T3_mT4_P12ihipStream_tbEUlT_E1_NS1_11comp_targetILNS1_3genE8ELNS1_11target_archE1030ELNS1_3gpuE2ELNS1_3repE0EEENS1_30default_config_static_selectorELNS0_4arch9wavefront6targetE1EEEvSK_,comdat
	.protected	_ZN7rocprim17ROCPRIM_400000_NS6detail17trampoline_kernelINS0_14default_configENS1_22reduce_config_selectorIjEEZNS1_11reduce_implILb1ES3_N6thrust23THRUST_200600_302600_NS6detail15normal_iteratorINS8_10device_ptrIjEEEEPffNS8_4plusIfEEEE10hipError_tPvRmT1_T2_T3_mT4_P12ihipStream_tbEUlT_E1_NS1_11comp_targetILNS1_3genE8ELNS1_11target_archE1030ELNS1_3gpuE2ELNS1_3repE0EEENS1_30default_config_static_selectorELNS0_4arch9wavefront6targetE1EEEvSK_ ; -- Begin function _ZN7rocprim17ROCPRIM_400000_NS6detail17trampoline_kernelINS0_14default_configENS1_22reduce_config_selectorIjEEZNS1_11reduce_implILb1ES3_N6thrust23THRUST_200600_302600_NS6detail15normal_iteratorINS8_10device_ptrIjEEEEPffNS8_4plusIfEEEE10hipError_tPvRmT1_T2_T3_mT4_P12ihipStream_tbEUlT_E1_NS1_11comp_targetILNS1_3genE8ELNS1_11target_archE1030ELNS1_3gpuE2ELNS1_3repE0EEENS1_30default_config_static_selectorELNS0_4arch9wavefront6targetE1EEEvSK_
	.globl	_ZN7rocprim17ROCPRIM_400000_NS6detail17trampoline_kernelINS0_14default_configENS1_22reduce_config_selectorIjEEZNS1_11reduce_implILb1ES3_N6thrust23THRUST_200600_302600_NS6detail15normal_iteratorINS8_10device_ptrIjEEEEPffNS8_4plusIfEEEE10hipError_tPvRmT1_T2_T3_mT4_P12ihipStream_tbEUlT_E1_NS1_11comp_targetILNS1_3genE8ELNS1_11target_archE1030ELNS1_3gpuE2ELNS1_3repE0EEENS1_30default_config_static_selectorELNS0_4arch9wavefront6targetE1EEEvSK_
	.p2align	8
	.type	_ZN7rocprim17ROCPRIM_400000_NS6detail17trampoline_kernelINS0_14default_configENS1_22reduce_config_selectorIjEEZNS1_11reduce_implILb1ES3_N6thrust23THRUST_200600_302600_NS6detail15normal_iteratorINS8_10device_ptrIjEEEEPffNS8_4plusIfEEEE10hipError_tPvRmT1_T2_T3_mT4_P12ihipStream_tbEUlT_E1_NS1_11comp_targetILNS1_3genE8ELNS1_11target_archE1030ELNS1_3gpuE2ELNS1_3repE0EEENS1_30default_config_static_selectorELNS0_4arch9wavefront6targetE1EEEvSK_,@function
_ZN7rocprim17ROCPRIM_400000_NS6detail17trampoline_kernelINS0_14default_configENS1_22reduce_config_selectorIjEEZNS1_11reduce_implILb1ES3_N6thrust23THRUST_200600_302600_NS6detail15normal_iteratorINS8_10device_ptrIjEEEEPffNS8_4plusIfEEEE10hipError_tPvRmT1_T2_T3_mT4_P12ihipStream_tbEUlT_E1_NS1_11comp_targetILNS1_3genE8ELNS1_11target_archE1030ELNS1_3gpuE2ELNS1_3repE0EEENS1_30default_config_static_selectorELNS0_4arch9wavefront6targetE1EEEvSK_: ; @_ZN7rocprim17ROCPRIM_400000_NS6detail17trampoline_kernelINS0_14default_configENS1_22reduce_config_selectorIjEEZNS1_11reduce_implILb1ES3_N6thrust23THRUST_200600_302600_NS6detail15normal_iteratorINS8_10device_ptrIjEEEEPffNS8_4plusIfEEEE10hipError_tPvRmT1_T2_T3_mT4_P12ihipStream_tbEUlT_E1_NS1_11comp_targetILNS1_3genE8ELNS1_11target_archE1030ELNS1_3gpuE2ELNS1_3repE0EEENS1_30default_config_static_selectorELNS0_4arch9wavefront6targetE1EEEvSK_
; %bb.0:
	.section	.rodata,"a",@progbits
	.p2align	6, 0x0
	.amdhsa_kernel _ZN7rocprim17ROCPRIM_400000_NS6detail17trampoline_kernelINS0_14default_configENS1_22reduce_config_selectorIjEEZNS1_11reduce_implILb1ES3_N6thrust23THRUST_200600_302600_NS6detail15normal_iteratorINS8_10device_ptrIjEEEEPffNS8_4plusIfEEEE10hipError_tPvRmT1_T2_T3_mT4_P12ihipStream_tbEUlT_E1_NS1_11comp_targetILNS1_3genE8ELNS1_11target_archE1030ELNS1_3gpuE2ELNS1_3repE0EEENS1_30default_config_static_selectorELNS0_4arch9wavefront6targetE1EEEvSK_
		.amdhsa_group_segment_fixed_size 0
		.amdhsa_private_segment_fixed_size 0
		.amdhsa_kernarg_size 40
		.amdhsa_user_sgpr_count 2
		.amdhsa_user_sgpr_dispatch_ptr 0
		.amdhsa_user_sgpr_queue_ptr 0
		.amdhsa_user_sgpr_kernarg_segment_ptr 1
		.amdhsa_user_sgpr_dispatch_id 0
		.amdhsa_user_sgpr_kernarg_preload_length 0
		.amdhsa_user_sgpr_kernarg_preload_offset 0
		.amdhsa_user_sgpr_private_segment_size 0
		.amdhsa_uses_dynamic_stack 0
		.amdhsa_enable_private_segment 0
		.amdhsa_system_sgpr_workgroup_id_x 1
		.amdhsa_system_sgpr_workgroup_id_y 0
		.amdhsa_system_sgpr_workgroup_id_z 0
		.amdhsa_system_sgpr_workgroup_info 0
		.amdhsa_system_vgpr_workitem_id 0
		.amdhsa_next_free_vgpr 1
		.amdhsa_next_free_sgpr 0
		.amdhsa_accum_offset 4
		.amdhsa_reserve_vcc 0
		.amdhsa_float_round_mode_32 0
		.amdhsa_float_round_mode_16_64 0
		.amdhsa_float_denorm_mode_32 3
		.amdhsa_float_denorm_mode_16_64 3
		.amdhsa_dx10_clamp 1
		.amdhsa_ieee_mode 1
		.amdhsa_fp16_overflow 0
		.amdhsa_tg_split 0
		.amdhsa_exception_fp_ieee_invalid_op 0
		.amdhsa_exception_fp_denorm_src 0
		.amdhsa_exception_fp_ieee_div_zero 0
		.amdhsa_exception_fp_ieee_overflow 0
		.amdhsa_exception_fp_ieee_underflow 0
		.amdhsa_exception_fp_ieee_inexact 0
		.amdhsa_exception_int_div_zero 0
	.end_amdhsa_kernel
	.section	.text._ZN7rocprim17ROCPRIM_400000_NS6detail17trampoline_kernelINS0_14default_configENS1_22reduce_config_selectorIjEEZNS1_11reduce_implILb1ES3_N6thrust23THRUST_200600_302600_NS6detail15normal_iteratorINS8_10device_ptrIjEEEEPffNS8_4plusIfEEEE10hipError_tPvRmT1_T2_T3_mT4_P12ihipStream_tbEUlT_E1_NS1_11comp_targetILNS1_3genE8ELNS1_11target_archE1030ELNS1_3gpuE2ELNS1_3repE0EEENS1_30default_config_static_selectorELNS0_4arch9wavefront6targetE1EEEvSK_,"axG",@progbits,_ZN7rocprim17ROCPRIM_400000_NS6detail17trampoline_kernelINS0_14default_configENS1_22reduce_config_selectorIjEEZNS1_11reduce_implILb1ES3_N6thrust23THRUST_200600_302600_NS6detail15normal_iteratorINS8_10device_ptrIjEEEEPffNS8_4plusIfEEEE10hipError_tPvRmT1_T2_T3_mT4_P12ihipStream_tbEUlT_E1_NS1_11comp_targetILNS1_3genE8ELNS1_11target_archE1030ELNS1_3gpuE2ELNS1_3repE0EEENS1_30default_config_static_selectorELNS0_4arch9wavefront6targetE1EEEvSK_,comdat
.Lfunc_end422:
	.size	_ZN7rocprim17ROCPRIM_400000_NS6detail17trampoline_kernelINS0_14default_configENS1_22reduce_config_selectorIjEEZNS1_11reduce_implILb1ES3_N6thrust23THRUST_200600_302600_NS6detail15normal_iteratorINS8_10device_ptrIjEEEEPffNS8_4plusIfEEEE10hipError_tPvRmT1_T2_T3_mT4_P12ihipStream_tbEUlT_E1_NS1_11comp_targetILNS1_3genE8ELNS1_11target_archE1030ELNS1_3gpuE2ELNS1_3repE0EEENS1_30default_config_static_selectorELNS0_4arch9wavefront6targetE1EEEvSK_, .Lfunc_end422-_ZN7rocprim17ROCPRIM_400000_NS6detail17trampoline_kernelINS0_14default_configENS1_22reduce_config_selectorIjEEZNS1_11reduce_implILb1ES3_N6thrust23THRUST_200600_302600_NS6detail15normal_iteratorINS8_10device_ptrIjEEEEPffNS8_4plusIfEEEE10hipError_tPvRmT1_T2_T3_mT4_P12ihipStream_tbEUlT_E1_NS1_11comp_targetILNS1_3genE8ELNS1_11target_archE1030ELNS1_3gpuE2ELNS1_3repE0EEENS1_30default_config_static_selectorELNS0_4arch9wavefront6targetE1EEEvSK_
                                        ; -- End function
	.set _ZN7rocprim17ROCPRIM_400000_NS6detail17trampoline_kernelINS0_14default_configENS1_22reduce_config_selectorIjEEZNS1_11reduce_implILb1ES3_N6thrust23THRUST_200600_302600_NS6detail15normal_iteratorINS8_10device_ptrIjEEEEPffNS8_4plusIfEEEE10hipError_tPvRmT1_T2_T3_mT4_P12ihipStream_tbEUlT_E1_NS1_11comp_targetILNS1_3genE8ELNS1_11target_archE1030ELNS1_3gpuE2ELNS1_3repE0EEENS1_30default_config_static_selectorELNS0_4arch9wavefront6targetE1EEEvSK_.num_vgpr, 0
	.set _ZN7rocprim17ROCPRIM_400000_NS6detail17trampoline_kernelINS0_14default_configENS1_22reduce_config_selectorIjEEZNS1_11reduce_implILb1ES3_N6thrust23THRUST_200600_302600_NS6detail15normal_iteratorINS8_10device_ptrIjEEEEPffNS8_4plusIfEEEE10hipError_tPvRmT1_T2_T3_mT4_P12ihipStream_tbEUlT_E1_NS1_11comp_targetILNS1_3genE8ELNS1_11target_archE1030ELNS1_3gpuE2ELNS1_3repE0EEENS1_30default_config_static_selectorELNS0_4arch9wavefront6targetE1EEEvSK_.num_agpr, 0
	.set _ZN7rocprim17ROCPRIM_400000_NS6detail17trampoline_kernelINS0_14default_configENS1_22reduce_config_selectorIjEEZNS1_11reduce_implILb1ES3_N6thrust23THRUST_200600_302600_NS6detail15normal_iteratorINS8_10device_ptrIjEEEEPffNS8_4plusIfEEEE10hipError_tPvRmT1_T2_T3_mT4_P12ihipStream_tbEUlT_E1_NS1_11comp_targetILNS1_3genE8ELNS1_11target_archE1030ELNS1_3gpuE2ELNS1_3repE0EEENS1_30default_config_static_selectorELNS0_4arch9wavefront6targetE1EEEvSK_.numbered_sgpr, 0
	.set _ZN7rocprim17ROCPRIM_400000_NS6detail17trampoline_kernelINS0_14default_configENS1_22reduce_config_selectorIjEEZNS1_11reduce_implILb1ES3_N6thrust23THRUST_200600_302600_NS6detail15normal_iteratorINS8_10device_ptrIjEEEEPffNS8_4plusIfEEEE10hipError_tPvRmT1_T2_T3_mT4_P12ihipStream_tbEUlT_E1_NS1_11comp_targetILNS1_3genE8ELNS1_11target_archE1030ELNS1_3gpuE2ELNS1_3repE0EEENS1_30default_config_static_selectorELNS0_4arch9wavefront6targetE1EEEvSK_.num_named_barrier, 0
	.set _ZN7rocprim17ROCPRIM_400000_NS6detail17trampoline_kernelINS0_14default_configENS1_22reduce_config_selectorIjEEZNS1_11reduce_implILb1ES3_N6thrust23THRUST_200600_302600_NS6detail15normal_iteratorINS8_10device_ptrIjEEEEPffNS8_4plusIfEEEE10hipError_tPvRmT1_T2_T3_mT4_P12ihipStream_tbEUlT_E1_NS1_11comp_targetILNS1_3genE8ELNS1_11target_archE1030ELNS1_3gpuE2ELNS1_3repE0EEENS1_30default_config_static_selectorELNS0_4arch9wavefront6targetE1EEEvSK_.private_seg_size, 0
	.set _ZN7rocprim17ROCPRIM_400000_NS6detail17trampoline_kernelINS0_14default_configENS1_22reduce_config_selectorIjEEZNS1_11reduce_implILb1ES3_N6thrust23THRUST_200600_302600_NS6detail15normal_iteratorINS8_10device_ptrIjEEEEPffNS8_4plusIfEEEE10hipError_tPvRmT1_T2_T3_mT4_P12ihipStream_tbEUlT_E1_NS1_11comp_targetILNS1_3genE8ELNS1_11target_archE1030ELNS1_3gpuE2ELNS1_3repE0EEENS1_30default_config_static_selectorELNS0_4arch9wavefront6targetE1EEEvSK_.uses_vcc, 0
	.set _ZN7rocprim17ROCPRIM_400000_NS6detail17trampoline_kernelINS0_14default_configENS1_22reduce_config_selectorIjEEZNS1_11reduce_implILb1ES3_N6thrust23THRUST_200600_302600_NS6detail15normal_iteratorINS8_10device_ptrIjEEEEPffNS8_4plusIfEEEE10hipError_tPvRmT1_T2_T3_mT4_P12ihipStream_tbEUlT_E1_NS1_11comp_targetILNS1_3genE8ELNS1_11target_archE1030ELNS1_3gpuE2ELNS1_3repE0EEENS1_30default_config_static_selectorELNS0_4arch9wavefront6targetE1EEEvSK_.uses_flat_scratch, 0
	.set _ZN7rocprim17ROCPRIM_400000_NS6detail17trampoline_kernelINS0_14default_configENS1_22reduce_config_selectorIjEEZNS1_11reduce_implILb1ES3_N6thrust23THRUST_200600_302600_NS6detail15normal_iteratorINS8_10device_ptrIjEEEEPffNS8_4plusIfEEEE10hipError_tPvRmT1_T2_T3_mT4_P12ihipStream_tbEUlT_E1_NS1_11comp_targetILNS1_3genE8ELNS1_11target_archE1030ELNS1_3gpuE2ELNS1_3repE0EEENS1_30default_config_static_selectorELNS0_4arch9wavefront6targetE1EEEvSK_.has_dyn_sized_stack, 0
	.set _ZN7rocprim17ROCPRIM_400000_NS6detail17trampoline_kernelINS0_14default_configENS1_22reduce_config_selectorIjEEZNS1_11reduce_implILb1ES3_N6thrust23THRUST_200600_302600_NS6detail15normal_iteratorINS8_10device_ptrIjEEEEPffNS8_4plusIfEEEE10hipError_tPvRmT1_T2_T3_mT4_P12ihipStream_tbEUlT_E1_NS1_11comp_targetILNS1_3genE8ELNS1_11target_archE1030ELNS1_3gpuE2ELNS1_3repE0EEENS1_30default_config_static_selectorELNS0_4arch9wavefront6targetE1EEEvSK_.has_recursion, 0
	.set _ZN7rocprim17ROCPRIM_400000_NS6detail17trampoline_kernelINS0_14default_configENS1_22reduce_config_selectorIjEEZNS1_11reduce_implILb1ES3_N6thrust23THRUST_200600_302600_NS6detail15normal_iteratorINS8_10device_ptrIjEEEEPffNS8_4plusIfEEEE10hipError_tPvRmT1_T2_T3_mT4_P12ihipStream_tbEUlT_E1_NS1_11comp_targetILNS1_3genE8ELNS1_11target_archE1030ELNS1_3gpuE2ELNS1_3repE0EEENS1_30default_config_static_selectorELNS0_4arch9wavefront6targetE1EEEvSK_.has_indirect_call, 0
	.section	.AMDGPU.csdata,"",@progbits
; Kernel info:
; codeLenInByte = 0
; TotalNumSgprs: 6
; NumVgprs: 0
; NumAgprs: 0
; TotalNumVgprs: 0
; ScratchSize: 0
; MemoryBound: 0
; FloatMode: 240
; IeeeMode: 1
; LDSByteSize: 0 bytes/workgroup (compile time only)
; SGPRBlocks: 0
; VGPRBlocks: 0
; NumSGPRsForWavesPerEU: 6
; NumVGPRsForWavesPerEU: 1
; AccumOffset: 4
; Occupancy: 8
; WaveLimiterHint : 0
; COMPUTE_PGM_RSRC2:SCRATCH_EN: 0
; COMPUTE_PGM_RSRC2:USER_SGPR: 2
; COMPUTE_PGM_RSRC2:TRAP_HANDLER: 0
; COMPUTE_PGM_RSRC2:TGID_X_EN: 1
; COMPUTE_PGM_RSRC2:TGID_Y_EN: 0
; COMPUTE_PGM_RSRC2:TGID_Z_EN: 0
; COMPUTE_PGM_RSRC2:TIDIG_COMP_CNT: 0
; COMPUTE_PGM_RSRC3_GFX90A:ACCUM_OFFSET: 0
; COMPUTE_PGM_RSRC3_GFX90A:TG_SPLIT: 0
	.section	.text._ZN7rocprim17ROCPRIM_400000_NS6detail17trampoline_kernelINS0_14default_configENS1_22reduce_config_selectorItEEZNS1_11reduce_implILb1ES3_N6thrust23THRUST_200600_302600_NS6detail15normal_iteratorINS8_10device_ptrItEEEEPiiNS8_4plusIiEEEE10hipError_tPvRmT1_T2_T3_mT4_P12ihipStream_tbEUlT_E0_NS1_11comp_targetILNS1_3genE0ELNS1_11target_archE4294967295ELNS1_3gpuE0ELNS1_3repE0EEENS1_30default_config_static_selectorELNS0_4arch9wavefront6targetE1EEEvSK_,"axG",@progbits,_ZN7rocprim17ROCPRIM_400000_NS6detail17trampoline_kernelINS0_14default_configENS1_22reduce_config_selectorItEEZNS1_11reduce_implILb1ES3_N6thrust23THRUST_200600_302600_NS6detail15normal_iteratorINS8_10device_ptrItEEEEPiiNS8_4plusIiEEEE10hipError_tPvRmT1_T2_T3_mT4_P12ihipStream_tbEUlT_E0_NS1_11comp_targetILNS1_3genE0ELNS1_11target_archE4294967295ELNS1_3gpuE0ELNS1_3repE0EEENS1_30default_config_static_selectorELNS0_4arch9wavefront6targetE1EEEvSK_,comdat
	.protected	_ZN7rocprim17ROCPRIM_400000_NS6detail17trampoline_kernelINS0_14default_configENS1_22reduce_config_selectorItEEZNS1_11reduce_implILb1ES3_N6thrust23THRUST_200600_302600_NS6detail15normal_iteratorINS8_10device_ptrItEEEEPiiNS8_4plusIiEEEE10hipError_tPvRmT1_T2_T3_mT4_P12ihipStream_tbEUlT_E0_NS1_11comp_targetILNS1_3genE0ELNS1_11target_archE4294967295ELNS1_3gpuE0ELNS1_3repE0EEENS1_30default_config_static_selectorELNS0_4arch9wavefront6targetE1EEEvSK_ ; -- Begin function _ZN7rocprim17ROCPRIM_400000_NS6detail17trampoline_kernelINS0_14default_configENS1_22reduce_config_selectorItEEZNS1_11reduce_implILb1ES3_N6thrust23THRUST_200600_302600_NS6detail15normal_iteratorINS8_10device_ptrItEEEEPiiNS8_4plusIiEEEE10hipError_tPvRmT1_T2_T3_mT4_P12ihipStream_tbEUlT_E0_NS1_11comp_targetILNS1_3genE0ELNS1_11target_archE4294967295ELNS1_3gpuE0ELNS1_3repE0EEENS1_30default_config_static_selectorELNS0_4arch9wavefront6targetE1EEEvSK_
	.globl	_ZN7rocprim17ROCPRIM_400000_NS6detail17trampoline_kernelINS0_14default_configENS1_22reduce_config_selectorItEEZNS1_11reduce_implILb1ES3_N6thrust23THRUST_200600_302600_NS6detail15normal_iteratorINS8_10device_ptrItEEEEPiiNS8_4plusIiEEEE10hipError_tPvRmT1_T2_T3_mT4_P12ihipStream_tbEUlT_E0_NS1_11comp_targetILNS1_3genE0ELNS1_11target_archE4294967295ELNS1_3gpuE0ELNS1_3repE0EEENS1_30default_config_static_selectorELNS0_4arch9wavefront6targetE1EEEvSK_
	.p2align	8
	.type	_ZN7rocprim17ROCPRIM_400000_NS6detail17trampoline_kernelINS0_14default_configENS1_22reduce_config_selectorItEEZNS1_11reduce_implILb1ES3_N6thrust23THRUST_200600_302600_NS6detail15normal_iteratorINS8_10device_ptrItEEEEPiiNS8_4plusIiEEEE10hipError_tPvRmT1_T2_T3_mT4_P12ihipStream_tbEUlT_E0_NS1_11comp_targetILNS1_3genE0ELNS1_11target_archE4294967295ELNS1_3gpuE0ELNS1_3repE0EEENS1_30default_config_static_selectorELNS0_4arch9wavefront6targetE1EEEvSK_,@function
_ZN7rocprim17ROCPRIM_400000_NS6detail17trampoline_kernelINS0_14default_configENS1_22reduce_config_selectorItEEZNS1_11reduce_implILb1ES3_N6thrust23THRUST_200600_302600_NS6detail15normal_iteratorINS8_10device_ptrItEEEEPiiNS8_4plusIiEEEE10hipError_tPvRmT1_T2_T3_mT4_P12ihipStream_tbEUlT_E0_NS1_11comp_targetILNS1_3genE0ELNS1_11target_archE4294967295ELNS1_3gpuE0ELNS1_3repE0EEENS1_30default_config_static_selectorELNS0_4arch9wavefront6targetE1EEEvSK_: ; @_ZN7rocprim17ROCPRIM_400000_NS6detail17trampoline_kernelINS0_14default_configENS1_22reduce_config_selectorItEEZNS1_11reduce_implILb1ES3_N6thrust23THRUST_200600_302600_NS6detail15normal_iteratorINS8_10device_ptrItEEEEPiiNS8_4plusIiEEEE10hipError_tPvRmT1_T2_T3_mT4_P12ihipStream_tbEUlT_E0_NS1_11comp_targetILNS1_3genE0ELNS1_11target_archE4294967295ELNS1_3gpuE0ELNS1_3repE0EEENS1_30default_config_static_selectorELNS0_4arch9wavefront6targetE1EEEvSK_
; %bb.0:
	s_load_dwordx8 s[12:19], s[0:1], 0x0
	s_load_dwordx4 s[20:23], s[0:1], 0x20
	v_lshlrev_b32_e32 v10, 1, v0
	v_mbcnt_lo_u32_b32 v1, -1, 0
	s_waitcnt lgkmcnt(0)
	s_lshl_b64 s[4:5], s[14:15], 1
	s_add_u32 s10, s12, s4
	s_addc_u32 s11, s13, s5
	s_lshl_b32 s4, s2, 10
	s_mov_b32 s5, 0
	s_lshr_b64 s[6:7], s[16:17], 10
	s_lshl_b64 s[8:9], s[4:5], 1
	s_add_u32 s14, s10, s8
	s_mov_b32 s3, s5
	s_addc_u32 s15, s11, s9
	s_cmp_lg_u64 s[6:7], s[2:3]
	s_cbranch_scc0 .LBB423_6
; %bb.1:
	v_mov_b32_e32 v11, 0
	v_lshl_add_u64 v[2:3], s[14:15], 0, v[10:11]
	flat_load_ushort v5, v[2:3]
	flat_load_ushort v6, v[2:3] offset:256
	flat_load_ushort v7, v[2:3] offset:512
	;; [unrolled: 1-line block ×7, first 2 shown]
	v_mbcnt_hi_u32_b32 v3, -1, v1
	v_lshlrev_b32_e32 v4, 2, v3
	v_cmp_eq_u32_e32 vcc, 0, v3
	s_waitcnt vmcnt(0) lgkmcnt(0)
	v_add_u32_e32 v2, v6, v5
	v_or_b32_e32 v5, 0xfc, v4
	v_add3_u32 v2, v2, v7, v8
	v_add3_u32 v2, v2, v9, v11
	v_add3_u32 v2, v2, v12, v13
	s_nop 1
	v_add_u32_dpp v2, v2, v2 quad_perm:[1,0,3,2] row_mask:0xf bank_mask:0xf bound_ctrl:1
	s_nop 1
	v_add_u32_dpp v2, v2, v2 quad_perm:[2,3,0,1] row_mask:0xf bank_mask:0xf bound_ctrl:1
	s_nop 1
	v_add_u32_dpp v2, v2, v2 row_ror:4 row_mask:0xf bank_mask:0xf bound_ctrl:1
	s_nop 1
	v_add_u32_dpp v2, v2, v2 row_ror:8 row_mask:0xf bank_mask:0xf bound_ctrl:1
	s_nop 1
	v_add_u32_dpp v2, v2, v2 row_bcast:15 row_mask:0xf bank_mask:0xf bound_ctrl:1
	s_nop 1
	v_add_u32_dpp v2, v2, v2 row_bcast:31 row_mask:0xf bank_mask:0xf bound_ctrl:1
	ds_bpermute_b32 v2, v5, v2
	s_and_saveexec_b64 s[6:7], vcc
	s_cbranch_execz .LBB423_3
; %bb.2:
	v_lshrrev_b32_e32 v5, 4, v0
	v_and_b32_e32 v5, 4, v5
	s_waitcnt lgkmcnt(0)
	ds_write_b32 v5, v2
.LBB423_3:
	s_or_b64 exec, exec, s[6:7]
	v_cmp_gt_u32_e32 vcc, 64, v0
	s_waitcnt lgkmcnt(0)
	s_barrier
	s_and_saveexec_b64 s[6:7], vcc
	s_cbranch_execz .LBB423_5
; %bb.4:
	v_and_b32_e32 v2, 1, v3
	v_lshlrev_b32_e32 v2, 2, v2
	ds_read_b32 v2, v2
	v_or_b32_e32 v3, 4, v4
	s_waitcnt lgkmcnt(0)
	ds_bpermute_b32 v3, v3, v2
	s_waitcnt lgkmcnt(0)
	v_add_u32_e32 v2, v3, v2
.LBB423_5:
	s_or_b64 exec, exec, s[6:7]
	s_load_dword s26, s[0:1], 0x30
	s_branch .LBB423_28
.LBB423_6:
                                        ; implicit-def: $vgpr2
	s_load_dword s26, s[0:1], 0x30
	s_cbranch_execz .LBB423_28
; %bb.7:
	s_sub_i32 s27, s16, s4
	v_mov_b32_e32 v2, 0
	v_cmp_gt_u32_e32 vcc, s27, v0
	v_mov_b32_e32 v3, v2
	v_mov_b32_e32 v4, v2
	;; [unrolled: 1-line block ×7, first 2 shown]
	s_and_saveexec_b64 s[0:1], vcc
	s_cbranch_execz .LBB423_9
; %bb.8:
	v_mov_b32_e32 v11, v2
	v_lshl_add_u64 v[4:5], s[14:15], 0, v[10:11]
	flat_load_ushort v3, v[4:5]
	v_mov_b32_e32 v13, v2
	v_mov_b32_e32 v14, v2
	;; [unrolled: 1-line block ×7, first 2 shown]
	s_waitcnt vmcnt(0) lgkmcnt(0)
	v_and_b32_e32 v12, 0xffff, v3
	v_mov_b64_e32 v[2:3], v[12:13]
	v_mov_b64_e32 v[4:5], v[14:15]
	;; [unrolled: 1-line block ×4, first 2 shown]
.LBB423_9:
	s_or_b64 exec, exec, s[0:1]
	v_or_b32_e32 v11, 0x80, v0
	v_cmp_gt_u32_e32 vcc, s27, v11
	s_and_saveexec_b64 s[0:1], vcc
	s_cbranch_execz .LBB423_11
; %bb.10:
	v_mov_b32_e32 v11, 0
	v_lshl_add_u64 v[12:13], s[14:15], 0, v[10:11]
	flat_load_ushort v3, v[12:13] offset:256
.LBB423_11:
	s_or_b64 exec, exec, s[0:1]
	v_or_b32_e32 v11, 0x100, v0
	v_cmp_gt_u32_e64 s[0:1], s27, v11
	s_and_saveexec_b64 s[4:5], s[0:1]
	s_cbranch_execz .LBB423_13
; %bb.12:
	v_mov_b32_e32 v11, 0
	v_lshl_add_u64 v[12:13], s[14:15], 0, v[10:11]
	flat_load_ushort v4, v[12:13] offset:512
.LBB423_13:
	s_or_b64 exec, exec, s[4:5]
	v_or_b32_e32 v11, 0x180, v0
	v_cmp_gt_u32_e64 s[4:5], s27, v11
	s_and_saveexec_b64 s[6:7], s[4:5]
	s_cbranch_execz .LBB423_15
; %bb.14:
	v_mov_b32_e32 v11, 0
	v_lshl_add_u64 v[12:13], s[14:15], 0, v[10:11]
	flat_load_ushort v5, v[12:13] offset:768
.LBB423_15:
	s_or_b64 exec, exec, s[6:7]
	v_or_b32_e32 v11, 0x200, v0
	v_cmp_gt_u32_e64 s[6:7], s27, v11
	s_and_saveexec_b64 s[8:9], s[6:7]
	s_cbranch_execz .LBB423_17
; %bb.16:
	v_mov_b32_e32 v11, 0
	v_lshl_add_u64 v[12:13], s[14:15], 0, v[10:11]
	flat_load_ushort v6, v[12:13] offset:1024
.LBB423_17:
	s_or_b64 exec, exec, s[8:9]
	v_or_b32_e32 v11, 0x280, v0
	v_cmp_gt_u32_e64 s[8:9], s27, v11
	s_and_saveexec_b64 s[10:11], s[8:9]
	s_cbranch_execz .LBB423_19
; %bb.18:
	v_mov_b32_e32 v11, 0
	v_lshl_add_u64 v[12:13], s[14:15], 0, v[10:11]
	flat_load_ushort v7, v[12:13] offset:1280
.LBB423_19:
	s_or_b64 exec, exec, s[10:11]
	v_or_b32_e32 v11, 0x300, v0
	v_cmp_gt_u32_e64 s[10:11], s27, v11
	s_and_saveexec_b64 s[12:13], s[10:11]
	s_cbranch_execz .LBB423_21
; %bb.20:
	v_mov_b32_e32 v11, 0
	v_lshl_add_u64 v[12:13], s[14:15], 0, v[10:11]
	flat_load_ushort v8, v[12:13] offset:1536
.LBB423_21:
	s_or_b64 exec, exec, s[12:13]
	v_or_b32_e32 v11, 0x380, v0
	v_cmp_gt_u32_e64 s[12:13], s27, v11
	s_and_saveexec_b64 s[24:25], s[12:13]
	s_cbranch_execz .LBB423_23
; %bb.22:
	v_mov_b32_e32 v11, 0
	v_lshl_add_u64 v[10:11], s[14:15], 0, v[10:11]
	flat_load_ushort v9, v[10:11] offset:1792
.LBB423_23:
	s_or_b64 exec, exec, s[24:25]
	s_waitcnt vmcnt(0) lgkmcnt(0)
	v_cndmask_b32_e32 v3, 0, v3, vcc
	v_add_u32_e32 v2, v3, v2
	v_cndmask_b32_e64 v3, 0, v4, s[0:1]
	v_cndmask_b32_e64 v4, 0, v5, s[4:5]
	v_add3_u32 v2, v2, v3, v4
	v_cndmask_b32_e64 v3, 0, v6, s[6:7]
	v_cndmask_b32_e64 v4, 0, v7, s[8:9]
	v_add3_u32 v2, v2, v3, v4
	v_cndmask_b32_e64 v3, 0, v8, s[10:11]
	v_cndmask_b32_e64 v4, 0, v9, s[12:13]
	v_mbcnt_hi_u32_b32 v1, -1, v1
	v_add3_u32 v2, v2, v3, v4
	v_and_b32_e32 v4, 63, v1
	v_cmp_ne_u32_e32 vcc, 63, v4
	s_min_u32 s4, s27, 0x80
	v_and_b32_e32 v5, 64, v0
	v_addc_co_u32_e32 v3, vcc, 0, v1, vcc
	v_lshlrev_b32_e32 v3, 2, v3
	ds_bpermute_b32 v3, v3, v2
	v_sub_u32_e64 v5, s4, v5 clamp
	v_add_u32_e32 v6, 1, v4
	v_cmp_lt_u32_e32 vcc, v6, v5
	v_add_u32_e32 v6, 2, v4
	s_waitcnt lgkmcnt(0)
	v_cndmask_b32_e32 v3, 0, v3, vcc
	v_cmp_gt_u32_e32 vcc, 62, v4
	v_add_u32_e32 v2, v2, v3
	s_nop 0
	v_cndmask_b32_e64 v3, 0, 2, vcc
	v_add_lshl_u32 v3, v3, v1, 2
	ds_bpermute_b32 v3, v3, v2
	v_cmp_lt_u32_e32 vcc, v6, v5
	v_add_u32_e32 v6, 4, v4
	s_waitcnt lgkmcnt(0)
	v_cndmask_b32_e32 v3, 0, v3, vcc
	v_cmp_gt_u32_e32 vcc, 60, v4
	v_add_u32_e32 v2, v2, v3
	s_nop 0
	v_cndmask_b32_e64 v3, 0, 4, vcc
	v_add_lshl_u32 v3, v3, v1, 2
	ds_bpermute_b32 v3, v3, v2
	;; [unrolled: 10-line block ×3, first 2 shown]
	v_cmp_lt_u32_e32 vcc, v6, v5
	v_add_u32_e32 v6, 16, v4
	s_waitcnt lgkmcnt(0)
	v_cndmask_b32_e32 v3, 0, v3, vcc
	v_cmp_gt_u32_e32 vcc, 48, v4
	v_add_u32_e32 v2, v2, v3
	v_add_u32_e32 v4, 32, v4
	v_cndmask_b32_e64 v3, 0, 16, vcc
	v_add_lshl_u32 v3, v3, v1, 2
	ds_bpermute_b32 v3, v3, v2
	v_cmp_lt_u32_e32 vcc, v6, v5
	s_waitcnt lgkmcnt(0)
	s_nop 0
	v_cndmask_b32_e32 v3, 0, v3, vcc
	v_add_u32_e32 v2, v2, v3
	v_lshlrev_b32_e32 v3, 2, v1
	v_or_b32_e32 v6, 0x80, v3
	ds_bpermute_b32 v6, v6, v2
	v_cmp_lt_u32_e32 vcc, v4, v5
	s_waitcnt lgkmcnt(0)
	s_nop 0
	v_cndmask_b32_e32 v4, 0, v6, vcc
	v_add_u32_e32 v2, v2, v4
	v_cmp_eq_u32_e32 vcc, 0, v1
	s_and_saveexec_b64 s[0:1], vcc
; %bb.24:
	v_lshrrev_b32_e32 v4, 4, v0
	v_and_b32_e32 v4, 4, v4
	ds_write_b32 v4, v2 offset:8
; %bb.25:
	s_or_b64 exec, exec, s[0:1]
	v_cmp_gt_u32_e32 vcc, 2, v0
	s_waitcnt lgkmcnt(0)
	s_barrier
	s_and_saveexec_b64 s[0:1], vcc
	s_cbranch_execz .LBB423_27
; %bb.26:
	ds_read_b32 v2, v3 offset:8
	v_or_b32_e32 v3, 4, v3
	v_and_b32_e32 v1, 1, v1
	s_add_i32 s4, s4, 63
	v_add_u32_e32 v1, 1, v1
	s_waitcnt lgkmcnt(0)
	ds_bpermute_b32 v3, v3, v2
	s_lshr_b32 s4, s4, 6
	v_cmp_gt_u32_e32 vcc, s4, v1
	s_waitcnt lgkmcnt(0)
	s_nop 0
	v_cndmask_b32_e32 v1, 0, v3, vcc
	v_add_u32_e32 v2, v1, v2
.LBB423_27:
	s_or_b64 exec, exec, s[0:1]
.LBB423_28:
	v_cmp_eq_u32_e32 vcc, 0, v0
	s_and_saveexec_b64 s[0:1], vcc
	s_cbranch_execnz .LBB423_30
; %bb.29:
	s_endpgm
.LBB423_30:
	s_mul_i32 s0, s22, s21
	s_mul_hi_u32 s1, s22, s20
	s_add_i32 s0, s1, s0
	s_mul_i32 s1, s23, s20
	s_add_i32 s1, s0, s1
	s_mul_i32 s0, s22, s20
	s_lshl_b64 s[0:1], s[0:1], 2
	s_add_u32 s4, s18, s0
	s_addc_u32 s5, s19, s1
	s_cmp_eq_u64 s[16:17], 0
	s_cselect_b64 vcc, -1, 0
	s_lshl_b64 s[0:1], s[2:3], 2
	s_waitcnt lgkmcnt(0)
	v_mov_b32_e32 v0, s26
	s_add_u32 s0, s4, s0
	v_cndmask_b32_e32 v0, v2, v0, vcc
	s_addc_u32 s1, s5, s1
	v_mov_b32_e32 v1, 0
	global_store_dword v1, v0, s[0:1]
	s_endpgm
	.section	.rodata,"a",@progbits
	.p2align	6, 0x0
	.amdhsa_kernel _ZN7rocprim17ROCPRIM_400000_NS6detail17trampoline_kernelINS0_14default_configENS1_22reduce_config_selectorItEEZNS1_11reduce_implILb1ES3_N6thrust23THRUST_200600_302600_NS6detail15normal_iteratorINS8_10device_ptrItEEEEPiiNS8_4plusIiEEEE10hipError_tPvRmT1_T2_T3_mT4_P12ihipStream_tbEUlT_E0_NS1_11comp_targetILNS1_3genE0ELNS1_11target_archE4294967295ELNS1_3gpuE0ELNS1_3repE0EEENS1_30default_config_static_selectorELNS0_4arch9wavefront6targetE1EEEvSK_
		.amdhsa_group_segment_fixed_size 16
		.amdhsa_private_segment_fixed_size 0
		.amdhsa_kernarg_size 56
		.amdhsa_user_sgpr_count 2
		.amdhsa_user_sgpr_dispatch_ptr 0
		.amdhsa_user_sgpr_queue_ptr 0
		.amdhsa_user_sgpr_kernarg_segment_ptr 1
		.amdhsa_user_sgpr_dispatch_id 0
		.amdhsa_user_sgpr_kernarg_preload_length 0
		.amdhsa_user_sgpr_kernarg_preload_offset 0
		.amdhsa_user_sgpr_private_segment_size 0
		.amdhsa_uses_dynamic_stack 0
		.amdhsa_enable_private_segment 0
		.amdhsa_system_sgpr_workgroup_id_x 1
		.amdhsa_system_sgpr_workgroup_id_y 0
		.amdhsa_system_sgpr_workgroup_id_z 0
		.amdhsa_system_sgpr_workgroup_info 0
		.amdhsa_system_vgpr_workitem_id 0
		.amdhsa_next_free_vgpr 20
		.amdhsa_next_free_sgpr 28
		.amdhsa_accum_offset 20
		.amdhsa_reserve_vcc 1
		.amdhsa_float_round_mode_32 0
		.amdhsa_float_round_mode_16_64 0
		.amdhsa_float_denorm_mode_32 3
		.amdhsa_float_denorm_mode_16_64 3
		.amdhsa_dx10_clamp 1
		.amdhsa_ieee_mode 1
		.amdhsa_fp16_overflow 0
		.amdhsa_tg_split 0
		.amdhsa_exception_fp_ieee_invalid_op 0
		.amdhsa_exception_fp_denorm_src 0
		.amdhsa_exception_fp_ieee_div_zero 0
		.amdhsa_exception_fp_ieee_overflow 0
		.amdhsa_exception_fp_ieee_underflow 0
		.amdhsa_exception_fp_ieee_inexact 0
		.amdhsa_exception_int_div_zero 0
	.end_amdhsa_kernel
	.section	.text._ZN7rocprim17ROCPRIM_400000_NS6detail17trampoline_kernelINS0_14default_configENS1_22reduce_config_selectorItEEZNS1_11reduce_implILb1ES3_N6thrust23THRUST_200600_302600_NS6detail15normal_iteratorINS8_10device_ptrItEEEEPiiNS8_4plusIiEEEE10hipError_tPvRmT1_T2_T3_mT4_P12ihipStream_tbEUlT_E0_NS1_11comp_targetILNS1_3genE0ELNS1_11target_archE4294967295ELNS1_3gpuE0ELNS1_3repE0EEENS1_30default_config_static_selectorELNS0_4arch9wavefront6targetE1EEEvSK_,"axG",@progbits,_ZN7rocprim17ROCPRIM_400000_NS6detail17trampoline_kernelINS0_14default_configENS1_22reduce_config_selectorItEEZNS1_11reduce_implILb1ES3_N6thrust23THRUST_200600_302600_NS6detail15normal_iteratorINS8_10device_ptrItEEEEPiiNS8_4plusIiEEEE10hipError_tPvRmT1_T2_T3_mT4_P12ihipStream_tbEUlT_E0_NS1_11comp_targetILNS1_3genE0ELNS1_11target_archE4294967295ELNS1_3gpuE0ELNS1_3repE0EEENS1_30default_config_static_selectorELNS0_4arch9wavefront6targetE1EEEvSK_,comdat
.Lfunc_end423:
	.size	_ZN7rocprim17ROCPRIM_400000_NS6detail17trampoline_kernelINS0_14default_configENS1_22reduce_config_selectorItEEZNS1_11reduce_implILb1ES3_N6thrust23THRUST_200600_302600_NS6detail15normal_iteratorINS8_10device_ptrItEEEEPiiNS8_4plusIiEEEE10hipError_tPvRmT1_T2_T3_mT4_P12ihipStream_tbEUlT_E0_NS1_11comp_targetILNS1_3genE0ELNS1_11target_archE4294967295ELNS1_3gpuE0ELNS1_3repE0EEENS1_30default_config_static_selectorELNS0_4arch9wavefront6targetE1EEEvSK_, .Lfunc_end423-_ZN7rocprim17ROCPRIM_400000_NS6detail17trampoline_kernelINS0_14default_configENS1_22reduce_config_selectorItEEZNS1_11reduce_implILb1ES3_N6thrust23THRUST_200600_302600_NS6detail15normal_iteratorINS8_10device_ptrItEEEEPiiNS8_4plusIiEEEE10hipError_tPvRmT1_T2_T3_mT4_P12ihipStream_tbEUlT_E0_NS1_11comp_targetILNS1_3genE0ELNS1_11target_archE4294967295ELNS1_3gpuE0ELNS1_3repE0EEENS1_30default_config_static_selectorELNS0_4arch9wavefront6targetE1EEEvSK_
                                        ; -- End function
	.set _ZN7rocprim17ROCPRIM_400000_NS6detail17trampoline_kernelINS0_14default_configENS1_22reduce_config_selectorItEEZNS1_11reduce_implILb1ES3_N6thrust23THRUST_200600_302600_NS6detail15normal_iteratorINS8_10device_ptrItEEEEPiiNS8_4plusIiEEEE10hipError_tPvRmT1_T2_T3_mT4_P12ihipStream_tbEUlT_E0_NS1_11comp_targetILNS1_3genE0ELNS1_11target_archE4294967295ELNS1_3gpuE0ELNS1_3repE0EEENS1_30default_config_static_selectorELNS0_4arch9wavefront6targetE1EEEvSK_.num_vgpr, 20
	.set _ZN7rocprim17ROCPRIM_400000_NS6detail17trampoline_kernelINS0_14default_configENS1_22reduce_config_selectorItEEZNS1_11reduce_implILb1ES3_N6thrust23THRUST_200600_302600_NS6detail15normal_iteratorINS8_10device_ptrItEEEEPiiNS8_4plusIiEEEE10hipError_tPvRmT1_T2_T3_mT4_P12ihipStream_tbEUlT_E0_NS1_11comp_targetILNS1_3genE0ELNS1_11target_archE4294967295ELNS1_3gpuE0ELNS1_3repE0EEENS1_30default_config_static_selectorELNS0_4arch9wavefront6targetE1EEEvSK_.num_agpr, 0
	.set _ZN7rocprim17ROCPRIM_400000_NS6detail17trampoline_kernelINS0_14default_configENS1_22reduce_config_selectorItEEZNS1_11reduce_implILb1ES3_N6thrust23THRUST_200600_302600_NS6detail15normal_iteratorINS8_10device_ptrItEEEEPiiNS8_4plusIiEEEE10hipError_tPvRmT1_T2_T3_mT4_P12ihipStream_tbEUlT_E0_NS1_11comp_targetILNS1_3genE0ELNS1_11target_archE4294967295ELNS1_3gpuE0ELNS1_3repE0EEENS1_30default_config_static_selectorELNS0_4arch9wavefront6targetE1EEEvSK_.numbered_sgpr, 28
	.set _ZN7rocprim17ROCPRIM_400000_NS6detail17trampoline_kernelINS0_14default_configENS1_22reduce_config_selectorItEEZNS1_11reduce_implILb1ES3_N6thrust23THRUST_200600_302600_NS6detail15normal_iteratorINS8_10device_ptrItEEEEPiiNS8_4plusIiEEEE10hipError_tPvRmT1_T2_T3_mT4_P12ihipStream_tbEUlT_E0_NS1_11comp_targetILNS1_3genE0ELNS1_11target_archE4294967295ELNS1_3gpuE0ELNS1_3repE0EEENS1_30default_config_static_selectorELNS0_4arch9wavefront6targetE1EEEvSK_.num_named_barrier, 0
	.set _ZN7rocprim17ROCPRIM_400000_NS6detail17trampoline_kernelINS0_14default_configENS1_22reduce_config_selectorItEEZNS1_11reduce_implILb1ES3_N6thrust23THRUST_200600_302600_NS6detail15normal_iteratorINS8_10device_ptrItEEEEPiiNS8_4plusIiEEEE10hipError_tPvRmT1_T2_T3_mT4_P12ihipStream_tbEUlT_E0_NS1_11comp_targetILNS1_3genE0ELNS1_11target_archE4294967295ELNS1_3gpuE0ELNS1_3repE0EEENS1_30default_config_static_selectorELNS0_4arch9wavefront6targetE1EEEvSK_.private_seg_size, 0
	.set _ZN7rocprim17ROCPRIM_400000_NS6detail17trampoline_kernelINS0_14default_configENS1_22reduce_config_selectorItEEZNS1_11reduce_implILb1ES3_N6thrust23THRUST_200600_302600_NS6detail15normal_iteratorINS8_10device_ptrItEEEEPiiNS8_4plusIiEEEE10hipError_tPvRmT1_T2_T3_mT4_P12ihipStream_tbEUlT_E0_NS1_11comp_targetILNS1_3genE0ELNS1_11target_archE4294967295ELNS1_3gpuE0ELNS1_3repE0EEENS1_30default_config_static_selectorELNS0_4arch9wavefront6targetE1EEEvSK_.uses_vcc, 1
	.set _ZN7rocprim17ROCPRIM_400000_NS6detail17trampoline_kernelINS0_14default_configENS1_22reduce_config_selectorItEEZNS1_11reduce_implILb1ES3_N6thrust23THRUST_200600_302600_NS6detail15normal_iteratorINS8_10device_ptrItEEEEPiiNS8_4plusIiEEEE10hipError_tPvRmT1_T2_T3_mT4_P12ihipStream_tbEUlT_E0_NS1_11comp_targetILNS1_3genE0ELNS1_11target_archE4294967295ELNS1_3gpuE0ELNS1_3repE0EEENS1_30default_config_static_selectorELNS0_4arch9wavefront6targetE1EEEvSK_.uses_flat_scratch, 0
	.set _ZN7rocprim17ROCPRIM_400000_NS6detail17trampoline_kernelINS0_14default_configENS1_22reduce_config_selectorItEEZNS1_11reduce_implILb1ES3_N6thrust23THRUST_200600_302600_NS6detail15normal_iteratorINS8_10device_ptrItEEEEPiiNS8_4plusIiEEEE10hipError_tPvRmT1_T2_T3_mT4_P12ihipStream_tbEUlT_E0_NS1_11comp_targetILNS1_3genE0ELNS1_11target_archE4294967295ELNS1_3gpuE0ELNS1_3repE0EEENS1_30default_config_static_selectorELNS0_4arch9wavefront6targetE1EEEvSK_.has_dyn_sized_stack, 0
	.set _ZN7rocprim17ROCPRIM_400000_NS6detail17trampoline_kernelINS0_14default_configENS1_22reduce_config_selectorItEEZNS1_11reduce_implILb1ES3_N6thrust23THRUST_200600_302600_NS6detail15normal_iteratorINS8_10device_ptrItEEEEPiiNS8_4plusIiEEEE10hipError_tPvRmT1_T2_T3_mT4_P12ihipStream_tbEUlT_E0_NS1_11comp_targetILNS1_3genE0ELNS1_11target_archE4294967295ELNS1_3gpuE0ELNS1_3repE0EEENS1_30default_config_static_selectorELNS0_4arch9wavefront6targetE1EEEvSK_.has_recursion, 0
	.set _ZN7rocprim17ROCPRIM_400000_NS6detail17trampoline_kernelINS0_14default_configENS1_22reduce_config_selectorItEEZNS1_11reduce_implILb1ES3_N6thrust23THRUST_200600_302600_NS6detail15normal_iteratorINS8_10device_ptrItEEEEPiiNS8_4plusIiEEEE10hipError_tPvRmT1_T2_T3_mT4_P12ihipStream_tbEUlT_E0_NS1_11comp_targetILNS1_3genE0ELNS1_11target_archE4294967295ELNS1_3gpuE0ELNS1_3repE0EEENS1_30default_config_static_selectorELNS0_4arch9wavefront6targetE1EEEvSK_.has_indirect_call, 0
	.section	.AMDGPU.csdata,"",@progbits
; Kernel info:
; codeLenInByte = 1492
; TotalNumSgprs: 34
; NumVgprs: 20
; NumAgprs: 0
; TotalNumVgprs: 20
; ScratchSize: 0
; MemoryBound: 0
; FloatMode: 240
; IeeeMode: 1
; LDSByteSize: 16 bytes/workgroup (compile time only)
; SGPRBlocks: 4
; VGPRBlocks: 2
; NumSGPRsForWavesPerEU: 34
; NumVGPRsForWavesPerEU: 20
; AccumOffset: 20
; Occupancy: 8
; WaveLimiterHint : 1
; COMPUTE_PGM_RSRC2:SCRATCH_EN: 0
; COMPUTE_PGM_RSRC2:USER_SGPR: 2
; COMPUTE_PGM_RSRC2:TRAP_HANDLER: 0
; COMPUTE_PGM_RSRC2:TGID_X_EN: 1
; COMPUTE_PGM_RSRC2:TGID_Y_EN: 0
; COMPUTE_PGM_RSRC2:TGID_Z_EN: 0
; COMPUTE_PGM_RSRC2:TIDIG_COMP_CNT: 0
; COMPUTE_PGM_RSRC3_GFX90A:ACCUM_OFFSET: 4
; COMPUTE_PGM_RSRC3_GFX90A:TG_SPLIT: 0
	.section	.text._ZN7rocprim17ROCPRIM_400000_NS6detail17trampoline_kernelINS0_14default_configENS1_22reduce_config_selectorItEEZNS1_11reduce_implILb1ES3_N6thrust23THRUST_200600_302600_NS6detail15normal_iteratorINS8_10device_ptrItEEEEPiiNS8_4plusIiEEEE10hipError_tPvRmT1_T2_T3_mT4_P12ihipStream_tbEUlT_E0_NS1_11comp_targetILNS1_3genE5ELNS1_11target_archE942ELNS1_3gpuE9ELNS1_3repE0EEENS1_30default_config_static_selectorELNS0_4arch9wavefront6targetE1EEEvSK_,"axG",@progbits,_ZN7rocprim17ROCPRIM_400000_NS6detail17trampoline_kernelINS0_14default_configENS1_22reduce_config_selectorItEEZNS1_11reduce_implILb1ES3_N6thrust23THRUST_200600_302600_NS6detail15normal_iteratorINS8_10device_ptrItEEEEPiiNS8_4plusIiEEEE10hipError_tPvRmT1_T2_T3_mT4_P12ihipStream_tbEUlT_E0_NS1_11comp_targetILNS1_3genE5ELNS1_11target_archE942ELNS1_3gpuE9ELNS1_3repE0EEENS1_30default_config_static_selectorELNS0_4arch9wavefront6targetE1EEEvSK_,comdat
	.protected	_ZN7rocprim17ROCPRIM_400000_NS6detail17trampoline_kernelINS0_14default_configENS1_22reduce_config_selectorItEEZNS1_11reduce_implILb1ES3_N6thrust23THRUST_200600_302600_NS6detail15normal_iteratorINS8_10device_ptrItEEEEPiiNS8_4plusIiEEEE10hipError_tPvRmT1_T2_T3_mT4_P12ihipStream_tbEUlT_E0_NS1_11comp_targetILNS1_3genE5ELNS1_11target_archE942ELNS1_3gpuE9ELNS1_3repE0EEENS1_30default_config_static_selectorELNS0_4arch9wavefront6targetE1EEEvSK_ ; -- Begin function _ZN7rocprim17ROCPRIM_400000_NS6detail17trampoline_kernelINS0_14default_configENS1_22reduce_config_selectorItEEZNS1_11reduce_implILb1ES3_N6thrust23THRUST_200600_302600_NS6detail15normal_iteratorINS8_10device_ptrItEEEEPiiNS8_4plusIiEEEE10hipError_tPvRmT1_T2_T3_mT4_P12ihipStream_tbEUlT_E0_NS1_11comp_targetILNS1_3genE5ELNS1_11target_archE942ELNS1_3gpuE9ELNS1_3repE0EEENS1_30default_config_static_selectorELNS0_4arch9wavefront6targetE1EEEvSK_
	.globl	_ZN7rocprim17ROCPRIM_400000_NS6detail17trampoline_kernelINS0_14default_configENS1_22reduce_config_selectorItEEZNS1_11reduce_implILb1ES3_N6thrust23THRUST_200600_302600_NS6detail15normal_iteratorINS8_10device_ptrItEEEEPiiNS8_4plusIiEEEE10hipError_tPvRmT1_T2_T3_mT4_P12ihipStream_tbEUlT_E0_NS1_11comp_targetILNS1_3genE5ELNS1_11target_archE942ELNS1_3gpuE9ELNS1_3repE0EEENS1_30default_config_static_selectorELNS0_4arch9wavefront6targetE1EEEvSK_
	.p2align	8
	.type	_ZN7rocprim17ROCPRIM_400000_NS6detail17trampoline_kernelINS0_14default_configENS1_22reduce_config_selectorItEEZNS1_11reduce_implILb1ES3_N6thrust23THRUST_200600_302600_NS6detail15normal_iteratorINS8_10device_ptrItEEEEPiiNS8_4plusIiEEEE10hipError_tPvRmT1_T2_T3_mT4_P12ihipStream_tbEUlT_E0_NS1_11comp_targetILNS1_3genE5ELNS1_11target_archE942ELNS1_3gpuE9ELNS1_3repE0EEENS1_30default_config_static_selectorELNS0_4arch9wavefront6targetE1EEEvSK_,@function
_ZN7rocprim17ROCPRIM_400000_NS6detail17trampoline_kernelINS0_14default_configENS1_22reduce_config_selectorItEEZNS1_11reduce_implILb1ES3_N6thrust23THRUST_200600_302600_NS6detail15normal_iteratorINS8_10device_ptrItEEEEPiiNS8_4plusIiEEEE10hipError_tPvRmT1_T2_T3_mT4_P12ihipStream_tbEUlT_E0_NS1_11comp_targetILNS1_3genE5ELNS1_11target_archE942ELNS1_3gpuE9ELNS1_3repE0EEENS1_30default_config_static_selectorELNS0_4arch9wavefront6targetE1EEEvSK_: ; @_ZN7rocprim17ROCPRIM_400000_NS6detail17trampoline_kernelINS0_14default_configENS1_22reduce_config_selectorItEEZNS1_11reduce_implILb1ES3_N6thrust23THRUST_200600_302600_NS6detail15normal_iteratorINS8_10device_ptrItEEEEPiiNS8_4plusIiEEEE10hipError_tPvRmT1_T2_T3_mT4_P12ihipStream_tbEUlT_E0_NS1_11comp_targetILNS1_3genE5ELNS1_11target_archE942ELNS1_3gpuE9ELNS1_3repE0EEENS1_30default_config_static_selectorELNS0_4arch9wavefront6targetE1EEEvSK_
; %bb.0:
	.section	.rodata,"a",@progbits
	.p2align	6, 0x0
	.amdhsa_kernel _ZN7rocprim17ROCPRIM_400000_NS6detail17trampoline_kernelINS0_14default_configENS1_22reduce_config_selectorItEEZNS1_11reduce_implILb1ES3_N6thrust23THRUST_200600_302600_NS6detail15normal_iteratorINS8_10device_ptrItEEEEPiiNS8_4plusIiEEEE10hipError_tPvRmT1_T2_T3_mT4_P12ihipStream_tbEUlT_E0_NS1_11comp_targetILNS1_3genE5ELNS1_11target_archE942ELNS1_3gpuE9ELNS1_3repE0EEENS1_30default_config_static_selectorELNS0_4arch9wavefront6targetE1EEEvSK_
		.amdhsa_group_segment_fixed_size 0
		.amdhsa_private_segment_fixed_size 0
		.amdhsa_kernarg_size 56
		.amdhsa_user_sgpr_count 2
		.amdhsa_user_sgpr_dispatch_ptr 0
		.amdhsa_user_sgpr_queue_ptr 0
		.amdhsa_user_sgpr_kernarg_segment_ptr 1
		.amdhsa_user_sgpr_dispatch_id 0
		.amdhsa_user_sgpr_kernarg_preload_length 0
		.amdhsa_user_sgpr_kernarg_preload_offset 0
		.amdhsa_user_sgpr_private_segment_size 0
		.amdhsa_uses_dynamic_stack 0
		.amdhsa_enable_private_segment 0
		.amdhsa_system_sgpr_workgroup_id_x 1
		.amdhsa_system_sgpr_workgroup_id_y 0
		.amdhsa_system_sgpr_workgroup_id_z 0
		.amdhsa_system_sgpr_workgroup_info 0
		.amdhsa_system_vgpr_workitem_id 0
		.amdhsa_next_free_vgpr 1
		.amdhsa_next_free_sgpr 0
		.amdhsa_accum_offset 4
		.amdhsa_reserve_vcc 0
		.amdhsa_float_round_mode_32 0
		.amdhsa_float_round_mode_16_64 0
		.amdhsa_float_denorm_mode_32 3
		.amdhsa_float_denorm_mode_16_64 3
		.amdhsa_dx10_clamp 1
		.amdhsa_ieee_mode 1
		.amdhsa_fp16_overflow 0
		.amdhsa_tg_split 0
		.amdhsa_exception_fp_ieee_invalid_op 0
		.amdhsa_exception_fp_denorm_src 0
		.amdhsa_exception_fp_ieee_div_zero 0
		.amdhsa_exception_fp_ieee_overflow 0
		.amdhsa_exception_fp_ieee_underflow 0
		.amdhsa_exception_fp_ieee_inexact 0
		.amdhsa_exception_int_div_zero 0
	.end_amdhsa_kernel
	.section	.text._ZN7rocprim17ROCPRIM_400000_NS6detail17trampoline_kernelINS0_14default_configENS1_22reduce_config_selectorItEEZNS1_11reduce_implILb1ES3_N6thrust23THRUST_200600_302600_NS6detail15normal_iteratorINS8_10device_ptrItEEEEPiiNS8_4plusIiEEEE10hipError_tPvRmT1_T2_T3_mT4_P12ihipStream_tbEUlT_E0_NS1_11comp_targetILNS1_3genE5ELNS1_11target_archE942ELNS1_3gpuE9ELNS1_3repE0EEENS1_30default_config_static_selectorELNS0_4arch9wavefront6targetE1EEEvSK_,"axG",@progbits,_ZN7rocprim17ROCPRIM_400000_NS6detail17trampoline_kernelINS0_14default_configENS1_22reduce_config_selectorItEEZNS1_11reduce_implILb1ES3_N6thrust23THRUST_200600_302600_NS6detail15normal_iteratorINS8_10device_ptrItEEEEPiiNS8_4plusIiEEEE10hipError_tPvRmT1_T2_T3_mT4_P12ihipStream_tbEUlT_E0_NS1_11comp_targetILNS1_3genE5ELNS1_11target_archE942ELNS1_3gpuE9ELNS1_3repE0EEENS1_30default_config_static_selectorELNS0_4arch9wavefront6targetE1EEEvSK_,comdat
.Lfunc_end424:
	.size	_ZN7rocprim17ROCPRIM_400000_NS6detail17trampoline_kernelINS0_14default_configENS1_22reduce_config_selectorItEEZNS1_11reduce_implILb1ES3_N6thrust23THRUST_200600_302600_NS6detail15normal_iteratorINS8_10device_ptrItEEEEPiiNS8_4plusIiEEEE10hipError_tPvRmT1_T2_T3_mT4_P12ihipStream_tbEUlT_E0_NS1_11comp_targetILNS1_3genE5ELNS1_11target_archE942ELNS1_3gpuE9ELNS1_3repE0EEENS1_30default_config_static_selectorELNS0_4arch9wavefront6targetE1EEEvSK_, .Lfunc_end424-_ZN7rocprim17ROCPRIM_400000_NS6detail17trampoline_kernelINS0_14default_configENS1_22reduce_config_selectorItEEZNS1_11reduce_implILb1ES3_N6thrust23THRUST_200600_302600_NS6detail15normal_iteratorINS8_10device_ptrItEEEEPiiNS8_4plusIiEEEE10hipError_tPvRmT1_T2_T3_mT4_P12ihipStream_tbEUlT_E0_NS1_11comp_targetILNS1_3genE5ELNS1_11target_archE942ELNS1_3gpuE9ELNS1_3repE0EEENS1_30default_config_static_selectorELNS0_4arch9wavefront6targetE1EEEvSK_
                                        ; -- End function
	.set _ZN7rocprim17ROCPRIM_400000_NS6detail17trampoline_kernelINS0_14default_configENS1_22reduce_config_selectorItEEZNS1_11reduce_implILb1ES3_N6thrust23THRUST_200600_302600_NS6detail15normal_iteratorINS8_10device_ptrItEEEEPiiNS8_4plusIiEEEE10hipError_tPvRmT1_T2_T3_mT4_P12ihipStream_tbEUlT_E0_NS1_11comp_targetILNS1_3genE5ELNS1_11target_archE942ELNS1_3gpuE9ELNS1_3repE0EEENS1_30default_config_static_selectorELNS0_4arch9wavefront6targetE1EEEvSK_.num_vgpr, 0
	.set _ZN7rocprim17ROCPRIM_400000_NS6detail17trampoline_kernelINS0_14default_configENS1_22reduce_config_selectorItEEZNS1_11reduce_implILb1ES3_N6thrust23THRUST_200600_302600_NS6detail15normal_iteratorINS8_10device_ptrItEEEEPiiNS8_4plusIiEEEE10hipError_tPvRmT1_T2_T3_mT4_P12ihipStream_tbEUlT_E0_NS1_11comp_targetILNS1_3genE5ELNS1_11target_archE942ELNS1_3gpuE9ELNS1_3repE0EEENS1_30default_config_static_selectorELNS0_4arch9wavefront6targetE1EEEvSK_.num_agpr, 0
	.set _ZN7rocprim17ROCPRIM_400000_NS6detail17trampoline_kernelINS0_14default_configENS1_22reduce_config_selectorItEEZNS1_11reduce_implILb1ES3_N6thrust23THRUST_200600_302600_NS6detail15normal_iteratorINS8_10device_ptrItEEEEPiiNS8_4plusIiEEEE10hipError_tPvRmT1_T2_T3_mT4_P12ihipStream_tbEUlT_E0_NS1_11comp_targetILNS1_3genE5ELNS1_11target_archE942ELNS1_3gpuE9ELNS1_3repE0EEENS1_30default_config_static_selectorELNS0_4arch9wavefront6targetE1EEEvSK_.numbered_sgpr, 0
	.set _ZN7rocprim17ROCPRIM_400000_NS6detail17trampoline_kernelINS0_14default_configENS1_22reduce_config_selectorItEEZNS1_11reduce_implILb1ES3_N6thrust23THRUST_200600_302600_NS6detail15normal_iteratorINS8_10device_ptrItEEEEPiiNS8_4plusIiEEEE10hipError_tPvRmT1_T2_T3_mT4_P12ihipStream_tbEUlT_E0_NS1_11comp_targetILNS1_3genE5ELNS1_11target_archE942ELNS1_3gpuE9ELNS1_3repE0EEENS1_30default_config_static_selectorELNS0_4arch9wavefront6targetE1EEEvSK_.num_named_barrier, 0
	.set _ZN7rocprim17ROCPRIM_400000_NS6detail17trampoline_kernelINS0_14default_configENS1_22reduce_config_selectorItEEZNS1_11reduce_implILb1ES3_N6thrust23THRUST_200600_302600_NS6detail15normal_iteratorINS8_10device_ptrItEEEEPiiNS8_4plusIiEEEE10hipError_tPvRmT1_T2_T3_mT4_P12ihipStream_tbEUlT_E0_NS1_11comp_targetILNS1_3genE5ELNS1_11target_archE942ELNS1_3gpuE9ELNS1_3repE0EEENS1_30default_config_static_selectorELNS0_4arch9wavefront6targetE1EEEvSK_.private_seg_size, 0
	.set _ZN7rocprim17ROCPRIM_400000_NS6detail17trampoline_kernelINS0_14default_configENS1_22reduce_config_selectorItEEZNS1_11reduce_implILb1ES3_N6thrust23THRUST_200600_302600_NS6detail15normal_iteratorINS8_10device_ptrItEEEEPiiNS8_4plusIiEEEE10hipError_tPvRmT1_T2_T3_mT4_P12ihipStream_tbEUlT_E0_NS1_11comp_targetILNS1_3genE5ELNS1_11target_archE942ELNS1_3gpuE9ELNS1_3repE0EEENS1_30default_config_static_selectorELNS0_4arch9wavefront6targetE1EEEvSK_.uses_vcc, 0
	.set _ZN7rocprim17ROCPRIM_400000_NS6detail17trampoline_kernelINS0_14default_configENS1_22reduce_config_selectorItEEZNS1_11reduce_implILb1ES3_N6thrust23THRUST_200600_302600_NS6detail15normal_iteratorINS8_10device_ptrItEEEEPiiNS8_4plusIiEEEE10hipError_tPvRmT1_T2_T3_mT4_P12ihipStream_tbEUlT_E0_NS1_11comp_targetILNS1_3genE5ELNS1_11target_archE942ELNS1_3gpuE9ELNS1_3repE0EEENS1_30default_config_static_selectorELNS0_4arch9wavefront6targetE1EEEvSK_.uses_flat_scratch, 0
	.set _ZN7rocprim17ROCPRIM_400000_NS6detail17trampoline_kernelINS0_14default_configENS1_22reduce_config_selectorItEEZNS1_11reduce_implILb1ES3_N6thrust23THRUST_200600_302600_NS6detail15normal_iteratorINS8_10device_ptrItEEEEPiiNS8_4plusIiEEEE10hipError_tPvRmT1_T2_T3_mT4_P12ihipStream_tbEUlT_E0_NS1_11comp_targetILNS1_3genE5ELNS1_11target_archE942ELNS1_3gpuE9ELNS1_3repE0EEENS1_30default_config_static_selectorELNS0_4arch9wavefront6targetE1EEEvSK_.has_dyn_sized_stack, 0
	.set _ZN7rocprim17ROCPRIM_400000_NS6detail17trampoline_kernelINS0_14default_configENS1_22reduce_config_selectorItEEZNS1_11reduce_implILb1ES3_N6thrust23THRUST_200600_302600_NS6detail15normal_iteratorINS8_10device_ptrItEEEEPiiNS8_4plusIiEEEE10hipError_tPvRmT1_T2_T3_mT4_P12ihipStream_tbEUlT_E0_NS1_11comp_targetILNS1_3genE5ELNS1_11target_archE942ELNS1_3gpuE9ELNS1_3repE0EEENS1_30default_config_static_selectorELNS0_4arch9wavefront6targetE1EEEvSK_.has_recursion, 0
	.set _ZN7rocprim17ROCPRIM_400000_NS6detail17trampoline_kernelINS0_14default_configENS1_22reduce_config_selectorItEEZNS1_11reduce_implILb1ES3_N6thrust23THRUST_200600_302600_NS6detail15normal_iteratorINS8_10device_ptrItEEEEPiiNS8_4plusIiEEEE10hipError_tPvRmT1_T2_T3_mT4_P12ihipStream_tbEUlT_E0_NS1_11comp_targetILNS1_3genE5ELNS1_11target_archE942ELNS1_3gpuE9ELNS1_3repE0EEENS1_30default_config_static_selectorELNS0_4arch9wavefront6targetE1EEEvSK_.has_indirect_call, 0
	.section	.AMDGPU.csdata,"",@progbits
; Kernel info:
; codeLenInByte = 0
; TotalNumSgprs: 6
; NumVgprs: 0
; NumAgprs: 0
; TotalNumVgprs: 0
; ScratchSize: 0
; MemoryBound: 0
; FloatMode: 240
; IeeeMode: 1
; LDSByteSize: 0 bytes/workgroup (compile time only)
; SGPRBlocks: 0
; VGPRBlocks: 0
; NumSGPRsForWavesPerEU: 6
; NumVGPRsForWavesPerEU: 1
; AccumOffset: 4
; Occupancy: 8
; WaveLimiterHint : 0
; COMPUTE_PGM_RSRC2:SCRATCH_EN: 0
; COMPUTE_PGM_RSRC2:USER_SGPR: 2
; COMPUTE_PGM_RSRC2:TRAP_HANDLER: 0
; COMPUTE_PGM_RSRC2:TGID_X_EN: 1
; COMPUTE_PGM_RSRC2:TGID_Y_EN: 0
; COMPUTE_PGM_RSRC2:TGID_Z_EN: 0
; COMPUTE_PGM_RSRC2:TIDIG_COMP_CNT: 0
; COMPUTE_PGM_RSRC3_GFX90A:ACCUM_OFFSET: 0
; COMPUTE_PGM_RSRC3_GFX90A:TG_SPLIT: 0
	.section	.text._ZN7rocprim17ROCPRIM_400000_NS6detail17trampoline_kernelINS0_14default_configENS1_22reduce_config_selectorItEEZNS1_11reduce_implILb1ES3_N6thrust23THRUST_200600_302600_NS6detail15normal_iteratorINS8_10device_ptrItEEEEPiiNS8_4plusIiEEEE10hipError_tPvRmT1_T2_T3_mT4_P12ihipStream_tbEUlT_E0_NS1_11comp_targetILNS1_3genE4ELNS1_11target_archE910ELNS1_3gpuE8ELNS1_3repE0EEENS1_30default_config_static_selectorELNS0_4arch9wavefront6targetE1EEEvSK_,"axG",@progbits,_ZN7rocprim17ROCPRIM_400000_NS6detail17trampoline_kernelINS0_14default_configENS1_22reduce_config_selectorItEEZNS1_11reduce_implILb1ES3_N6thrust23THRUST_200600_302600_NS6detail15normal_iteratorINS8_10device_ptrItEEEEPiiNS8_4plusIiEEEE10hipError_tPvRmT1_T2_T3_mT4_P12ihipStream_tbEUlT_E0_NS1_11comp_targetILNS1_3genE4ELNS1_11target_archE910ELNS1_3gpuE8ELNS1_3repE0EEENS1_30default_config_static_selectorELNS0_4arch9wavefront6targetE1EEEvSK_,comdat
	.protected	_ZN7rocprim17ROCPRIM_400000_NS6detail17trampoline_kernelINS0_14default_configENS1_22reduce_config_selectorItEEZNS1_11reduce_implILb1ES3_N6thrust23THRUST_200600_302600_NS6detail15normal_iteratorINS8_10device_ptrItEEEEPiiNS8_4plusIiEEEE10hipError_tPvRmT1_T2_T3_mT4_P12ihipStream_tbEUlT_E0_NS1_11comp_targetILNS1_3genE4ELNS1_11target_archE910ELNS1_3gpuE8ELNS1_3repE0EEENS1_30default_config_static_selectorELNS0_4arch9wavefront6targetE1EEEvSK_ ; -- Begin function _ZN7rocprim17ROCPRIM_400000_NS6detail17trampoline_kernelINS0_14default_configENS1_22reduce_config_selectorItEEZNS1_11reduce_implILb1ES3_N6thrust23THRUST_200600_302600_NS6detail15normal_iteratorINS8_10device_ptrItEEEEPiiNS8_4plusIiEEEE10hipError_tPvRmT1_T2_T3_mT4_P12ihipStream_tbEUlT_E0_NS1_11comp_targetILNS1_3genE4ELNS1_11target_archE910ELNS1_3gpuE8ELNS1_3repE0EEENS1_30default_config_static_selectorELNS0_4arch9wavefront6targetE1EEEvSK_
	.globl	_ZN7rocprim17ROCPRIM_400000_NS6detail17trampoline_kernelINS0_14default_configENS1_22reduce_config_selectorItEEZNS1_11reduce_implILb1ES3_N6thrust23THRUST_200600_302600_NS6detail15normal_iteratorINS8_10device_ptrItEEEEPiiNS8_4plusIiEEEE10hipError_tPvRmT1_T2_T3_mT4_P12ihipStream_tbEUlT_E0_NS1_11comp_targetILNS1_3genE4ELNS1_11target_archE910ELNS1_3gpuE8ELNS1_3repE0EEENS1_30default_config_static_selectorELNS0_4arch9wavefront6targetE1EEEvSK_
	.p2align	8
	.type	_ZN7rocprim17ROCPRIM_400000_NS6detail17trampoline_kernelINS0_14default_configENS1_22reduce_config_selectorItEEZNS1_11reduce_implILb1ES3_N6thrust23THRUST_200600_302600_NS6detail15normal_iteratorINS8_10device_ptrItEEEEPiiNS8_4plusIiEEEE10hipError_tPvRmT1_T2_T3_mT4_P12ihipStream_tbEUlT_E0_NS1_11comp_targetILNS1_3genE4ELNS1_11target_archE910ELNS1_3gpuE8ELNS1_3repE0EEENS1_30default_config_static_selectorELNS0_4arch9wavefront6targetE1EEEvSK_,@function
_ZN7rocprim17ROCPRIM_400000_NS6detail17trampoline_kernelINS0_14default_configENS1_22reduce_config_selectorItEEZNS1_11reduce_implILb1ES3_N6thrust23THRUST_200600_302600_NS6detail15normal_iteratorINS8_10device_ptrItEEEEPiiNS8_4plusIiEEEE10hipError_tPvRmT1_T2_T3_mT4_P12ihipStream_tbEUlT_E0_NS1_11comp_targetILNS1_3genE4ELNS1_11target_archE910ELNS1_3gpuE8ELNS1_3repE0EEENS1_30default_config_static_selectorELNS0_4arch9wavefront6targetE1EEEvSK_: ; @_ZN7rocprim17ROCPRIM_400000_NS6detail17trampoline_kernelINS0_14default_configENS1_22reduce_config_selectorItEEZNS1_11reduce_implILb1ES3_N6thrust23THRUST_200600_302600_NS6detail15normal_iteratorINS8_10device_ptrItEEEEPiiNS8_4plusIiEEEE10hipError_tPvRmT1_T2_T3_mT4_P12ihipStream_tbEUlT_E0_NS1_11comp_targetILNS1_3genE4ELNS1_11target_archE910ELNS1_3gpuE8ELNS1_3repE0EEENS1_30default_config_static_selectorELNS0_4arch9wavefront6targetE1EEEvSK_
; %bb.0:
	.section	.rodata,"a",@progbits
	.p2align	6, 0x0
	.amdhsa_kernel _ZN7rocprim17ROCPRIM_400000_NS6detail17trampoline_kernelINS0_14default_configENS1_22reduce_config_selectorItEEZNS1_11reduce_implILb1ES3_N6thrust23THRUST_200600_302600_NS6detail15normal_iteratorINS8_10device_ptrItEEEEPiiNS8_4plusIiEEEE10hipError_tPvRmT1_T2_T3_mT4_P12ihipStream_tbEUlT_E0_NS1_11comp_targetILNS1_3genE4ELNS1_11target_archE910ELNS1_3gpuE8ELNS1_3repE0EEENS1_30default_config_static_selectorELNS0_4arch9wavefront6targetE1EEEvSK_
		.amdhsa_group_segment_fixed_size 0
		.amdhsa_private_segment_fixed_size 0
		.amdhsa_kernarg_size 56
		.amdhsa_user_sgpr_count 2
		.amdhsa_user_sgpr_dispatch_ptr 0
		.amdhsa_user_sgpr_queue_ptr 0
		.amdhsa_user_sgpr_kernarg_segment_ptr 1
		.amdhsa_user_sgpr_dispatch_id 0
		.amdhsa_user_sgpr_kernarg_preload_length 0
		.amdhsa_user_sgpr_kernarg_preload_offset 0
		.amdhsa_user_sgpr_private_segment_size 0
		.amdhsa_uses_dynamic_stack 0
		.amdhsa_enable_private_segment 0
		.amdhsa_system_sgpr_workgroup_id_x 1
		.amdhsa_system_sgpr_workgroup_id_y 0
		.amdhsa_system_sgpr_workgroup_id_z 0
		.amdhsa_system_sgpr_workgroup_info 0
		.amdhsa_system_vgpr_workitem_id 0
		.amdhsa_next_free_vgpr 1
		.amdhsa_next_free_sgpr 0
		.amdhsa_accum_offset 4
		.amdhsa_reserve_vcc 0
		.amdhsa_float_round_mode_32 0
		.amdhsa_float_round_mode_16_64 0
		.amdhsa_float_denorm_mode_32 3
		.amdhsa_float_denorm_mode_16_64 3
		.amdhsa_dx10_clamp 1
		.amdhsa_ieee_mode 1
		.amdhsa_fp16_overflow 0
		.amdhsa_tg_split 0
		.amdhsa_exception_fp_ieee_invalid_op 0
		.amdhsa_exception_fp_denorm_src 0
		.amdhsa_exception_fp_ieee_div_zero 0
		.amdhsa_exception_fp_ieee_overflow 0
		.amdhsa_exception_fp_ieee_underflow 0
		.amdhsa_exception_fp_ieee_inexact 0
		.amdhsa_exception_int_div_zero 0
	.end_amdhsa_kernel
	.section	.text._ZN7rocprim17ROCPRIM_400000_NS6detail17trampoline_kernelINS0_14default_configENS1_22reduce_config_selectorItEEZNS1_11reduce_implILb1ES3_N6thrust23THRUST_200600_302600_NS6detail15normal_iteratorINS8_10device_ptrItEEEEPiiNS8_4plusIiEEEE10hipError_tPvRmT1_T2_T3_mT4_P12ihipStream_tbEUlT_E0_NS1_11comp_targetILNS1_3genE4ELNS1_11target_archE910ELNS1_3gpuE8ELNS1_3repE0EEENS1_30default_config_static_selectorELNS0_4arch9wavefront6targetE1EEEvSK_,"axG",@progbits,_ZN7rocprim17ROCPRIM_400000_NS6detail17trampoline_kernelINS0_14default_configENS1_22reduce_config_selectorItEEZNS1_11reduce_implILb1ES3_N6thrust23THRUST_200600_302600_NS6detail15normal_iteratorINS8_10device_ptrItEEEEPiiNS8_4plusIiEEEE10hipError_tPvRmT1_T2_T3_mT4_P12ihipStream_tbEUlT_E0_NS1_11comp_targetILNS1_3genE4ELNS1_11target_archE910ELNS1_3gpuE8ELNS1_3repE0EEENS1_30default_config_static_selectorELNS0_4arch9wavefront6targetE1EEEvSK_,comdat
.Lfunc_end425:
	.size	_ZN7rocprim17ROCPRIM_400000_NS6detail17trampoline_kernelINS0_14default_configENS1_22reduce_config_selectorItEEZNS1_11reduce_implILb1ES3_N6thrust23THRUST_200600_302600_NS6detail15normal_iteratorINS8_10device_ptrItEEEEPiiNS8_4plusIiEEEE10hipError_tPvRmT1_T2_T3_mT4_P12ihipStream_tbEUlT_E0_NS1_11comp_targetILNS1_3genE4ELNS1_11target_archE910ELNS1_3gpuE8ELNS1_3repE0EEENS1_30default_config_static_selectorELNS0_4arch9wavefront6targetE1EEEvSK_, .Lfunc_end425-_ZN7rocprim17ROCPRIM_400000_NS6detail17trampoline_kernelINS0_14default_configENS1_22reduce_config_selectorItEEZNS1_11reduce_implILb1ES3_N6thrust23THRUST_200600_302600_NS6detail15normal_iteratorINS8_10device_ptrItEEEEPiiNS8_4plusIiEEEE10hipError_tPvRmT1_T2_T3_mT4_P12ihipStream_tbEUlT_E0_NS1_11comp_targetILNS1_3genE4ELNS1_11target_archE910ELNS1_3gpuE8ELNS1_3repE0EEENS1_30default_config_static_selectorELNS0_4arch9wavefront6targetE1EEEvSK_
                                        ; -- End function
	.set _ZN7rocprim17ROCPRIM_400000_NS6detail17trampoline_kernelINS0_14default_configENS1_22reduce_config_selectorItEEZNS1_11reduce_implILb1ES3_N6thrust23THRUST_200600_302600_NS6detail15normal_iteratorINS8_10device_ptrItEEEEPiiNS8_4plusIiEEEE10hipError_tPvRmT1_T2_T3_mT4_P12ihipStream_tbEUlT_E0_NS1_11comp_targetILNS1_3genE4ELNS1_11target_archE910ELNS1_3gpuE8ELNS1_3repE0EEENS1_30default_config_static_selectorELNS0_4arch9wavefront6targetE1EEEvSK_.num_vgpr, 0
	.set _ZN7rocprim17ROCPRIM_400000_NS6detail17trampoline_kernelINS0_14default_configENS1_22reduce_config_selectorItEEZNS1_11reduce_implILb1ES3_N6thrust23THRUST_200600_302600_NS6detail15normal_iteratorINS8_10device_ptrItEEEEPiiNS8_4plusIiEEEE10hipError_tPvRmT1_T2_T3_mT4_P12ihipStream_tbEUlT_E0_NS1_11comp_targetILNS1_3genE4ELNS1_11target_archE910ELNS1_3gpuE8ELNS1_3repE0EEENS1_30default_config_static_selectorELNS0_4arch9wavefront6targetE1EEEvSK_.num_agpr, 0
	.set _ZN7rocprim17ROCPRIM_400000_NS6detail17trampoline_kernelINS0_14default_configENS1_22reduce_config_selectorItEEZNS1_11reduce_implILb1ES3_N6thrust23THRUST_200600_302600_NS6detail15normal_iteratorINS8_10device_ptrItEEEEPiiNS8_4plusIiEEEE10hipError_tPvRmT1_T2_T3_mT4_P12ihipStream_tbEUlT_E0_NS1_11comp_targetILNS1_3genE4ELNS1_11target_archE910ELNS1_3gpuE8ELNS1_3repE0EEENS1_30default_config_static_selectorELNS0_4arch9wavefront6targetE1EEEvSK_.numbered_sgpr, 0
	.set _ZN7rocprim17ROCPRIM_400000_NS6detail17trampoline_kernelINS0_14default_configENS1_22reduce_config_selectorItEEZNS1_11reduce_implILb1ES3_N6thrust23THRUST_200600_302600_NS6detail15normal_iteratorINS8_10device_ptrItEEEEPiiNS8_4plusIiEEEE10hipError_tPvRmT1_T2_T3_mT4_P12ihipStream_tbEUlT_E0_NS1_11comp_targetILNS1_3genE4ELNS1_11target_archE910ELNS1_3gpuE8ELNS1_3repE0EEENS1_30default_config_static_selectorELNS0_4arch9wavefront6targetE1EEEvSK_.num_named_barrier, 0
	.set _ZN7rocprim17ROCPRIM_400000_NS6detail17trampoline_kernelINS0_14default_configENS1_22reduce_config_selectorItEEZNS1_11reduce_implILb1ES3_N6thrust23THRUST_200600_302600_NS6detail15normal_iteratorINS8_10device_ptrItEEEEPiiNS8_4plusIiEEEE10hipError_tPvRmT1_T2_T3_mT4_P12ihipStream_tbEUlT_E0_NS1_11comp_targetILNS1_3genE4ELNS1_11target_archE910ELNS1_3gpuE8ELNS1_3repE0EEENS1_30default_config_static_selectorELNS0_4arch9wavefront6targetE1EEEvSK_.private_seg_size, 0
	.set _ZN7rocprim17ROCPRIM_400000_NS6detail17trampoline_kernelINS0_14default_configENS1_22reduce_config_selectorItEEZNS1_11reduce_implILb1ES3_N6thrust23THRUST_200600_302600_NS6detail15normal_iteratorINS8_10device_ptrItEEEEPiiNS8_4plusIiEEEE10hipError_tPvRmT1_T2_T3_mT4_P12ihipStream_tbEUlT_E0_NS1_11comp_targetILNS1_3genE4ELNS1_11target_archE910ELNS1_3gpuE8ELNS1_3repE0EEENS1_30default_config_static_selectorELNS0_4arch9wavefront6targetE1EEEvSK_.uses_vcc, 0
	.set _ZN7rocprim17ROCPRIM_400000_NS6detail17trampoline_kernelINS0_14default_configENS1_22reduce_config_selectorItEEZNS1_11reduce_implILb1ES3_N6thrust23THRUST_200600_302600_NS6detail15normal_iteratorINS8_10device_ptrItEEEEPiiNS8_4plusIiEEEE10hipError_tPvRmT1_T2_T3_mT4_P12ihipStream_tbEUlT_E0_NS1_11comp_targetILNS1_3genE4ELNS1_11target_archE910ELNS1_3gpuE8ELNS1_3repE0EEENS1_30default_config_static_selectorELNS0_4arch9wavefront6targetE1EEEvSK_.uses_flat_scratch, 0
	.set _ZN7rocprim17ROCPRIM_400000_NS6detail17trampoline_kernelINS0_14default_configENS1_22reduce_config_selectorItEEZNS1_11reduce_implILb1ES3_N6thrust23THRUST_200600_302600_NS6detail15normal_iteratorINS8_10device_ptrItEEEEPiiNS8_4plusIiEEEE10hipError_tPvRmT1_T2_T3_mT4_P12ihipStream_tbEUlT_E0_NS1_11comp_targetILNS1_3genE4ELNS1_11target_archE910ELNS1_3gpuE8ELNS1_3repE0EEENS1_30default_config_static_selectorELNS0_4arch9wavefront6targetE1EEEvSK_.has_dyn_sized_stack, 0
	.set _ZN7rocprim17ROCPRIM_400000_NS6detail17trampoline_kernelINS0_14default_configENS1_22reduce_config_selectorItEEZNS1_11reduce_implILb1ES3_N6thrust23THRUST_200600_302600_NS6detail15normal_iteratorINS8_10device_ptrItEEEEPiiNS8_4plusIiEEEE10hipError_tPvRmT1_T2_T3_mT4_P12ihipStream_tbEUlT_E0_NS1_11comp_targetILNS1_3genE4ELNS1_11target_archE910ELNS1_3gpuE8ELNS1_3repE0EEENS1_30default_config_static_selectorELNS0_4arch9wavefront6targetE1EEEvSK_.has_recursion, 0
	.set _ZN7rocprim17ROCPRIM_400000_NS6detail17trampoline_kernelINS0_14default_configENS1_22reduce_config_selectorItEEZNS1_11reduce_implILb1ES3_N6thrust23THRUST_200600_302600_NS6detail15normal_iteratorINS8_10device_ptrItEEEEPiiNS8_4plusIiEEEE10hipError_tPvRmT1_T2_T3_mT4_P12ihipStream_tbEUlT_E0_NS1_11comp_targetILNS1_3genE4ELNS1_11target_archE910ELNS1_3gpuE8ELNS1_3repE0EEENS1_30default_config_static_selectorELNS0_4arch9wavefront6targetE1EEEvSK_.has_indirect_call, 0
	.section	.AMDGPU.csdata,"",@progbits
; Kernel info:
; codeLenInByte = 0
; TotalNumSgprs: 6
; NumVgprs: 0
; NumAgprs: 0
; TotalNumVgprs: 0
; ScratchSize: 0
; MemoryBound: 0
; FloatMode: 240
; IeeeMode: 1
; LDSByteSize: 0 bytes/workgroup (compile time only)
; SGPRBlocks: 0
; VGPRBlocks: 0
; NumSGPRsForWavesPerEU: 6
; NumVGPRsForWavesPerEU: 1
; AccumOffset: 4
; Occupancy: 8
; WaveLimiterHint : 0
; COMPUTE_PGM_RSRC2:SCRATCH_EN: 0
; COMPUTE_PGM_RSRC2:USER_SGPR: 2
; COMPUTE_PGM_RSRC2:TRAP_HANDLER: 0
; COMPUTE_PGM_RSRC2:TGID_X_EN: 1
; COMPUTE_PGM_RSRC2:TGID_Y_EN: 0
; COMPUTE_PGM_RSRC2:TGID_Z_EN: 0
; COMPUTE_PGM_RSRC2:TIDIG_COMP_CNT: 0
; COMPUTE_PGM_RSRC3_GFX90A:ACCUM_OFFSET: 0
; COMPUTE_PGM_RSRC3_GFX90A:TG_SPLIT: 0
	.section	.text._ZN7rocprim17ROCPRIM_400000_NS6detail17trampoline_kernelINS0_14default_configENS1_22reduce_config_selectorItEEZNS1_11reduce_implILb1ES3_N6thrust23THRUST_200600_302600_NS6detail15normal_iteratorINS8_10device_ptrItEEEEPiiNS8_4plusIiEEEE10hipError_tPvRmT1_T2_T3_mT4_P12ihipStream_tbEUlT_E0_NS1_11comp_targetILNS1_3genE3ELNS1_11target_archE908ELNS1_3gpuE7ELNS1_3repE0EEENS1_30default_config_static_selectorELNS0_4arch9wavefront6targetE1EEEvSK_,"axG",@progbits,_ZN7rocprim17ROCPRIM_400000_NS6detail17trampoline_kernelINS0_14default_configENS1_22reduce_config_selectorItEEZNS1_11reduce_implILb1ES3_N6thrust23THRUST_200600_302600_NS6detail15normal_iteratorINS8_10device_ptrItEEEEPiiNS8_4plusIiEEEE10hipError_tPvRmT1_T2_T3_mT4_P12ihipStream_tbEUlT_E0_NS1_11comp_targetILNS1_3genE3ELNS1_11target_archE908ELNS1_3gpuE7ELNS1_3repE0EEENS1_30default_config_static_selectorELNS0_4arch9wavefront6targetE1EEEvSK_,comdat
	.protected	_ZN7rocprim17ROCPRIM_400000_NS6detail17trampoline_kernelINS0_14default_configENS1_22reduce_config_selectorItEEZNS1_11reduce_implILb1ES3_N6thrust23THRUST_200600_302600_NS6detail15normal_iteratorINS8_10device_ptrItEEEEPiiNS8_4plusIiEEEE10hipError_tPvRmT1_T2_T3_mT4_P12ihipStream_tbEUlT_E0_NS1_11comp_targetILNS1_3genE3ELNS1_11target_archE908ELNS1_3gpuE7ELNS1_3repE0EEENS1_30default_config_static_selectorELNS0_4arch9wavefront6targetE1EEEvSK_ ; -- Begin function _ZN7rocprim17ROCPRIM_400000_NS6detail17trampoline_kernelINS0_14default_configENS1_22reduce_config_selectorItEEZNS1_11reduce_implILb1ES3_N6thrust23THRUST_200600_302600_NS6detail15normal_iteratorINS8_10device_ptrItEEEEPiiNS8_4plusIiEEEE10hipError_tPvRmT1_T2_T3_mT4_P12ihipStream_tbEUlT_E0_NS1_11comp_targetILNS1_3genE3ELNS1_11target_archE908ELNS1_3gpuE7ELNS1_3repE0EEENS1_30default_config_static_selectorELNS0_4arch9wavefront6targetE1EEEvSK_
	.globl	_ZN7rocprim17ROCPRIM_400000_NS6detail17trampoline_kernelINS0_14default_configENS1_22reduce_config_selectorItEEZNS1_11reduce_implILb1ES3_N6thrust23THRUST_200600_302600_NS6detail15normal_iteratorINS8_10device_ptrItEEEEPiiNS8_4plusIiEEEE10hipError_tPvRmT1_T2_T3_mT4_P12ihipStream_tbEUlT_E0_NS1_11comp_targetILNS1_3genE3ELNS1_11target_archE908ELNS1_3gpuE7ELNS1_3repE0EEENS1_30default_config_static_selectorELNS0_4arch9wavefront6targetE1EEEvSK_
	.p2align	8
	.type	_ZN7rocprim17ROCPRIM_400000_NS6detail17trampoline_kernelINS0_14default_configENS1_22reduce_config_selectorItEEZNS1_11reduce_implILb1ES3_N6thrust23THRUST_200600_302600_NS6detail15normal_iteratorINS8_10device_ptrItEEEEPiiNS8_4plusIiEEEE10hipError_tPvRmT1_T2_T3_mT4_P12ihipStream_tbEUlT_E0_NS1_11comp_targetILNS1_3genE3ELNS1_11target_archE908ELNS1_3gpuE7ELNS1_3repE0EEENS1_30default_config_static_selectorELNS0_4arch9wavefront6targetE1EEEvSK_,@function
_ZN7rocprim17ROCPRIM_400000_NS6detail17trampoline_kernelINS0_14default_configENS1_22reduce_config_selectorItEEZNS1_11reduce_implILb1ES3_N6thrust23THRUST_200600_302600_NS6detail15normal_iteratorINS8_10device_ptrItEEEEPiiNS8_4plusIiEEEE10hipError_tPvRmT1_T2_T3_mT4_P12ihipStream_tbEUlT_E0_NS1_11comp_targetILNS1_3genE3ELNS1_11target_archE908ELNS1_3gpuE7ELNS1_3repE0EEENS1_30default_config_static_selectorELNS0_4arch9wavefront6targetE1EEEvSK_: ; @_ZN7rocprim17ROCPRIM_400000_NS6detail17trampoline_kernelINS0_14default_configENS1_22reduce_config_selectorItEEZNS1_11reduce_implILb1ES3_N6thrust23THRUST_200600_302600_NS6detail15normal_iteratorINS8_10device_ptrItEEEEPiiNS8_4plusIiEEEE10hipError_tPvRmT1_T2_T3_mT4_P12ihipStream_tbEUlT_E0_NS1_11comp_targetILNS1_3genE3ELNS1_11target_archE908ELNS1_3gpuE7ELNS1_3repE0EEENS1_30default_config_static_selectorELNS0_4arch9wavefront6targetE1EEEvSK_
; %bb.0:
	.section	.rodata,"a",@progbits
	.p2align	6, 0x0
	.amdhsa_kernel _ZN7rocprim17ROCPRIM_400000_NS6detail17trampoline_kernelINS0_14default_configENS1_22reduce_config_selectorItEEZNS1_11reduce_implILb1ES3_N6thrust23THRUST_200600_302600_NS6detail15normal_iteratorINS8_10device_ptrItEEEEPiiNS8_4plusIiEEEE10hipError_tPvRmT1_T2_T3_mT4_P12ihipStream_tbEUlT_E0_NS1_11comp_targetILNS1_3genE3ELNS1_11target_archE908ELNS1_3gpuE7ELNS1_3repE0EEENS1_30default_config_static_selectorELNS0_4arch9wavefront6targetE1EEEvSK_
		.amdhsa_group_segment_fixed_size 0
		.amdhsa_private_segment_fixed_size 0
		.amdhsa_kernarg_size 56
		.amdhsa_user_sgpr_count 2
		.amdhsa_user_sgpr_dispatch_ptr 0
		.amdhsa_user_sgpr_queue_ptr 0
		.amdhsa_user_sgpr_kernarg_segment_ptr 1
		.amdhsa_user_sgpr_dispatch_id 0
		.amdhsa_user_sgpr_kernarg_preload_length 0
		.amdhsa_user_sgpr_kernarg_preload_offset 0
		.amdhsa_user_sgpr_private_segment_size 0
		.amdhsa_uses_dynamic_stack 0
		.amdhsa_enable_private_segment 0
		.amdhsa_system_sgpr_workgroup_id_x 1
		.amdhsa_system_sgpr_workgroup_id_y 0
		.amdhsa_system_sgpr_workgroup_id_z 0
		.amdhsa_system_sgpr_workgroup_info 0
		.amdhsa_system_vgpr_workitem_id 0
		.amdhsa_next_free_vgpr 1
		.amdhsa_next_free_sgpr 0
		.amdhsa_accum_offset 4
		.amdhsa_reserve_vcc 0
		.amdhsa_float_round_mode_32 0
		.amdhsa_float_round_mode_16_64 0
		.amdhsa_float_denorm_mode_32 3
		.amdhsa_float_denorm_mode_16_64 3
		.amdhsa_dx10_clamp 1
		.amdhsa_ieee_mode 1
		.amdhsa_fp16_overflow 0
		.amdhsa_tg_split 0
		.amdhsa_exception_fp_ieee_invalid_op 0
		.amdhsa_exception_fp_denorm_src 0
		.amdhsa_exception_fp_ieee_div_zero 0
		.amdhsa_exception_fp_ieee_overflow 0
		.amdhsa_exception_fp_ieee_underflow 0
		.amdhsa_exception_fp_ieee_inexact 0
		.amdhsa_exception_int_div_zero 0
	.end_amdhsa_kernel
	.section	.text._ZN7rocprim17ROCPRIM_400000_NS6detail17trampoline_kernelINS0_14default_configENS1_22reduce_config_selectorItEEZNS1_11reduce_implILb1ES3_N6thrust23THRUST_200600_302600_NS6detail15normal_iteratorINS8_10device_ptrItEEEEPiiNS8_4plusIiEEEE10hipError_tPvRmT1_T2_T3_mT4_P12ihipStream_tbEUlT_E0_NS1_11comp_targetILNS1_3genE3ELNS1_11target_archE908ELNS1_3gpuE7ELNS1_3repE0EEENS1_30default_config_static_selectorELNS0_4arch9wavefront6targetE1EEEvSK_,"axG",@progbits,_ZN7rocprim17ROCPRIM_400000_NS6detail17trampoline_kernelINS0_14default_configENS1_22reduce_config_selectorItEEZNS1_11reduce_implILb1ES3_N6thrust23THRUST_200600_302600_NS6detail15normal_iteratorINS8_10device_ptrItEEEEPiiNS8_4plusIiEEEE10hipError_tPvRmT1_T2_T3_mT4_P12ihipStream_tbEUlT_E0_NS1_11comp_targetILNS1_3genE3ELNS1_11target_archE908ELNS1_3gpuE7ELNS1_3repE0EEENS1_30default_config_static_selectorELNS0_4arch9wavefront6targetE1EEEvSK_,comdat
.Lfunc_end426:
	.size	_ZN7rocprim17ROCPRIM_400000_NS6detail17trampoline_kernelINS0_14default_configENS1_22reduce_config_selectorItEEZNS1_11reduce_implILb1ES3_N6thrust23THRUST_200600_302600_NS6detail15normal_iteratorINS8_10device_ptrItEEEEPiiNS8_4plusIiEEEE10hipError_tPvRmT1_T2_T3_mT4_P12ihipStream_tbEUlT_E0_NS1_11comp_targetILNS1_3genE3ELNS1_11target_archE908ELNS1_3gpuE7ELNS1_3repE0EEENS1_30default_config_static_selectorELNS0_4arch9wavefront6targetE1EEEvSK_, .Lfunc_end426-_ZN7rocprim17ROCPRIM_400000_NS6detail17trampoline_kernelINS0_14default_configENS1_22reduce_config_selectorItEEZNS1_11reduce_implILb1ES3_N6thrust23THRUST_200600_302600_NS6detail15normal_iteratorINS8_10device_ptrItEEEEPiiNS8_4plusIiEEEE10hipError_tPvRmT1_T2_T3_mT4_P12ihipStream_tbEUlT_E0_NS1_11comp_targetILNS1_3genE3ELNS1_11target_archE908ELNS1_3gpuE7ELNS1_3repE0EEENS1_30default_config_static_selectorELNS0_4arch9wavefront6targetE1EEEvSK_
                                        ; -- End function
	.set _ZN7rocprim17ROCPRIM_400000_NS6detail17trampoline_kernelINS0_14default_configENS1_22reduce_config_selectorItEEZNS1_11reduce_implILb1ES3_N6thrust23THRUST_200600_302600_NS6detail15normal_iteratorINS8_10device_ptrItEEEEPiiNS8_4plusIiEEEE10hipError_tPvRmT1_T2_T3_mT4_P12ihipStream_tbEUlT_E0_NS1_11comp_targetILNS1_3genE3ELNS1_11target_archE908ELNS1_3gpuE7ELNS1_3repE0EEENS1_30default_config_static_selectorELNS0_4arch9wavefront6targetE1EEEvSK_.num_vgpr, 0
	.set _ZN7rocprim17ROCPRIM_400000_NS6detail17trampoline_kernelINS0_14default_configENS1_22reduce_config_selectorItEEZNS1_11reduce_implILb1ES3_N6thrust23THRUST_200600_302600_NS6detail15normal_iteratorINS8_10device_ptrItEEEEPiiNS8_4plusIiEEEE10hipError_tPvRmT1_T2_T3_mT4_P12ihipStream_tbEUlT_E0_NS1_11comp_targetILNS1_3genE3ELNS1_11target_archE908ELNS1_3gpuE7ELNS1_3repE0EEENS1_30default_config_static_selectorELNS0_4arch9wavefront6targetE1EEEvSK_.num_agpr, 0
	.set _ZN7rocprim17ROCPRIM_400000_NS6detail17trampoline_kernelINS0_14default_configENS1_22reduce_config_selectorItEEZNS1_11reduce_implILb1ES3_N6thrust23THRUST_200600_302600_NS6detail15normal_iteratorINS8_10device_ptrItEEEEPiiNS8_4plusIiEEEE10hipError_tPvRmT1_T2_T3_mT4_P12ihipStream_tbEUlT_E0_NS1_11comp_targetILNS1_3genE3ELNS1_11target_archE908ELNS1_3gpuE7ELNS1_3repE0EEENS1_30default_config_static_selectorELNS0_4arch9wavefront6targetE1EEEvSK_.numbered_sgpr, 0
	.set _ZN7rocprim17ROCPRIM_400000_NS6detail17trampoline_kernelINS0_14default_configENS1_22reduce_config_selectorItEEZNS1_11reduce_implILb1ES3_N6thrust23THRUST_200600_302600_NS6detail15normal_iteratorINS8_10device_ptrItEEEEPiiNS8_4plusIiEEEE10hipError_tPvRmT1_T2_T3_mT4_P12ihipStream_tbEUlT_E0_NS1_11comp_targetILNS1_3genE3ELNS1_11target_archE908ELNS1_3gpuE7ELNS1_3repE0EEENS1_30default_config_static_selectorELNS0_4arch9wavefront6targetE1EEEvSK_.num_named_barrier, 0
	.set _ZN7rocprim17ROCPRIM_400000_NS6detail17trampoline_kernelINS0_14default_configENS1_22reduce_config_selectorItEEZNS1_11reduce_implILb1ES3_N6thrust23THRUST_200600_302600_NS6detail15normal_iteratorINS8_10device_ptrItEEEEPiiNS8_4plusIiEEEE10hipError_tPvRmT1_T2_T3_mT4_P12ihipStream_tbEUlT_E0_NS1_11comp_targetILNS1_3genE3ELNS1_11target_archE908ELNS1_3gpuE7ELNS1_3repE0EEENS1_30default_config_static_selectorELNS0_4arch9wavefront6targetE1EEEvSK_.private_seg_size, 0
	.set _ZN7rocprim17ROCPRIM_400000_NS6detail17trampoline_kernelINS0_14default_configENS1_22reduce_config_selectorItEEZNS1_11reduce_implILb1ES3_N6thrust23THRUST_200600_302600_NS6detail15normal_iteratorINS8_10device_ptrItEEEEPiiNS8_4plusIiEEEE10hipError_tPvRmT1_T2_T3_mT4_P12ihipStream_tbEUlT_E0_NS1_11comp_targetILNS1_3genE3ELNS1_11target_archE908ELNS1_3gpuE7ELNS1_3repE0EEENS1_30default_config_static_selectorELNS0_4arch9wavefront6targetE1EEEvSK_.uses_vcc, 0
	.set _ZN7rocprim17ROCPRIM_400000_NS6detail17trampoline_kernelINS0_14default_configENS1_22reduce_config_selectorItEEZNS1_11reduce_implILb1ES3_N6thrust23THRUST_200600_302600_NS6detail15normal_iteratorINS8_10device_ptrItEEEEPiiNS8_4plusIiEEEE10hipError_tPvRmT1_T2_T3_mT4_P12ihipStream_tbEUlT_E0_NS1_11comp_targetILNS1_3genE3ELNS1_11target_archE908ELNS1_3gpuE7ELNS1_3repE0EEENS1_30default_config_static_selectorELNS0_4arch9wavefront6targetE1EEEvSK_.uses_flat_scratch, 0
	.set _ZN7rocprim17ROCPRIM_400000_NS6detail17trampoline_kernelINS0_14default_configENS1_22reduce_config_selectorItEEZNS1_11reduce_implILb1ES3_N6thrust23THRUST_200600_302600_NS6detail15normal_iteratorINS8_10device_ptrItEEEEPiiNS8_4plusIiEEEE10hipError_tPvRmT1_T2_T3_mT4_P12ihipStream_tbEUlT_E0_NS1_11comp_targetILNS1_3genE3ELNS1_11target_archE908ELNS1_3gpuE7ELNS1_3repE0EEENS1_30default_config_static_selectorELNS0_4arch9wavefront6targetE1EEEvSK_.has_dyn_sized_stack, 0
	.set _ZN7rocprim17ROCPRIM_400000_NS6detail17trampoline_kernelINS0_14default_configENS1_22reduce_config_selectorItEEZNS1_11reduce_implILb1ES3_N6thrust23THRUST_200600_302600_NS6detail15normal_iteratorINS8_10device_ptrItEEEEPiiNS8_4plusIiEEEE10hipError_tPvRmT1_T2_T3_mT4_P12ihipStream_tbEUlT_E0_NS1_11comp_targetILNS1_3genE3ELNS1_11target_archE908ELNS1_3gpuE7ELNS1_3repE0EEENS1_30default_config_static_selectorELNS0_4arch9wavefront6targetE1EEEvSK_.has_recursion, 0
	.set _ZN7rocprim17ROCPRIM_400000_NS6detail17trampoline_kernelINS0_14default_configENS1_22reduce_config_selectorItEEZNS1_11reduce_implILb1ES3_N6thrust23THRUST_200600_302600_NS6detail15normal_iteratorINS8_10device_ptrItEEEEPiiNS8_4plusIiEEEE10hipError_tPvRmT1_T2_T3_mT4_P12ihipStream_tbEUlT_E0_NS1_11comp_targetILNS1_3genE3ELNS1_11target_archE908ELNS1_3gpuE7ELNS1_3repE0EEENS1_30default_config_static_selectorELNS0_4arch9wavefront6targetE1EEEvSK_.has_indirect_call, 0
	.section	.AMDGPU.csdata,"",@progbits
; Kernel info:
; codeLenInByte = 0
; TotalNumSgprs: 6
; NumVgprs: 0
; NumAgprs: 0
; TotalNumVgprs: 0
; ScratchSize: 0
; MemoryBound: 0
; FloatMode: 240
; IeeeMode: 1
; LDSByteSize: 0 bytes/workgroup (compile time only)
; SGPRBlocks: 0
; VGPRBlocks: 0
; NumSGPRsForWavesPerEU: 6
; NumVGPRsForWavesPerEU: 1
; AccumOffset: 4
; Occupancy: 8
; WaveLimiterHint : 0
; COMPUTE_PGM_RSRC2:SCRATCH_EN: 0
; COMPUTE_PGM_RSRC2:USER_SGPR: 2
; COMPUTE_PGM_RSRC2:TRAP_HANDLER: 0
; COMPUTE_PGM_RSRC2:TGID_X_EN: 1
; COMPUTE_PGM_RSRC2:TGID_Y_EN: 0
; COMPUTE_PGM_RSRC2:TGID_Z_EN: 0
; COMPUTE_PGM_RSRC2:TIDIG_COMP_CNT: 0
; COMPUTE_PGM_RSRC3_GFX90A:ACCUM_OFFSET: 0
; COMPUTE_PGM_RSRC3_GFX90A:TG_SPLIT: 0
	.section	.text._ZN7rocprim17ROCPRIM_400000_NS6detail17trampoline_kernelINS0_14default_configENS1_22reduce_config_selectorItEEZNS1_11reduce_implILb1ES3_N6thrust23THRUST_200600_302600_NS6detail15normal_iteratorINS8_10device_ptrItEEEEPiiNS8_4plusIiEEEE10hipError_tPvRmT1_T2_T3_mT4_P12ihipStream_tbEUlT_E0_NS1_11comp_targetILNS1_3genE2ELNS1_11target_archE906ELNS1_3gpuE6ELNS1_3repE0EEENS1_30default_config_static_selectorELNS0_4arch9wavefront6targetE1EEEvSK_,"axG",@progbits,_ZN7rocprim17ROCPRIM_400000_NS6detail17trampoline_kernelINS0_14default_configENS1_22reduce_config_selectorItEEZNS1_11reduce_implILb1ES3_N6thrust23THRUST_200600_302600_NS6detail15normal_iteratorINS8_10device_ptrItEEEEPiiNS8_4plusIiEEEE10hipError_tPvRmT1_T2_T3_mT4_P12ihipStream_tbEUlT_E0_NS1_11comp_targetILNS1_3genE2ELNS1_11target_archE906ELNS1_3gpuE6ELNS1_3repE0EEENS1_30default_config_static_selectorELNS0_4arch9wavefront6targetE1EEEvSK_,comdat
	.protected	_ZN7rocprim17ROCPRIM_400000_NS6detail17trampoline_kernelINS0_14default_configENS1_22reduce_config_selectorItEEZNS1_11reduce_implILb1ES3_N6thrust23THRUST_200600_302600_NS6detail15normal_iteratorINS8_10device_ptrItEEEEPiiNS8_4plusIiEEEE10hipError_tPvRmT1_T2_T3_mT4_P12ihipStream_tbEUlT_E0_NS1_11comp_targetILNS1_3genE2ELNS1_11target_archE906ELNS1_3gpuE6ELNS1_3repE0EEENS1_30default_config_static_selectorELNS0_4arch9wavefront6targetE1EEEvSK_ ; -- Begin function _ZN7rocprim17ROCPRIM_400000_NS6detail17trampoline_kernelINS0_14default_configENS1_22reduce_config_selectorItEEZNS1_11reduce_implILb1ES3_N6thrust23THRUST_200600_302600_NS6detail15normal_iteratorINS8_10device_ptrItEEEEPiiNS8_4plusIiEEEE10hipError_tPvRmT1_T2_T3_mT4_P12ihipStream_tbEUlT_E0_NS1_11comp_targetILNS1_3genE2ELNS1_11target_archE906ELNS1_3gpuE6ELNS1_3repE0EEENS1_30default_config_static_selectorELNS0_4arch9wavefront6targetE1EEEvSK_
	.globl	_ZN7rocprim17ROCPRIM_400000_NS6detail17trampoline_kernelINS0_14default_configENS1_22reduce_config_selectorItEEZNS1_11reduce_implILb1ES3_N6thrust23THRUST_200600_302600_NS6detail15normal_iteratorINS8_10device_ptrItEEEEPiiNS8_4plusIiEEEE10hipError_tPvRmT1_T2_T3_mT4_P12ihipStream_tbEUlT_E0_NS1_11comp_targetILNS1_3genE2ELNS1_11target_archE906ELNS1_3gpuE6ELNS1_3repE0EEENS1_30default_config_static_selectorELNS0_4arch9wavefront6targetE1EEEvSK_
	.p2align	8
	.type	_ZN7rocprim17ROCPRIM_400000_NS6detail17trampoline_kernelINS0_14default_configENS1_22reduce_config_selectorItEEZNS1_11reduce_implILb1ES3_N6thrust23THRUST_200600_302600_NS6detail15normal_iteratorINS8_10device_ptrItEEEEPiiNS8_4plusIiEEEE10hipError_tPvRmT1_T2_T3_mT4_P12ihipStream_tbEUlT_E0_NS1_11comp_targetILNS1_3genE2ELNS1_11target_archE906ELNS1_3gpuE6ELNS1_3repE0EEENS1_30default_config_static_selectorELNS0_4arch9wavefront6targetE1EEEvSK_,@function
_ZN7rocprim17ROCPRIM_400000_NS6detail17trampoline_kernelINS0_14default_configENS1_22reduce_config_selectorItEEZNS1_11reduce_implILb1ES3_N6thrust23THRUST_200600_302600_NS6detail15normal_iteratorINS8_10device_ptrItEEEEPiiNS8_4plusIiEEEE10hipError_tPvRmT1_T2_T3_mT4_P12ihipStream_tbEUlT_E0_NS1_11comp_targetILNS1_3genE2ELNS1_11target_archE906ELNS1_3gpuE6ELNS1_3repE0EEENS1_30default_config_static_selectorELNS0_4arch9wavefront6targetE1EEEvSK_: ; @_ZN7rocprim17ROCPRIM_400000_NS6detail17trampoline_kernelINS0_14default_configENS1_22reduce_config_selectorItEEZNS1_11reduce_implILb1ES3_N6thrust23THRUST_200600_302600_NS6detail15normal_iteratorINS8_10device_ptrItEEEEPiiNS8_4plusIiEEEE10hipError_tPvRmT1_T2_T3_mT4_P12ihipStream_tbEUlT_E0_NS1_11comp_targetILNS1_3genE2ELNS1_11target_archE906ELNS1_3gpuE6ELNS1_3repE0EEENS1_30default_config_static_selectorELNS0_4arch9wavefront6targetE1EEEvSK_
; %bb.0:
	.section	.rodata,"a",@progbits
	.p2align	6, 0x0
	.amdhsa_kernel _ZN7rocprim17ROCPRIM_400000_NS6detail17trampoline_kernelINS0_14default_configENS1_22reduce_config_selectorItEEZNS1_11reduce_implILb1ES3_N6thrust23THRUST_200600_302600_NS6detail15normal_iteratorINS8_10device_ptrItEEEEPiiNS8_4plusIiEEEE10hipError_tPvRmT1_T2_T3_mT4_P12ihipStream_tbEUlT_E0_NS1_11comp_targetILNS1_3genE2ELNS1_11target_archE906ELNS1_3gpuE6ELNS1_3repE0EEENS1_30default_config_static_selectorELNS0_4arch9wavefront6targetE1EEEvSK_
		.amdhsa_group_segment_fixed_size 0
		.amdhsa_private_segment_fixed_size 0
		.amdhsa_kernarg_size 56
		.amdhsa_user_sgpr_count 2
		.amdhsa_user_sgpr_dispatch_ptr 0
		.amdhsa_user_sgpr_queue_ptr 0
		.amdhsa_user_sgpr_kernarg_segment_ptr 1
		.amdhsa_user_sgpr_dispatch_id 0
		.amdhsa_user_sgpr_kernarg_preload_length 0
		.amdhsa_user_sgpr_kernarg_preload_offset 0
		.amdhsa_user_sgpr_private_segment_size 0
		.amdhsa_uses_dynamic_stack 0
		.amdhsa_enable_private_segment 0
		.amdhsa_system_sgpr_workgroup_id_x 1
		.amdhsa_system_sgpr_workgroup_id_y 0
		.amdhsa_system_sgpr_workgroup_id_z 0
		.amdhsa_system_sgpr_workgroup_info 0
		.amdhsa_system_vgpr_workitem_id 0
		.amdhsa_next_free_vgpr 1
		.amdhsa_next_free_sgpr 0
		.amdhsa_accum_offset 4
		.amdhsa_reserve_vcc 0
		.amdhsa_float_round_mode_32 0
		.amdhsa_float_round_mode_16_64 0
		.amdhsa_float_denorm_mode_32 3
		.amdhsa_float_denorm_mode_16_64 3
		.amdhsa_dx10_clamp 1
		.amdhsa_ieee_mode 1
		.amdhsa_fp16_overflow 0
		.amdhsa_tg_split 0
		.amdhsa_exception_fp_ieee_invalid_op 0
		.amdhsa_exception_fp_denorm_src 0
		.amdhsa_exception_fp_ieee_div_zero 0
		.amdhsa_exception_fp_ieee_overflow 0
		.amdhsa_exception_fp_ieee_underflow 0
		.amdhsa_exception_fp_ieee_inexact 0
		.amdhsa_exception_int_div_zero 0
	.end_amdhsa_kernel
	.section	.text._ZN7rocprim17ROCPRIM_400000_NS6detail17trampoline_kernelINS0_14default_configENS1_22reduce_config_selectorItEEZNS1_11reduce_implILb1ES3_N6thrust23THRUST_200600_302600_NS6detail15normal_iteratorINS8_10device_ptrItEEEEPiiNS8_4plusIiEEEE10hipError_tPvRmT1_T2_T3_mT4_P12ihipStream_tbEUlT_E0_NS1_11comp_targetILNS1_3genE2ELNS1_11target_archE906ELNS1_3gpuE6ELNS1_3repE0EEENS1_30default_config_static_selectorELNS0_4arch9wavefront6targetE1EEEvSK_,"axG",@progbits,_ZN7rocprim17ROCPRIM_400000_NS6detail17trampoline_kernelINS0_14default_configENS1_22reduce_config_selectorItEEZNS1_11reduce_implILb1ES3_N6thrust23THRUST_200600_302600_NS6detail15normal_iteratorINS8_10device_ptrItEEEEPiiNS8_4plusIiEEEE10hipError_tPvRmT1_T2_T3_mT4_P12ihipStream_tbEUlT_E0_NS1_11comp_targetILNS1_3genE2ELNS1_11target_archE906ELNS1_3gpuE6ELNS1_3repE0EEENS1_30default_config_static_selectorELNS0_4arch9wavefront6targetE1EEEvSK_,comdat
.Lfunc_end427:
	.size	_ZN7rocprim17ROCPRIM_400000_NS6detail17trampoline_kernelINS0_14default_configENS1_22reduce_config_selectorItEEZNS1_11reduce_implILb1ES3_N6thrust23THRUST_200600_302600_NS6detail15normal_iteratorINS8_10device_ptrItEEEEPiiNS8_4plusIiEEEE10hipError_tPvRmT1_T2_T3_mT4_P12ihipStream_tbEUlT_E0_NS1_11comp_targetILNS1_3genE2ELNS1_11target_archE906ELNS1_3gpuE6ELNS1_3repE0EEENS1_30default_config_static_selectorELNS0_4arch9wavefront6targetE1EEEvSK_, .Lfunc_end427-_ZN7rocprim17ROCPRIM_400000_NS6detail17trampoline_kernelINS0_14default_configENS1_22reduce_config_selectorItEEZNS1_11reduce_implILb1ES3_N6thrust23THRUST_200600_302600_NS6detail15normal_iteratorINS8_10device_ptrItEEEEPiiNS8_4plusIiEEEE10hipError_tPvRmT1_T2_T3_mT4_P12ihipStream_tbEUlT_E0_NS1_11comp_targetILNS1_3genE2ELNS1_11target_archE906ELNS1_3gpuE6ELNS1_3repE0EEENS1_30default_config_static_selectorELNS0_4arch9wavefront6targetE1EEEvSK_
                                        ; -- End function
	.set _ZN7rocprim17ROCPRIM_400000_NS6detail17trampoline_kernelINS0_14default_configENS1_22reduce_config_selectorItEEZNS1_11reduce_implILb1ES3_N6thrust23THRUST_200600_302600_NS6detail15normal_iteratorINS8_10device_ptrItEEEEPiiNS8_4plusIiEEEE10hipError_tPvRmT1_T2_T3_mT4_P12ihipStream_tbEUlT_E0_NS1_11comp_targetILNS1_3genE2ELNS1_11target_archE906ELNS1_3gpuE6ELNS1_3repE0EEENS1_30default_config_static_selectorELNS0_4arch9wavefront6targetE1EEEvSK_.num_vgpr, 0
	.set _ZN7rocprim17ROCPRIM_400000_NS6detail17trampoline_kernelINS0_14default_configENS1_22reduce_config_selectorItEEZNS1_11reduce_implILb1ES3_N6thrust23THRUST_200600_302600_NS6detail15normal_iteratorINS8_10device_ptrItEEEEPiiNS8_4plusIiEEEE10hipError_tPvRmT1_T2_T3_mT4_P12ihipStream_tbEUlT_E0_NS1_11comp_targetILNS1_3genE2ELNS1_11target_archE906ELNS1_3gpuE6ELNS1_3repE0EEENS1_30default_config_static_selectorELNS0_4arch9wavefront6targetE1EEEvSK_.num_agpr, 0
	.set _ZN7rocprim17ROCPRIM_400000_NS6detail17trampoline_kernelINS0_14default_configENS1_22reduce_config_selectorItEEZNS1_11reduce_implILb1ES3_N6thrust23THRUST_200600_302600_NS6detail15normal_iteratorINS8_10device_ptrItEEEEPiiNS8_4plusIiEEEE10hipError_tPvRmT1_T2_T3_mT4_P12ihipStream_tbEUlT_E0_NS1_11comp_targetILNS1_3genE2ELNS1_11target_archE906ELNS1_3gpuE6ELNS1_3repE0EEENS1_30default_config_static_selectorELNS0_4arch9wavefront6targetE1EEEvSK_.numbered_sgpr, 0
	.set _ZN7rocprim17ROCPRIM_400000_NS6detail17trampoline_kernelINS0_14default_configENS1_22reduce_config_selectorItEEZNS1_11reduce_implILb1ES3_N6thrust23THRUST_200600_302600_NS6detail15normal_iteratorINS8_10device_ptrItEEEEPiiNS8_4plusIiEEEE10hipError_tPvRmT1_T2_T3_mT4_P12ihipStream_tbEUlT_E0_NS1_11comp_targetILNS1_3genE2ELNS1_11target_archE906ELNS1_3gpuE6ELNS1_3repE0EEENS1_30default_config_static_selectorELNS0_4arch9wavefront6targetE1EEEvSK_.num_named_barrier, 0
	.set _ZN7rocprim17ROCPRIM_400000_NS6detail17trampoline_kernelINS0_14default_configENS1_22reduce_config_selectorItEEZNS1_11reduce_implILb1ES3_N6thrust23THRUST_200600_302600_NS6detail15normal_iteratorINS8_10device_ptrItEEEEPiiNS8_4plusIiEEEE10hipError_tPvRmT1_T2_T3_mT4_P12ihipStream_tbEUlT_E0_NS1_11comp_targetILNS1_3genE2ELNS1_11target_archE906ELNS1_3gpuE6ELNS1_3repE0EEENS1_30default_config_static_selectorELNS0_4arch9wavefront6targetE1EEEvSK_.private_seg_size, 0
	.set _ZN7rocprim17ROCPRIM_400000_NS6detail17trampoline_kernelINS0_14default_configENS1_22reduce_config_selectorItEEZNS1_11reduce_implILb1ES3_N6thrust23THRUST_200600_302600_NS6detail15normal_iteratorINS8_10device_ptrItEEEEPiiNS8_4plusIiEEEE10hipError_tPvRmT1_T2_T3_mT4_P12ihipStream_tbEUlT_E0_NS1_11comp_targetILNS1_3genE2ELNS1_11target_archE906ELNS1_3gpuE6ELNS1_3repE0EEENS1_30default_config_static_selectorELNS0_4arch9wavefront6targetE1EEEvSK_.uses_vcc, 0
	.set _ZN7rocprim17ROCPRIM_400000_NS6detail17trampoline_kernelINS0_14default_configENS1_22reduce_config_selectorItEEZNS1_11reduce_implILb1ES3_N6thrust23THRUST_200600_302600_NS6detail15normal_iteratorINS8_10device_ptrItEEEEPiiNS8_4plusIiEEEE10hipError_tPvRmT1_T2_T3_mT4_P12ihipStream_tbEUlT_E0_NS1_11comp_targetILNS1_3genE2ELNS1_11target_archE906ELNS1_3gpuE6ELNS1_3repE0EEENS1_30default_config_static_selectorELNS0_4arch9wavefront6targetE1EEEvSK_.uses_flat_scratch, 0
	.set _ZN7rocprim17ROCPRIM_400000_NS6detail17trampoline_kernelINS0_14default_configENS1_22reduce_config_selectorItEEZNS1_11reduce_implILb1ES3_N6thrust23THRUST_200600_302600_NS6detail15normal_iteratorINS8_10device_ptrItEEEEPiiNS8_4plusIiEEEE10hipError_tPvRmT1_T2_T3_mT4_P12ihipStream_tbEUlT_E0_NS1_11comp_targetILNS1_3genE2ELNS1_11target_archE906ELNS1_3gpuE6ELNS1_3repE0EEENS1_30default_config_static_selectorELNS0_4arch9wavefront6targetE1EEEvSK_.has_dyn_sized_stack, 0
	.set _ZN7rocprim17ROCPRIM_400000_NS6detail17trampoline_kernelINS0_14default_configENS1_22reduce_config_selectorItEEZNS1_11reduce_implILb1ES3_N6thrust23THRUST_200600_302600_NS6detail15normal_iteratorINS8_10device_ptrItEEEEPiiNS8_4plusIiEEEE10hipError_tPvRmT1_T2_T3_mT4_P12ihipStream_tbEUlT_E0_NS1_11comp_targetILNS1_3genE2ELNS1_11target_archE906ELNS1_3gpuE6ELNS1_3repE0EEENS1_30default_config_static_selectorELNS0_4arch9wavefront6targetE1EEEvSK_.has_recursion, 0
	.set _ZN7rocprim17ROCPRIM_400000_NS6detail17trampoline_kernelINS0_14default_configENS1_22reduce_config_selectorItEEZNS1_11reduce_implILb1ES3_N6thrust23THRUST_200600_302600_NS6detail15normal_iteratorINS8_10device_ptrItEEEEPiiNS8_4plusIiEEEE10hipError_tPvRmT1_T2_T3_mT4_P12ihipStream_tbEUlT_E0_NS1_11comp_targetILNS1_3genE2ELNS1_11target_archE906ELNS1_3gpuE6ELNS1_3repE0EEENS1_30default_config_static_selectorELNS0_4arch9wavefront6targetE1EEEvSK_.has_indirect_call, 0
	.section	.AMDGPU.csdata,"",@progbits
; Kernel info:
; codeLenInByte = 0
; TotalNumSgprs: 6
; NumVgprs: 0
; NumAgprs: 0
; TotalNumVgprs: 0
; ScratchSize: 0
; MemoryBound: 0
; FloatMode: 240
; IeeeMode: 1
; LDSByteSize: 0 bytes/workgroup (compile time only)
; SGPRBlocks: 0
; VGPRBlocks: 0
; NumSGPRsForWavesPerEU: 6
; NumVGPRsForWavesPerEU: 1
; AccumOffset: 4
; Occupancy: 8
; WaveLimiterHint : 0
; COMPUTE_PGM_RSRC2:SCRATCH_EN: 0
; COMPUTE_PGM_RSRC2:USER_SGPR: 2
; COMPUTE_PGM_RSRC2:TRAP_HANDLER: 0
; COMPUTE_PGM_RSRC2:TGID_X_EN: 1
; COMPUTE_PGM_RSRC2:TGID_Y_EN: 0
; COMPUTE_PGM_RSRC2:TGID_Z_EN: 0
; COMPUTE_PGM_RSRC2:TIDIG_COMP_CNT: 0
; COMPUTE_PGM_RSRC3_GFX90A:ACCUM_OFFSET: 0
; COMPUTE_PGM_RSRC3_GFX90A:TG_SPLIT: 0
	.section	.text._ZN7rocprim17ROCPRIM_400000_NS6detail17trampoline_kernelINS0_14default_configENS1_22reduce_config_selectorItEEZNS1_11reduce_implILb1ES3_N6thrust23THRUST_200600_302600_NS6detail15normal_iteratorINS8_10device_ptrItEEEEPiiNS8_4plusIiEEEE10hipError_tPvRmT1_T2_T3_mT4_P12ihipStream_tbEUlT_E0_NS1_11comp_targetILNS1_3genE10ELNS1_11target_archE1201ELNS1_3gpuE5ELNS1_3repE0EEENS1_30default_config_static_selectorELNS0_4arch9wavefront6targetE1EEEvSK_,"axG",@progbits,_ZN7rocprim17ROCPRIM_400000_NS6detail17trampoline_kernelINS0_14default_configENS1_22reduce_config_selectorItEEZNS1_11reduce_implILb1ES3_N6thrust23THRUST_200600_302600_NS6detail15normal_iteratorINS8_10device_ptrItEEEEPiiNS8_4plusIiEEEE10hipError_tPvRmT1_T2_T3_mT4_P12ihipStream_tbEUlT_E0_NS1_11comp_targetILNS1_3genE10ELNS1_11target_archE1201ELNS1_3gpuE5ELNS1_3repE0EEENS1_30default_config_static_selectorELNS0_4arch9wavefront6targetE1EEEvSK_,comdat
	.protected	_ZN7rocprim17ROCPRIM_400000_NS6detail17trampoline_kernelINS0_14default_configENS1_22reduce_config_selectorItEEZNS1_11reduce_implILb1ES3_N6thrust23THRUST_200600_302600_NS6detail15normal_iteratorINS8_10device_ptrItEEEEPiiNS8_4plusIiEEEE10hipError_tPvRmT1_T2_T3_mT4_P12ihipStream_tbEUlT_E0_NS1_11comp_targetILNS1_3genE10ELNS1_11target_archE1201ELNS1_3gpuE5ELNS1_3repE0EEENS1_30default_config_static_selectorELNS0_4arch9wavefront6targetE1EEEvSK_ ; -- Begin function _ZN7rocprim17ROCPRIM_400000_NS6detail17trampoline_kernelINS0_14default_configENS1_22reduce_config_selectorItEEZNS1_11reduce_implILb1ES3_N6thrust23THRUST_200600_302600_NS6detail15normal_iteratorINS8_10device_ptrItEEEEPiiNS8_4plusIiEEEE10hipError_tPvRmT1_T2_T3_mT4_P12ihipStream_tbEUlT_E0_NS1_11comp_targetILNS1_3genE10ELNS1_11target_archE1201ELNS1_3gpuE5ELNS1_3repE0EEENS1_30default_config_static_selectorELNS0_4arch9wavefront6targetE1EEEvSK_
	.globl	_ZN7rocprim17ROCPRIM_400000_NS6detail17trampoline_kernelINS0_14default_configENS1_22reduce_config_selectorItEEZNS1_11reduce_implILb1ES3_N6thrust23THRUST_200600_302600_NS6detail15normal_iteratorINS8_10device_ptrItEEEEPiiNS8_4plusIiEEEE10hipError_tPvRmT1_T2_T3_mT4_P12ihipStream_tbEUlT_E0_NS1_11comp_targetILNS1_3genE10ELNS1_11target_archE1201ELNS1_3gpuE5ELNS1_3repE0EEENS1_30default_config_static_selectorELNS0_4arch9wavefront6targetE1EEEvSK_
	.p2align	8
	.type	_ZN7rocprim17ROCPRIM_400000_NS6detail17trampoline_kernelINS0_14default_configENS1_22reduce_config_selectorItEEZNS1_11reduce_implILb1ES3_N6thrust23THRUST_200600_302600_NS6detail15normal_iteratorINS8_10device_ptrItEEEEPiiNS8_4plusIiEEEE10hipError_tPvRmT1_T2_T3_mT4_P12ihipStream_tbEUlT_E0_NS1_11comp_targetILNS1_3genE10ELNS1_11target_archE1201ELNS1_3gpuE5ELNS1_3repE0EEENS1_30default_config_static_selectorELNS0_4arch9wavefront6targetE1EEEvSK_,@function
_ZN7rocprim17ROCPRIM_400000_NS6detail17trampoline_kernelINS0_14default_configENS1_22reduce_config_selectorItEEZNS1_11reduce_implILb1ES3_N6thrust23THRUST_200600_302600_NS6detail15normal_iteratorINS8_10device_ptrItEEEEPiiNS8_4plusIiEEEE10hipError_tPvRmT1_T2_T3_mT4_P12ihipStream_tbEUlT_E0_NS1_11comp_targetILNS1_3genE10ELNS1_11target_archE1201ELNS1_3gpuE5ELNS1_3repE0EEENS1_30default_config_static_selectorELNS0_4arch9wavefront6targetE1EEEvSK_: ; @_ZN7rocprim17ROCPRIM_400000_NS6detail17trampoline_kernelINS0_14default_configENS1_22reduce_config_selectorItEEZNS1_11reduce_implILb1ES3_N6thrust23THRUST_200600_302600_NS6detail15normal_iteratorINS8_10device_ptrItEEEEPiiNS8_4plusIiEEEE10hipError_tPvRmT1_T2_T3_mT4_P12ihipStream_tbEUlT_E0_NS1_11comp_targetILNS1_3genE10ELNS1_11target_archE1201ELNS1_3gpuE5ELNS1_3repE0EEENS1_30default_config_static_selectorELNS0_4arch9wavefront6targetE1EEEvSK_
; %bb.0:
	.section	.rodata,"a",@progbits
	.p2align	6, 0x0
	.amdhsa_kernel _ZN7rocprim17ROCPRIM_400000_NS6detail17trampoline_kernelINS0_14default_configENS1_22reduce_config_selectorItEEZNS1_11reduce_implILb1ES3_N6thrust23THRUST_200600_302600_NS6detail15normal_iteratorINS8_10device_ptrItEEEEPiiNS8_4plusIiEEEE10hipError_tPvRmT1_T2_T3_mT4_P12ihipStream_tbEUlT_E0_NS1_11comp_targetILNS1_3genE10ELNS1_11target_archE1201ELNS1_3gpuE5ELNS1_3repE0EEENS1_30default_config_static_selectorELNS0_4arch9wavefront6targetE1EEEvSK_
		.amdhsa_group_segment_fixed_size 0
		.amdhsa_private_segment_fixed_size 0
		.amdhsa_kernarg_size 56
		.amdhsa_user_sgpr_count 2
		.amdhsa_user_sgpr_dispatch_ptr 0
		.amdhsa_user_sgpr_queue_ptr 0
		.amdhsa_user_sgpr_kernarg_segment_ptr 1
		.amdhsa_user_sgpr_dispatch_id 0
		.amdhsa_user_sgpr_kernarg_preload_length 0
		.amdhsa_user_sgpr_kernarg_preload_offset 0
		.amdhsa_user_sgpr_private_segment_size 0
		.amdhsa_uses_dynamic_stack 0
		.amdhsa_enable_private_segment 0
		.amdhsa_system_sgpr_workgroup_id_x 1
		.amdhsa_system_sgpr_workgroup_id_y 0
		.amdhsa_system_sgpr_workgroup_id_z 0
		.amdhsa_system_sgpr_workgroup_info 0
		.amdhsa_system_vgpr_workitem_id 0
		.amdhsa_next_free_vgpr 1
		.amdhsa_next_free_sgpr 0
		.amdhsa_accum_offset 4
		.amdhsa_reserve_vcc 0
		.amdhsa_float_round_mode_32 0
		.amdhsa_float_round_mode_16_64 0
		.amdhsa_float_denorm_mode_32 3
		.amdhsa_float_denorm_mode_16_64 3
		.amdhsa_dx10_clamp 1
		.amdhsa_ieee_mode 1
		.amdhsa_fp16_overflow 0
		.amdhsa_tg_split 0
		.amdhsa_exception_fp_ieee_invalid_op 0
		.amdhsa_exception_fp_denorm_src 0
		.amdhsa_exception_fp_ieee_div_zero 0
		.amdhsa_exception_fp_ieee_overflow 0
		.amdhsa_exception_fp_ieee_underflow 0
		.amdhsa_exception_fp_ieee_inexact 0
		.amdhsa_exception_int_div_zero 0
	.end_amdhsa_kernel
	.section	.text._ZN7rocprim17ROCPRIM_400000_NS6detail17trampoline_kernelINS0_14default_configENS1_22reduce_config_selectorItEEZNS1_11reduce_implILb1ES3_N6thrust23THRUST_200600_302600_NS6detail15normal_iteratorINS8_10device_ptrItEEEEPiiNS8_4plusIiEEEE10hipError_tPvRmT1_T2_T3_mT4_P12ihipStream_tbEUlT_E0_NS1_11comp_targetILNS1_3genE10ELNS1_11target_archE1201ELNS1_3gpuE5ELNS1_3repE0EEENS1_30default_config_static_selectorELNS0_4arch9wavefront6targetE1EEEvSK_,"axG",@progbits,_ZN7rocprim17ROCPRIM_400000_NS6detail17trampoline_kernelINS0_14default_configENS1_22reduce_config_selectorItEEZNS1_11reduce_implILb1ES3_N6thrust23THRUST_200600_302600_NS6detail15normal_iteratorINS8_10device_ptrItEEEEPiiNS8_4plusIiEEEE10hipError_tPvRmT1_T2_T3_mT4_P12ihipStream_tbEUlT_E0_NS1_11comp_targetILNS1_3genE10ELNS1_11target_archE1201ELNS1_3gpuE5ELNS1_3repE0EEENS1_30default_config_static_selectorELNS0_4arch9wavefront6targetE1EEEvSK_,comdat
.Lfunc_end428:
	.size	_ZN7rocprim17ROCPRIM_400000_NS6detail17trampoline_kernelINS0_14default_configENS1_22reduce_config_selectorItEEZNS1_11reduce_implILb1ES3_N6thrust23THRUST_200600_302600_NS6detail15normal_iteratorINS8_10device_ptrItEEEEPiiNS8_4plusIiEEEE10hipError_tPvRmT1_T2_T3_mT4_P12ihipStream_tbEUlT_E0_NS1_11comp_targetILNS1_3genE10ELNS1_11target_archE1201ELNS1_3gpuE5ELNS1_3repE0EEENS1_30default_config_static_selectorELNS0_4arch9wavefront6targetE1EEEvSK_, .Lfunc_end428-_ZN7rocprim17ROCPRIM_400000_NS6detail17trampoline_kernelINS0_14default_configENS1_22reduce_config_selectorItEEZNS1_11reduce_implILb1ES3_N6thrust23THRUST_200600_302600_NS6detail15normal_iteratorINS8_10device_ptrItEEEEPiiNS8_4plusIiEEEE10hipError_tPvRmT1_T2_T3_mT4_P12ihipStream_tbEUlT_E0_NS1_11comp_targetILNS1_3genE10ELNS1_11target_archE1201ELNS1_3gpuE5ELNS1_3repE0EEENS1_30default_config_static_selectorELNS0_4arch9wavefront6targetE1EEEvSK_
                                        ; -- End function
	.set _ZN7rocprim17ROCPRIM_400000_NS6detail17trampoline_kernelINS0_14default_configENS1_22reduce_config_selectorItEEZNS1_11reduce_implILb1ES3_N6thrust23THRUST_200600_302600_NS6detail15normal_iteratorINS8_10device_ptrItEEEEPiiNS8_4plusIiEEEE10hipError_tPvRmT1_T2_T3_mT4_P12ihipStream_tbEUlT_E0_NS1_11comp_targetILNS1_3genE10ELNS1_11target_archE1201ELNS1_3gpuE5ELNS1_3repE0EEENS1_30default_config_static_selectorELNS0_4arch9wavefront6targetE1EEEvSK_.num_vgpr, 0
	.set _ZN7rocprim17ROCPRIM_400000_NS6detail17trampoline_kernelINS0_14default_configENS1_22reduce_config_selectorItEEZNS1_11reduce_implILb1ES3_N6thrust23THRUST_200600_302600_NS6detail15normal_iteratorINS8_10device_ptrItEEEEPiiNS8_4plusIiEEEE10hipError_tPvRmT1_T2_T3_mT4_P12ihipStream_tbEUlT_E0_NS1_11comp_targetILNS1_3genE10ELNS1_11target_archE1201ELNS1_3gpuE5ELNS1_3repE0EEENS1_30default_config_static_selectorELNS0_4arch9wavefront6targetE1EEEvSK_.num_agpr, 0
	.set _ZN7rocprim17ROCPRIM_400000_NS6detail17trampoline_kernelINS0_14default_configENS1_22reduce_config_selectorItEEZNS1_11reduce_implILb1ES3_N6thrust23THRUST_200600_302600_NS6detail15normal_iteratorINS8_10device_ptrItEEEEPiiNS8_4plusIiEEEE10hipError_tPvRmT1_T2_T3_mT4_P12ihipStream_tbEUlT_E0_NS1_11comp_targetILNS1_3genE10ELNS1_11target_archE1201ELNS1_3gpuE5ELNS1_3repE0EEENS1_30default_config_static_selectorELNS0_4arch9wavefront6targetE1EEEvSK_.numbered_sgpr, 0
	.set _ZN7rocprim17ROCPRIM_400000_NS6detail17trampoline_kernelINS0_14default_configENS1_22reduce_config_selectorItEEZNS1_11reduce_implILb1ES3_N6thrust23THRUST_200600_302600_NS6detail15normal_iteratorINS8_10device_ptrItEEEEPiiNS8_4plusIiEEEE10hipError_tPvRmT1_T2_T3_mT4_P12ihipStream_tbEUlT_E0_NS1_11comp_targetILNS1_3genE10ELNS1_11target_archE1201ELNS1_3gpuE5ELNS1_3repE0EEENS1_30default_config_static_selectorELNS0_4arch9wavefront6targetE1EEEvSK_.num_named_barrier, 0
	.set _ZN7rocprim17ROCPRIM_400000_NS6detail17trampoline_kernelINS0_14default_configENS1_22reduce_config_selectorItEEZNS1_11reduce_implILb1ES3_N6thrust23THRUST_200600_302600_NS6detail15normal_iteratorINS8_10device_ptrItEEEEPiiNS8_4plusIiEEEE10hipError_tPvRmT1_T2_T3_mT4_P12ihipStream_tbEUlT_E0_NS1_11comp_targetILNS1_3genE10ELNS1_11target_archE1201ELNS1_3gpuE5ELNS1_3repE0EEENS1_30default_config_static_selectorELNS0_4arch9wavefront6targetE1EEEvSK_.private_seg_size, 0
	.set _ZN7rocprim17ROCPRIM_400000_NS6detail17trampoline_kernelINS0_14default_configENS1_22reduce_config_selectorItEEZNS1_11reduce_implILb1ES3_N6thrust23THRUST_200600_302600_NS6detail15normal_iteratorINS8_10device_ptrItEEEEPiiNS8_4plusIiEEEE10hipError_tPvRmT1_T2_T3_mT4_P12ihipStream_tbEUlT_E0_NS1_11comp_targetILNS1_3genE10ELNS1_11target_archE1201ELNS1_3gpuE5ELNS1_3repE0EEENS1_30default_config_static_selectorELNS0_4arch9wavefront6targetE1EEEvSK_.uses_vcc, 0
	.set _ZN7rocprim17ROCPRIM_400000_NS6detail17trampoline_kernelINS0_14default_configENS1_22reduce_config_selectorItEEZNS1_11reduce_implILb1ES3_N6thrust23THRUST_200600_302600_NS6detail15normal_iteratorINS8_10device_ptrItEEEEPiiNS8_4plusIiEEEE10hipError_tPvRmT1_T2_T3_mT4_P12ihipStream_tbEUlT_E0_NS1_11comp_targetILNS1_3genE10ELNS1_11target_archE1201ELNS1_3gpuE5ELNS1_3repE0EEENS1_30default_config_static_selectorELNS0_4arch9wavefront6targetE1EEEvSK_.uses_flat_scratch, 0
	.set _ZN7rocprim17ROCPRIM_400000_NS6detail17trampoline_kernelINS0_14default_configENS1_22reduce_config_selectorItEEZNS1_11reduce_implILb1ES3_N6thrust23THRUST_200600_302600_NS6detail15normal_iteratorINS8_10device_ptrItEEEEPiiNS8_4plusIiEEEE10hipError_tPvRmT1_T2_T3_mT4_P12ihipStream_tbEUlT_E0_NS1_11comp_targetILNS1_3genE10ELNS1_11target_archE1201ELNS1_3gpuE5ELNS1_3repE0EEENS1_30default_config_static_selectorELNS0_4arch9wavefront6targetE1EEEvSK_.has_dyn_sized_stack, 0
	.set _ZN7rocprim17ROCPRIM_400000_NS6detail17trampoline_kernelINS0_14default_configENS1_22reduce_config_selectorItEEZNS1_11reduce_implILb1ES3_N6thrust23THRUST_200600_302600_NS6detail15normal_iteratorINS8_10device_ptrItEEEEPiiNS8_4plusIiEEEE10hipError_tPvRmT1_T2_T3_mT4_P12ihipStream_tbEUlT_E0_NS1_11comp_targetILNS1_3genE10ELNS1_11target_archE1201ELNS1_3gpuE5ELNS1_3repE0EEENS1_30default_config_static_selectorELNS0_4arch9wavefront6targetE1EEEvSK_.has_recursion, 0
	.set _ZN7rocprim17ROCPRIM_400000_NS6detail17trampoline_kernelINS0_14default_configENS1_22reduce_config_selectorItEEZNS1_11reduce_implILb1ES3_N6thrust23THRUST_200600_302600_NS6detail15normal_iteratorINS8_10device_ptrItEEEEPiiNS8_4plusIiEEEE10hipError_tPvRmT1_T2_T3_mT4_P12ihipStream_tbEUlT_E0_NS1_11comp_targetILNS1_3genE10ELNS1_11target_archE1201ELNS1_3gpuE5ELNS1_3repE0EEENS1_30default_config_static_selectorELNS0_4arch9wavefront6targetE1EEEvSK_.has_indirect_call, 0
	.section	.AMDGPU.csdata,"",@progbits
; Kernel info:
; codeLenInByte = 0
; TotalNumSgprs: 6
; NumVgprs: 0
; NumAgprs: 0
; TotalNumVgprs: 0
; ScratchSize: 0
; MemoryBound: 0
; FloatMode: 240
; IeeeMode: 1
; LDSByteSize: 0 bytes/workgroup (compile time only)
; SGPRBlocks: 0
; VGPRBlocks: 0
; NumSGPRsForWavesPerEU: 6
; NumVGPRsForWavesPerEU: 1
; AccumOffset: 4
; Occupancy: 8
; WaveLimiterHint : 0
; COMPUTE_PGM_RSRC2:SCRATCH_EN: 0
; COMPUTE_PGM_RSRC2:USER_SGPR: 2
; COMPUTE_PGM_RSRC2:TRAP_HANDLER: 0
; COMPUTE_PGM_RSRC2:TGID_X_EN: 1
; COMPUTE_PGM_RSRC2:TGID_Y_EN: 0
; COMPUTE_PGM_RSRC2:TGID_Z_EN: 0
; COMPUTE_PGM_RSRC2:TIDIG_COMP_CNT: 0
; COMPUTE_PGM_RSRC3_GFX90A:ACCUM_OFFSET: 0
; COMPUTE_PGM_RSRC3_GFX90A:TG_SPLIT: 0
	.section	.text._ZN7rocprim17ROCPRIM_400000_NS6detail17trampoline_kernelINS0_14default_configENS1_22reduce_config_selectorItEEZNS1_11reduce_implILb1ES3_N6thrust23THRUST_200600_302600_NS6detail15normal_iteratorINS8_10device_ptrItEEEEPiiNS8_4plusIiEEEE10hipError_tPvRmT1_T2_T3_mT4_P12ihipStream_tbEUlT_E0_NS1_11comp_targetILNS1_3genE10ELNS1_11target_archE1200ELNS1_3gpuE4ELNS1_3repE0EEENS1_30default_config_static_selectorELNS0_4arch9wavefront6targetE1EEEvSK_,"axG",@progbits,_ZN7rocprim17ROCPRIM_400000_NS6detail17trampoline_kernelINS0_14default_configENS1_22reduce_config_selectorItEEZNS1_11reduce_implILb1ES3_N6thrust23THRUST_200600_302600_NS6detail15normal_iteratorINS8_10device_ptrItEEEEPiiNS8_4plusIiEEEE10hipError_tPvRmT1_T2_T3_mT4_P12ihipStream_tbEUlT_E0_NS1_11comp_targetILNS1_3genE10ELNS1_11target_archE1200ELNS1_3gpuE4ELNS1_3repE0EEENS1_30default_config_static_selectorELNS0_4arch9wavefront6targetE1EEEvSK_,comdat
	.protected	_ZN7rocprim17ROCPRIM_400000_NS6detail17trampoline_kernelINS0_14default_configENS1_22reduce_config_selectorItEEZNS1_11reduce_implILb1ES3_N6thrust23THRUST_200600_302600_NS6detail15normal_iteratorINS8_10device_ptrItEEEEPiiNS8_4plusIiEEEE10hipError_tPvRmT1_T2_T3_mT4_P12ihipStream_tbEUlT_E0_NS1_11comp_targetILNS1_3genE10ELNS1_11target_archE1200ELNS1_3gpuE4ELNS1_3repE0EEENS1_30default_config_static_selectorELNS0_4arch9wavefront6targetE1EEEvSK_ ; -- Begin function _ZN7rocprim17ROCPRIM_400000_NS6detail17trampoline_kernelINS0_14default_configENS1_22reduce_config_selectorItEEZNS1_11reduce_implILb1ES3_N6thrust23THRUST_200600_302600_NS6detail15normal_iteratorINS8_10device_ptrItEEEEPiiNS8_4plusIiEEEE10hipError_tPvRmT1_T2_T3_mT4_P12ihipStream_tbEUlT_E0_NS1_11comp_targetILNS1_3genE10ELNS1_11target_archE1200ELNS1_3gpuE4ELNS1_3repE0EEENS1_30default_config_static_selectorELNS0_4arch9wavefront6targetE1EEEvSK_
	.globl	_ZN7rocprim17ROCPRIM_400000_NS6detail17trampoline_kernelINS0_14default_configENS1_22reduce_config_selectorItEEZNS1_11reduce_implILb1ES3_N6thrust23THRUST_200600_302600_NS6detail15normal_iteratorINS8_10device_ptrItEEEEPiiNS8_4plusIiEEEE10hipError_tPvRmT1_T2_T3_mT4_P12ihipStream_tbEUlT_E0_NS1_11comp_targetILNS1_3genE10ELNS1_11target_archE1200ELNS1_3gpuE4ELNS1_3repE0EEENS1_30default_config_static_selectorELNS0_4arch9wavefront6targetE1EEEvSK_
	.p2align	8
	.type	_ZN7rocprim17ROCPRIM_400000_NS6detail17trampoline_kernelINS0_14default_configENS1_22reduce_config_selectorItEEZNS1_11reduce_implILb1ES3_N6thrust23THRUST_200600_302600_NS6detail15normal_iteratorINS8_10device_ptrItEEEEPiiNS8_4plusIiEEEE10hipError_tPvRmT1_T2_T3_mT4_P12ihipStream_tbEUlT_E0_NS1_11comp_targetILNS1_3genE10ELNS1_11target_archE1200ELNS1_3gpuE4ELNS1_3repE0EEENS1_30default_config_static_selectorELNS0_4arch9wavefront6targetE1EEEvSK_,@function
_ZN7rocprim17ROCPRIM_400000_NS6detail17trampoline_kernelINS0_14default_configENS1_22reduce_config_selectorItEEZNS1_11reduce_implILb1ES3_N6thrust23THRUST_200600_302600_NS6detail15normal_iteratorINS8_10device_ptrItEEEEPiiNS8_4plusIiEEEE10hipError_tPvRmT1_T2_T3_mT4_P12ihipStream_tbEUlT_E0_NS1_11comp_targetILNS1_3genE10ELNS1_11target_archE1200ELNS1_3gpuE4ELNS1_3repE0EEENS1_30default_config_static_selectorELNS0_4arch9wavefront6targetE1EEEvSK_: ; @_ZN7rocprim17ROCPRIM_400000_NS6detail17trampoline_kernelINS0_14default_configENS1_22reduce_config_selectorItEEZNS1_11reduce_implILb1ES3_N6thrust23THRUST_200600_302600_NS6detail15normal_iteratorINS8_10device_ptrItEEEEPiiNS8_4plusIiEEEE10hipError_tPvRmT1_T2_T3_mT4_P12ihipStream_tbEUlT_E0_NS1_11comp_targetILNS1_3genE10ELNS1_11target_archE1200ELNS1_3gpuE4ELNS1_3repE0EEENS1_30default_config_static_selectorELNS0_4arch9wavefront6targetE1EEEvSK_
; %bb.0:
	.section	.rodata,"a",@progbits
	.p2align	6, 0x0
	.amdhsa_kernel _ZN7rocprim17ROCPRIM_400000_NS6detail17trampoline_kernelINS0_14default_configENS1_22reduce_config_selectorItEEZNS1_11reduce_implILb1ES3_N6thrust23THRUST_200600_302600_NS6detail15normal_iteratorINS8_10device_ptrItEEEEPiiNS8_4plusIiEEEE10hipError_tPvRmT1_T2_T3_mT4_P12ihipStream_tbEUlT_E0_NS1_11comp_targetILNS1_3genE10ELNS1_11target_archE1200ELNS1_3gpuE4ELNS1_3repE0EEENS1_30default_config_static_selectorELNS0_4arch9wavefront6targetE1EEEvSK_
		.amdhsa_group_segment_fixed_size 0
		.amdhsa_private_segment_fixed_size 0
		.amdhsa_kernarg_size 56
		.amdhsa_user_sgpr_count 2
		.amdhsa_user_sgpr_dispatch_ptr 0
		.amdhsa_user_sgpr_queue_ptr 0
		.amdhsa_user_sgpr_kernarg_segment_ptr 1
		.amdhsa_user_sgpr_dispatch_id 0
		.amdhsa_user_sgpr_kernarg_preload_length 0
		.amdhsa_user_sgpr_kernarg_preload_offset 0
		.amdhsa_user_sgpr_private_segment_size 0
		.amdhsa_uses_dynamic_stack 0
		.amdhsa_enable_private_segment 0
		.amdhsa_system_sgpr_workgroup_id_x 1
		.amdhsa_system_sgpr_workgroup_id_y 0
		.amdhsa_system_sgpr_workgroup_id_z 0
		.amdhsa_system_sgpr_workgroup_info 0
		.amdhsa_system_vgpr_workitem_id 0
		.amdhsa_next_free_vgpr 1
		.amdhsa_next_free_sgpr 0
		.amdhsa_accum_offset 4
		.amdhsa_reserve_vcc 0
		.amdhsa_float_round_mode_32 0
		.amdhsa_float_round_mode_16_64 0
		.amdhsa_float_denorm_mode_32 3
		.amdhsa_float_denorm_mode_16_64 3
		.amdhsa_dx10_clamp 1
		.amdhsa_ieee_mode 1
		.amdhsa_fp16_overflow 0
		.amdhsa_tg_split 0
		.amdhsa_exception_fp_ieee_invalid_op 0
		.amdhsa_exception_fp_denorm_src 0
		.amdhsa_exception_fp_ieee_div_zero 0
		.amdhsa_exception_fp_ieee_overflow 0
		.amdhsa_exception_fp_ieee_underflow 0
		.amdhsa_exception_fp_ieee_inexact 0
		.amdhsa_exception_int_div_zero 0
	.end_amdhsa_kernel
	.section	.text._ZN7rocprim17ROCPRIM_400000_NS6detail17trampoline_kernelINS0_14default_configENS1_22reduce_config_selectorItEEZNS1_11reduce_implILb1ES3_N6thrust23THRUST_200600_302600_NS6detail15normal_iteratorINS8_10device_ptrItEEEEPiiNS8_4plusIiEEEE10hipError_tPvRmT1_T2_T3_mT4_P12ihipStream_tbEUlT_E0_NS1_11comp_targetILNS1_3genE10ELNS1_11target_archE1200ELNS1_3gpuE4ELNS1_3repE0EEENS1_30default_config_static_selectorELNS0_4arch9wavefront6targetE1EEEvSK_,"axG",@progbits,_ZN7rocprim17ROCPRIM_400000_NS6detail17trampoline_kernelINS0_14default_configENS1_22reduce_config_selectorItEEZNS1_11reduce_implILb1ES3_N6thrust23THRUST_200600_302600_NS6detail15normal_iteratorINS8_10device_ptrItEEEEPiiNS8_4plusIiEEEE10hipError_tPvRmT1_T2_T3_mT4_P12ihipStream_tbEUlT_E0_NS1_11comp_targetILNS1_3genE10ELNS1_11target_archE1200ELNS1_3gpuE4ELNS1_3repE0EEENS1_30default_config_static_selectorELNS0_4arch9wavefront6targetE1EEEvSK_,comdat
.Lfunc_end429:
	.size	_ZN7rocprim17ROCPRIM_400000_NS6detail17trampoline_kernelINS0_14default_configENS1_22reduce_config_selectorItEEZNS1_11reduce_implILb1ES3_N6thrust23THRUST_200600_302600_NS6detail15normal_iteratorINS8_10device_ptrItEEEEPiiNS8_4plusIiEEEE10hipError_tPvRmT1_T2_T3_mT4_P12ihipStream_tbEUlT_E0_NS1_11comp_targetILNS1_3genE10ELNS1_11target_archE1200ELNS1_3gpuE4ELNS1_3repE0EEENS1_30default_config_static_selectorELNS0_4arch9wavefront6targetE1EEEvSK_, .Lfunc_end429-_ZN7rocprim17ROCPRIM_400000_NS6detail17trampoline_kernelINS0_14default_configENS1_22reduce_config_selectorItEEZNS1_11reduce_implILb1ES3_N6thrust23THRUST_200600_302600_NS6detail15normal_iteratorINS8_10device_ptrItEEEEPiiNS8_4plusIiEEEE10hipError_tPvRmT1_T2_T3_mT4_P12ihipStream_tbEUlT_E0_NS1_11comp_targetILNS1_3genE10ELNS1_11target_archE1200ELNS1_3gpuE4ELNS1_3repE0EEENS1_30default_config_static_selectorELNS0_4arch9wavefront6targetE1EEEvSK_
                                        ; -- End function
	.set _ZN7rocprim17ROCPRIM_400000_NS6detail17trampoline_kernelINS0_14default_configENS1_22reduce_config_selectorItEEZNS1_11reduce_implILb1ES3_N6thrust23THRUST_200600_302600_NS6detail15normal_iteratorINS8_10device_ptrItEEEEPiiNS8_4plusIiEEEE10hipError_tPvRmT1_T2_T3_mT4_P12ihipStream_tbEUlT_E0_NS1_11comp_targetILNS1_3genE10ELNS1_11target_archE1200ELNS1_3gpuE4ELNS1_3repE0EEENS1_30default_config_static_selectorELNS0_4arch9wavefront6targetE1EEEvSK_.num_vgpr, 0
	.set _ZN7rocprim17ROCPRIM_400000_NS6detail17trampoline_kernelINS0_14default_configENS1_22reduce_config_selectorItEEZNS1_11reduce_implILb1ES3_N6thrust23THRUST_200600_302600_NS6detail15normal_iteratorINS8_10device_ptrItEEEEPiiNS8_4plusIiEEEE10hipError_tPvRmT1_T2_T3_mT4_P12ihipStream_tbEUlT_E0_NS1_11comp_targetILNS1_3genE10ELNS1_11target_archE1200ELNS1_3gpuE4ELNS1_3repE0EEENS1_30default_config_static_selectorELNS0_4arch9wavefront6targetE1EEEvSK_.num_agpr, 0
	.set _ZN7rocprim17ROCPRIM_400000_NS6detail17trampoline_kernelINS0_14default_configENS1_22reduce_config_selectorItEEZNS1_11reduce_implILb1ES3_N6thrust23THRUST_200600_302600_NS6detail15normal_iteratorINS8_10device_ptrItEEEEPiiNS8_4plusIiEEEE10hipError_tPvRmT1_T2_T3_mT4_P12ihipStream_tbEUlT_E0_NS1_11comp_targetILNS1_3genE10ELNS1_11target_archE1200ELNS1_3gpuE4ELNS1_3repE0EEENS1_30default_config_static_selectorELNS0_4arch9wavefront6targetE1EEEvSK_.numbered_sgpr, 0
	.set _ZN7rocprim17ROCPRIM_400000_NS6detail17trampoline_kernelINS0_14default_configENS1_22reduce_config_selectorItEEZNS1_11reduce_implILb1ES3_N6thrust23THRUST_200600_302600_NS6detail15normal_iteratorINS8_10device_ptrItEEEEPiiNS8_4plusIiEEEE10hipError_tPvRmT1_T2_T3_mT4_P12ihipStream_tbEUlT_E0_NS1_11comp_targetILNS1_3genE10ELNS1_11target_archE1200ELNS1_3gpuE4ELNS1_3repE0EEENS1_30default_config_static_selectorELNS0_4arch9wavefront6targetE1EEEvSK_.num_named_barrier, 0
	.set _ZN7rocprim17ROCPRIM_400000_NS6detail17trampoline_kernelINS0_14default_configENS1_22reduce_config_selectorItEEZNS1_11reduce_implILb1ES3_N6thrust23THRUST_200600_302600_NS6detail15normal_iteratorINS8_10device_ptrItEEEEPiiNS8_4plusIiEEEE10hipError_tPvRmT1_T2_T3_mT4_P12ihipStream_tbEUlT_E0_NS1_11comp_targetILNS1_3genE10ELNS1_11target_archE1200ELNS1_3gpuE4ELNS1_3repE0EEENS1_30default_config_static_selectorELNS0_4arch9wavefront6targetE1EEEvSK_.private_seg_size, 0
	.set _ZN7rocprim17ROCPRIM_400000_NS6detail17trampoline_kernelINS0_14default_configENS1_22reduce_config_selectorItEEZNS1_11reduce_implILb1ES3_N6thrust23THRUST_200600_302600_NS6detail15normal_iteratorINS8_10device_ptrItEEEEPiiNS8_4plusIiEEEE10hipError_tPvRmT1_T2_T3_mT4_P12ihipStream_tbEUlT_E0_NS1_11comp_targetILNS1_3genE10ELNS1_11target_archE1200ELNS1_3gpuE4ELNS1_3repE0EEENS1_30default_config_static_selectorELNS0_4arch9wavefront6targetE1EEEvSK_.uses_vcc, 0
	.set _ZN7rocprim17ROCPRIM_400000_NS6detail17trampoline_kernelINS0_14default_configENS1_22reduce_config_selectorItEEZNS1_11reduce_implILb1ES3_N6thrust23THRUST_200600_302600_NS6detail15normal_iteratorINS8_10device_ptrItEEEEPiiNS8_4plusIiEEEE10hipError_tPvRmT1_T2_T3_mT4_P12ihipStream_tbEUlT_E0_NS1_11comp_targetILNS1_3genE10ELNS1_11target_archE1200ELNS1_3gpuE4ELNS1_3repE0EEENS1_30default_config_static_selectorELNS0_4arch9wavefront6targetE1EEEvSK_.uses_flat_scratch, 0
	.set _ZN7rocprim17ROCPRIM_400000_NS6detail17trampoline_kernelINS0_14default_configENS1_22reduce_config_selectorItEEZNS1_11reduce_implILb1ES3_N6thrust23THRUST_200600_302600_NS6detail15normal_iteratorINS8_10device_ptrItEEEEPiiNS8_4plusIiEEEE10hipError_tPvRmT1_T2_T3_mT4_P12ihipStream_tbEUlT_E0_NS1_11comp_targetILNS1_3genE10ELNS1_11target_archE1200ELNS1_3gpuE4ELNS1_3repE0EEENS1_30default_config_static_selectorELNS0_4arch9wavefront6targetE1EEEvSK_.has_dyn_sized_stack, 0
	.set _ZN7rocprim17ROCPRIM_400000_NS6detail17trampoline_kernelINS0_14default_configENS1_22reduce_config_selectorItEEZNS1_11reduce_implILb1ES3_N6thrust23THRUST_200600_302600_NS6detail15normal_iteratorINS8_10device_ptrItEEEEPiiNS8_4plusIiEEEE10hipError_tPvRmT1_T2_T3_mT4_P12ihipStream_tbEUlT_E0_NS1_11comp_targetILNS1_3genE10ELNS1_11target_archE1200ELNS1_3gpuE4ELNS1_3repE0EEENS1_30default_config_static_selectorELNS0_4arch9wavefront6targetE1EEEvSK_.has_recursion, 0
	.set _ZN7rocprim17ROCPRIM_400000_NS6detail17trampoline_kernelINS0_14default_configENS1_22reduce_config_selectorItEEZNS1_11reduce_implILb1ES3_N6thrust23THRUST_200600_302600_NS6detail15normal_iteratorINS8_10device_ptrItEEEEPiiNS8_4plusIiEEEE10hipError_tPvRmT1_T2_T3_mT4_P12ihipStream_tbEUlT_E0_NS1_11comp_targetILNS1_3genE10ELNS1_11target_archE1200ELNS1_3gpuE4ELNS1_3repE0EEENS1_30default_config_static_selectorELNS0_4arch9wavefront6targetE1EEEvSK_.has_indirect_call, 0
	.section	.AMDGPU.csdata,"",@progbits
; Kernel info:
; codeLenInByte = 0
; TotalNumSgprs: 6
; NumVgprs: 0
; NumAgprs: 0
; TotalNumVgprs: 0
; ScratchSize: 0
; MemoryBound: 0
; FloatMode: 240
; IeeeMode: 1
; LDSByteSize: 0 bytes/workgroup (compile time only)
; SGPRBlocks: 0
; VGPRBlocks: 0
; NumSGPRsForWavesPerEU: 6
; NumVGPRsForWavesPerEU: 1
; AccumOffset: 4
; Occupancy: 8
; WaveLimiterHint : 0
; COMPUTE_PGM_RSRC2:SCRATCH_EN: 0
; COMPUTE_PGM_RSRC2:USER_SGPR: 2
; COMPUTE_PGM_RSRC2:TRAP_HANDLER: 0
; COMPUTE_PGM_RSRC2:TGID_X_EN: 1
; COMPUTE_PGM_RSRC2:TGID_Y_EN: 0
; COMPUTE_PGM_RSRC2:TGID_Z_EN: 0
; COMPUTE_PGM_RSRC2:TIDIG_COMP_CNT: 0
; COMPUTE_PGM_RSRC3_GFX90A:ACCUM_OFFSET: 0
; COMPUTE_PGM_RSRC3_GFX90A:TG_SPLIT: 0
	.section	.text._ZN7rocprim17ROCPRIM_400000_NS6detail17trampoline_kernelINS0_14default_configENS1_22reduce_config_selectorItEEZNS1_11reduce_implILb1ES3_N6thrust23THRUST_200600_302600_NS6detail15normal_iteratorINS8_10device_ptrItEEEEPiiNS8_4plusIiEEEE10hipError_tPvRmT1_T2_T3_mT4_P12ihipStream_tbEUlT_E0_NS1_11comp_targetILNS1_3genE9ELNS1_11target_archE1100ELNS1_3gpuE3ELNS1_3repE0EEENS1_30default_config_static_selectorELNS0_4arch9wavefront6targetE1EEEvSK_,"axG",@progbits,_ZN7rocprim17ROCPRIM_400000_NS6detail17trampoline_kernelINS0_14default_configENS1_22reduce_config_selectorItEEZNS1_11reduce_implILb1ES3_N6thrust23THRUST_200600_302600_NS6detail15normal_iteratorINS8_10device_ptrItEEEEPiiNS8_4plusIiEEEE10hipError_tPvRmT1_T2_T3_mT4_P12ihipStream_tbEUlT_E0_NS1_11comp_targetILNS1_3genE9ELNS1_11target_archE1100ELNS1_3gpuE3ELNS1_3repE0EEENS1_30default_config_static_selectorELNS0_4arch9wavefront6targetE1EEEvSK_,comdat
	.protected	_ZN7rocprim17ROCPRIM_400000_NS6detail17trampoline_kernelINS0_14default_configENS1_22reduce_config_selectorItEEZNS1_11reduce_implILb1ES3_N6thrust23THRUST_200600_302600_NS6detail15normal_iteratorINS8_10device_ptrItEEEEPiiNS8_4plusIiEEEE10hipError_tPvRmT1_T2_T3_mT4_P12ihipStream_tbEUlT_E0_NS1_11comp_targetILNS1_3genE9ELNS1_11target_archE1100ELNS1_3gpuE3ELNS1_3repE0EEENS1_30default_config_static_selectorELNS0_4arch9wavefront6targetE1EEEvSK_ ; -- Begin function _ZN7rocprim17ROCPRIM_400000_NS6detail17trampoline_kernelINS0_14default_configENS1_22reduce_config_selectorItEEZNS1_11reduce_implILb1ES3_N6thrust23THRUST_200600_302600_NS6detail15normal_iteratorINS8_10device_ptrItEEEEPiiNS8_4plusIiEEEE10hipError_tPvRmT1_T2_T3_mT4_P12ihipStream_tbEUlT_E0_NS1_11comp_targetILNS1_3genE9ELNS1_11target_archE1100ELNS1_3gpuE3ELNS1_3repE0EEENS1_30default_config_static_selectorELNS0_4arch9wavefront6targetE1EEEvSK_
	.globl	_ZN7rocprim17ROCPRIM_400000_NS6detail17trampoline_kernelINS0_14default_configENS1_22reduce_config_selectorItEEZNS1_11reduce_implILb1ES3_N6thrust23THRUST_200600_302600_NS6detail15normal_iteratorINS8_10device_ptrItEEEEPiiNS8_4plusIiEEEE10hipError_tPvRmT1_T2_T3_mT4_P12ihipStream_tbEUlT_E0_NS1_11comp_targetILNS1_3genE9ELNS1_11target_archE1100ELNS1_3gpuE3ELNS1_3repE0EEENS1_30default_config_static_selectorELNS0_4arch9wavefront6targetE1EEEvSK_
	.p2align	8
	.type	_ZN7rocprim17ROCPRIM_400000_NS6detail17trampoline_kernelINS0_14default_configENS1_22reduce_config_selectorItEEZNS1_11reduce_implILb1ES3_N6thrust23THRUST_200600_302600_NS6detail15normal_iteratorINS8_10device_ptrItEEEEPiiNS8_4plusIiEEEE10hipError_tPvRmT1_T2_T3_mT4_P12ihipStream_tbEUlT_E0_NS1_11comp_targetILNS1_3genE9ELNS1_11target_archE1100ELNS1_3gpuE3ELNS1_3repE0EEENS1_30default_config_static_selectorELNS0_4arch9wavefront6targetE1EEEvSK_,@function
_ZN7rocprim17ROCPRIM_400000_NS6detail17trampoline_kernelINS0_14default_configENS1_22reduce_config_selectorItEEZNS1_11reduce_implILb1ES3_N6thrust23THRUST_200600_302600_NS6detail15normal_iteratorINS8_10device_ptrItEEEEPiiNS8_4plusIiEEEE10hipError_tPvRmT1_T2_T3_mT4_P12ihipStream_tbEUlT_E0_NS1_11comp_targetILNS1_3genE9ELNS1_11target_archE1100ELNS1_3gpuE3ELNS1_3repE0EEENS1_30default_config_static_selectorELNS0_4arch9wavefront6targetE1EEEvSK_: ; @_ZN7rocprim17ROCPRIM_400000_NS6detail17trampoline_kernelINS0_14default_configENS1_22reduce_config_selectorItEEZNS1_11reduce_implILb1ES3_N6thrust23THRUST_200600_302600_NS6detail15normal_iteratorINS8_10device_ptrItEEEEPiiNS8_4plusIiEEEE10hipError_tPvRmT1_T2_T3_mT4_P12ihipStream_tbEUlT_E0_NS1_11comp_targetILNS1_3genE9ELNS1_11target_archE1100ELNS1_3gpuE3ELNS1_3repE0EEENS1_30default_config_static_selectorELNS0_4arch9wavefront6targetE1EEEvSK_
; %bb.0:
	.section	.rodata,"a",@progbits
	.p2align	6, 0x0
	.amdhsa_kernel _ZN7rocprim17ROCPRIM_400000_NS6detail17trampoline_kernelINS0_14default_configENS1_22reduce_config_selectorItEEZNS1_11reduce_implILb1ES3_N6thrust23THRUST_200600_302600_NS6detail15normal_iteratorINS8_10device_ptrItEEEEPiiNS8_4plusIiEEEE10hipError_tPvRmT1_T2_T3_mT4_P12ihipStream_tbEUlT_E0_NS1_11comp_targetILNS1_3genE9ELNS1_11target_archE1100ELNS1_3gpuE3ELNS1_3repE0EEENS1_30default_config_static_selectorELNS0_4arch9wavefront6targetE1EEEvSK_
		.amdhsa_group_segment_fixed_size 0
		.amdhsa_private_segment_fixed_size 0
		.amdhsa_kernarg_size 56
		.amdhsa_user_sgpr_count 2
		.amdhsa_user_sgpr_dispatch_ptr 0
		.amdhsa_user_sgpr_queue_ptr 0
		.amdhsa_user_sgpr_kernarg_segment_ptr 1
		.amdhsa_user_sgpr_dispatch_id 0
		.amdhsa_user_sgpr_kernarg_preload_length 0
		.amdhsa_user_sgpr_kernarg_preload_offset 0
		.amdhsa_user_sgpr_private_segment_size 0
		.amdhsa_uses_dynamic_stack 0
		.amdhsa_enable_private_segment 0
		.amdhsa_system_sgpr_workgroup_id_x 1
		.amdhsa_system_sgpr_workgroup_id_y 0
		.amdhsa_system_sgpr_workgroup_id_z 0
		.amdhsa_system_sgpr_workgroup_info 0
		.amdhsa_system_vgpr_workitem_id 0
		.amdhsa_next_free_vgpr 1
		.amdhsa_next_free_sgpr 0
		.amdhsa_accum_offset 4
		.amdhsa_reserve_vcc 0
		.amdhsa_float_round_mode_32 0
		.amdhsa_float_round_mode_16_64 0
		.amdhsa_float_denorm_mode_32 3
		.amdhsa_float_denorm_mode_16_64 3
		.amdhsa_dx10_clamp 1
		.amdhsa_ieee_mode 1
		.amdhsa_fp16_overflow 0
		.amdhsa_tg_split 0
		.amdhsa_exception_fp_ieee_invalid_op 0
		.amdhsa_exception_fp_denorm_src 0
		.amdhsa_exception_fp_ieee_div_zero 0
		.amdhsa_exception_fp_ieee_overflow 0
		.amdhsa_exception_fp_ieee_underflow 0
		.amdhsa_exception_fp_ieee_inexact 0
		.amdhsa_exception_int_div_zero 0
	.end_amdhsa_kernel
	.section	.text._ZN7rocprim17ROCPRIM_400000_NS6detail17trampoline_kernelINS0_14default_configENS1_22reduce_config_selectorItEEZNS1_11reduce_implILb1ES3_N6thrust23THRUST_200600_302600_NS6detail15normal_iteratorINS8_10device_ptrItEEEEPiiNS8_4plusIiEEEE10hipError_tPvRmT1_T2_T3_mT4_P12ihipStream_tbEUlT_E0_NS1_11comp_targetILNS1_3genE9ELNS1_11target_archE1100ELNS1_3gpuE3ELNS1_3repE0EEENS1_30default_config_static_selectorELNS0_4arch9wavefront6targetE1EEEvSK_,"axG",@progbits,_ZN7rocprim17ROCPRIM_400000_NS6detail17trampoline_kernelINS0_14default_configENS1_22reduce_config_selectorItEEZNS1_11reduce_implILb1ES3_N6thrust23THRUST_200600_302600_NS6detail15normal_iteratorINS8_10device_ptrItEEEEPiiNS8_4plusIiEEEE10hipError_tPvRmT1_T2_T3_mT4_P12ihipStream_tbEUlT_E0_NS1_11comp_targetILNS1_3genE9ELNS1_11target_archE1100ELNS1_3gpuE3ELNS1_3repE0EEENS1_30default_config_static_selectorELNS0_4arch9wavefront6targetE1EEEvSK_,comdat
.Lfunc_end430:
	.size	_ZN7rocprim17ROCPRIM_400000_NS6detail17trampoline_kernelINS0_14default_configENS1_22reduce_config_selectorItEEZNS1_11reduce_implILb1ES3_N6thrust23THRUST_200600_302600_NS6detail15normal_iteratorINS8_10device_ptrItEEEEPiiNS8_4plusIiEEEE10hipError_tPvRmT1_T2_T3_mT4_P12ihipStream_tbEUlT_E0_NS1_11comp_targetILNS1_3genE9ELNS1_11target_archE1100ELNS1_3gpuE3ELNS1_3repE0EEENS1_30default_config_static_selectorELNS0_4arch9wavefront6targetE1EEEvSK_, .Lfunc_end430-_ZN7rocprim17ROCPRIM_400000_NS6detail17trampoline_kernelINS0_14default_configENS1_22reduce_config_selectorItEEZNS1_11reduce_implILb1ES3_N6thrust23THRUST_200600_302600_NS6detail15normal_iteratorINS8_10device_ptrItEEEEPiiNS8_4plusIiEEEE10hipError_tPvRmT1_T2_T3_mT4_P12ihipStream_tbEUlT_E0_NS1_11comp_targetILNS1_3genE9ELNS1_11target_archE1100ELNS1_3gpuE3ELNS1_3repE0EEENS1_30default_config_static_selectorELNS0_4arch9wavefront6targetE1EEEvSK_
                                        ; -- End function
	.set _ZN7rocprim17ROCPRIM_400000_NS6detail17trampoline_kernelINS0_14default_configENS1_22reduce_config_selectorItEEZNS1_11reduce_implILb1ES3_N6thrust23THRUST_200600_302600_NS6detail15normal_iteratorINS8_10device_ptrItEEEEPiiNS8_4plusIiEEEE10hipError_tPvRmT1_T2_T3_mT4_P12ihipStream_tbEUlT_E0_NS1_11comp_targetILNS1_3genE9ELNS1_11target_archE1100ELNS1_3gpuE3ELNS1_3repE0EEENS1_30default_config_static_selectorELNS0_4arch9wavefront6targetE1EEEvSK_.num_vgpr, 0
	.set _ZN7rocprim17ROCPRIM_400000_NS6detail17trampoline_kernelINS0_14default_configENS1_22reduce_config_selectorItEEZNS1_11reduce_implILb1ES3_N6thrust23THRUST_200600_302600_NS6detail15normal_iteratorINS8_10device_ptrItEEEEPiiNS8_4plusIiEEEE10hipError_tPvRmT1_T2_T3_mT4_P12ihipStream_tbEUlT_E0_NS1_11comp_targetILNS1_3genE9ELNS1_11target_archE1100ELNS1_3gpuE3ELNS1_3repE0EEENS1_30default_config_static_selectorELNS0_4arch9wavefront6targetE1EEEvSK_.num_agpr, 0
	.set _ZN7rocprim17ROCPRIM_400000_NS6detail17trampoline_kernelINS0_14default_configENS1_22reduce_config_selectorItEEZNS1_11reduce_implILb1ES3_N6thrust23THRUST_200600_302600_NS6detail15normal_iteratorINS8_10device_ptrItEEEEPiiNS8_4plusIiEEEE10hipError_tPvRmT1_T2_T3_mT4_P12ihipStream_tbEUlT_E0_NS1_11comp_targetILNS1_3genE9ELNS1_11target_archE1100ELNS1_3gpuE3ELNS1_3repE0EEENS1_30default_config_static_selectorELNS0_4arch9wavefront6targetE1EEEvSK_.numbered_sgpr, 0
	.set _ZN7rocprim17ROCPRIM_400000_NS6detail17trampoline_kernelINS0_14default_configENS1_22reduce_config_selectorItEEZNS1_11reduce_implILb1ES3_N6thrust23THRUST_200600_302600_NS6detail15normal_iteratorINS8_10device_ptrItEEEEPiiNS8_4plusIiEEEE10hipError_tPvRmT1_T2_T3_mT4_P12ihipStream_tbEUlT_E0_NS1_11comp_targetILNS1_3genE9ELNS1_11target_archE1100ELNS1_3gpuE3ELNS1_3repE0EEENS1_30default_config_static_selectorELNS0_4arch9wavefront6targetE1EEEvSK_.num_named_barrier, 0
	.set _ZN7rocprim17ROCPRIM_400000_NS6detail17trampoline_kernelINS0_14default_configENS1_22reduce_config_selectorItEEZNS1_11reduce_implILb1ES3_N6thrust23THRUST_200600_302600_NS6detail15normal_iteratorINS8_10device_ptrItEEEEPiiNS8_4plusIiEEEE10hipError_tPvRmT1_T2_T3_mT4_P12ihipStream_tbEUlT_E0_NS1_11comp_targetILNS1_3genE9ELNS1_11target_archE1100ELNS1_3gpuE3ELNS1_3repE0EEENS1_30default_config_static_selectorELNS0_4arch9wavefront6targetE1EEEvSK_.private_seg_size, 0
	.set _ZN7rocprim17ROCPRIM_400000_NS6detail17trampoline_kernelINS0_14default_configENS1_22reduce_config_selectorItEEZNS1_11reduce_implILb1ES3_N6thrust23THRUST_200600_302600_NS6detail15normal_iteratorINS8_10device_ptrItEEEEPiiNS8_4plusIiEEEE10hipError_tPvRmT1_T2_T3_mT4_P12ihipStream_tbEUlT_E0_NS1_11comp_targetILNS1_3genE9ELNS1_11target_archE1100ELNS1_3gpuE3ELNS1_3repE0EEENS1_30default_config_static_selectorELNS0_4arch9wavefront6targetE1EEEvSK_.uses_vcc, 0
	.set _ZN7rocprim17ROCPRIM_400000_NS6detail17trampoline_kernelINS0_14default_configENS1_22reduce_config_selectorItEEZNS1_11reduce_implILb1ES3_N6thrust23THRUST_200600_302600_NS6detail15normal_iteratorINS8_10device_ptrItEEEEPiiNS8_4plusIiEEEE10hipError_tPvRmT1_T2_T3_mT4_P12ihipStream_tbEUlT_E0_NS1_11comp_targetILNS1_3genE9ELNS1_11target_archE1100ELNS1_3gpuE3ELNS1_3repE0EEENS1_30default_config_static_selectorELNS0_4arch9wavefront6targetE1EEEvSK_.uses_flat_scratch, 0
	.set _ZN7rocprim17ROCPRIM_400000_NS6detail17trampoline_kernelINS0_14default_configENS1_22reduce_config_selectorItEEZNS1_11reduce_implILb1ES3_N6thrust23THRUST_200600_302600_NS6detail15normal_iteratorINS8_10device_ptrItEEEEPiiNS8_4plusIiEEEE10hipError_tPvRmT1_T2_T3_mT4_P12ihipStream_tbEUlT_E0_NS1_11comp_targetILNS1_3genE9ELNS1_11target_archE1100ELNS1_3gpuE3ELNS1_3repE0EEENS1_30default_config_static_selectorELNS0_4arch9wavefront6targetE1EEEvSK_.has_dyn_sized_stack, 0
	.set _ZN7rocprim17ROCPRIM_400000_NS6detail17trampoline_kernelINS0_14default_configENS1_22reduce_config_selectorItEEZNS1_11reduce_implILb1ES3_N6thrust23THRUST_200600_302600_NS6detail15normal_iteratorINS8_10device_ptrItEEEEPiiNS8_4plusIiEEEE10hipError_tPvRmT1_T2_T3_mT4_P12ihipStream_tbEUlT_E0_NS1_11comp_targetILNS1_3genE9ELNS1_11target_archE1100ELNS1_3gpuE3ELNS1_3repE0EEENS1_30default_config_static_selectorELNS0_4arch9wavefront6targetE1EEEvSK_.has_recursion, 0
	.set _ZN7rocprim17ROCPRIM_400000_NS6detail17trampoline_kernelINS0_14default_configENS1_22reduce_config_selectorItEEZNS1_11reduce_implILb1ES3_N6thrust23THRUST_200600_302600_NS6detail15normal_iteratorINS8_10device_ptrItEEEEPiiNS8_4plusIiEEEE10hipError_tPvRmT1_T2_T3_mT4_P12ihipStream_tbEUlT_E0_NS1_11comp_targetILNS1_3genE9ELNS1_11target_archE1100ELNS1_3gpuE3ELNS1_3repE0EEENS1_30default_config_static_selectorELNS0_4arch9wavefront6targetE1EEEvSK_.has_indirect_call, 0
	.section	.AMDGPU.csdata,"",@progbits
; Kernel info:
; codeLenInByte = 0
; TotalNumSgprs: 6
; NumVgprs: 0
; NumAgprs: 0
; TotalNumVgprs: 0
; ScratchSize: 0
; MemoryBound: 0
; FloatMode: 240
; IeeeMode: 1
; LDSByteSize: 0 bytes/workgroup (compile time only)
; SGPRBlocks: 0
; VGPRBlocks: 0
; NumSGPRsForWavesPerEU: 6
; NumVGPRsForWavesPerEU: 1
; AccumOffset: 4
; Occupancy: 8
; WaveLimiterHint : 0
; COMPUTE_PGM_RSRC2:SCRATCH_EN: 0
; COMPUTE_PGM_RSRC2:USER_SGPR: 2
; COMPUTE_PGM_RSRC2:TRAP_HANDLER: 0
; COMPUTE_PGM_RSRC2:TGID_X_EN: 1
; COMPUTE_PGM_RSRC2:TGID_Y_EN: 0
; COMPUTE_PGM_RSRC2:TGID_Z_EN: 0
; COMPUTE_PGM_RSRC2:TIDIG_COMP_CNT: 0
; COMPUTE_PGM_RSRC3_GFX90A:ACCUM_OFFSET: 0
; COMPUTE_PGM_RSRC3_GFX90A:TG_SPLIT: 0
	.section	.text._ZN7rocprim17ROCPRIM_400000_NS6detail17trampoline_kernelINS0_14default_configENS1_22reduce_config_selectorItEEZNS1_11reduce_implILb1ES3_N6thrust23THRUST_200600_302600_NS6detail15normal_iteratorINS8_10device_ptrItEEEEPiiNS8_4plusIiEEEE10hipError_tPvRmT1_T2_T3_mT4_P12ihipStream_tbEUlT_E0_NS1_11comp_targetILNS1_3genE8ELNS1_11target_archE1030ELNS1_3gpuE2ELNS1_3repE0EEENS1_30default_config_static_selectorELNS0_4arch9wavefront6targetE1EEEvSK_,"axG",@progbits,_ZN7rocprim17ROCPRIM_400000_NS6detail17trampoline_kernelINS0_14default_configENS1_22reduce_config_selectorItEEZNS1_11reduce_implILb1ES3_N6thrust23THRUST_200600_302600_NS6detail15normal_iteratorINS8_10device_ptrItEEEEPiiNS8_4plusIiEEEE10hipError_tPvRmT1_T2_T3_mT4_P12ihipStream_tbEUlT_E0_NS1_11comp_targetILNS1_3genE8ELNS1_11target_archE1030ELNS1_3gpuE2ELNS1_3repE0EEENS1_30default_config_static_selectorELNS0_4arch9wavefront6targetE1EEEvSK_,comdat
	.protected	_ZN7rocprim17ROCPRIM_400000_NS6detail17trampoline_kernelINS0_14default_configENS1_22reduce_config_selectorItEEZNS1_11reduce_implILb1ES3_N6thrust23THRUST_200600_302600_NS6detail15normal_iteratorINS8_10device_ptrItEEEEPiiNS8_4plusIiEEEE10hipError_tPvRmT1_T2_T3_mT4_P12ihipStream_tbEUlT_E0_NS1_11comp_targetILNS1_3genE8ELNS1_11target_archE1030ELNS1_3gpuE2ELNS1_3repE0EEENS1_30default_config_static_selectorELNS0_4arch9wavefront6targetE1EEEvSK_ ; -- Begin function _ZN7rocprim17ROCPRIM_400000_NS6detail17trampoline_kernelINS0_14default_configENS1_22reduce_config_selectorItEEZNS1_11reduce_implILb1ES3_N6thrust23THRUST_200600_302600_NS6detail15normal_iteratorINS8_10device_ptrItEEEEPiiNS8_4plusIiEEEE10hipError_tPvRmT1_T2_T3_mT4_P12ihipStream_tbEUlT_E0_NS1_11comp_targetILNS1_3genE8ELNS1_11target_archE1030ELNS1_3gpuE2ELNS1_3repE0EEENS1_30default_config_static_selectorELNS0_4arch9wavefront6targetE1EEEvSK_
	.globl	_ZN7rocprim17ROCPRIM_400000_NS6detail17trampoline_kernelINS0_14default_configENS1_22reduce_config_selectorItEEZNS1_11reduce_implILb1ES3_N6thrust23THRUST_200600_302600_NS6detail15normal_iteratorINS8_10device_ptrItEEEEPiiNS8_4plusIiEEEE10hipError_tPvRmT1_T2_T3_mT4_P12ihipStream_tbEUlT_E0_NS1_11comp_targetILNS1_3genE8ELNS1_11target_archE1030ELNS1_3gpuE2ELNS1_3repE0EEENS1_30default_config_static_selectorELNS0_4arch9wavefront6targetE1EEEvSK_
	.p2align	8
	.type	_ZN7rocprim17ROCPRIM_400000_NS6detail17trampoline_kernelINS0_14default_configENS1_22reduce_config_selectorItEEZNS1_11reduce_implILb1ES3_N6thrust23THRUST_200600_302600_NS6detail15normal_iteratorINS8_10device_ptrItEEEEPiiNS8_4plusIiEEEE10hipError_tPvRmT1_T2_T3_mT4_P12ihipStream_tbEUlT_E0_NS1_11comp_targetILNS1_3genE8ELNS1_11target_archE1030ELNS1_3gpuE2ELNS1_3repE0EEENS1_30default_config_static_selectorELNS0_4arch9wavefront6targetE1EEEvSK_,@function
_ZN7rocprim17ROCPRIM_400000_NS6detail17trampoline_kernelINS0_14default_configENS1_22reduce_config_selectorItEEZNS1_11reduce_implILb1ES3_N6thrust23THRUST_200600_302600_NS6detail15normal_iteratorINS8_10device_ptrItEEEEPiiNS8_4plusIiEEEE10hipError_tPvRmT1_T2_T3_mT4_P12ihipStream_tbEUlT_E0_NS1_11comp_targetILNS1_3genE8ELNS1_11target_archE1030ELNS1_3gpuE2ELNS1_3repE0EEENS1_30default_config_static_selectorELNS0_4arch9wavefront6targetE1EEEvSK_: ; @_ZN7rocprim17ROCPRIM_400000_NS6detail17trampoline_kernelINS0_14default_configENS1_22reduce_config_selectorItEEZNS1_11reduce_implILb1ES3_N6thrust23THRUST_200600_302600_NS6detail15normal_iteratorINS8_10device_ptrItEEEEPiiNS8_4plusIiEEEE10hipError_tPvRmT1_T2_T3_mT4_P12ihipStream_tbEUlT_E0_NS1_11comp_targetILNS1_3genE8ELNS1_11target_archE1030ELNS1_3gpuE2ELNS1_3repE0EEENS1_30default_config_static_selectorELNS0_4arch9wavefront6targetE1EEEvSK_
; %bb.0:
	.section	.rodata,"a",@progbits
	.p2align	6, 0x0
	.amdhsa_kernel _ZN7rocprim17ROCPRIM_400000_NS6detail17trampoline_kernelINS0_14default_configENS1_22reduce_config_selectorItEEZNS1_11reduce_implILb1ES3_N6thrust23THRUST_200600_302600_NS6detail15normal_iteratorINS8_10device_ptrItEEEEPiiNS8_4plusIiEEEE10hipError_tPvRmT1_T2_T3_mT4_P12ihipStream_tbEUlT_E0_NS1_11comp_targetILNS1_3genE8ELNS1_11target_archE1030ELNS1_3gpuE2ELNS1_3repE0EEENS1_30default_config_static_selectorELNS0_4arch9wavefront6targetE1EEEvSK_
		.amdhsa_group_segment_fixed_size 0
		.amdhsa_private_segment_fixed_size 0
		.amdhsa_kernarg_size 56
		.amdhsa_user_sgpr_count 2
		.amdhsa_user_sgpr_dispatch_ptr 0
		.amdhsa_user_sgpr_queue_ptr 0
		.amdhsa_user_sgpr_kernarg_segment_ptr 1
		.amdhsa_user_sgpr_dispatch_id 0
		.amdhsa_user_sgpr_kernarg_preload_length 0
		.amdhsa_user_sgpr_kernarg_preload_offset 0
		.amdhsa_user_sgpr_private_segment_size 0
		.amdhsa_uses_dynamic_stack 0
		.amdhsa_enable_private_segment 0
		.amdhsa_system_sgpr_workgroup_id_x 1
		.amdhsa_system_sgpr_workgroup_id_y 0
		.amdhsa_system_sgpr_workgroup_id_z 0
		.amdhsa_system_sgpr_workgroup_info 0
		.amdhsa_system_vgpr_workitem_id 0
		.amdhsa_next_free_vgpr 1
		.amdhsa_next_free_sgpr 0
		.amdhsa_accum_offset 4
		.amdhsa_reserve_vcc 0
		.amdhsa_float_round_mode_32 0
		.amdhsa_float_round_mode_16_64 0
		.amdhsa_float_denorm_mode_32 3
		.amdhsa_float_denorm_mode_16_64 3
		.amdhsa_dx10_clamp 1
		.amdhsa_ieee_mode 1
		.amdhsa_fp16_overflow 0
		.amdhsa_tg_split 0
		.amdhsa_exception_fp_ieee_invalid_op 0
		.amdhsa_exception_fp_denorm_src 0
		.amdhsa_exception_fp_ieee_div_zero 0
		.amdhsa_exception_fp_ieee_overflow 0
		.amdhsa_exception_fp_ieee_underflow 0
		.amdhsa_exception_fp_ieee_inexact 0
		.amdhsa_exception_int_div_zero 0
	.end_amdhsa_kernel
	.section	.text._ZN7rocprim17ROCPRIM_400000_NS6detail17trampoline_kernelINS0_14default_configENS1_22reduce_config_selectorItEEZNS1_11reduce_implILb1ES3_N6thrust23THRUST_200600_302600_NS6detail15normal_iteratorINS8_10device_ptrItEEEEPiiNS8_4plusIiEEEE10hipError_tPvRmT1_T2_T3_mT4_P12ihipStream_tbEUlT_E0_NS1_11comp_targetILNS1_3genE8ELNS1_11target_archE1030ELNS1_3gpuE2ELNS1_3repE0EEENS1_30default_config_static_selectorELNS0_4arch9wavefront6targetE1EEEvSK_,"axG",@progbits,_ZN7rocprim17ROCPRIM_400000_NS6detail17trampoline_kernelINS0_14default_configENS1_22reduce_config_selectorItEEZNS1_11reduce_implILb1ES3_N6thrust23THRUST_200600_302600_NS6detail15normal_iteratorINS8_10device_ptrItEEEEPiiNS8_4plusIiEEEE10hipError_tPvRmT1_T2_T3_mT4_P12ihipStream_tbEUlT_E0_NS1_11comp_targetILNS1_3genE8ELNS1_11target_archE1030ELNS1_3gpuE2ELNS1_3repE0EEENS1_30default_config_static_selectorELNS0_4arch9wavefront6targetE1EEEvSK_,comdat
.Lfunc_end431:
	.size	_ZN7rocprim17ROCPRIM_400000_NS6detail17trampoline_kernelINS0_14default_configENS1_22reduce_config_selectorItEEZNS1_11reduce_implILb1ES3_N6thrust23THRUST_200600_302600_NS6detail15normal_iteratorINS8_10device_ptrItEEEEPiiNS8_4plusIiEEEE10hipError_tPvRmT1_T2_T3_mT4_P12ihipStream_tbEUlT_E0_NS1_11comp_targetILNS1_3genE8ELNS1_11target_archE1030ELNS1_3gpuE2ELNS1_3repE0EEENS1_30default_config_static_selectorELNS0_4arch9wavefront6targetE1EEEvSK_, .Lfunc_end431-_ZN7rocprim17ROCPRIM_400000_NS6detail17trampoline_kernelINS0_14default_configENS1_22reduce_config_selectorItEEZNS1_11reduce_implILb1ES3_N6thrust23THRUST_200600_302600_NS6detail15normal_iteratorINS8_10device_ptrItEEEEPiiNS8_4plusIiEEEE10hipError_tPvRmT1_T2_T3_mT4_P12ihipStream_tbEUlT_E0_NS1_11comp_targetILNS1_3genE8ELNS1_11target_archE1030ELNS1_3gpuE2ELNS1_3repE0EEENS1_30default_config_static_selectorELNS0_4arch9wavefront6targetE1EEEvSK_
                                        ; -- End function
	.set _ZN7rocprim17ROCPRIM_400000_NS6detail17trampoline_kernelINS0_14default_configENS1_22reduce_config_selectorItEEZNS1_11reduce_implILb1ES3_N6thrust23THRUST_200600_302600_NS6detail15normal_iteratorINS8_10device_ptrItEEEEPiiNS8_4plusIiEEEE10hipError_tPvRmT1_T2_T3_mT4_P12ihipStream_tbEUlT_E0_NS1_11comp_targetILNS1_3genE8ELNS1_11target_archE1030ELNS1_3gpuE2ELNS1_3repE0EEENS1_30default_config_static_selectorELNS0_4arch9wavefront6targetE1EEEvSK_.num_vgpr, 0
	.set _ZN7rocprim17ROCPRIM_400000_NS6detail17trampoline_kernelINS0_14default_configENS1_22reduce_config_selectorItEEZNS1_11reduce_implILb1ES3_N6thrust23THRUST_200600_302600_NS6detail15normal_iteratorINS8_10device_ptrItEEEEPiiNS8_4plusIiEEEE10hipError_tPvRmT1_T2_T3_mT4_P12ihipStream_tbEUlT_E0_NS1_11comp_targetILNS1_3genE8ELNS1_11target_archE1030ELNS1_3gpuE2ELNS1_3repE0EEENS1_30default_config_static_selectorELNS0_4arch9wavefront6targetE1EEEvSK_.num_agpr, 0
	.set _ZN7rocprim17ROCPRIM_400000_NS6detail17trampoline_kernelINS0_14default_configENS1_22reduce_config_selectorItEEZNS1_11reduce_implILb1ES3_N6thrust23THRUST_200600_302600_NS6detail15normal_iteratorINS8_10device_ptrItEEEEPiiNS8_4plusIiEEEE10hipError_tPvRmT1_T2_T3_mT4_P12ihipStream_tbEUlT_E0_NS1_11comp_targetILNS1_3genE8ELNS1_11target_archE1030ELNS1_3gpuE2ELNS1_3repE0EEENS1_30default_config_static_selectorELNS0_4arch9wavefront6targetE1EEEvSK_.numbered_sgpr, 0
	.set _ZN7rocprim17ROCPRIM_400000_NS6detail17trampoline_kernelINS0_14default_configENS1_22reduce_config_selectorItEEZNS1_11reduce_implILb1ES3_N6thrust23THRUST_200600_302600_NS6detail15normal_iteratorINS8_10device_ptrItEEEEPiiNS8_4plusIiEEEE10hipError_tPvRmT1_T2_T3_mT4_P12ihipStream_tbEUlT_E0_NS1_11comp_targetILNS1_3genE8ELNS1_11target_archE1030ELNS1_3gpuE2ELNS1_3repE0EEENS1_30default_config_static_selectorELNS0_4arch9wavefront6targetE1EEEvSK_.num_named_barrier, 0
	.set _ZN7rocprim17ROCPRIM_400000_NS6detail17trampoline_kernelINS0_14default_configENS1_22reduce_config_selectorItEEZNS1_11reduce_implILb1ES3_N6thrust23THRUST_200600_302600_NS6detail15normal_iteratorINS8_10device_ptrItEEEEPiiNS8_4plusIiEEEE10hipError_tPvRmT1_T2_T3_mT4_P12ihipStream_tbEUlT_E0_NS1_11comp_targetILNS1_3genE8ELNS1_11target_archE1030ELNS1_3gpuE2ELNS1_3repE0EEENS1_30default_config_static_selectorELNS0_4arch9wavefront6targetE1EEEvSK_.private_seg_size, 0
	.set _ZN7rocprim17ROCPRIM_400000_NS6detail17trampoline_kernelINS0_14default_configENS1_22reduce_config_selectorItEEZNS1_11reduce_implILb1ES3_N6thrust23THRUST_200600_302600_NS6detail15normal_iteratorINS8_10device_ptrItEEEEPiiNS8_4plusIiEEEE10hipError_tPvRmT1_T2_T3_mT4_P12ihipStream_tbEUlT_E0_NS1_11comp_targetILNS1_3genE8ELNS1_11target_archE1030ELNS1_3gpuE2ELNS1_3repE0EEENS1_30default_config_static_selectorELNS0_4arch9wavefront6targetE1EEEvSK_.uses_vcc, 0
	.set _ZN7rocprim17ROCPRIM_400000_NS6detail17trampoline_kernelINS0_14default_configENS1_22reduce_config_selectorItEEZNS1_11reduce_implILb1ES3_N6thrust23THRUST_200600_302600_NS6detail15normal_iteratorINS8_10device_ptrItEEEEPiiNS8_4plusIiEEEE10hipError_tPvRmT1_T2_T3_mT4_P12ihipStream_tbEUlT_E0_NS1_11comp_targetILNS1_3genE8ELNS1_11target_archE1030ELNS1_3gpuE2ELNS1_3repE0EEENS1_30default_config_static_selectorELNS0_4arch9wavefront6targetE1EEEvSK_.uses_flat_scratch, 0
	.set _ZN7rocprim17ROCPRIM_400000_NS6detail17trampoline_kernelINS0_14default_configENS1_22reduce_config_selectorItEEZNS1_11reduce_implILb1ES3_N6thrust23THRUST_200600_302600_NS6detail15normal_iteratorINS8_10device_ptrItEEEEPiiNS8_4plusIiEEEE10hipError_tPvRmT1_T2_T3_mT4_P12ihipStream_tbEUlT_E0_NS1_11comp_targetILNS1_3genE8ELNS1_11target_archE1030ELNS1_3gpuE2ELNS1_3repE0EEENS1_30default_config_static_selectorELNS0_4arch9wavefront6targetE1EEEvSK_.has_dyn_sized_stack, 0
	.set _ZN7rocprim17ROCPRIM_400000_NS6detail17trampoline_kernelINS0_14default_configENS1_22reduce_config_selectorItEEZNS1_11reduce_implILb1ES3_N6thrust23THRUST_200600_302600_NS6detail15normal_iteratorINS8_10device_ptrItEEEEPiiNS8_4plusIiEEEE10hipError_tPvRmT1_T2_T3_mT4_P12ihipStream_tbEUlT_E0_NS1_11comp_targetILNS1_3genE8ELNS1_11target_archE1030ELNS1_3gpuE2ELNS1_3repE0EEENS1_30default_config_static_selectorELNS0_4arch9wavefront6targetE1EEEvSK_.has_recursion, 0
	.set _ZN7rocprim17ROCPRIM_400000_NS6detail17trampoline_kernelINS0_14default_configENS1_22reduce_config_selectorItEEZNS1_11reduce_implILb1ES3_N6thrust23THRUST_200600_302600_NS6detail15normal_iteratorINS8_10device_ptrItEEEEPiiNS8_4plusIiEEEE10hipError_tPvRmT1_T2_T3_mT4_P12ihipStream_tbEUlT_E0_NS1_11comp_targetILNS1_3genE8ELNS1_11target_archE1030ELNS1_3gpuE2ELNS1_3repE0EEENS1_30default_config_static_selectorELNS0_4arch9wavefront6targetE1EEEvSK_.has_indirect_call, 0
	.section	.AMDGPU.csdata,"",@progbits
; Kernel info:
; codeLenInByte = 0
; TotalNumSgprs: 6
; NumVgprs: 0
; NumAgprs: 0
; TotalNumVgprs: 0
; ScratchSize: 0
; MemoryBound: 0
; FloatMode: 240
; IeeeMode: 1
; LDSByteSize: 0 bytes/workgroup (compile time only)
; SGPRBlocks: 0
; VGPRBlocks: 0
; NumSGPRsForWavesPerEU: 6
; NumVGPRsForWavesPerEU: 1
; AccumOffset: 4
; Occupancy: 8
; WaveLimiterHint : 0
; COMPUTE_PGM_RSRC2:SCRATCH_EN: 0
; COMPUTE_PGM_RSRC2:USER_SGPR: 2
; COMPUTE_PGM_RSRC2:TRAP_HANDLER: 0
; COMPUTE_PGM_RSRC2:TGID_X_EN: 1
; COMPUTE_PGM_RSRC2:TGID_Y_EN: 0
; COMPUTE_PGM_RSRC2:TGID_Z_EN: 0
; COMPUTE_PGM_RSRC2:TIDIG_COMP_CNT: 0
; COMPUTE_PGM_RSRC3_GFX90A:ACCUM_OFFSET: 0
; COMPUTE_PGM_RSRC3_GFX90A:TG_SPLIT: 0
	.section	.text._ZN7rocprim17ROCPRIM_400000_NS6detail17trampoline_kernelINS0_14default_configENS1_22reduce_config_selectorItEEZNS1_11reduce_implILb1ES3_N6thrust23THRUST_200600_302600_NS6detail15normal_iteratorINS8_10device_ptrItEEEEPiiNS8_4plusIiEEEE10hipError_tPvRmT1_T2_T3_mT4_P12ihipStream_tbEUlT_E1_NS1_11comp_targetILNS1_3genE0ELNS1_11target_archE4294967295ELNS1_3gpuE0ELNS1_3repE0EEENS1_30default_config_static_selectorELNS0_4arch9wavefront6targetE1EEEvSK_,"axG",@progbits,_ZN7rocprim17ROCPRIM_400000_NS6detail17trampoline_kernelINS0_14default_configENS1_22reduce_config_selectorItEEZNS1_11reduce_implILb1ES3_N6thrust23THRUST_200600_302600_NS6detail15normal_iteratorINS8_10device_ptrItEEEEPiiNS8_4plusIiEEEE10hipError_tPvRmT1_T2_T3_mT4_P12ihipStream_tbEUlT_E1_NS1_11comp_targetILNS1_3genE0ELNS1_11target_archE4294967295ELNS1_3gpuE0ELNS1_3repE0EEENS1_30default_config_static_selectorELNS0_4arch9wavefront6targetE1EEEvSK_,comdat
	.protected	_ZN7rocprim17ROCPRIM_400000_NS6detail17trampoline_kernelINS0_14default_configENS1_22reduce_config_selectorItEEZNS1_11reduce_implILb1ES3_N6thrust23THRUST_200600_302600_NS6detail15normal_iteratorINS8_10device_ptrItEEEEPiiNS8_4plusIiEEEE10hipError_tPvRmT1_T2_T3_mT4_P12ihipStream_tbEUlT_E1_NS1_11comp_targetILNS1_3genE0ELNS1_11target_archE4294967295ELNS1_3gpuE0ELNS1_3repE0EEENS1_30default_config_static_selectorELNS0_4arch9wavefront6targetE1EEEvSK_ ; -- Begin function _ZN7rocprim17ROCPRIM_400000_NS6detail17trampoline_kernelINS0_14default_configENS1_22reduce_config_selectorItEEZNS1_11reduce_implILb1ES3_N6thrust23THRUST_200600_302600_NS6detail15normal_iteratorINS8_10device_ptrItEEEEPiiNS8_4plusIiEEEE10hipError_tPvRmT1_T2_T3_mT4_P12ihipStream_tbEUlT_E1_NS1_11comp_targetILNS1_3genE0ELNS1_11target_archE4294967295ELNS1_3gpuE0ELNS1_3repE0EEENS1_30default_config_static_selectorELNS0_4arch9wavefront6targetE1EEEvSK_
	.globl	_ZN7rocprim17ROCPRIM_400000_NS6detail17trampoline_kernelINS0_14default_configENS1_22reduce_config_selectorItEEZNS1_11reduce_implILb1ES3_N6thrust23THRUST_200600_302600_NS6detail15normal_iteratorINS8_10device_ptrItEEEEPiiNS8_4plusIiEEEE10hipError_tPvRmT1_T2_T3_mT4_P12ihipStream_tbEUlT_E1_NS1_11comp_targetILNS1_3genE0ELNS1_11target_archE4294967295ELNS1_3gpuE0ELNS1_3repE0EEENS1_30default_config_static_selectorELNS0_4arch9wavefront6targetE1EEEvSK_
	.p2align	8
	.type	_ZN7rocprim17ROCPRIM_400000_NS6detail17trampoline_kernelINS0_14default_configENS1_22reduce_config_selectorItEEZNS1_11reduce_implILb1ES3_N6thrust23THRUST_200600_302600_NS6detail15normal_iteratorINS8_10device_ptrItEEEEPiiNS8_4plusIiEEEE10hipError_tPvRmT1_T2_T3_mT4_P12ihipStream_tbEUlT_E1_NS1_11comp_targetILNS1_3genE0ELNS1_11target_archE4294967295ELNS1_3gpuE0ELNS1_3repE0EEENS1_30default_config_static_selectorELNS0_4arch9wavefront6targetE1EEEvSK_,@function
_ZN7rocprim17ROCPRIM_400000_NS6detail17trampoline_kernelINS0_14default_configENS1_22reduce_config_selectorItEEZNS1_11reduce_implILb1ES3_N6thrust23THRUST_200600_302600_NS6detail15normal_iteratorINS8_10device_ptrItEEEEPiiNS8_4plusIiEEEE10hipError_tPvRmT1_T2_T3_mT4_P12ihipStream_tbEUlT_E1_NS1_11comp_targetILNS1_3genE0ELNS1_11target_archE4294967295ELNS1_3gpuE0ELNS1_3repE0EEENS1_30default_config_static_selectorELNS0_4arch9wavefront6targetE1EEEvSK_: ; @_ZN7rocprim17ROCPRIM_400000_NS6detail17trampoline_kernelINS0_14default_configENS1_22reduce_config_selectorItEEZNS1_11reduce_implILb1ES3_N6thrust23THRUST_200600_302600_NS6detail15normal_iteratorINS8_10device_ptrItEEEEPiiNS8_4plusIiEEEE10hipError_tPvRmT1_T2_T3_mT4_P12ihipStream_tbEUlT_E1_NS1_11comp_targetILNS1_3genE0ELNS1_11target_archE4294967295ELNS1_3gpuE0ELNS1_3repE0EEENS1_30default_config_static_selectorELNS0_4arch9wavefront6targetE1EEEvSK_
; %bb.0:
	s_load_dword s33, s[0:1], 0x4
	s_load_dwordx4 s[68:71], s[0:1], 0x8
	s_waitcnt lgkmcnt(0)
	s_cmp_lt_i32 s33, 8
	s_cbranch_scc1 .LBB432_12
; %bb.1:
	s_cmp_gt_i32 s33, 31
	s_cbranch_scc0 .LBB432_13
; %bb.2:
	s_cmp_gt_i32 s33, 63
	s_cbranch_scc0 .LBB432_22
; %bb.3:
	s_cmp_eq_u32 s33, 64
	s_mov_b64 s[4:5], 0
	s_cbranch_scc0 .LBB432_23
; %bb.4:
	s_mov_b32 s3, 0
	s_lshl_b32 s8, s2, 13
	s_mov_b32 s9, s3
	s_lshr_b64 s[10:11], s[70:71], 13
	s_lshl_b64 s[6:7], s[8:9], 1
	s_add_u32 s6, s68, s6
	s_addc_u32 s7, s69, s7
	s_cmp_lg_u64 s[10:11], s[2:3]
	s_cbranch_scc0 .LBB432_34
; %bb.5:
	v_lshlrev_b32_e32 v2, 1, v0
	global_load_ushort v1, v2, s[6:7]
	global_load_ushort v10, v2, s[6:7] offset:256
	global_load_ushort v11, v2, s[6:7] offset:512
	;; [unrolled: 1-line block ×8, first 2 shown]
	v_mov_b32_e32 v3, 0
	v_lshl_add_u64 v[4:5], s[6:7], 0, v[2:3]
	s_movk_i32 s9, 0x1000
	v_add_co_u32_e32 v6, vcc, s9, v4
	s_movk_i32 s9, 0x2000
	s_nop 0
	v_addc_co_u32_e32 v7, vcc, 0, v5, vcc
	v_add_co_u32_e32 v8, vcc, s9, v4
	s_movk_i32 s9, 0x3000
	s_nop 0
	v_addc_co_u32_e32 v9, vcc, 0, v5, vcc
	global_load_ushort v18, v2, s[6:7] offset:2304
	global_load_ushort v19, v2, s[6:7] offset:2560
	;; [unrolled: 1-line block ×7, first 2 shown]
	global_load_ushort v25, v[8:9], off offset:-4096
	global_load_ushort v26, v[6:7], off offset:256
	global_load_ushort v27, v[6:7], off offset:512
	;; [unrolled: 1-line block ×7, first 2 shown]
                                        ; kill: killed $vgpr2
	global_load_ushort v33, v[6:7], off offset:2048
	global_load_ushort v34, v[8:9], off
	global_load_ushort v35, v[8:9], off offset:256
	global_load_ushort v36, v[8:9], off offset:512
	;; [unrolled: 1-line block ×15, first 2 shown]
	v_add_co_u32_e32 v2, vcc, s9, v4
	s_waitcnt vmcnt(39)
	v_add_u32_e32 v1, v10, v1
	v_addc_co_u32_e32 v3, vcc, 0, v5, vcc
	global_load_ushort v4, v[6:7], off offset:2304
	global_load_ushort v5, v[6:7], off offset:2560
	;; [unrolled: 1-line block ×7, first 2 shown]
	global_load_ushort v53, v[2:3], off
	global_load_ushort v54, v[2:3], off offset:256
	global_load_ushort v55, v[2:3], off offset:512
	global_load_ushort v56, v[2:3], off offset:768
	global_load_ushort v57, v[2:3], off offset:1024
	global_load_ushort v58, v[2:3], off offset:1280
	global_load_ushort v59, v[2:3], off offset:1536
	global_load_ushort v60, v[2:3], off offset:1792
                                        ; kill: killed $vgpr6 killed $vgpr7
	global_load_ushort v6, v[2:3], off offset:2048
	global_load_ushort v7, v[2:3], off offset:2304
	;; [unrolled: 1-line block ×8, first 2 shown]
	s_waitcnt vmcnt(60)
	v_add3_u32 v1, v1, v11, v12
	s_waitcnt vmcnt(58)
	v_add3_u32 v1, v1, v13, v14
	s_waitcnt vmcnt(56)
	v_add3_u32 v1, v1, v15, v16
	s_waitcnt vmcnt(54)
	v_add3_u32 v1, v1, v17, v18
	s_waitcnt vmcnt(52)
	v_add3_u32 v1, v1, v19, v20
	s_waitcnt vmcnt(50)
	v_add3_u32 v1, v1, v21, v22
	s_waitcnt vmcnt(48)
	v_add3_u32 v1, v1, v23, v24
	s_waitcnt vmcnt(46)
	v_add3_u32 v1, v1, v25, v26
	s_waitcnt vmcnt(44)
	v_add3_u32 v1, v1, v27, v28
	s_waitcnt vmcnt(42)
	v_add3_u32 v1, v1, v29, v30
	s_waitcnt vmcnt(40)
	v_add3_u32 v1, v1, v31, v32
	v_mbcnt_lo_u32_b32 v2, -1, 0
	v_mbcnt_hi_u32_b32 v2, -1, v2
	v_lshlrev_b32_e32 v3, 2, v2
	v_cmp_eq_u32_e32 vcc, 0, v2
	s_waitcnt vmcnt(22)
	v_add3_u32 v1, v1, v33, v4
	v_or_b32_e32 v4, 0xfc, v3
	s_waitcnt vmcnt(20)
	v_add3_u32 v1, v1, v5, v8
	s_waitcnt vmcnt(18)
	v_add3_u32 v1, v1, v9, v50
	;; [unrolled: 2-line block ×3, first 2 shown]
	v_add3_u32 v1, v1, v34, v35
	v_add3_u32 v1, v1, v36, v37
	;; [unrolled: 1-line block ×8, first 2 shown]
	s_waitcnt vmcnt(14)
	v_add3_u32 v1, v1, v53, v54
	s_waitcnt vmcnt(12)
	v_add3_u32 v1, v1, v55, v56
	;; [unrolled: 2-line block ×8, first 2 shown]
	s_nop 1
	v_add_u32_dpp v1, v1, v1 quad_perm:[1,0,3,2] row_mask:0xf bank_mask:0xf bound_ctrl:1
	s_nop 1
	v_add_u32_dpp v1, v1, v1 quad_perm:[2,3,0,1] row_mask:0xf bank_mask:0xf bound_ctrl:1
	s_nop 1
	v_add_u32_dpp v1, v1, v1 row_ror:4 row_mask:0xf bank_mask:0xf bound_ctrl:1
	s_nop 1
	v_add_u32_dpp v1, v1, v1 row_ror:8 row_mask:0xf bank_mask:0xf bound_ctrl:1
	s_nop 1
	v_add_u32_dpp v1, v1, v1 row_bcast:15 row_mask:0xf bank_mask:0xf bound_ctrl:1
	s_nop 1
	v_add_u32_dpp v1, v1, v1 row_bcast:31 row_mask:0xf bank_mask:0xf bound_ctrl:1
	ds_bpermute_b32 v1, v4, v1
	s_and_saveexec_b64 s[10:11], vcc
	s_cbranch_execz .LBB432_7
; %bb.6:
	v_lshrrev_b32_e32 v4, 4, v0
	v_and_b32_e32 v4, 4, v4
	s_waitcnt lgkmcnt(0)
	ds_write_b32 v4, v1 offset:40
.LBB432_7:
	s_or_b64 exec, exec, s[10:11]
	v_cmp_gt_u32_e32 vcc, 64, v0
	s_waitcnt lgkmcnt(0)
	s_barrier
	s_and_saveexec_b64 s[10:11], vcc
	s_cbranch_execz .LBB432_9
; %bb.8:
	v_and_b32_e32 v1, 1, v2
	v_lshlrev_b32_e32 v1, 2, v1
	ds_read_b32 v1, v1 offset:40
	v_or_b32_e32 v2, 4, v3
	s_waitcnt lgkmcnt(0)
	ds_bpermute_b32 v2, v2, v1
	s_waitcnt lgkmcnt(0)
	v_add_u32_e32 v1, v2, v1
.LBB432_9:
	s_or_b64 exec, exec, s[10:11]
.LBB432_10:
	v_cmp_eq_u32_e64 s[6:7], 0, v0
	s_and_b64 vcc, exec, s[4:5]
	s_cbranch_vccnz .LBB432_24
.LBB432_11:
	s_branch .LBB432_288
.LBB432_12:
	s_mov_b64 s[6:7], 0
                                        ; implicit-def: $vgpr1
	s_cbranch_execz .LBB432_371
	s_branch .LBB432_289
.LBB432_13:
	s_mov_b64 s[6:7], 0
                                        ; implicit-def: $vgpr1
	s_cbranch_execz .LBB432_288
; %bb.14:
	s_cmp_gt_i32 s33, 15
	s_cbranch_scc0 .LBB432_31
; %bb.15:
	s_cmp_eq_u32 s33, 16
	s_cbranch_scc0 .LBB432_32
; %bb.16:
	s_mov_b32 s3, 0
	s_lshl_b32 s4, s2, 11
	s_mov_b32 s5, s3
	s_lshr_b64 s[6:7], s[70:71], 11
	s_lshl_b64 s[8:9], s[4:5], 1
	s_add_u32 s34, s68, s8
	s_addc_u32 s35, s69, s9
	s_cmp_lg_u64 s[6:7], s[2:3]
	s_cbranch_scc0 .LBB432_168
; %bb.17:
	v_lshlrev_b32_e32 v1, 1, v0
	global_load_ushort v4, v1, s[34:35]
	global_load_ushort v5, v1, s[34:35] offset:256
	global_load_ushort v6, v1, s[34:35] offset:512
	;; [unrolled: 1-line block ×14, first 2 shown]
	s_nop 0
	global_load_ushort v1, v1, s[34:35] offset:3840
	v_mbcnt_lo_u32_b32 v2, -1, 0
	v_mbcnt_hi_u32_b32 v2, -1, v2
	v_lshlrev_b32_e32 v3, 2, v2
	v_cmp_eq_u32_e32 vcc, 0, v2
	s_waitcnt vmcnt(14)
	v_add_u32_e32 v4, v5, v4
	s_waitcnt vmcnt(12)
	v_add3_u32 v4, v4, v6, v7
	s_waitcnt vmcnt(10)
	v_add3_u32 v4, v4, v8, v9
	;; [unrolled: 2-line block ×7, first 2 shown]
	v_or_b32_e32 v4, 0xfc, v3
	s_nop 0
	v_add_u32_dpp v1, v1, v1 quad_perm:[1,0,3,2] row_mask:0xf bank_mask:0xf bound_ctrl:1
	s_nop 1
	v_add_u32_dpp v1, v1, v1 quad_perm:[2,3,0,1] row_mask:0xf bank_mask:0xf bound_ctrl:1
	s_nop 1
	v_add_u32_dpp v1, v1, v1 row_ror:4 row_mask:0xf bank_mask:0xf bound_ctrl:1
	s_nop 1
	v_add_u32_dpp v1, v1, v1 row_ror:8 row_mask:0xf bank_mask:0xf bound_ctrl:1
	s_nop 1
	v_add_u32_dpp v1, v1, v1 row_bcast:15 row_mask:0xf bank_mask:0xf bound_ctrl:1
	s_nop 1
	v_add_u32_dpp v1, v1, v1 row_bcast:31 row_mask:0xf bank_mask:0xf bound_ctrl:1
	ds_bpermute_b32 v1, v4, v1
	s_and_saveexec_b64 s[6:7], vcc
	s_cbranch_execz .LBB432_19
; %bb.18:
	v_lshrrev_b32_e32 v4, 4, v0
	v_and_b32_e32 v4, 4, v4
	s_waitcnt lgkmcnt(0)
	ds_write_b32 v4, v1
.LBB432_19:
	s_or_b64 exec, exec, s[6:7]
	v_cmp_gt_u32_e32 vcc, 64, v0
	s_waitcnt lgkmcnt(0)
	s_barrier
	s_and_saveexec_b64 s[6:7], vcc
	s_cbranch_execz .LBB432_21
; %bb.20:
	v_and_b32_e32 v1, 1, v2
	v_lshlrev_b32_e32 v1, 2, v1
	ds_read_b32 v1, v1
	v_or_b32_e32 v2, 4, v3
	s_waitcnt lgkmcnt(0)
	ds_bpermute_b32 v2, v2, v1
	s_waitcnt lgkmcnt(0)
	v_add_u32_e32 v1, v2, v1
.LBB432_21:
	s_or_b64 exec, exec, s[6:7]
	s_mov_b64 s[6:7], 0
	s_branch .LBB432_169
.LBB432_22:
	s_mov_b64 s[4:5], -1
.LBB432_23:
	s_mov_b64 s[6:7], 0
                                        ; implicit-def: $vgpr1
	s_and_b64 vcc, exec, s[4:5]
	s_cbranch_vccz .LBB432_11
.LBB432_24:
	s_cmp_eq_u32 s33, 32
	s_cbranch_scc0 .LBB432_33
; %bb.25:
	s_mov_b32 s3, 0
	s_lshl_b32 s4, s2, 12
	s_mov_b32 s5, s3
	s_lshr_b64 s[6:7], s[70:71], 12
	s_lshl_b64 s[8:9], s[4:5], 1
	s_add_u32 s66, s68, s8
	s_addc_u32 s67, s69, s9
	s_cmp_lg_u64 s[6:7], s[2:3]
	s_cbranch_scc0 .LBB432_216
; %bb.26:
	v_lshlrev_b32_e32 v2, 1, v0
	global_load_ushort v1, v2, s[66:67]
	global_load_ushort v6, v2, s[66:67] offset:256
	global_load_ushort v7, v2, s[66:67] offset:512
	;; [unrolled: 1-line block ×15, first 2 shown]
	v_mov_b32_e32 v3, 0
	v_lshl_add_u64 v[4:5], s[66:67], 0, v[2:3]
	s_movk_i32 s5, 0x1000
	v_add_co_u32_e32 v2, vcc, s5, v4
	s_waitcnt vmcnt(14)
	v_add_u32_e32 v1, v6, v1
	v_addc_co_u32_e32 v3, vcc, 0, v5, vcc
	global_load_ushort v4, v[2:3], off
	global_load_ushort v5, v[2:3], off offset:256
	global_load_ushort v21, v[2:3], off offset:512
	global_load_ushort v22, v[2:3], off offset:768
	global_load_ushort v23, v[2:3], off offset:1024
	global_load_ushort v24, v[2:3], off offset:1280
	global_load_ushort v25, v[2:3], off offset:1536
	global_load_ushort v26, v[2:3], off offset:1792
	global_load_ushort v27, v[2:3], off offset:2048
	global_load_ushort v28, v[2:3], off offset:2304
	global_load_ushort v29, v[2:3], off offset:2560
	global_load_ushort v30, v[2:3], off offset:2816
	global_load_ushort v31, v[2:3], off offset:3072
	global_load_ushort v32, v[2:3], off offset:3328
	global_load_ushort v33, v[2:3], off offset:3584
	global_load_ushort v34, v[2:3], off offset:3840
	s_waitcnt vmcnt(28)
	v_add3_u32 v1, v1, v7, v8
	s_waitcnt vmcnt(26)
	v_add3_u32 v1, v1, v9, v10
	;; [unrolled: 2-line block ×3, first 2 shown]
	v_mbcnt_lo_u32_b32 v2, -1, 0
	s_waitcnt vmcnt(22)
	v_add3_u32 v1, v1, v13, v14
	v_mbcnt_hi_u32_b32 v2, -1, v2
	s_waitcnt vmcnt(20)
	v_add3_u32 v1, v1, v15, v16
	v_lshlrev_b32_e32 v3, 2, v2
	s_waitcnt vmcnt(18)
	v_add3_u32 v1, v1, v17, v18
	v_cmp_eq_u32_e32 vcc, 0, v2
	s_waitcnt vmcnt(16)
	v_add3_u32 v1, v1, v19, v20
	s_waitcnt vmcnt(14)
	v_add3_u32 v1, v1, v4, v5
	v_or_b32_e32 v4, 0xfc, v3
	s_waitcnt vmcnt(12)
	v_add3_u32 v1, v1, v21, v22
	s_waitcnt vmcnt(10)
	v_add3_u32 v1, v1, v23, v24
	;; [unrolled: 2-line block ×7, first 2 shown]
	s_nop 1
	v_add_u32_dpp v1, v1, v1 quad_perm:[1,0,3,2] row_mask:0xf bank_mask:0xf bound_ctrl:1
	s_nop 1
	v_add_u32_dpp v1, v1, v1 quad_perm:[2,3,0,1] row_mask:0xf bank_mask:0xf bound_ctrl:1
	s_nop 1
	v_add_u32_dpp v1, v1, v1 row_ror:4 row_mask:0xf bank_mask:0xf bound_ctrl:1
	s_nop 1
	v_add_u32_dpp v1, v1, v1 row_ror:8 row_mask:0xf bank_mask:0xf bound_ctrl:1
	s_nop 1
	v_add_u32_dpp v1, v1, v1 row_bcast:15 row_mask:0xf bank_mask:0xf bound_ctrl:1
	s_nop 1
	v_add_u32_dpp v1, v1, v1 row_bcast:31 row_mask:0xf bank_mask:0xf bound_ctrl:1
	ds_bpermute_b32 v1, v4, v1
	s_and_saveexec_b64 s[6:7], vcc
	s_cbranch_execz .LBB432_28
; %bb.27:
	v_lshrrev_b32_e32 v4, 4, v0
	v_and_b32_e32 v4, 4, v4
	s_waitcnt lgkmcnt(0)
	ds_write_b32 v4, v1 offset:24
.LBB432_28:
	s_or_b64 exec, exec, s[6:7]
	v_cmp_gt_u32_e32 vcc, 64, v0
	s_waitcnt lgkmcnt(0)
	s_barrier
	s_and_saveexec_b64 s[6:7], vcc
	s_cbranch_execz .LBB432_30
; %bb.29:
	v_and_b32_e32 v1, 1, v2
	v_lshlrev_b32_e32 v1, 2, v1
	ds_read_b32 v1, v1 offset:24
	v_or_b32_e32 v2, 4, v3
	s_waitcnt lgkmcnt(0)
	ds_bpermute_b32 v2, v2, v1
	s_waitcnt lgkmcnt(0)
	v_add_u32_e32 v1, v2, v1
.LBB432_30:
	s_or_b64 exec, exec, s[6:7]
	s_mov_b64 s[6:7], 0
	s_branch .LBB432_217
.LBB432_31:
                                        ; implicit-def: $vgpr1
	s_cbranch_execz .LBB432_288
	s_branch .LBB432_208
.LBB432_32:
                                        ; implicit-def: $vgpr1
	s_branch .LBB432_288
.LBB432_33:
                                        ; implicit-def: $vgpr1
	s_branch .LBB432_288
.LBB432_34:
                                        ; implicit-def: $vgpr1
	s_cbranch_execz .LBB432_10
; %bb.35:
	s_sub_i32 s10, s70, s8
	v_cmp_gt_u32_e32 vcc, s10, v0
                                        ; implicit-def: $vgpr1
	s_and_saveexec_b64 s[8:9], vcc
	s_cbranch_execz .LBB432_37
; %bb.36:
	v_lshlrev_b32_e32 v1, 1, v0
	global_load_ushort v1, v1, s[6:7]
.LBB432_37:
	s_or_b64 exec, exec, s[8:9]
	v_or_b32_e32 v2, 0x80, v0
	v_cmp_gt_u32_e32 vcc, s10, v2
	v_mov_b32_e32 v2, 0
	v_mov_b32_e32 v3, 0
	s_and_saveexec_b64 s[8:9], vcc
	s_cbranch_execz .LBB432_39
; %bb.38:
	v_lshlrev_b32_e32 v3, 1, v0
	global_load_ushort v3, v3, s[6:7] offset:256
.LBB432_39:
	s_or_b64 exec, exec, s[8:9]
	v_or_b32_e32 v4, 0x100, v0
	v_cmp_gt_u32_e32 vcc, s10, v4
	s_and_saveexec_b64 s[8:9], vcc
	s_cbranch_execz .LBB432_41
; %bb.40:
	v_lshlrev_b32_e32 v2, 1, v0
	global_load_ushort v2, v2, s[6:7] offset:512
.LBB432_41:
	s_or_b64 exec, exec, s[8:9]
	v_or_b32_e32 v4, 0x180, v0
	v_cmp_gt_u32_e32 vcc, s10, v4
	v_mov_b32_e32 v4, 0
	v_mov_b32_e32 v5, 0
	s_and_saveexec_b64 s[8:9], vcc
	s_cbranch_execz .LBB432_43
; %bb.42:
	v_lshlrev_b32_e32 v5, 1, v0
	global_load_ushort v5, v5, s[6:7] offset:768
.LBB432_43:
	s_or_b64 exec, exec, s[8:9]
	v_or_b32_e32 v6, 0x200, v0
	v_cmp_gt_u32_e32 vcc, s10, v6
	s_and_saveexec_b64 s[8:9], vcc
	s_cbranch_execz .LBB432_45
; %bb.44:
	v_lshlrev_b32_e32 v4, 1, v0
	global_load_ushort v4, v4, s[6:7] offset:1024
.LBB432_45:
	;; [unrolled: 20-line block ×7, first 2 shown]
	s_or_b64 exec, exec, s[8:9]
	v_or_b32_e32 v16, 0x780, v0
	v_cmp_gt_u32_e32 vcc, s10, v16
	v_mov_b32_e32 v16, 0
	v_mov_b32_e32 v17, 0
	s_and_saveexec_b64 s[8:9], vcc
	s_cbranch_execz .LBB432_67
; %bb.66:
	v_lshlrev_b32_e32 v17, 1, v0
	global_load_ushort v17, v17, s[6:7] offset:3840
.LBB432_67:
	s_or_b64 exec, exec, s[8:9]
	v_or_b32_e32 v18, 0x800, v0
	v_cmp_gt_u32_e32 vcc, s10, v18
	s_and_saveexec_b64 s[8:9], vcc
	s_cbranch_execz .LBB432_69
; %bb.68:
	v_lshlrev_b32_e32 v16, 1, v18
	global_load_ushort v16, v16, s[6:7]
.LBB432_69:
	s_or_b64 exec, exec, s[8:9]
	v_or_b32_e32 v20, 0x880, v0
	v_cmp_gt_u32_e32 vcc, s10, v20
	v_mov_b32_e32 v18, 0
	v_mov_b32_e32 v19, 0
	s_and_saveexec_b64 s[8:9], vcc
	s_cbranch_execz .LBB432_71
; %bb.70:
	v_lshlrev_b32_e32 v19, 1, v20
	global_load_ushort v19, v19, s[6:7]
.LBB432_71:
	s_or_b64 exec, exec, s[8:9]
	v_or_b32_e32 v20, 0x900, v0
	v_cmp_gt_u32_e32 vcc, s10, v20
	s_and_saveexec_b64 s[8:9], vcc
	s_cbranch_execz .LBB432_73
; %bb.72:
	v_lshlrev_b32_e32 v18, 1, v20
	global_load_ushort v18, v18, s[6:7]
.LBB432_73:
	s_or_b64 exec, exec, s[8:9]
	v_or_b32_e32 v22, 0x980, v0
	v_cmp_gt_u32_e32 vcc, s10, v22
	v_mov_b32_e32 v20, 0
	v_mov_b32_e32 v21, 0
	s_and_saveexec_b64 s[8:9], vcc
	s_cbranch_execz .LBB432_75
; %bb.74:
	v_lshlrev_b32_e32 v21, 1, v22
	global_load_ushort v21, v21, s[6:7]
.LBB432_75:
	;; [unrolled: 20-line block ×23, first 2 shown]
	s_or_b64 exec, exec, s[8:9]
	v_or_b32_e32 v64, 0x1f00, v0
	v_cmp_gt_u32_e32 vcc, s10, v64
	s_and_saveexec_b64 s[8:9], vcc
	s_cbranch_execz .LBB432_161
; %bb.160:
	v_lshlrev_b32_e32 v62, 1, v64
	global_load_ushort v62, v62, s[6:7]
.LBB432_161:
	s_or_b64 exec, exec, s[8:9]
	v_or_b32_e32 v65, 0x1f80, v0
	v_cmp_gt_u32_e32 vcc, s10, v65
	v_mov_b32_e32 v64, 0
	s_and_saveexec_b64 s[8:9], vcc
	s_cbranch_execz .LBB432_163
; %bb.162:
	v_lshlrev_b32_e32 v64, 1, v65
	global_load_ushort v64, v64, s[6:7]
.LBB432_163:
	s_or_b64 exec, exec, s[8:9]
	s_waitcnt vmcnt(0)
	v_add_u32_e32 v1, v3, v1
	v_add3_u32 v1, v1, v2, v5
	v_add3_u32 v1, v1, v4, v7
	;; [unrolled: 1-line block ×26, first 2 shown]
	v_mbcnt_lo_u32_b32 v2, -1, 0
	v_add3_u32 v1, v1, v54, v57
	v_mbcnt_hi_u32_b32 v2, -1, v2
	v_add3_u32 v1, v1, v56, v59
	v_and_b32_e32 v4, 63, v2
	v_add3_u32 v1, v1, v58, v61
	v_cmp_ne_u32_e32 vcc, 63, v4
	v_add3_u32 v1, v1, v60, v63
	v_add3_u32 v1, v1, v62, v64
	v_addc_co_u32_e32 v3, vcc, 0, v2, vcc
	v_lshlrev_b32_e32 v3, 2, v3
	ds_bpermute_b32 v3, v3, v1
	s_min_u32 s8, s10, 0x80
	v_and_b32_e32 v5, 64, v0
	v_sub_u32_e64 v5, s8, v5 clamp
	v_add_u32_e32 v6, 1, v4
	v_cmp_lt_u32_e32 vcc, v6, v5
	v_add_u32_e32 v6, 2, v4
	s_waitcnt lgkmcnt(0)
	v_cndmask_b32_e32 v3, 0, v3, vcc
	v_cmp_gt_u32_e32 vcc, 62, v4
	v_add_u32_e32 v1, v3, v1
	s_nop 0
	v_cndmask_b32_e64 v3, 0, 2, vcc
	v_add_lshl_u32 v3, v3, v2, 2
	ds_bpermute_b32 v3, v3, v1
	v_cmp_lt_u32_e32 vcc, v6, v5
	v_add_u32_e32 v6, 4, v4
	s_waitcnt lgkmcnt(0)
	v_cndmask_b32_e32 v3, 0, v3, vcc
	v_cmp_gt_u32_e32 vcc, 60, v4
	v_add_u32_e32 v1, v1, v3
	s_nop 0
	v_cndmask_b32_e64 v3, 0, 4, vcc
	v_add_lshl_u32 v3, v3, v2, 2
	ds_bpermute_b32 v3, v3, v1
	;; [unrolled: 10-line block ×3, first 2 shown]
	v_cmp_lt_u32_e32 vcc, v6, v5
	v_add_u32_e32 v6, 16, v4
	s_waitcnt lgkmcnt(0)
	v_cndmask_b32_e32 v3, 0, v3, vcc
	v_cmp_gt_u32_e32 vcc, 48, v4
	v_add_u32_e32 v1, v1, v3
	v_add_u32_e32 v4, 32, v4
	v_cndmask_b32_e64 v3, 0, 16, vcc
	v_add_lshl_u32 v3, v3, v2, 2
	ds_bpermute_b32 v3, v3, v1
	v_cmp_lt_u32_e32 vcc, v6, v5
	s_waitcnt lgkmcnt(0)
	s_nop 0
	v_cndmask_b32_e32 v3, 0, v3, vcc
	v_add_u32_e32 v1, v1, v3
	v_lshlrev_b32_e32 v3, 2, v2
	v_or_b32_e32 v6, 0x80, v3
	ds_bpermute_b32 v6, v6, v1
	v_cmp_lt_u32_e32 vcc, v4, v5
	s_waitcnt lgkmcnt(0)
	s_nop 0
	v_cndmask_b32_e32 v4, 0, v6, vcc
	v_add_u32_e32 v1, v1, v4
	v_cmp_eq_u32_e32 vcc, 0, v2
	s_and_saveexec_b64 s[6:7], vcc
; %bb.164:
	v_lshrrev_b32_e32 v4, 4, v0
	v_and_b32_e32 v4, 4, v4
	ds_write_b32 v4, v1 offset:56
; %bb.165:
	s_or_b64 exec, exec, s[6:7]
	v_cmp_gt_u32_e32 vcc, 2, v0
	s_waitcnt lgkmcnt(0)
	s_barrier
	s_and_saveexec_b64 s[6:7], vcc
	s_cbranch_execz .LBB432_167
; %bb.166:
	ds_read_b32 v1, v3 offset:56
	v_or_b32_e32 v3, 4, v3
	v_and_b32_e32 v2, 1, v2
	s_add_i32 s8, s8, 63
	v_add_u32_e32 v2, 1, v2
	s_waitcnt lgkmcnt(0)
	ds_bpermute_b32 v3, v3, v1
	s_lshr_b32 s8, s8, 6
	v_cmp_gt_u32_e32 vcc, s8, v2
	s_waitcnt lgkmcnt(0)
	s_nop 0
	v_cndmask_b32_e32 v2, 0, v3, vcc
	v_add_u32_e32 v1, v2, v1
.LBB432_167:
	s_or_b64 exec, exec, s[6:7]
	v_cmp_eq_u32_e64 s[6:7], 0, v0
	s_and_b64 vcc, exec, s[4:5]
	s_cbranch_vccnz .LBB432_24
	s_branch .LBB432_11
.LBB432_168:
	s_mov_b64 s[6:7], -1
                                        ; implicit-def: $vgpr1
.LBB432_169:
	s_and_b64 vcc, exec, s[6:7]
	s_cbranch_vccz .LBB432_207
; %bb.170:
	s_sub_i32 s38, s70, s4
	v_mov_b32_e32 v2, 0
	v_cmp_gt_u32_e32 vcc, s38, v0
	v_mov_b32_e32 v3, v2
	v_mov_b32_e32 v4, v2
	;; [unrolled: 1-line block ×15, first 2 shown]
	s_and_saveexec_b64 s[4:5], vcc
	s_cbranch_execz .LBB432_172
; %bb.171:
	v_lshlrev_b32_e32 v1, 1, v0
	global_load_ushort v1, v1, s[34:35]
	v_mov_b32_e32 v5, v2
	v_mov_b32_e32 v6, v2
	;; [unrolled: 1-line block ×15, first 2 shown]
	s_waitcnt vmcnt(0)
	v_and_b32_e32 v4, 0xffff, v1
	v_mov_b64_e32 v[2:3], v[4:5]
	v_mov_b64_e32 v[4:5], v[6:7]
	;; [unrolled: 1-line block ×8, first 2 shown]
.LBB432_172:
	s_or_b64 exec, exec, s[4:5]
	v_or_b32_e32 v1, 0x80, v0
	v_cmp_gt_u32_e32 vcc, s38, v1
	s_and_saveexec_b64 s[4:5], vcc
	s_cbranch_execz .LBB432_174
; %bb.173:
	v_lshlrev_b32_e32 v1, 1, v0
	global_load_ushort v3, v1, s[34:35] offset:256
.LBB432_174:
	s_or_b64 exec, exec, s[4:5]
	v_or_b32_e32 v1, 0x100, v0
	v_cmp_gt_u32_e64 s[4:5], s38, v1
	s_and_saveexec_b64 s[6:7], s[4:5]
	s_cbranch_execz .LBB432_176
; %bb.175:
	v_lshlrev_b32_e32 v1, 1, v0
	global_load_ushort v4, v1, s[34:35] offset:512
.LBB432_176:
	s_or_b64 exec, exec, s[6:7]
	v_or_b32_e32 v1, 0x180, v0
	v_cmp_gt_u32_e64 s[6:7], s38, v1
	s_and_saveexec_b64 s[8:9], s[6:7]
	;; [unrolled: 9-line block ×14, first 2 shown]
	s_cbranch_execz .LBB432_202
; %bb.201:
	v_lshlrev_b32_e32 v1, 1, v0
	global_load_ushort v17, v1, s[34:35] offset:3840
.LBB432_202:
	s_or_b64 exec, exec, s[36:37]
	s_waitcnt vmcnt(0)
	v_cndmask_b32_e32 v1, 0, v3, vcc
	v_add_u32_e32 v1, v1, v2
	v_cndmask_b32_e64 v2, 0, v4, s[4:5]
	v_cndmask_b32_e64 v3, 0, v5, s[6:7]
	v_add3_u32 v1, v1, v2, v3
	v_cndmask_b32_e64 v2, 0, v6, s[8:9]
	v_cndmask_b32_e64 v3, 0, v7, s[10:11]
	v_add3_u32 v1, v1, v2, v3
	;; [unrolled: 3-line block ×7, first 2 shown]
	v_mbcnt_lo_u32_b32 v2, -1, 0
	v_mbcnt_hi_u32_b32 v2, -1, v2
	v_and_b32_e32 v4, 63, v2
	v_cmp_ne_u32_e32 vcc, 63, v4
	s_min_u32 s6, s38, 0x80
	v_and_b32_e32 v5, 64, v0
	v_addc_co_u32_e32 v3, vcc, 0, v2, vcc
	v_lshlrev_b32_e32 v3, 2, v3
	ds_bpermute_b32 v3, v3, v1
	v_sub_u32_e64 v5, s6, v5 clamp
	v_add_u32_e32 v6, 1, v4
	v_cmp_lt_u32_e32 vcc, v6, v5
	v_add_u32_e32 v6, 2, v4
	s_waitcnt lgkmcnt(0)
	v_cndmask_b32_e32 v3, 0, v3, vcc
	v_cmp_gt_u32_e32 vcc, 62, v4
	v_add_u32_e32 v1, v1, v3
	s_nop 0
	v_cndmask_b32_e64 v3, 0, 2, vcc
	v_add_lshl_u32 v3, v3, v2, 2
	ds_bpermute_b32 v3, v3, v1
	v_cmp_lt_u32_e32 vcc, v6, v5
	v_add_u32_e32 v6, 4, v4
	s_waitcnt lgkmcnt(0)
	v_cndmask_b32_e32 v3, 0, v3, vcc
	v_cmp_gt_u32_e32 vcc, 60, v4
	v_add_u32_e32 v1, v1, v3
	s_nop 0
	v_cndmask_b32_e64 v3, 0, 4, vcc
	v_add_lshl_u32 v3, v3, v2, 2
	ds_bpermute_b32 v3, v3, v1
	;; [unrolled: 10-line block ×3, first 2 shown]
	v_cmp_lt_u32_e32 vcc, v6, v5
	v_add_u32_e32 v6, 16, v4
	s_waitcnt lgkmcnt(0)
	v_cndmask_b32_e32 v3, 0, v3, vcc
	v_cmp_gt_u32_e32 vcc, 48, v4
	v_add_u32_e32 v1, v1, v3
	v_add_u32_e32 v4, 32, v4
	v_cndmask_b32_e64 v3, 0, 16, vcc
	v_add_lshl_u32 v3, v3, v2, 2
	ds_bpermute_b32 v3, v3, v1
	v_cmp_lt_u32_e32 vcc, v6, v5
	s_waitcnt lgkmcnt(0)
	s_nop 0
	v_cndmask_b32_e32 v3, 0, v3, vcc
	v_add_u32_e32 v1, v1, v3
	v_lshlrev_b32_e32 v3, 2, v2
	v_or_b32_e32 v6, 0x80, v3
	ds_bpermute_b32 v6, v6, v1
	v_cmp_lt_u32_e32 vcc, v4, v5
	s_waitcnt lgkmcnt(0)
	s_nop 0
	v_cndmask_b32_e32 v4, 0, v6, vcc
	v_add_u32_e32 v1, v1, v4
	v_cmp_eq_u32_e32 vcc, 0, v2
	s_and_saveexec_b64 s[4:5], vcc
; %bb.203:
	v_lshrrev_b32_e32 v4, 4, v0
	v_and_b32_e32 v4, 4, v4
	ds_write_b32 v4, v1 offset:56
; %bb.204:
	s_or_b64 exec, exec, s[4:5]
	v_cmp_gt_u32_e32 vcc, 2, v0
	s_waitcnt lgkmcnt(0)
	s_barrier
	s_and_saveexec_b64 s[4:5], vcc
	s_cbranch_execz .LBB432_206
; %bb.205:
	ds_read_b32 v1, v3 offset:56
	v_or_b32_e32 v3, 4, v3
	v_and_b32_e32 v2, 1, v2
	s_add_i32 s6, s6, 63
	v_add_u32_e32 v2, 1, v2
	s_waitcnt lgkmcnt(0)
	ds_bpermute_b32 v3, v3, v1
	s_lshr_b32 s6, s6, 6
	v_cmp_gt_u32_e32 vcc, s6, v2
	s_waitcnt lgkmcnt(0)
	s_nop 0
	v_cndmask_b32_e32 v2, 0, v3, vcc
	v_add_u32_e32 v1, v2, v1
.LBB432_206:
	s_or_b64 exec, exec, s[4:5]
.LBB432_207:
	v_cmp_eq_u32_e64 s[6:7], 0, v0
	s_branch .LBB432_288
.LBB432_208:
	s_cmp_eq_u32 s33, 8
	s_cbranch_scc0 .LBB432_215
; %bb.209:
	s_mov_b32 s3, 0
	s_lshl_b32 s4, s2, 10
	s_mov_b32 s5, s3
	s_lshr_b64 s[6:7], s[70:71], 10
	s_lshl_b64 s[8:9], s[4:5], 1
	s_add_u32 s16, s68, s8
	s_addc_u32 s17, s69, s9
	s_cmp_lg_u64 s[6:7], s[2:3]
	s_cbranch_scc0 .LBB432_309
; %bb.210:
	v_lshlrev_b32_e32 v1, 1, v0
	global_load_ushort v4, v1, s[16:17]
	global_load_ushort v5, v1, s[16:17] offset:256
	global_load_ushort v6, v1, s[16:17] offset:512
	;; [unrolled: 1-line block ×7, first 2 shown]
	v_mbcnt_lo_u32_b32 v1, -1, 0
	v_mbcnt_hi_u32_b32 v2, -1, v1
	v_lshlrev_b32_e32 v3, 2, v2
	v_cmp_eq_u32_e32 vcc, 0, v2
	s_waitcnt vmcnt(6)
	v_add_u32_e32 v1, v5, v4
	v_or_b32_e32 v4, 0xfc, v3
	s_waitcnt vmcnt(4)
	v_add3_u32 v1, v1, v6, v7
	s_waitcnt vmcnt(2)
	v_add3_u32 v1, v1, v8, v9
	;; [unrolled: 2-line block ×3, first 2 shown]
	s_nop 1
	v_add_u32_dpp v1, v1, v1 quad_perm:[1,0,3,2] row_mask:0xf bank_mask:0xf bound_ctrl:1
	s_nop 1
	v_add_u32_dpp v1, v1, v1 quad_perm:[2,3,0,1] row_mask:0xf bank_mask:0xf bound_ctrl:1
	s_nop 1
	v_add_u32_dpp v1, v1, v1 row_ror:4 row_mask:0xf bank_mask:0xf bound_ctrl:1
	s_nop 1
	v_add_u32_dpp v1, v1, v1 row_ror:8 row_mask:0xf bank_mask:0xf bound_ctrl:1
	s_nop 1
	v_add_u32_dpp v1, v1, v1 row_bcast:15 row_mask:0xf bank_mask:0xf bound_ctrl:1
	s_nop 1
	v_add_u32_dpp v1, v1, v1 row_bcast:31 row_mask:0xf bank_mask:0xf bound_ctrl:1
	ds_bpermute_b32 v1, v4, v1
	s_and_saveexec_b64 s[6:7], vcc
	s_cbranch_execz .LBB432_212
; %bb.211:
	v_lshrrev_b32_e32 v4, 4, v0
	v_and_b32_e32 v4, 4, v4
	s_waitcnt lgkmcnt(0)
	ds_write_b32 v4, v1 offset:48
.LBB432_212:
	s_or_b64 exec, exec, s[6:7]
	v_cmp_gt_u32_e32 vcc, 64, v0
	s_waitcnt lgkmcnt(0)
	s_barrier
	s_and_saveexec_b64 s[6:7], vcc
	s_cbranch_execz .LBB432_214
; %bb.213:
	v_and_b32_e32 v1, 1, v2
	v_lshlrev_b32_e32 v1, 2, v1
	ds_read_b32 v1, v1 offset:48
	v_or_b32_e32 v2, 4, v3
	s_waitcnt lgkmcnt(0)
	ds_bpermute_b32 v2, v2, v1
	s_waitcnt lgkmcnt(0)
	v_add_u32_e32 v1, v2, v1
.LBB432_214:
	s_or_b64 exec, exec, s[6:7]
	s_mov_b64 s[6:7], 0
	s_branch .LBB432_310
.LBB432_215:
                                        ; implicit-def: $vgpr1
	s_branch .LBB432_371
.LBB432_216:
	s_mov_b64 s[6:7], -1
                                        ; implicit-def: $vgpr1
.LBB432_217:
	s_and_b64 vcc, exec, s[6:7]
	s_cbranch_vccz .LBB432_287
; %bb.218:
	s_sub_i32 s74, s70, s4
	v_mov_b32_e32 v2, 0
	v_cmp_gt_u32_e32 vcc, s74, v0
	v_mov_b32_e32 v3, v2
	v_mov_b32_e32 v4, v2
	;; [unrolled: 1-line block ×31, first 2 shown]
	s_and_saveexec_b64 s[4:5], vcc
	s_cbranch_execz .LBB432_220
; %bb.219:
	v_lshlrev_b32_e32 v1, 1, v0
	global_load_ushort v4, v1, s[66:67]
	v_mov_b32_e32 v5, v2
	v_mov_b32_e32 v6, v2
	v_mov_b32_e32 v7, v2
	v_mov_b32_e32 v8, v2
	v_mov_b32_e32 v9, v2
	v_mov_b32_e32 v10, v2
	v_mov_b32_e32 v11, v2
	v_mov_b32_e32 v12, v2
	v_mov_b32_e32 v13, v2
	v_mov_b32_e32 v14, v2
	v_mov_b32_e32 v15, v2
	v_mov_b32_e32 v16, v2
	v_mov_b32_e32 v17, v2
	v_mov_b32_e32 v18, v2
	v_mov_b32_e32 v19, v2
	v_mov_b32_e32 v20, v2
	v_mov_b32_e32 v21, v2
	v_mov_b32_e32 v22, v2
	v_mov_b32_e32 v23, v2
	v_mov_b32_e32 v24, v2
	v_mov_b32_e32 v25, v2
	v_mov_b32_e32 v26, v2
	v_mov_b32_e32 v27, v2
	v_mov_b32_e32 v28, v2
	v_mov_b32_e32 v29, v2
	v_mov_b32_e32 v30, v2
	v_mov_b32_e32 v31, v2
	v_mov_b32_e32 v32, v2
	v_mov_b32_e32 v33, v2
	v_mov_b32_e32 v34, v2
	v_mov_b32_e32 v35, v2
	s_waitcnt vmcnt(0)
	v_mov_b64_e32 v[2:3], v[4:5]
	v_mov_b64_e32 v[4:5], v[6:7]
	;; [unrolled: 1-line block ×16, first 2 shown]
.LBB432_220:
	s_or_b64 exec, exec, s[4:5]
	v_or_b32_e32 v1, 0x80, v0
	v_cmp_gt_u32_e32 vcc, s74, v1
	s_and_saveexec_b64 s[4:5], vcc
	s_cbranch_execz .LBB432_222
; %bb.221:
	v_lshlrev_b32_e32 v1, 1, v0
	global_load_ushort v3, v1, s[66:67] offset:256
.LBB432_222:
	s_or_b64 exec, exec, s[4:5]
	v_or_b32_e32 v1, 0x100, v0
	v_cmp_gt_u32_e64 s[4:5], s74, v1
	s_and_saveexec_b64 s[6:7], s[4:5]
	s_cbranch_execz .LBB432_224
; %bb.223:
	v_lshlrev_b32_e32 v1, 1, v0
	global_load_ushort v4, v1, s[66:67] offset:512
.LBB432_224:
	s_or_b64 exec, exec, s[6:7]
	v_or_b32_e32 v1, 0x180, v0
	v_cmp_gt_u32_e64 s[6:7], s74, v1
	s_and_saveexec_b64 s[8:9], s[6:7]
	;; [unrolled: 9-line block ×15, first 2 shown]
	s_cbranch_execz .LBB432_252
; %bb.251:
	v_lshlrev_b32_e32 v1, 1, v1
	global_load_ushort v18, v1, s[66:67]
.LBB432_252:
	s_or_b64 exec, exec, s[36:37]
	v_or_b32_e32 v1, 0x880, v0
	v_cmp_gt_u32_e64 s[36:37], s74, v1
	s_and_saveexec_b64 s[38:39], s[36:37]
	s_cbranch_execz .LBB432_254
; %bb.253:
	v_lshlrev_b32_e32 v1, 1, v1
	global_load_ushort v19, v1, s[66:67]
.LBB432_254:
	s_or_b64 exec, exec, s[38:39]
	v_or_b32_e32 v1, 0x900, v0
	v_cmp_gt_u32_e64 s[38:39], s74, v1
	s_and_saveexec_b64 s[40:41], s[38:39]
	;; [unrolled: 9-line block ×15, first 2 shown]
	s_cbranch_execz .LBB432_282
; %bb.281:
	v_lshlrev_b32_e32 v1, 1, v1
	global_load_ushort v33, v1, s[66:67]
.LBB432_282:
	s_or_b64 exec, exec, s[72:73]
	s_waitcnt vmcnt(0)
	v_cndmask_b32_e32 v1, 0, v3, vcc
	v_add_u32_e32 v1, v1, v2
	v_cndmask_b32_e64 v2, 0, v4, s[4:5]
	v_cndmask_b32_e64 v3, 0, v5, s[6:7]
	v_add3_u32 v1, v1, v2, v3
	v_cndmask_b32_e64 v2, 0, v6, s[8:9]
	v_cndmask_b32_e64 v3, 0, v7, s[10:11]
	v_add3_u32 v1, v1, v2, v3
	;; [unrolled: 3-line block ×15, first 2 shown]
	v_mbcnt_lo_u32_b32 v2, -1, 0
	v_mbcnt_hi_u32_b32 v2, -1, v2
	v_and_b32_e32 v4, 63, v2
	v_cmp_ne_u32_e32 vcc, 63, v4
	s_min_u32 s6, s74, 0x80
	v_and_b32_e32 v5, 64, v0
	v_addc_co_u32_e32 v3, vcc, 0, v2, vcc
	v_lshlrev_b32_e32 v3, 2, v3
	ds_bpermute_b32 v3, v3, v1
	v_sub_u32_e64 v5, s6, v5 clamp
	v_add_u32_e32 v6, 1, v4
	v_cmp_lt_u32_e32 vcc, v6, v5
	v_add_u32_e32 v6, 2, v4
	s_waitcnt lgkmcnt(0)
	v_cndmask_b32_e32 v3, 0, v3, vcc
	v_cmp_gt_u32_e32 vcc, 62, v4
	v_add_u32_e32 v1, v1, v3
	s_nop 0
	v_cndmask_b32_e64 v3, 0, 2, vcc
	v_add_lshl_u32 v3, v3, v2, 2
	ds_bpermute_b32 v3, v3, v1
	v_cmp_lt_u32_e32 vcc, v6, v5
	v_add_u32_e32 v6, 4, v4
	s_waitcnt lgkmcnt(0)
	v_cndmask_b32_e32 v3, 0, v3, vcc
	v_cmp_gt_u32_e32 vcc, 60, v4
	v_add_u32_e32 v1, v1, v3
	s_nop 0
	v_cndmask_b32_e64 v3, 0, 4, vcc
	v_add_lshl_u32 v3, v3, v2, 2
	ds_bpermute_b32 v3, v3, v1
	;; [unrolled: 10-line block ×3, first 2 shown]
	v_cmp_lt_u32_e32 vcc, v6, v5
	v_add_u32_e32 v6, 16, v4
	s_waitcnt lgkmcnt(0)
	v_cndmask_b32_e32 v3, 0, v3, vcc
	v_cmp_gt_u32_e32 vcc, 48, v4
	v_add_u32_e32 v1, v1, v3
	v_add_u32_e32 v4, 32, v4
	v_cndmask_b32_e64 v3, 0, 16, vcc
	v_add_lshl_u32 v3, v3, v2, 2
	ds_bpermute_b32 v3, v3, v1
	v_cmp_lt_u32_e32 vcc, v6, v5
	s_waitcnt lgkmcnt(0)
	s_nop 0
	v_cndmask_b32_e32 v3, 0, v3, vcc
	v_add_u32_e32 v1, v1, v3
	v_lshlrev_b32_e32 v3, 2, v2
	v_or_b32_e32 v6, 0x80, v3
	ds_bpermute_b32 v6, v6, v1
	v_cmp_lt_u32_e32 vcc, v4, v5
	s_waitcnt lgkmcnt(0)
	s_nop 0
	v_cndmask_b32_e32 v4, 0, v6, vcc
	v_add_u32_e32 v1, v1, v4
	v_cmp_eq_u32_e32 vcc, 0, v2
	s_and_saveexec_b64 s[4:5], vcc
; %bb.283:
	v_lshrrev_b32_e32 v4, 4, v0
	v_and_b32_e32 v4, 4, v4
	ds_write_b32 v4, v1 offset:56
; %bb.284:
	s_or_b64 exec, exec, s[4:5]
	v_cmp_gt_u32_e32 vcc, 2, v0
	s_waitcnt lgkmcnt(0)
	s_barrier
	s_and_saveexec_b64 s[4:5], vcc
	s_cbranch_execz .LBB432_286
; %bb.285:
	ds_read_b32 v1, v3 offset:56
	v_or_b32_e32 v3, 4, v3
	v_and_b32_e32 v2, 1, v2
	s_add_i32 s6, s6, 63
	v_add_u32_e32 v2, 1, v2
	s_waitcnt lgkmcnt(0)
	ds_bpermute_b32 v3, v3, v1
	s_lshr_b32 s6, s6, 6
	v_cmp_gt_u32_e32 vcc, s6, v2
	s_waitcnt lgkmcnt(0)
	s_nop 0
	v_cndmask_b32_e32 v2, 0, v3, vcc
	v_add_u32_e32 v1, v2, v1
.LBB432_286:
	s_or_b64 exec, exec, s[4:5]
.LBB432_287:
	v_cmp_eq_u32_e64 s[6:7], 0, v0
.LBB432_288:
	s_branch .LBB432_371
.LBB432_289:
	s_cmp_gt_i32 s33, 1
	s_cbranch_scc0 .LBB432_298
; %bb.290:
	s_cmp_gt_i32 s33, 3
	s_cbranch_scc0 .LBB432_299
; %bb.291:
	s_cmp_eq_u32 s33, 4
	s_cbranch_scc0 .LBB432_307
; %bb.292:
	s_mov_b32 s3, 0
	s_lshl_b32 s4, s2, 9
	s_mov_b32 s5, s3
	s_lshr_b64 s[6:7], s[70:71], 9
	s_lshl_b64 s[8:9], s[4:5], 1
	s_add_u32 s8, s68, s8
	s_addc_u32 s9, s69, s9
	s_cmp_lg_u64 s[6:7], s[2:3]
	s_cbranch_scc0 .LBB432_333
; %bb.293:
	v_lshlrev_b32_e32 v1, 1, v0
	global_load_ushort v4, v1, s[8:9]
	global_load_ushort v5, v1, s[8:9] offset:256
	global_load_ushort v6, v1, s[8:9] offset:512
	;; [unrolled: 1-line block ×3, first 2 shown]
	v_mbcnt_lo_u32_b32 v1, -1, 0
	v_mbcnt_hi_u32_b32 v2, -1, v1
	v_lshlrev_b32_e32 v3, 2, v2
	v_cmp_eq_u32_e32 vcc, 0, v2
	s_waitcnt vmcnt(2)
	v_add_u32_e32 v1, v5, v4
	v_or_b32_e32 v4, 0xfc, v3
	s_waitcnt vmcnt(0)
	v_add3_u32 v1, v1, v6, v7
	s_nop 1
	v_add_u32_dpp v1, v1, v1 quad_perm:[1,0,3,2] row_mask:0xf bank_mask:0xf bound_ctrl:1
	s_nop 1
	v_add_u32_dpp v1, v1, v1 quad_perm:[2,3,0,1] row_mask:0xf bank_mask:0xf bound_ctrl:1
	s_nop 1
	v_add_u32_dpp v1, v1, v1 row_ror:4 row_mask:0xf bank_mask:0xf bound_ctrl:1
	s_nop 1
	v_add_u32_dpp v1, v1, v1 row_ror:8 row_mask:0xf bank_mask:0xf bound_ctrl:1
	s_nop 1
	v_add_u32_dpp v1, v1, v1 row_bcast:15 row_mask:0xf bank_mask:0xf bound_ctrl:1
	s_nop 1
	v_add_u32_dpp v1, v1, v1 row_bcast:31 row_mask:0xf bank_mask:0xf bound_ctrl:1
	ds_bpermute_b32 v1, v4, v1
	s_and_saveexec_b64 s[6:7], vcc
	s_cbranch_execz .LBB432_295
; %bb.294:
	v_lshrrev_b32_e32 v4, 4, v0
	v_and_b32_e32 v4, 4, v4
	s_waitcnt lgkmcnt(0)
	ds_write_b32 v4, v1 offset:32
.LBB432_295:
	s_or_b64 exec, exec, s[6:7]
	v_cmp_gt_u32_e32 vcc, 64, v0
	s_waitcnt lgkmcnt(0)
	s_barrier
	s_and_saveexec_b64 s[6:7], vcc
	s_cbranch_execz .LBB432_297
; %bb.296:
	v_and_b32_e32 v1, 1, v2
	v_lshlrev_b32_e32 v1, 2, v1
	ds_read_b32 v1, v1 offset:32
	v_or_b32_e32 v2, 4, v3
	s_waitcnt lgkmcnt(0)
	ds_bpermute_b32 v2, v2, v1
	s_waitcnt lgkmcnt(0)
	v_add_u32_e32 v1, v2, v1
.LBB432_297:
	s_or_b64 exec, exec, s[6:7]
	s_mov_b64 s[6:7], 0
	s_branch .LBB432_334
.LBB432_298:
                                        ; implicit-def: $vgpr1
	s_cbranch_execnz .LBB432_362
	s_branch .LBB432_371
.LBB432_299:
                                        ; implicit-def: $vgpr1
	s_cbranch_execz .LBB432_349
; %bb.300:
	s_cmp_eq_u32 s33, 2
	s_cbranch_scc0 .LBB432_308
; %bb.301:
	s_mov_b32 s3, 0
	s_lshl_b32 s6, s2, 8
	s_mov_b32 s7, s3
	s_lshr_b64 s[8:9], s[70:71], 8
	s_lshl_b64 s[4:5], s[6:7], 1
	s_add_u32 s4, s68, s4
	s_addc_u32 s5, s69, s5
	s_cmp_lg_u64 s[8:9], s[2:3]
	s_cbranch_scc0 .LBB432_350
; %bb.302:
	v_lshlrev_b32_e32 v1, 1, v0
	global_load_ushort v4, v1, s[4:5]
	global_load_ushort v5, v1, s[4:5] offset:256
	v_mbcnt_lo_u32_b32 v1, -1, 0
	v_mbcnt_hi_u32_b32 v2, -1, v1
	v_lshlrev_b32_e32 v3, 2, v2
	v_cmp_eq_u32_e32 vcc, 0, v2
	s_waitcnt vmcnt(0)
	v_add_u32_e32 v1, v5, v4
	s_nop 1
	v_add_u32_dpp v1, v1, v1 quad_perm:[1,0,3,2] row_mask:0xf bank_mask:0xf bound_ctrl:1
	v_or_b32_e32 v4, 0xfc, v3
	s_nop 0
	v_add_u32_dpp v1, v1, v1 quad_perm:[2,3,0,1] row_mask:0xf bank_mask:0xf bound_ctrl:1
	s_nop 1
	v_add_u32_dpp v1, v1, v1 row_ror:4 row_mask:0xf bank_mask:0xf bound_ctrl:1
	s_nop 1
	v_add_u32_dpp v1, v1, v1 row_ror:8 row_mask:0xf bank_mask:0xf bound_ctrl:1
	s_nop 1
	v_add_u32_dpp v1, v1, v1 row_bcast:15 row_mask:0xf bank_mask:0xf bound_ctrl:1
	s_nop 1
	v_add_u32_dpp v1, v1, v1 row_bcast:31 row_mask:0xf bank_mask:0xf bound_ctrl:1
	ds_bpermute_b32 v1, v4, v1
	s_and_saveexec_b64 s[8:9], vcc
	s_cbranch_execz .LBB432_304
; %bb.303:
	v_lshrrev_b32_e32 v4, 4, v0
	v_and_b32_e32 v4, 4, v4
	s_waitcnt lgkmcnt(0)
	ds_write_b32 v4, v1 offset:16
.LBB432_304:
	s_or_b64 exec, exec, s[8:9]
	v_cmp_gt_u32_e32 vcc, 64, v0
	s_waitcnt lgkmcnt(0)
	s_barrier
	s_and_saveexec_b64 s[8:9], vcc
	s_cbranch_execz .LBB432_306
; %bb.305:
	v_and_b32_e32 v1, 1, v2
	v_lshlrev_b32_e32 v1, 2, v1
	ds_read_b32 v1, v1 offset:16
	v_or_b32_e32 v2, 4, v3
	s_waitcnt lgkmcnt(0)
	ds_bpermute_b32 v2, v2, v1
	s_waitcnt lgkmcnt(0)
	v_add_u32_e32 v1, v2, v1
.LBB432_306:
	s_or_b64 exec, exec, s[8:9]
	s_mov_b64 s[8:9], 0
	s_branch .LBB432_351
.LBB432_307:
                                        ; implicit-def: $vgpr1
	s_branch .LBB432_349
.LBB432_308:
                                        ; implicit-def: $vgpr1
	s_branch .LBB432_371
.LBB432_309:
	s_mov_b64 s[6:7], -1
                                        ; implicit-def: $vgpr1
.LBB432_310:
	s_and_b64 vcc, exec, s[6:7]
	s_cbranch_vccz .LBB432_332
; %bb.311:
	s_sub_i32 s20, s70, s4
	v_mov_b32_e32 v2, 0
	v_cmp_gt_u32_e32 vcc, s20, v0
	v_mov_b32_e32 v3, v2
	v_mov_b32_e32 v4, v2
	;; [unrolled: 1-line block ×7, first 2 shown]
	s_and_saveexec_b64 s[4:5], vcc
	s_cbranch_execz .LBB432_313
; %bb.312:
	v_lshlrev_b32_e32 v1, 1, v0
	global_load_ushort v1, v1, s[16:17]
	v_mov_b32_e32 v5, v2
	v_mov_b32_e32 v6, v2
	;; [unrolled: 1-line block ×7, first 2 shown]
	s_waitcnt vmcnt(0)
	v_and_b32_e32 v4, 0xffff, v1
	v_mov_b64_e32 v[2:3], v[4:5]
	v_mov_b64_e32 v[4:5], v[6:7]
	;; [unrolled: 1-line block ×4, first 2 shown]
.LBB432_313:
	s_or_b64 exec, exec, s[4:5]
	v_or_b32_e32 v1, 0x80, v0
	v_cmp_gt_u32_e32 vcc, s20, v1
	s_and_saveexec_b64 s[4:5], vcc
	s_cbranch_execz .LBB432_315
; %bb.314:
	v_lshlrev_b32_e32 v1, 1, v0
	global_load_ushort v3, v1, s[16:17] offset:256
.LBB432_315:
	s_or_b64 exec, exec, s[4:5]
	v_or_b32_e32 v1, 0x100, v0
	v_cmp_gt_u32_e64 s[4:5], s20, v1
	s_and_saveexec_b64 s[6:7], s[4:5]
	s_cbranch_execz .LBB432_317
; %bb.316:
	v_lshlrev_b32_e32 v1, 1, v0
	global_load_ushort v4, v1, s[16:17] offset:512
.LBB432_317:
	s_or_b64 exec, exec, s[6:7]
	v_or_b32_e32 v1, 0x180, v0
	v_cmp_gt_u32_e64 s[6:7], s20, v1
	s_and_saveexec_b64 s[8:9], s[6:7]
	;; [unrolled: 9-line block ×6, first 2 shown]
	s_cbranch_execz .LBB432_327
; %bb.326:
	v_lshlrev_b32_e32 v1, 1, v0
	global_load_ushort v9, v1, s[16:17] offset:1792
.LBB432_327:
	s_or_b64 exec, exec, s[18:19]
	s_waitcnt vmcnt(0)
	v_cndmask_b32_e32 v1, 0, v3, vcc
	v_add_u32_e32 v1, v1, v2
	v_cndmask_b32_e64 v2, 0, v4, s[4:5]
	v_cndmask_b32_e64 v3, 0, v5, s[6:7]
	v_add3_u32 v1, v1, v2, v3
	v_cndmask_b32_e64 v2, 0, v6, s[8:9]
	v_cndmask_b32_e64 v3, 0, v7, s[10:11]
	v_add3_u32 v1, v1, v2, v3
	v_cndmask_b32_e64 v2, 0, v8, s[12:13]
	v_cndmask_b32_e64 v3, 0, v9, s[14:15]
	v_add3_u32 v1, v1, v2, v3
	v_mbcnt_lo_u32_b32 v2, -1, 0
	v_mbcnt_hi_u32_b32 v2, -1, v2
	v_and_b32_e32 v4, 63, v2
	v_cmp_ne_u32_e32 vcc, 63, v4
	s_min_u32 s6, s20, 0x80
	v_and_b32_e32 v5, 64, v0
	v_addc_co_u32_e32 v3, vcc, 0, v2, vcc
	v_lshlrev_b32_e32 v3, 2, v3
	ds_bpermute_b32 v3, v3, v1
	v_sub_u32_e64 v5, s6, v5 clamp
	v_add_u32_e32 v6, 1, v4
	v_cmp_lt_u32_e32 vcc, v6, v5
	v_add_u32_e32 v6, 2, v4
	s_waitcnt lgkmcnt(0)
	v_cndmask_b32_e32 v3, 0, v3, vcc
	v_cmp_gt_u32_e32 vcc, 62, v4
	v_add_u32_e32 v1, v1, v3
	s_nop 0
	v_cndmask_b32_e64 v3, 0, 2, vcc
	v_add_lshl_u32 v3, v3, v2, 2
	ds_bpermute_b32 v3, v3, v1
	v_cmp_lt_u32_e32 vcc, v6, v5
	v_add_u32_e32 v6, 4, v4
	s_waitcnt lgkmcnt(0)
	v_cndmask_b32_e32 v3, 0, v3, vcc
	v_cmp_gt_u32_e32 vcc, 60, v4
	v_add_u32_e32 v1, v1, v3
	s_nop 0
	v_cndmask_b32_e64 v3, 0, 4, vcc
	v_add_lshl_u32 v3, v3, v2, 2
	ds_bpermute_b32 v3, v3, v1
	;; [unrolled: 10-line block ×3, first 2 shown]
	v_cmp_lt_u32_e32 vcc, v6, v5
	v_add_u32_e32 v6, 16, v4
	s_waitcnt lgkmcnt(0)
	v_cndmask_b32_e32 v3, 0, v3, vcc
	v_cmp_gt_u32_e32 vcc, 48, v4
	v_add_u32_e32 v1, v1, v3
	v_add_u32_e32 v4, 32, v4
	v_cndmask_b32_e64 v3, 0, 16, vcc
	v_add_lshl_u32 v3, v3, v2, 2
	ds_bpermute_b32 v3, v3, v1
	v_cmp_lt_u32_e32 vcc, v6, v5
	s_waitcnt lgkmcnt(0)
	s_nop 0
	v_cndmask_b32_e32 v3, 0, v3, vcc
	v_add_u32_e32 v1, v1, v3
	v_lshlrev_b32_e32 v3, 2, v2
	v_or_b32_e32 v6, 0x80, v3
	ds_bpermute_b32 v6, v6, v1
	v_cmp_lt_u32_e32 vcc, v4, v5
	s_waitcnt lgkmcnt(0)
	s_nop 0
	v_cndmask_b32_e32 v4, 0, v6, vcc
	v_add_u32_e32 v1, v1, v4
	v_cmp_eq_u32_e32 vcc, 0, v2
	s_and_saveexec_b64 s[4:5], vcc
; %bb.328:
	v_lshrrev_b32_e32 v4, 4, v0
	v_and_b32_e32 v4, 4, v4
	ds_write_b32 v4, v1 offset:56
; %bb.329:
	s_or_b64 exec, exec, s[4:5]
	v_cmp_gt_u32_e32 vcc, 2, v0
	s_waitcnt lgkmcnt(0)
	s_barrier
	s_and_saveexec_b64 s[4:5], vcc
	s_cbranch_execz .LBB432_331
; %bb.330:
	ds_read_b32 v1, v3 offset:56
	v_or_b32_e32 v3, 4, v3
	v_and_b32_e32 v2, 1, v2
	s_add_i32 s6, s6, 63
	v_add_u32_e32 v2, 1, v2
	s_waitcnt lgkmcnt(0)
	ds_bpermute_b32 v3, v3, v1
	s_lshr_b32 s6, s6, 6
	v_cmp_gt_u32_e32 vcc, s6, v2
	s_waitcnt lgkmcnt(0)
	s_nop 0
	v_cndmask_b32_e32 v2, 0, v3, vcc
	v_add_u32_e32 v1, v2, v1
.LBB432_331:
	s_or_b64 exec, exec, s[4:5]
.LBB432_332:
	v_cmp_eq_u32_e64 s[6:7], 0, v0
	s_branch .LBB432_371
.LBB432_333:
	s_mov_b64 s[6:7], -1
                                        ; implicit-def: $vgpr1
.LBB432_334:
	s_and_b64 vcc, exec, s[6:7]
	s_cbranch_vccz .LBB432_348
; %bb.335:
	s_sub_i32 s12, s70, s4
	v_mov_b32_e32 v2, 0
	v_cmp_gt_u32_e32 vcc, s12, v0
	v_mov_b32_e32 v3, v2
	v_mov_b32_e32 v4, v2
	;; [unrolled: 1-line block ×3, first 2 shown]
	s_and_saveexec_b64 s[4:5], vcc
	s_cbranch_execz .LBB432_337
; %bb.336:
	v_lshlrev_b32_e32 v1, 1, v0
	global_load_ushort v1, v1, s[8:9]
	v_mov_b32_e32 v5, v2
	v_mov_b32_e32 v6, v2
	;; [unrolled: 1-line block ×3, first 2 shown]
	s_waitcnt vmcnt(0)
	v_and_b32_e32 v4, 0xffff, v1
	v_mov_b64_e32 v[2:3], v[4:5]
	v_mov_b64_e32 v[4:5], v[6:7]
.LBB432_337:
	s_or_b64 exec, exec, s[4:5]
	v_or_b32_e32 v1, 0x80, v0
	v_cmp_gt_u32_e32 vcc, s12, v1
	s_and_saveexec_b64 s[4:5], vcc
	s_cbranch_execz .LBB432_339
; %bb.338:
	v_lshlrev_b32_e32 v1, 1, v0
	global_load_ushort v3, v1, s[8:9] offset:256
.LBB432_339:
	s_or_b64 exec, exec, s[4:5]
	v_or_b32_e32 v1, 0x100, v0
	v_cmp_gt_u32_e64 s[4:5], s12, v1
	s_and_saveexec_b64 s[6:7], s[4:5]
	s_cbranch_execz .LBB432_341
; %bb.340:
	v_lshlrev_b32_e32 v1, 1, v0
	global_load_ushort v4, v1, s[8:9] offset:512
.LBB432_341:
	s_or_b64 exec, exec, s[6:7]
	v_or_b32_e32 v1, 0x180, v0
	v_cmp_gt_u32_e64 s[6:7], s12, v1
	s_and_saveexec_b64 s[10:11], s[6:7]
	s_cbranch_execz .LBB432_343
; %bb.342:
	v_lshlrev_b32_e32 v1, 1, v0
	global_load_ushort v5, v1, s[8:9] offset:768
.LBB432_343:
	s_or_b64 exec, exec, s[10:11]
	s_waitcnt vmcnt(0)
	v_cndmask_b32_e32 v1, 0, v3, vcc
	v_add_u32_e32 v1, v1, v2
	v_cndmask_b32_e64 v2, 0, v4, s[4:5]
	v_cndmask_b32_e64 v3, 0, v5, s[6:7]
	v_add3_u32 v1, v1, v2, v3
	v_mbcnt_lo_u32_b32 v2, -1, 0
	v_mbcnt_hi_u32_b32 v2, -1, v2
	v_and_b32_e32 v4, 63, v2
	v_cmp_ne_u32_e32 vcc, 63, v4
	s_min_u32 s6, s12, 0x80
	v_and_b32_e32 v5, 64, v0
	v_addc_co_u32_e32 v3, vcc, 0, v2, vcc
	v_lshlrev_b32_e32 v3, 2, v3
	ds_bpermute_b32 v3, v3, v1
	v_sub_u32_e64 v5, s6, v5 clamp
	v_add_u32_e32 v6, 1, v4
	v_cmp_lt_u32_e32 vcc, v6, v5
	v_add_u32_e32 v6, 2, v4
	s_waitcnt lgkmcnt(0)
	v_cndmask_b32_e32 v3, 0, v3, vcc
	v_cmp_gt_u32_e32 vcc, 62, v4
	v_add_u32_e32 v1, v3, v1
	s_nop 0
	v_cndmask_b32_e64 v3, 0, 2, vcc
	v_add_lshl_u32 v3, v3, v2, 2
	ds_bpermute_b32 v3, v3, v1
	v_cmp_lt_u32_e32 vcc, v6, v5
	v_add_u32_e32 v6, 4, v4
	s_waitcnt lgkmcnt(0)
	v_cndmask_b32_e32 v3, 0, v3, vcc
	v_cmp_gt_u32_e32 vcc, 60, v4
	v_add_u32_e32 v1, v1, v3
	s_nop 0
	v_cndmask_b32_e64 v3, 0, 4, vcc
	v_add_lshl_u32 v3, v3, v2, 2
	ds_bpermute_b32 v3, v3, v1
	;; [unrolled: 10-line block ×3, first 2 shown]
	v_cmp_lt_u32_e32 vcc, v6, v5
	v_add_u32_e32 v6, 16, v4
	s_waitcnt lgkmcnt(0)
	v_cndmask_b32_e32 v3, 0, v3, vcc
	v_cmp_gt_u32_e32 vcc, 48, v4
	v_add_u32_e32 v1, v1, v3
	v_add_u32_e32 v4, 32, v4
	v_cndmask_b32_e64 v3, 0, 16, vcc
	v_add_lshl_u32 v3, v3, v2, 2
	ds_bpermute_b32 v3, v3, v1
	v_cmp_lt_u32_e32 vcc, v6, v5
	s_waitcnt lgkmcnt(0)
	s_nop 0
	v_cndmask_b32_e32 v3, 0, v3, vcc
	v_add_u32_e32 v1, v1, v3
	v_lshlrev_b32_e32 v3, 2, v2
	v_or_b32_e32 v6, 0x80, v3
	ds_bpermute_b32 v6, v6, v1
	v_cmp_lt_u32_e32 vcc, v4, v5
	s_waitcnt lgkmcnt(0)
	s_nop 0
	v_cndmask_b32_e32 v4, 0, v6, vcc
	v_add_u32_e32 v1, v1, v4
	v_cmp_eq_u32_e32 vcc, 0, v2
	s_and_saveexec_b64 s[4:5], vcc
; %bb.344:
	v_lshrrev_b32_e32 v4, 4, v0
	v_and_b32_e32 v4, 4, v4
	ds_write_b32 v4, v1 offset:56
; %bb.345:
	s_or_b64 exec, exec, s[4:5]
	v_cmp_gt_u32_e32 vcc, 2, v0
	s_waitcnt lgkmcnt(0)
	s_barrier
	s_and_saveexec_b64 s[4:5], vcc
	s_cbranch_execz .LBB432_347
; %bb.346:
	ds_read_b32 v1, v3 offset:56
	v_or_b32_e32 v3, 4, v3
	v_and_b32_e32 v2, 1, v2
	s_add_i32 s6, s6, 63
	v_add_u32_e32 v2, 1, v2
	s_waitcnt lgkmcnt(0)
	ds_bpermute_b32 v3, v3, v1
	s_lshr_b32 s6, s6, 6
	v_cmp_gt_u32_e32 vcc, s6, v2
	s_waitcnt lgkmcnt(0)
	s_nop 0
	v_cndmask_b32_e32 v2, 0, v3, vcc
	v_add_u32_e32 v1, v2, v1
.LBB432_347:
	s_or_b64 exec, exec, s[4:5]
.LBB432_348:
	v_cmp_eq_u32_e64 s[6:7], 0, v0
.LBB432_349:
	s_branch .LBB432_371
.LBB432_350:
	s_mov_b64 s[8:9], -1
                                        ; implicit-def: $vgpr1
.LBB432_351:
	s_and_b64 vcc, exec, s[8:9]
	s_cbranch_vccz .LBB432_361
; %bb.352:
	s_sub_i32 s8, s70, s6
	v_mov_b32_e32 v2, 0
	v_cmp_gt_u32_e32 vcc, s8, v0
	v_mov_b32_e32 v3, v2
	s_and_saveexec_b64 s[6:7], vcc
	s_cbranch_execz .LBB432_354
; %bb.353:
	v_lshlrev_b32_e32 v1, 1, v0
	global_load_ushort v1, v1, s[4:5]
	v_mov_b32_e32 v5, v2
	s_waitcnt vmcnt(0)
	v_and_b32_e32 v4, 0xffff, v1
	v_mov_b64_e32 v[2:3], v[4:5]
.LBB432_354:
	s_or_b64 exec, exec, s[6:7]
	v_or_b32_e32 v1, 0x80, v0
	v_cmp_gt_u32_e32 vcc, s8, v1
	s_and_saveexec_b64 s[6:7], vcc
	s_cbranch_execz .LBB432_356
; %bb.355:
	v_lshlrev_b32_e32 v1, 1, v0
	global_load_ushort v3, v1, s[4:5] offset:256
.LBB432_356:
	s_or_b64 exec, exec, s[6:7]
	s_waitcnt vmcnt(0)
	v_cndmask_b32_e32 v1, 0, v3, vcc
	v_add_u32_e32 v1, v1, v2
	v_mbcnt_lo_u32_b32 v2, -1, 0
	v_mbcnt_hi_u32_b32 v2, -1, v2
	v_and_b32_e32 v4, 63, v2
	v_cmp_ne_u32_e32 vcc, 63, v4
	s_min_u32 s6, s8, 0x80
	v_and_b32_e32 v5, 64, v0
	v_addc_co_u32_e32 v3, vcc, 0, v2, vcc
	v_lshlrev_b32_e32 v3, 2, v3
	ds_bpermute_b32 v3, v3, v1
	v_sub_u32_e64 v5, s6, v5 clamp
	v_add_u32_e32 v6, 1, v4
	v_cmp_lt_u32_e32 vcc, v6, v5
	v_add_u32_e32 v6, 2, v4
	s_waitcnt lgkmcnt(0)
	v_cndmask_b32_e32 v3, 0, v3, vcc
	v_cmp_gt_u32_e32 vcc, 62, v4
	v_add_u32_e32 v1, v3, v1
	s_nop 0
	v_cndmask_b32_e64 v3, 0, 2, vcc
	v_add_lshl_u32 v3, v3, v2, 2
	ds_bpermute_b32 v3, v3, v1
	v_cmp_lt_u32_e32 vcc, v6, v5
	v_add_u32_e32 v6, 4, v4
	s_waitcnt lgkmcnt(0)
	v_cndmask_b32_e32 v3, 0, v3, vcc
	v_cmp_gt_u32_e32 vcc, 60, v4
	v_add_u32_e32 v1, v1, v3
	s_nop 0
	v_cndmask_b32_e64 v3, 0, 4, vcc
	v_add_lshl_u32 v3, v3, v2, 2
	ds_bpermute_b32 v3, v3, v1
	;; [unrolled: 10-line block ×3, first 2 shown]
	v_cmp_lt_u32_e32 vcc, v6, v5
	v_add_u32_e32 v6, 16, v4
	s_waitcnt lgkmcnt(0)
	v_cndmask_b32_e32 v3, 0, v3, vcc
	v_cmp_gt_u32_e32 vcc, 48, v4
	v_add_u32_e32 v1, v1, v3
	v_add_u32_e32 v4, 32, v4
	v_cndmask_b32_e64 v3, 0, 16, vcc
	v_add_lshl_u32 v3, v3, v2, 2
	ds_bpermute_b32 v3, v3, v1
	v_cmp_lt_u32_e32 vcc, v6, v5
	s_waitcnt lgkmcnt(0)
	s_nop 0
	v_cndmask_b32_e32 v3, 0, v3, vcc
	v_add_u32_e32 v1, v1, v3
	v_lshlrev_b32_e32 v3, 2, v2
	v_or_b32_e32 v6, 0x80, v3
	ds_bpermute_b32 v6, v6, v1
	v_cmp_lt_u32_e32 vcc, v4, v5
	s_waitcnt lgkmcnt(0)
	s_nop 0
	v_cndmask_b32_e32 v4, 0, v6, vcc
	v_add_u32_e32 v1, v1, v4
	v_cmp_eq_u32_e32 vcc, 0, v2
	s_and_saveexec_b64 s[4:5], vcc
; %bb.357:
	v_lshrrev_b32_e32 v4, 4, v0
	v_and_b32_e32 v4, 4, v4
	ds_write_b32 v4, v1 offset:56
; %bb.358:
	s_or_b64 exec, exec, s[4:5]
	v_cmp_gt_u32_e32 vcc, 2, v0
	s_waitcnt lgkmcnt(0)
	s_barrier
	s_and_saveexec_b64 s[4:5], vcc
	s_cbranch_execz .LBB432_360
; %bb.359:
	ds_read_b32 v1, v3 offset:56
	v_or_b32_e32 v3, 4, v3
	v_and_b32_e32 v2, 1, v2
	s_add_i32 s6, s6, 63
	v_add_u32_e32 v2, 1, v2
	s_waitcnt lgkmcnt(0)
	ds_bpermute_b32 v3, v3, v1
	s_lshr_b32 s6, s6, 6
	v_cmp_gt_u32_e32 vcc, s6, v2
	s_waitcnt lgkmcnt(0)
	s_nop 0
	v_cndmask_b32_e32 v2, 0, v3, vcc
	v_add_u32_e32 v1, v2, v1
.LBB432_360:
	s_or_b64 exec, exec, s[4:5]
.LBB432_361:
	v_cmp_eq_u32_e64 s[6:7], 0, v0
	s_branch .LBB432_371
.LBB432_362:
	s_cmp_eq_u32 s33, 1
	s_cbranch_scc0 .LBB432_370
; %bb.363:
	s_mov_b32 s5, 0
	s_lshl_b32 s4, s2, 7
	s_mov_b32 s3, s5
	s_lshr_b64 s[6:7], s[70:71], 7
	s_cmp_lg_u64 s[6:7], s[2:3]
	v_mbcnt_lo_u32_b32 v2, -1, 0
	s_cbranch_scc0 .LBB432_374
; %bb.364:
	s_lshl_b64 s[6:7], s[4:5], 1
	s_add_u32 s6, s68, s6
	s_addc_u32 s7, s69, s7
	v_lshlrev_b32_e32 v1, 1, v0
	global_load_ushort v1, v1, s[6:7]
	v_mbcnt_hi_u32_b32 v3, -1, v2
	v_lshlrev_b32_e32 v4, 2, v3
	v_or_b32_e32 v5, 0xfc, v4
	v_cmp_eq_u32_e32 vcc, 0, v3
	s_waitcnt vmcnt(0)
	v_add_u32_dpp v1, v1, v1 quad_perm:[1,0,3,2] row_mask:0xf bank_mask:0xf bound_ctrl:1
	s_nop 1
	v_add_u32_dpp v1, v1, v1 quad_perm:[2,3,0,1] row_mask:0xf bank_mask:0xf bound_ctrl:1
	s_nop 1
	v_add_u32_dpp v1, v1, v1 row_ror:4 row_mask:0xf bank_mask:0xf bound_ctrl:1
	s_nop 1
	v_add_u32_dpp v1, v1, v1 row_ror:8 row_mask:0xf bank_mask:0xf bound_ctrl:1
	s_nop 1
	v_add_u32_dpp v1, v1, v1 row_bcast:15 row_mask:0xf bank_mask:0xf bound_ctrl:1
	s_nop 1
	v_add_u32_dpp v1, v1, v1 row_bcast:31 row_mask:0xf bank_mask:0xf bound_ctrl:1
	ds_bpermute_b32 v1, v5, v1
	s_and_saveexec_b64 s[6:7], vcc
	s_cbranch_execz .LBB432_366
; %bb.365:
	v_lshrrev_b32_e32 v5, 4, v0
	v_and_b32_e32 v5, 4, v5
	s_waitcnt lgkmcnt(0)
	ds_write_b32 v5, v1 offset:8
.LBB432_366:
	s_or_b64 exec, exec, s[6:7]
	v_cmp_gt_u32_e32 vcc, 64, v0
	s_waitcnt lgkmcnt(0)
	s_barrier
	s_and_saveexec_b64 s[6:7], vcc
	s_cbranch_execz .LBB432_368
; %bb.367:
	v_and_b32_e32 v1, 1, v3
	v_lshlrev_b32_e32 v1, 2, v1
	ds_read_b32 v1, v1 offset:8
	v_or_b32_e32 v3, 4, v4
	s_waitcnt lgkmcnt(0)
	ds_bpermute_b32 v3, v3, v1
	s_waitcnt lgkmcnt(0)
	v_add_u32_e32 v1, v3, v1
.LBB432_368:
	s_or_b64 exec, exec, s[6:7]
.LBB432_369:
	v_cmp_eq_u32_e64 s[6:7], 0, v0
	s_and_saveexec_b64 s[4:5], s[6:7]
	s_cbranch_execnz .LBB432_372
	s_branch .LBB432_373
.LBB432_370:
                                        ; implicit-def: $vgpr1
                                        ; implicit-def: $sgpr2_sgpr3
.LBB432_371:
	s_and_saveexec_b64 s[4:5], s[6:7]
	s_cbranch_execz .LBB432_373
.LBB432_372:
	s_load_dwordx2 s[4:5], s[0:1], 0x18
	s_load_dword s6, s[0:1], 0x20
	s_lshl_b64 s[0:1], s[2:3], 2
	v_mov_b32_e32 v0, 0
	s_waitcnt lgkmcnt(0)
	s_add_u32 s0, s4, s0
	s_addc_u32 s1, s5, s1
	s_cmp_lg_u64 s[70:71], 0
	s_cselect_b64 vcc, -1, 0
	v_cndmask_b32_e32 v1, 0, v1, vcc
	v_add_u32_e32 v1, s6, v1
	global_store_dword v0, v1, s[0:1]
.LBB432_373:
	s_endpgm
.LBB432_374:
                                        ; implicit-def: $vgpr1
	s_cbranch_execz .LBB432_369
; %bb.375:
	s_sub_i32 s8, s70, s4
	v_cmp_gt_u32_e32 vcc, s8, v0
                                        ; implicit-def: $vgpr1
	s_and_saveexec_b64 s[6:7], vcc
	s_cbranch_execz .LBB432_377
; %bb.376:
	s_lshl_b64 s[4:5], s[4:5], 1
	s_add_u32 s4, s68, s4
	s_addc_u32 s5, s69, s5
	v_lshlrev_b32_e32 v1, 1, v0
	global_load_ushort v1, v1, s[4:5]
.LBB432_377:
	s_or_b64 exec, exec, s[6:7]
	v_mbcnt_hi_u32_b32 v2, -1, v2
	v_and_b32_e32 v4, 63, v2
	v_cmp_ne_u32_e32 vcc, 63, v4
	s_min_u32 s6, s8, 0x80
	v_and_b32_e32 v5, 64, v0
	v_addc_co_u32_e32 v3, vcc, 0, v2, vcc
	v_lshlrev_b32_e32 v3, 2, v3
	s_waitcnt vmcnt(0)
	ds_bpermute_b32 v3, v3, v1
	v_sub_u32_e64 v5, s6, v5 clamp
	v_add_u32_e32 v6, 1, v4
	v_cmp_lt_u32_e32 vcc, v6, v5
	v_add_u32_e32 v6, 2, v4
	s_waitcnt lgkmcnt(0)
	v_cndmask_b32_e32 v3, 0, v3, vcc
	v_cmp_gt_u32_e32 vcc, 62, v4
	v_add_u32_e32 v1, v3, v1
	s_nop 0
	v_cndmask_b32_e64 v3, 0, 2, vcc
	v_add_lshl_u32 v3, v3, v2, 2
	ds_bpermute_b32 v3, v3, v1
	v_cmp_lt_u32_e32 vcc, v6, v5
	v_add_u32_e32 v6, 4, v4
	s_waitcnt lgkmcnt(0)
	v_cndmask_b32_e32 v3, 0, v3, vcc
	v_cmp_gt_u32_e32 vcc, 60, v4
	v_add_u32_e32 v1, v1, v3
	s_nop 0
	v_cndmask_b32_e64 v3, 0, 4, vcc
	v_add_lshl_u32 v3, v3, v2, 2
	ds_bpermute_b32 v3, v3, v1
	;; [unrolled: 10-line block ×3, first 2 shown]
	v_cmp_lt_u32_e32 vcc, v6, v5
	v_add_u32_e32 v6, 16, v4
	s_waitcnt lgkmcnt(0)
	v_cndmask_b32_e32 v3, 0, v3, vcc
	v_cmp_gt_u32_e32 vcc, 48, v4
	v_add_u32_e32 v1, v1, v3
	v_add_u32_e32 v4, 32, v4
	v_cndmask_b32_e64 v3, 0, 16, vcc
	v_add_lshl_u32 v3, v3, v2, 2
	ds_bpermute_b32 v3, v3, v1
	v_cmp_lt_u32_e32 vcc, v6, v5
	s_waitcnt lgkmcnt(0)
	s_nop 0
	v_cndmask_b32_e32 v3, 0, v3, vcc
	v_add_u32_e32 v1, v1, v3
	v_lshlrev_b32_e32 v3, 2, v2
	v_or_b32_e32 v6, 0x80, v3
	ds_bpermute_b32 v6, v6, v1
	v_cmp_lt_u32_e32 vcc, v4, v5
	s_waitcnt lgkmcnt(0)
	s_nop 0
	v_cndmask_b32_e32 v4, 0, v6, vcc
	v_add_u32_e32 v1, v1, v4
	v_cmp_eq_u32_e32 vcc, 0, v2
	s_and_saveexec_b64 s[4:5], vcc
; %bb.378:
	v_lshrrev_b32_e32 v4, 4, v0
	v_and_b32_e32 v4, 4, v4
	ds_write_b32 v4, v1 offset:56
; %bb.379:
	s_or_b64 exec, exec, s[4:5]
	v_cmp_gt_u32_e32 vcc, 2, v0
	s_waitcnt lgkmcnt(0)
	s_barrier
	s_and_saveexec_b64 s[4:5], vcc
	s_cbranch_execz .LBB432_381
; %bb.380:
	ds_read_b32 v1, v3 offset:56
	v_or_b32_e32 v3, 4, v3
	v_and_b32_e32 v2, 1, v2
	s_add_i32 s6, s6, 63
	v_add_u32_e32 v2, 1, v2
	s_waitcnt lgkmcnt(0)
	ds_bpermute_b32 v3, v3, v1
	s_lshr_b32 s6, s6, 6
	v_cmp_gt_u32_e32 vcc, s6, v2
	s_waitcnt lgkmcnt(0)
	s_nop 0
	v_cndmask_b32_e32 v2, 0, v3, vcc
	v_add_u32_e32 v1, v2, v1
.LBB432_381:
	s_or_b64 exec, exec, s[4:5]
	v_cmp_eq_u32_e64 s[6:7], 0, v0
	s_and_saveexec_b64 s[4:5], s[6:7]
	s_cbranch_execnz .LBB432_372
	s_branch .LBB432_373
	.section	.rodata,"a",@progbits
	.p2align	6, 0x0
	.amdhsa_kernel _ZN7rocprim17ROCPRIM_400000_NS6detail17trampoline_kernelINS0_14default_configENS1_22reduce_config_selectorItEEZNS1_11reduce_implILb1ES3_N6thrust23THRUST_200600_302600_NS6detail15normal_iteratorINS8_10device_ptrItEEEEPiiNS8_4plusIiEEEE10hipError_tPvRmT1_T2_T3_mT4_P12ihipStream_tbEUlT_E1_NS1_11comp_targetILNS1_3genE0ELNS1_11target_archE4294967295ELNS1_3gpuE0ELNS1_3repE0EEENS1_30default_config_static_selectorELNS0_4arch9wavefront6targetE1EEEvSK_
		.amdhsa_group_segment_fixed_size 64
		.amdhsa_private_segment_fixed_size 0
		.amdhsa_kernarg_size 40
		.amdhsa_user_sgpr_count 2
		.amdhsa_user_sgpr_dispatch_ptr 0
		.amdhsa_user_sgpr_queue_ptr 0
		.amdhsa_user_sgpr_kernarg_segment_ptr 1
		.amdhsa_user_sgpr_dispatch_id 0
		.amdhsa_user_sgpr_kernarg_preload_length 0
		.amdhsa_user_sgpr_kernarg_preload_offset 0
		.amdhsa_user_sgpr_private_segment_size 0
		.amdhsa_uses_dynamic_stack 0
		.amdhsa_enable_private_segment 0
		.amdhsa_system_sgpr_workgroup_id_x 1
		.amdhsa_system_sgpr_workgroup_id_y 0
		.amdhsa_system_sgpr_workgroup_id_z 0
		.amdhsa_system_sgpr_workgroup_info 0
		.amdhsa_system_vgpr_workitem_id 0
		.amdhsa_next_free_vgpr 67
		.amdhsa_next_free_sgpr 75
		.amdhsa_accum_offset 68
		.amdhsa_reserve_vcc 1
		.amdhsa_float_round_mode_32 0
		.amdhsa_float_round_mode_16_64 0
		.amdhsa_float_denorm_mode_32 3
		.amdhsa_float_denorm_mode_16_64 3
		.amdhsa_dx10_clamp 1
		.amdhsa_ieee_mode 1
		.amdhsa_fp16_overflow 0
		.amdhsa_tg_split 0
		.amdhsa_exception_fp_ieee_invalid_op 0
		.amdhsa_exception_fp_denorm_src 0
		.amdhsa_exception_fp_ieee_div_zero 0
		.amdhsa_exception_fp_ieee_overflow 0
		.amdhsa_exception_fp_ieee_underflow 0
		.amdhsa_exception_fp_ieee_inexact 0
		.amdhsa_exception_int_div_zero 0
	.end_amdhsa_kernel
	.section	.text._ZN7rocprim17ROCPRIM_400000_NS6detail17trampoline_kernelINS0_14default_configENS1_22reduce_config_selectorItEEZNS1_11reduce_implILb1ES3_N6thrust23THRUST_200600_302600_NS6detail15normal_iteratorINS8_10device_ptrItEEEEPiiNS8_4plusIiEEEE10hipError_tPvRmT1_T2_T3_mT4_P12ihipStream_tbEUlT_E1_NS1_11comp_targetILNS1_3genE0ELNS1_11target_archE4294967295ELNS1_3gpuE0ELNS1_3repE0EEENS1_30default_config_static_selectorELNS0_4arch9wavefront6targetE1EEEvSK_,"axG",@progbits,_ZN7rocprim17ROCPRIM_400000_NS6detail17trampoline_kernelINS0_14default_configENS1_22reduce_config_selectorItEEZNS1_11reduce_implILb1ES3_N6thrust23THRUST_200600_302600_NS6detail15normal_iteratorINS8_10device_ptrItEEEEPiiNS8_4plusIiEEEE10hipError_tPvRmT1_T2_T3_mT4_P12ihipStream_tbEUlT_E1_NS1_11comp_targetILNS1_3genE0ELNS1_11target_archE4294967295ELNS1_3gpuE0ELNS1_3repE0EEENS1_30default_config_static_selectorELNS0_4arch9wavefront6targetE1EEEvSK_,comdat
.Lfunc_end432:
	.size	_ZN7rocprim17ROCPRIM_400000_NS6detail17trampoline_kernelINS0_14default_configENS1_22reduce_config_selectorItEEZNS1_11reduce_implILb1ES3_N6thrust23THRUST_200600_302600_NS6detail15normal_iteratorINS8_10device_ptrItEEEEPiiNS8_4plusIiEEEE10hipError_tPvRmT1_T2_T3_mT4_P12ihipStream_tbEUlT_E1_NS1_11comp_targetILNS1_3genE0ELNS1_11target_archE4294967295ELNS1_3gpuE0ELNS1_3repE0EEENS1_30default_config_static_selectorELNS0_4arch9wavefront6targetE1EEEvSK_, .Lfunc_end432-_ZN7rocprim17ROCPRIM_400000_NS6detail17trampoline_kernelINS0_14default_configENS1_22reduce_config_selectorItEEZNS1_11reduce_implILb1ES3_N6thrust23THRUST_200600_302600_NS6detail15normal_iteratorINS8_10device_ptrItEEEEPiiNS8_4plusIiEEEE10hipError_tPvRmT1_T2_T3_mT4_P12ihipStream_tbEUlT_E1_NS1_11comp_targetILNS1_3genE0ELNS1_11target_archE4294967295ELNS1_3gpuE0ELNS1_3repE0EEENS1_30default_config_static_selectorELNS0_4arch9wavefront6targetE1EEEvSK_
                                        ; -- End function
	.set _ZN7rocprim17ROCPRIM_400000_NS6detail17trampoline_kernelINS0_14default_configENS1_22reduce_config_selectorItEEZNS1_11reduce_implILb1ES3_N6thrust23THRUST_200600_302600_NS6detail15normal_iteratorINS8_10device_ptrItEEEEPiiNS8_4plusIiEEEE10hipError_tPvRmT1_T2_T3_mT4_P12ihipStream_tbEUlT_E1_NS1_11comp_targetILNS1_3genE0ELNS1_11target_archE4294967295ELNS1_3gpuE0ELNS1_3repE0EEENS1_30default_config_static_selectorELNS0_4arch9wavefront6targetE1EEEvSK_.num_vgpr, 67
	.set _ZN7rocprim17ROCPRIM_400000_NS6detail17trampoline_kernelINS0_14default_configENS1_22reduce_config_selectorItEEZNS1_11reduce_implILb1ES3_N6thrust23THRUST_200600_302600_NS6detail15normal_iteratorINS8_10device_ptrItEEEEPiiNS8_4plusIiEEEE10hipError_tPvRmT1_T2_T3_mT4_P12ihipStream_tbEUlT_E1_NS1_11comp_targetILNS1_3genE0ELNS1_11target_archE4294967295ELNS1_3gpuE0ELNS1_3repE0EEENS1_30default_config_static_selectorELNS0_4arch9wavefront6targetE1EEEvSK_.num_agpr, 0
	.set _ZN7rocprim17ROCPRIM_400000_NS6detail17trampoline_kernelINS0_14default_configENS1_22reduce_config_selectorItEEZNS1_11reduce_implILb1ES3_N6thrust23THRUST_200600_302600_NS6detail15normal_iteratorINS8_10device_ptrItEEEEPiiNS8_4plusIiEEEE10hipError_tPvRmT1_T2_T3_mT4_P12ihipStream_tbEUlT_E1_NS1_11comp_targetILNS1_3genE0ELNS1_11target_archE4294967295ELNS1_3gpuE0ELNS1_3repE0EEENS1_30default_config_static_selectorELNS0_4arch9wavefront6targetE1EEEvSK_.numbered_sgpr, 75
	.set _ZN7rocprim17ROCPRIM_400000_NS6detail17trampoline_kernelINS0_14default_configENS1_22reduce_config_selectorItEEZNS1_11reduce_implILb1ES3_N6thrust23THRUST_200600_302600_NS6detail15normal_iteratorINS8_10device_ptrItEEEEPiiNS8_4plusIiEEEE10hipError_tPvRmT1_T2_T3_mT4_P12ihipStream_tbEUlT_E1_NS1_11comp_targetILNS1_3genE0ELNS1_11target_archE4294967295ELNS1_3gpuE0ELNS1_3repE0EEENS1_30default_config_static_selectorELNS0_4arch9wavefront6targetE1EEEvSK_.num_named_barrier, 0
	.set _ZN7rocprim17ROCPRIM_400000_NS6detail17trampoline_kernelINS0_14default_configENS1_22reduce_config_selectorItEEZNS1_11reduce_implILb1ES3_N6thrust23THRUST_200600_302600_NS6detail15normal_iteratorINS8_10device_ptrItEEEEPiiNS8_4plusIiEEEE10hipError_tPvRmT1_T2_T3_mT4_P12ihipStream_tbEUlT_E1_NS1_11comp_targetILNS1_3genE0ELNS1_11target_archE4294967295ELNS1_3gpuE0ELNS1_3repE0EEENS1_30default_config_static_selectorELNS0_4arch9wavefront6targetE1EEEvSK_.private_seg_size, 0
	.set _ZN7rocprim17ROCPRIM_400000_NS6detail17trampoline_kernelINS0_14default_configENS1_22reduce_config_selectorItEEZNS1_11reduce_implILb1ES3_N6thrust23THRUST_200600_302600_NS6detail15normal_iteratorINS8_10device_ptrItEEEEPiiNS8_4plusIiEEEE10hipError_tPvRmT1_T2_T3_mT4_P12ihipStream_tbEUlT_E1_NS1_11comp_targetILNS1_3genE0ELNS1_11target_archE4294967295ELNS1_3gpuE0ELNS1_3repE0EEENS1_30default_config_static_selectorELNS0_4arch9wavefront6targetE1EEEvSK_.uses_vcc, 1
	.set _ZN7rocprim17ROCPRIM_400000_NS6detail17trampoline_kernelINS0_14default_configENS1_22reduce_config_selectorItEEZNS1_11reduce_implILb1ES3_N6thrust23THRUST_200600_302600_NS6detail15normal_iteratorINS8_10device_ptrItEEEEPiiNS8_4plusIiEEEE10hipError_tPvRmT1_T2_T3_mT4_P12ihipStream_tbEUlT_E1_NS1_11comp_targetILNS1_3genE0ELNS1_11target_archE4294967295ELNS1_3gpuE0ELNS1_3repE0EEENS1_30default_config_static_selectorELNS0_4arch9wavefront6targetE1EEEvSK_.uses_flat_scratch, 0
	.set _ZN7rocprim17ROCPRIM_400000_NS6detail17trampoline_kernelINS0_14default_configENS1_22reduce_config_selectorItEEZNS1_11reduce_implILb1ES3_N6thrust23THRUST_200600_302600_NS6detail15normal_iteratorINS8_10device_ptrItEEEEPiiNS8_4plusIiEEEE10hipError_tPvRmT1_T2_T3_mT4_P12ihipStream_tbEUlT_E1_NS1_11comp_targetILNS1_3genE0ELNS1_11target_archE4294967295ELNS1_3gpuE0ELNS1_3repE0EEENS1_30default_config_static_selectorELNS0_4arch9wavefront6targetE1EEEvSK_.has_dyn_sized_stack, 0
	.set _ZN7rocprim17ROCPRIM_400000_NS6detail17trampoline_kernelINS0_14default_configENS1_22reduce_config_selectorItEEZNS1_11reduce_implILb1ES3_N6thrust23THRUST_200600_302600_NS6detail15normal_iteratorINS8_10device_ptrItEEEEPiiNS8_4plusIiEEEE10hipError_tPvRmT1_T2_T3_mT4_P12ihipStream_tbEUlT_E1_NS1_11comp_targetILNS1_3genE0ELNS1_11target_archE4294967295ELNS1_3gpuE0ELNS1_3repE0EEENS1_30default_config_static_selectorELNS0_4arch9wavefront6targetE1EEEvSK_.has_recursion, 0
	.set _ZN7rocprim17ROCPRIM_400000_NS6detail17trampoline_kernelINS0_14default_configENS1_22reduce_config_selectorItEEZNS1_11reduce_implILb1ES3_N6thrust23THRUST_200600_302600_NS6detail15normal_iteratorINS8_10device_ptrItEEEEPiiNS8_4plusIiEEEE10hipError_tPvRmT1_T2_T3_mT4_P12ihipStream_tbEUlT_E1_NS1_11comp_targetILNS1_3genE0ELNS1_11target_archE4294967295ELNS1_3gpuE0ELNS1_3repE0EEENS1_30default_config_static_selectorELNS0_4arch9wavefront6targetE1EEEvSK_.has_indirect_call, 0
	.section	.AMDGPU.csdata,"",@progbits
; Kernel info:
; codeLenInByte = 13772
; TotalNumSgprs: 81
; NumVgprs: 67
; NumAgprs: 0
; TotalNumVgprs: 67
; ScratchSize: 0
; MemoryBound: 0
; FloatMode: 240
; IeeeMode: 1
; LDSByteSize: 64 bytes/workgroup (compile time only)
; SGPRBlocks: 10
; VGPRBlocks: 8
; NumSGPRsForWavesPerEU: 81
; NumVGPRsForWavesPerEU: 67
; AccumOffset: 68
; Occupancy: 7
; WaveLimiterHint : 1
; COMPUTE_PGM_RSRC2:SCRATCH_EN: 0
; COMPUTE_PGM_RSRC2:USER_SGPR: 2
; COMPUTE_PGM_RSRC2:TRAP_HANDLER: 0
; COMPUTE_PGM_RSRC2:TGID_X_EN: 1
; COMPUTE_PGM_RSRC2:TGID_Y_EN: 0
; COMPUTE_PGM_RSRC2:TGID_Z_EN: 0
; COMPUTE_PGM_RSRC2:TIDIG_COMP_CNT: 0
; COMPUTE_PGM_RSRC3_GFX90A:ACCUM_OFFSET: 16
; COMPUTE_PGM_RSRC3_GFX90A:TG_SPLIT: 0
	.section	.text._ZN7rocprim17ROCPRIM_400000_NS6detail17trampoline_kernelINS0_14default_configENS1_22reduce_config_selectorItEEZNS1_11reduce_implILb1ES3_N6thrust23THRUST_200600_302600_NS6detail15normal_iteratorINS8_10device_ptrItEEEEPiiNS8_4plusIiEEEE10hipError_tPvRmT1_T2_T3_mT4_P12ihipStream_tbEUlT_E1_NS1_11comp_targetILNS1_3genE5ELNS1_11target_archE942ELNS1_3gpuE9ELNS1_3repE0EEENS1_30default_config_static_selectorELNS0_4arch9wavefront6targetE1EEEvSK_,"axG",@progbits,_ZN7rocprim17ROCPRIM_400000_NS6detail17trampoline_kernelINS0_14default_configENS1_22reduce_config_selectorItEEZNS1_11reduce_implILb1ES3_N6thrust23THRUST_200600_302600_NS6detail15normal_iteratorINS8_10device_ptrItEEEEPiiNS8_4plusIiEEEE10hipError_tPvRmT1_T2_T3_mT4_P12ihipStream_tbEUlT_E1_NS1_11comp_targetILNS1_3genE5ELNS1_11target_archE942ELNS1_3gpuE9ELNS1_3repE0EEENS1_30default_config_static_selectorELNS0_4arch9wavefront6targetE1EEEvSK_,comdat
	.protected	_ZN7rocprim17ROCPRIM_400000_NS6detail17trampoline_kernelINS0_14default_configENS1_22reduce_config_selectorItEEZNS1_11reduce_implILb1ES3_N6thrust23THRUST_200600_302600_NS6detail15normal_iteratorINS8_10device_ptrItEEEEPiiNS8_4plusIiEEEE10hipError_tPvRmT1_T2_T3_mT4_P12ihipStream_tbEUlT_E1_NS1_11comp_targetILNS1_3genE5ELNS1_11target_archE942ELNS1_3gpuE9ELNS1_3repE0EEENS1_30default_config_static_selectorELNS0_4arch9wavefront6targetE1EEEvSK_ ; -- Begin function _ZN7rocprim17ROCPRIM_400000_NS6detail17trampoline_kernelINS0_14default_configENS1_22reduce_config_selectorItEEZNS1_11reduce_implILb1ES3_N6thrust23THRUST_200600_302600_NS6detail15normal_iteratorINS8_10device_ptrItEEEEPiiNS8_4plusIiEEEE10hipError_tPvRmT1_T2_T3_mT4_P12ihipStream_tbEUlT_E1_NS1_11comp_targetILNS1_3genE5ELNS1_11target_archE942ELNS1_3gpuE9ELNS1_3repE0EEENS1_30default_config_static_selectorELNS0_4arch9wavefront6targetE1EEEvSK_
	.globl	_ZN7rocprim17ROCPRIM_400000_NS6detail17trampoline_kernelINS0_14default_configENS1_22reduce_config_selectorItEEZNS1_11reduce_implILb1ES3_N6thrust23THRUST_200600_302600_NS6detail15normal_iteratorINS8_10device_ptrItEEEEPiiNS8_4plusIiEEEE10hipError_tPvRmT1_T2_T3_mT4_P12ihipStream_tbEUlT_E1_NS1_11comp_targetILNS1_3genE5ELNS1_11target_archE942ELNS1_3gpuE9ELNS1_3repE0EEENS1_30default_config_static_selectorELNS0_4arch9wavefront6targetE1EEEvSK_
	.p2align	8
	.type	_ZN7rocprim17ROCPRIM_400000_NS6detail17trampoline_kernelINS0_14default_configENS1_22reduce_config_selectorItEEZNS1_11reduce_implILb1ES3_N6thrust23THRUST_200600_302600_NS6detail15normal_iteratorINS8_10device_ptrItEEEEPiiNS8_4plusIiEEEE10hipError_tPvRmT1_T2_T3_mT4_P12ihipStream_tbEUlT_E1_NS1_11comp_targetILNS1_3genE5ELNS1_11target_archE942ELNS1_3gpuE9ELNS1_3repE0EEENS1_30default_config_static_selectorELNS0_4arch9wavefront6targetE1EEEvSK_,@function
_ZN7rocprim17ROCPRIM_400000_NS6detail17trampoline_kernelINS0_14default_configENS1_22reduce_config_selectorItEEZNS1_11reduce_implILb1ES3_N6thrust23THRUST_200600_302600_NS6detail15normal_iteratorINS8_10device_ptrItEEEEPiiNS8_4plusIiEEEE10hipError_tPvRmT1_T2_T3_mT4_P12ihipStream_tbEUlT_E1_NS1_11comp_targetILNS1_3genE5ELNS1_11target_archE942ELNS1_3gpuE9ELNS1_3repE0EEENS1_30default_config_static_selectorELNS0_4arch9wavefront6targetE1EEEvSK_: ; @_ZN7rocprim17ROCPRIM_400000_NS6detail17trampoline_kernelINS0_14default_configENS1_22reduce_config_selectorItEEZNS1_11reduce_implILb1ES3_N6thrust23THRUST_200600_302600_NS6detail15normal_iteratorINS8_10device_ptrItEEEEPiiNS8_4plusIiEEEE10hipError_tPvRmT1_T2_T3_mT4_P12ihipStream_tbEUlT_E1_NS1_11comp_targetILNS1_3genE5ELNS1_11target_archE942ELNS1_3gpuE9ELNS1_3repE0EEENS1_30default_config_static_selectorELNS0_4arch9wavefront6targetE1EEEvSK_
; %bb.0:
	.section	.rodata,"a",@progbits
	.p2align	6, 0x0
	.amdhsa_kernel _ZN7rocprim17ROCPRIM_400000_NS6detail17trampoline_kernelINS0_14default_configENS1_22reduce_config_selectorItEEZNS1_11reduce_implILb1ES3_N6thrust23THRUST_200600_302600_NS6detail15normal_iteratorINS8_10device_ptrItEEEEPiiNS8_4plusIiEEEE10hipError_tPvRmT1_T2_T3_mT4_P12ihipStream_tbEUlT_E1_NS1_11comp_targetILNS1_3genE5ELNS1_11target_archE942ELNS1_3gpuE9ELNS1_3repE0EEENS1_30default_config_static_selectorELNS0_4arch9wavefront6targetE1EEEvSK_
		.amdhsa_group_segment_fixed_size 0
		.amdhsa_private_segment_fixed_size 0
		.amdhsa_kernarg_size 40
		.amdhsa_user_sgpr_count 2
		.amdhsa_user_sgpr_dispatch_ptr 0
		.amdhsa_user_sgpr_queue_ptr 0
		.amdhsa_user_sgpr_kernarg_segment_ptr 1
		.amdhsa_user_sgpr_dispatch_id 0
		.amdhsa_user_sgpr_kernarg_preload_length 0
		.amdhsa_user_sgpr_kernarg_preload_offset 0
		.amdhsa_user_sgpr_private_segment_size 0
		.amdhsa_uses_dynamic_stack 0
		.amdhsa_enable_private_segment 0
		.amdhsa_system_sgpr_workgroup_id_x 1
		.amdhsa_system_sgpr_workgroup_id_y 0
		.amdhsa_system_sgpr_workgroup_id_z 0
		.amdhsa_system_sgpr_workgroup_info 0
		.amdhsa_system_vgpr_workitem_id 0
		.amdhsa_next_free_vgpr 1
		.amdhsa_next_free_sgpr 0
		.amdhsa_accum_offset 4
		.amdhsa_reserve_vcc 0
		.amdhsa_float_round_mode_32 0
		.amdhsa_float_round_mode_16_64 0
		.amdhsa_float_denorm_mode_32 3
		.amdhsa_float_denorm_mode_16_64 3
		.amdhsa_dx10_clamp 1
		.amdhsa_ieee_mode 1
		.amdhsa_fp16_overflow 0
		.amdhsa_tg_split 0
		.amdhsa_exception_fp_ieee_invalid_op 0
		.amdhsa_exception_fp_denorm_src 0
		.amdhsa_exception_fp_ieee_div_zero 0
		.amdhsa_exception_fp_ieee_overflow 0
		.amdhsa_exception_fp_ieee_underflow 0
		.amdhsa_exception_fp_ieee_inexact 0
		.amdhsa_exception_int_div_zero 0
	.end_amdhsa_kernel
	.section	.text._ZN7rocprim17ROCPRIM_400000_NS6detail17trampoline_kernelINS0_14default_configENS1_22reduce_config_selectorItEEZNS1_11reduce_implILb1ES3_N6thrust23THRUST_200600_302600_NS6detail15normal_iteratorINS8_10device_ptrItEEEEPiiNS8_4plusIiEEEE10hipError_tPvRmT1_T2_T3_mT4_P12ihipStream_tbEUlT_E1_NS1_11comp_targetILNS1_3genE5ELNS1_11target_archE942ELNS1_3gpuE9ELNS1_3repE0EEENS1_30default_config_static_selectorELNS0_4arch9wavefront6targetE1EEEvSK_,"axG",@progbits,_ZN7rocprim17ROCPRIM_400000_NS6detail17trampoline_kernelINS0_14default_configENS1_22reduce_config_selectorItEEZNS1_11reduce_implILb1ES3_N6thrust23THRUST_200600_302600_NS6detail15normal_iteratorINS8_10device_ptrItEEEEPiiNS8_4plusIiEEEE10hipError_tPvRmT1_T2_T3_mT4_P12ihipStream_tbEUlT_E1_NS1_11comp_targetILNS1_3genE5ELNS1_11target_archE942ELNS1_3gpuE9ELNS1_3repE0EEENS1_30default_config_static_selectorELNS0_4arch9wavefront6targetE1EEEvSK_,comdat
.Lfunc_end433:
	.size	_ZN7rocprim17ROCPRIM_400000_NS6detail17trampoline_kernelINS0_14default_configENS1_22reduce_config_selectorItEEZNS1_11reduce_implILb1ES3_N6thrust23THRUST_200600_302600_NS6detail15normal_iteratorINS8_10device_ptrItEEEEPiiNS8_4plusIiEEEE10hipError_tPvRmT1_T2_T3_mT4_P12ihipStream_tbEUlT_E1_NS1_11comp_targetILNS1_3genE5ELNS1_11target_archE942ELNS1_3gpuE9ELNS1_3repE0EEENS1_30default_config_static_selectorELNS0_4arch9wavefront6targetE1EEEvSK_, .Lfunc_end433-_ZN7rocprim17ROCPRIM_400000_NS6detail17trampoline_kernelINS0_14default_configENS1_22reduce_config_selectorItEEZNS1_11reduce_implILb1ES3_N6thrust23THRUST_200600_302600_NS6detail15normal_iteratorINS8_10device_ptrItEEEEPiiNS8_4plusIiEEEE10hipError_tPvRmT1_T2_T3_mT4_P12ihipStream_tbEUlT_E1_NS1_11comp_targetILNS1_3genE5ELNS1_11target_archE942ELNS1_3gpuE9ELNS1_3repE0EEENS1_30default_config_static_selectorELNS0_4arch9wavefront6targetE1EEEvSK_
                                        ; -- End function
	.set _ZN7rocprim17ROCPRIM_400000_NS6detail17trampoline_kernelINS0_14default_configENS1_22reduce_config_selectorItEEZNS1_11reduce_implILb1ES3_N6thrust23THRUST_200600_302600_NS6detail15normal_iteratorINS8_10device_ptrItEEEEPiiNS8_4plusIiEEEE10hipError_tPvRmT1_T2_T3_mT4_P12ihipStream_tbEUlT_E1_NS1_11comp_targetILNS1_3genE5ELNS1_11target_archE942ELNS1_3gpuE9ELNS1_3repE0EEENS1_30default_config_static_selectorELNS0_4arch9wavefront6targetE1EEEvSK_.num_vgpr, 0
	.set _ZN7rocprim17ROCPRIM_400000_NS6detail17trampoline_kernelINS0_14default_configENS1_22reduce_config_selectorItEEZNS1_11reduce_implILb1ES3_N6thrust23THRUST_200600_302600_NS6detail15normal_iteratorINS8_10device_ptrItEEEEPiiNS8_4plusIiEEEE10hipError_tPvRmT1_T2_T3_mT4_P12ihipStream_tbEUlT_E1_NS1_11comp_targetILNS1_3genE5ELNS1_11target_archE942ELNS1_3gpuE9ELNS1_3repE0EEENS1_30default_config_static_selectorELNS0_4arch9wavefront6targetE1EEEvSK_.num_agpr, 0
	.set _ZN7rocprim17ROCPRIM_400000_NS6detail17trampoline_kernelINS0_14default_configENS1_22reduce_config_selectorItEEZNS1_11reduce_implILb1ES3_N6thrust23THRUST_200600_302600_NS6detail15normal_iteratorINS8_10device_ptrItEEEEPiiNS8_4plusIiEEEE10hipError_tPvRmT1_T2_T3_mT4_P12ihipStream_tbEUlT_E1_NS1_11comp_targetILNS1_3genE5ELNS1_11target_archE942ELNS1_3gpuE9ELNS1_3repE0EEENS1_30default_config_static_selectorELNS0_4arch9wavefront6targetE1EEEvSK_.numbered_sgpr, 0
	.set _ZN7rocprim17ROCPRIM_400000_NS6detail17trampoline_kernelINS0_14default_configENS1_22reduce_config_selectorItEEZNS1_11reduce_implILb1ES3_N6thrust23THRUST_200600_302600_NS6detail15normal_iteratorINS8_10device_ptrItEEEEPiiNS8_4plusIiEEEE10hipError_tPvRmT1_T2_T3_mT4_P12ihipStream_tbEUlT_E1_NS1_11comp_targetILNS1_3genE5ELNS1_11target_archE942ELNS1_3gpuE9ELNS1_3repE0EEENS1_30default_config_static_selectorELNS0_4arch9wavefront6targetE1EEEvSK_.num_named_barrier, 0
	.set _ZN7rocprim17ROCPRIM_400000_NS6detail17trampoline_kernelINS0_14default_configENS1_22reduce_config_selectorItEEZNS1_11reduce_implILb1ES3_N6thrust23THRUST_200600_302600_NS6detail15normal_iteratorINS8_10device_ptrItEEEEPiiNS8_4plusIiEEEE10hipError_tPvRmT1_T2_T3_mT4_P12ihipStream_tbEUlT_E1_NS1_11comp_targetILNS1_3genE5ELNS1_11target_archE942ELNS1_3gpuE9ELNS1_3repE0EEENS1_30default_config_static_selectorELNS0_4arch9wavefront6targetE1EEEvSK_.private_seg_size, 0
	.set _ZN7rocprim17ROCPRIM_400000_NS6detail17trampoline_kernelINS0_14default_configENS1_22reduce_config_selectorItEEZNS1_11reduce_implILb1ES3_N6thrust23THRUST_200600_302600_NS6detail15normal_iteratorINS8_10device_ptrItEEEEPiiNS8_4plusIiEEEE10hipError_tPvRmT1_T2_T3_mT4_P12ihipStream_tbEUlT_E1_NS1_11comp_targetILNS1_3genE5ELNS1_11target_archE942ELNS1_3gpuE9ELNS1_3repE0EEENS1_30default_config_static_selectorELNS0_4arch9wavefront6targetE1EEEvSK_.uses_vcc, 0
	.set _ZN7rocprim17ROCPRIM_400000_NS6detail17trampoline_kernelINS0_14default_configENS1_22reduce_config_selectorItEEZNS1_11reduce_implILb1ES3_N6thrust23THRUST_200600_302600_NS6detail15normal_iteratorINS8_10device_ptrItEEEEPiiNS8_4plusIiEEEE10hipError_tPvRmT1_T2_T3_mT4_P12ihipStream_tbEUlT_E1_NS1_11comp_targetILNS1_3genE5ELNS1_11target_archE942ELNS1_3gpuE9ELNS1_3repE0EEENS1_30default_config_static_selectorELNS0_4arch9wavefront6targetE1EEEvSK_.uses_flat_scratch, 0
	.set _ZN7rocprim17ROCPRIM_400000_NS6detail17trampoline_kernelINS0_14default_configENS1_22reduce_config_selectorItEEZNS1_11reduce_implILb1ES3_N6thrust23THRUST_200600_302600_NS6detail15normal_iteratorINS8_10device_ptrItEEEEPiiNS8_4plusIiEEEE10hipError_tPvRmT1_T2_T3_mT4_P12ihipStream_tbEUlT_E1_NS1_11comp_targetILNS1_3genE5ELNS1_11target_archE942ELNS1_3gpuE9ELNS1_3repE0EEENS1_30default_config_static_selectorELNS0_4arch9wavefront6targetE1EEEvSK_.has_dyn_sized_stack, 0
	.set _ZN7rocprim17ROCPRIM_400000_NS6detail17trampoline_kernelINS0_14default_configENS1_22reduce_config_selectorItEEZNS1_11reduce_implILb1ES3_N6thrust23THRUST_200600_302600_NS6detail15normal_iteratorINS8_10device_ptrItEEEEPiiNS8_4plusIiEEEE10hipError_tPvRmT1_T2_T3_mT4_P12ihipStream_tbEUlT_E1_NS1_11comp_targetILNS1_3genE5ELNS1_11target_archE942ELNS1_3gpuE9ELNS1_3repE0EEENS1_30default_config_static_selectorELNS0_4arch9wavefront6targetE1EEEvSK_.has_recursion, 0
	.set _ZN7rocprim17ROCPRIM_400000_NS6detail17trampoline_kernelINS0_14default_configENS1_22reduce_config_selectorItEEZNS1_11reduce_implILb1ES3_N6thrust23THRUST_200600_302600_NS6detail15normal_iteratorINS8_10device_ptrItEEEEPiiNS8_4plusIiEEEE10hipError_tPvRmT1_T2_T3_mT4_P12ihipStream_tbEUlT_E1_NS1_11comp_targetILNS1_3genE5ELNS1_11target_archE942ELNS1_3gpuE9ELNS1_3repE0EEENS1_30default_config_static_selectorELNS0_4arch9wavefront6targetE1EEEvSK_.has_indirect_call, 0
	.section	.AMDGPU.csdata,"",@progbits
; Kernel info:
; codeLenInByte = 0
; TotalNumSgprs: 6
; NumVgprs: 0
; NumAgprs: 0
; TotalNumVgprs: 0
; ScratchSize: 0
; MemoryBound: 0
; FloatMode: 240
; IeeeMode: 1
; LDSByteSize: 0 bytes/workgroup (compile time only)
; SGPRBlocks: 0
; VGPRBlocks: 0
; NumSGPRsForWavesPerEU: 6
; NumVGPRsForWavesPerEU: 1
; AccumOffset: 4
; Occupancy: 8
; WaveLimiterHint : 0
; COMPUTE_PGM_RSRC2:SCRATCH_EN: 0
; COMPUTE_PGM_RSRC2:USER_SGPR: 2
; COMPUTE_PGM_RSRC2:TRAP_HANDLER: 0
; COMPUTE_PGM_RSRC2:TGID_X_EN: 1
; COMPUTE_PGM_RSRC2:TGID_Y_EN: 0
; COMPUTE_PGM_RSRC2:TGID_Z_EN: 0
; COMPUTE_PGM_RSRC2:TIDIG_COMP_CNT: 0
; COMPUTE_PGM_RSRC3_GFX90A:ACCUM_OFFSET: 0
; COMPUTE_PGM_RSRC3_GFX90A:TG_SPLIT: 0
	.section	.text._ZN7rocprim17ROCPRIM_400000_NS6detail17trampoline_kernelINS0_14default_configENS1_22reduce_config_selectorItEEZNS1_11reduce_implILb1ES3_N6thrust23THRUST_200600_302600_NS6detail15normal_iteratorINS8_10device_ptrItEEEEPiiNS8_4plusIiEEEE10hipError_tPvRmT1_T2_T3_mT4_P12ihipStream_tbEUlT_E1_NS1_11comp_targetILNS1_3genE4ELNS1_11target_archE910ELNS1_3gpuE8ELNS1_3repE0EEENS1_30default_config_static_selectorELNS0_4arch9wavefront6targetE1EEEvSK_,"axG",@progbits,_ZN7rocprim17ROCPRIM_400000_NS6detail17trampoline_kernelINS0_14default_configENS1_22reduce_config_selectorItEEZNS1_11reduce_implILb1ES3_N6thrust23THRUST_200600_302600_NS6detail15normal_iteratorINS8_10device_ptrItEEEEPiiNS8_4plusIiEEEE10hipError_tPvRmT1_T2_T3_mT4_P12ihipStream_tbEUlT_E1_NS1_11comp_targetILNS1_3genE4ELNS1_11target_archE910ELNS1_3gpuE8ELNS1_3repE0EEENS1_30default_config_static_selectorELNS0_4arch9wavefront6targetE1EEEvSK_,comdat
	.protected	_ZN7rocprim17ROCPRIM_400000_NS6detail17trampoline_kernelINS0_14default_configENS1_22reduce_config_selectorItEEZNS1_11reduce_implILb1ES3_N6thrust23THRUST_200600_302600_NS6detail15normal_iteratorINS8_10device_ptrItEEEEPiiNS8_4plusIiEEEE10hipError_tPvRmT1_T2_T3_mT4_P12ihipStream_tbEUlT_E1_NS1_11comp_targetILNS1_3genE4ELNS1_11target_archE910ELNS1_3gpuE8ELNS1_3repE0EEENS1_30default_config_static_selectorELNS0_4arch9wavefront6targetE1EEEvSK_ ; -- Begin function _ZN7rocprim17ROCPRIM_400000_NS6detail17trampoline_kernelINS0_14default_configENS1_22reduce_config_selectorItEEZNS1_11reduce_implILb1ES3_N6thrust23THRUST_200600_302600_NS6detail15normal_iteratorINS8_10device_ptrItEEEEPiiNS8_4plusIiEEEE10hipError_tPvRmT1_T2_T3_mT4_P12ihipStream_tbEUlT_E1_NS1_11comp_targetILNS1_3genE4ELNS1_11target_archE910ELNS1_3gpuE8ELNS1_3repE0EEENS1_30default_config_static_selectorELNS0_4arch9wavefront6targetE1EEEvSK_
	.globl	_ZN7rocprim17ROCPRIM_400000_NS6detail17trampoline_kernelINS0_14default_configENS1_22reduce_config_selectorItEEZNS1_11reduce_implILb1ES3_N6thrust23THRUST_200600_302600_NS6detail15normal_iteratorINS8_10device_ptrItEEEEPiiNS8_4plusIiEEEE10hipError_tPvRmT1_T2_T3_mT4_P12ihipStream_tbEUlT_E1_NS1_11comp_targetILNS1_3genE4ELNS1_11target_archE910ELNS1_3gpuE8ELNS1_3repE0EEENS1_30default_config_static_selectorELNS0_4arch9wavefront6targetE1EEEvSK_
	.p2align	8
	.type	_ZN7rocprim17ROCPRIM_400000_NS6detail17trampoline_kernelINS0_14default_configENS1_22reduce_config_selectorItEEZNS1_11reduce_implILb1ES3_N6thrust23THRUST_200600_302600_NS6detail15normal_iteratorINS8_10device_ptrItEEEEPiiNS8_4plusIiEEEE10hipError_tPvRmT1_T2_T3_mT4_P12ihipStream_tbEUlT_E1_NS1_11comp_targetILNS1_3genE4ELNS1_11target_archE910ELNS1_3gpuE8ELNS1_3repE0EEENS1_30default_config_static_selectorELNS0_4arch9wavefront6targetE1EEEvSK_,@function
_ZN7rocprim17ROCPRIM_400000_NS6detail17trampoline_kernelINS0_14default_configENS1_22reduce_config_selectorItEEZNS1_11reduce_implILb1ES3_N6thrust23THRUST_200600_302600_NS6detail15normal_iteratorINS8_10device_ptrItEEEEPiiNS8_4plusIiEEEE10hipError_tPvRmT1_T2_T3_mT4_P12ihipStream_tbEUlT_E1_NS1_11comp_targetILNS1_3genE4ELNS1_11target_archE910ELNS1_3gpuE8ELNS1_3repE0EEENS1_30default_config_static_selectorELNS0_4arch9wavefront6targetE1EEEvSK_: ; @_ZN7rocprim17ROCPRIM_400000_NS6detail17trampoline_kernelINS0_14default_configENS1_22reduce_config_selectorItEEZNS1_11reduce_implILb1ES3_N6thrust23THRUST_200600_302600_NS6detail15normal_iteratorINS8_10device_ptrItEEEEPiiNS8_4plusIiEEEE10hipError_tPvRmT1_T2_T3_mT4_P12ihipStream_tbEUlT_E1_NS1_11comp_targetILNS1_3genE4ELNS1_11target_archE910ELNS1_3gpuE8ELNS1_3repE0EEENS1_30default_config_static_selectorELNS0_4arch9wavefront6targetE1EEEvSK_
; %bb.0:
	.section	.rodata,"a",@progbits
	.p2align	6, 0x0
	.amdhsa_kernel _ZN7rocprim17ROCPRIM_400000_NS6detail17trampoline_kernelINS0_14default_configENS1_22reduce_config_selectorItEEZNS1_11reduce_implILb1ES3_N6thrust23THRUST_200600_302600_NS6detail15normal_iteratorINS8_10device_ptrItEEEEPiiNS8_4plusIiEEEE10hipError_tPvRmT1_T2_T3_mT4_P12ihipStream_tbEUlT_E1_NS1_11comp_targetILNS1_3genE4ELNS1_11target_archE910ELNS1_3gpuE8ELNS1_3repE0EEENS1_30default_config_static_selectorELNS0_4arch9wavefront6targetE1EEEvSK_
		.amdhsa_group_segment_fixed_size 0
		.amdhsa_private_segment_fixed_size 0
		.amdhsa_kernarg_size 40
		.amdhsa_user_sgpr_count 2
		.amdhsa_user_sgpr_dispatch_ptr 0
		.amdhsa_user_sgpr_queue_ptr 0
		.amdhsa_user_sgpr_kernarg_segment_ptr 1
		.amdhsa_user_sgpr_dispatch_id 0
		.amdhsa_user_sgpr_kernarg_preload_length 0
		.amdhsa_user_sgpr_kernarg_preload_offset 0
		.amdhsa_user_sgpr_private_segment_size 0
		.amdhsa_uses_dynamic_stack 0
		.amdhsa_enable_private_segment 0
		.amdhsa_system_sgpr_workgroup_id_x 1
		.amdhsa_system_sgpr_workgroup_id_y 0
		.amdhsa_system_sgpr_workgroup_id_z 0
		.amdhsa_system_sgpr_workgroup_info 0
		.amdhsa_system_vgpr_workitem_id 0
		.amdhsa_next_free_vgpr 1
		.amdhsa_next_free_sgpr 0
		.amdhsa_accum_offset 4
		.amdhsa_reserve_vcc 0
		.amdhsa_float_round_mode_32 0
		.amdhsa_float_round_mode_16_64 0
		.amdhsa_float_denorm_mode_32 3
		.amdhsa_float_denorm_mode_16_64 3
		.amdhsa_dx10_clamp 1
		.amdhsa_ieee_mode 1
		.amdhsa_fp16_overflow 0
		.amdhsa_tg_split 0
		.amdhsa_exception_fp_ieee_invalid_op 0
		.amdhsa_exception_fp_denorm_src 0
		.amdhsa_exception_fp_ieee_div_zero 0
		.amdhsa_exception_fp_ieee_overflow 0
		.amdhsa_exception_fp_ieee_underflow 0
		.amdhsa_exception_fp_ieee_inexact 0
		.amdhsa_exception_int_div_zero 0
	.end_amdhsa_kernel
	.section	.text._ZN7rocprim17ROCPRIM_400000_NS6detail17trampoline_kernelINS0_14default_configENS1_22reduce_config_selectorItEEZNS1_11reduce_implILb1ES3_N6thrust23THRUST_200600_302600_NS6detail15normal_iteratorINS8_10device_ptrItEEEEPiiNS8_4plusIiEEEE10hipError_tPvRmT1_T2_T3_mT4_P12ihipStream_tbEUlT_E1_NS1_11comp_targetILNS1_3genE4ELNS1_11target_archE910ELNS1_3gpuE8ELNS1_3repE0EEENS1_30default_config_static_selectorELNS0_4arch9wavefront6targetE1EEEvSK_,"axG",@progbits,_ZN7rocprim17ROCPRIM_400000_NS6detail17trampoline_kernelINS0_14default_configENS1_22reduce_config_selectorItEEZNS1_11reduce_implILb1ES3_N6thrust23THRUST_200600_302600_NS6detail15normal_iteratorINS8_10device_ptrItEEEEPiiNS8_4plusIiEEEE10hipError_tPvRmT1_T2_T3_mT4_P12ihipStream_tbEUlT_E1_NS1_11comp_targetILNS1_3genE4ELNS1_11target_archE910ELNS1_3gpuE8ELNS1_3repE0EEENS1_30default_config_static_selectorELNS0_4arch9wavefront6targetE1EEEvSK_,comdat
.Lfunc_end434:
	.size	_ZN7rocprim17ROCPRIM_400000_NS6detail17trampoline_kernelINS0_14default_configENS1_22reduce_config_selectorItEEZNS1_11reduce_implILb1ES3_N6thrust23THRUST_200600_302600_NS6detail15normal_iteratorINS8_10device_ptrItEEEEPiiNS8_4plusIiEEEE10hipError_tPvRmT1_T2_T3_mT4_P12ihipStream_tbEUlT_E1_NS1_11comp_targetILNS1_3genE4ELNS1_11target_archE910ELNS1_3gpuE8ELNS1_3repE0EEENS1_30default_config_static_selectorELNS0_4arch9wavefront6targetE1EEEvSK_, .Lfunc_end434-_ZN7rocprim17ROCPRIM_400000_NS6detail17trampoline_kernelINS0_14default_configENS1_22reduce_config_selectorItEEZNS1_11reduce_implILb1ES3_N6thrust23THRUST_200600_302600_NS6detail15normal_iteratorINS8_10device_ptrItEEEEPiiNS8_4plusIiEEEE10hipError_tPvRmT1_T2_T3_mT4_P12ihipStream_tbEUlT_E1_NS1_11comp_targetILNS1_3genE4ELNS1_11target_archE910ELNS1_3gpuE8ELNS1_3repE0EEENS1_30default_config_static_selectorELNS0_4arch9wavefront6targetE1EEEvSK_
                                        ; -- End function
	.set _ZN7rocprim17ROCPRIM_400000_NS6detail17trampoline_kernelINS0_14default_configENS1_22reduce_config_selectorItEEZNS1_11reduce_implILb1ES3_N6thrust23THRUST_200600_302600_NS6detail15normal_iteratorINS8_10device_ptrItEEEEPiiNS8_4plusIiEEEE10hipError_tPvRmT1_T2_T3_mT4_P12ihipStream_tbEUlT_E1_NS1_11comp_targetILNS1_3genE4ELNS1_11target_archE910ELNS1_3gpuE8ELNS1_3repE0EEENS1_30default_config_static_selectorELNS0_4arch9wavefront6targetE1EEEvSK_.num_vgpr, 0
	.set _ZN7rocprim17ROCPRIM_400000_NS6detail17trampoline_kernelINS0_14default_configENS1_22reduce_config_selectorItEEZNS1_11reduce_implILb1ES3_N6thrust23THRUST_200600_302600_NS6detail15normal_iteratorINS8_10device_ptrItEEEEPiiNS8_4plusIiEEEE10hipError_tPvRmT1_T2_T3_mT4_P12ihipStream_tbEUlT_E1_NS1_11comp_targetILNS1_3genE4ELNS1_11target_archE910ELNS1_3gpuE8ELNS1_3repE0EEENS1_30default_config_static_selectorELNS0_4arch9wavefront6targetE1EEEvSK_.num_agpr, 0
	.set _ZN7rocprim17ROCPRIM_400000_NS6detail17trampoline_kernelINS0_14default_configENS1_22reduce_config_selectorItEEZNS1_11reduce_implILb1ES3_N6thrust23THRUST_200600_302600_NS6detail15normal_iteratorINS8_10device_ptrItEEEEPiiNS8_4plusIiEEEE10hipError_tPvRmT1_T2_T3_mT4_P12ihipStream_tbEUlT_E1_NS1_11comp_targetILNS1_3genE4ELNS1_11target_archE910ELNS1_3gpuE8ELNS1_3repE0EEENS1_30default_config_static_selectorELNS0_4arch9wavefront6targetE1EEEvSK_.numbered_sgpr, 0
	.set _ZN7rocprim17ROCPRIM_400000_NS6detail17trampoline_kernelINS0_14default_configENS1_22reduce_config_selectorItEEZNS1_11reduce_implILb1ES3_N6thrust23THRUST_200600_302600_NS6detail15normal_iteratorINS8_10device_ptrItEEEEPiiNS8_4plusIiEEEE10hipError_tPvRmT1_T2_T3_mT4_P12ihipStream_tbEUlT_E1_NS1_11comp_targetILNS1_3genE4ELNS1_11target_archE910ELNS1_3gpuE8ELNS1_3repE0EEENS1_30default_config_static_selectorELNS0_4arch9wavefront6targetE1EEEvSK_.num_named_barrier, 0
	.set _ZN7rocprim17ROCPRIM_400000_NS6detail17trampoline_kernelINS0_14default_configENS1_22reduce_config_selectorItEEZNS1_11reduce_implILb1ES3_N6thrust23THRUST_200600_302600_NS6detail15normal_iteratorINS8_10device_ptrItEEEEPiiNS8_4plusIiEEEE10hipError_tPvRmT1_T2_T3_mT4_P12ihipStream_tbEUlT_E1_NS1_11comp_targetILNS1_3genE4ELNS1_11target_archE910ELNS1_3gpuE8ELNS1_3repE0EEENS1_30default_config_static_selectorELNS0_4arch9wavefront6targetE1EEEvSK_.private_seg_size, 0
	.set _ZN7rocprim17ROCPRIM_400000_NS6detail17trampoline_kernelINS0_14default_configENS1_22reduce_config_selectorItEEZNS1_11reduce_implILb1ES3_N6thrust23THRUST_200600_302600_NS6detail15normal_iteratorINS8_10device_ptrItEEEEPiiNS8_4plusIiEEEE10hipError_tPvRmT1_T2_T3_mT4_P12ihipStream_tbEUlT_E1_NS1_11comp_targetILNS1_3genE4ELNS1_11target_archE910ELNS1_3gpuE8ELNS1_3repE0EEENS1_30default_config_static_selectorELNS0_4arch9wavefront6targetE1EEEvSK_.uses_vcc, 0
	.set _ZN7rocprim17ROCPRIM_400000_NS6detail17trampoline_kernelINS0_14default_configENS1_22reduce_config_selectorItEEZNS1_11reduce_implILb1ES3_N6thrust23THRUST_200600_302600_NS6detail15normal_iteratorINS8_10device_ptrItEEEEPiiNS8_4plusIiEEEE10hipError_tPvRmT1_T2_T3_mT4_P12ihipStream_tbEUlT_E1_NS1_11comp_targetILNS1_3genE4ELNS1_11target_archE910ELNS1_3gpuE8ELNS1_3repE0EEENS1_30default_config_static_selectorELNS0_4arch9wavefront6targetE1EEEvSK_.uses_flat_scratch, 0
	.set _ZN7rocprim17ROCPRIM_400000_NS6detail17trampoline_kernelINS0_14default_configENS1_22reduce_config_selectorItEEZNS1_11reduce_implILb1ES3_N6thrust23THRUST_200600_302600_NS6detail15normal_iteratorINS8_10device_ptrItEEEEPiiNS8_4plusIiEEEE10hipError_tPvRmT1_T2_T3_mT4_P12ihipStream_tbEUlT_E1_NS1_11comp_targetILNS1_3genE4ELNS1_11target_archE910ELNS1_3gpuE8ELNS1_3repE0EEENS1_30default_config_static_selectorELNS0_4arch9wavefront6targetE1EEEvSK_.has_dyn_sized_stack, 0
	.set _ZN7rocprim17ROCPRIM_400000_NS6detail17trampoline_kernelINS0_14default_configENS1_22reduce_config_selectorItEEZNS1_11reduce_implILb1ES3_N6thrust23THRUST_200600_302600_NS6detail15normal_iteratorINS8_10device_ptrItEEEEPiiNS8_4plusIiEEEE10hipError_tPvRmT1_T2_T3_mT4_P12ihipStream_tbEUlT_E1_NS1_11comp_targetILNS1_3genE4ELNS1_11target_archE910ELNS1_3gpuE8ELNS1_3repE0EEENS1_30default_config_static_selectorELNS0_4arch9wavefront6targetE1EEEvSK_.has_recursion, 0
	.set _ZN7rocprim17ROCPRIM_400000_NS6detail17trampoline_kernelINS0_14default_configENS1_22reduce_config_selectorItEEZNS1_11reduce_implILb1ES3_N6thrust23THRUST_200600_302600_NS6detail15normal_iteratorINS8_10device_ptrItEEEEPiiNS8_4plusIiEEEE10hipError_tPvRmT1_T2_T3_mT4_P12ihipStream_tbEUlT_E1_NS1_11comp_targetILNS1_3genE4ELNS1_11target_archE910ELNS1_3gpuE8ELNS1_3repE0EEENS1_30default_config_static_selectorELNS0_4arch9wavefront6targetE1EEEvSK_.has_indirect_call, 0
	.section	.AMDGPU.csdata,"",@progbits
; Kernel info:
; codeLenInByte = 0
; TotalNumSgprs: 6
; NumVgprs: 0
; NumAgprs: 0
; TotalNumVgprs: 0
; ScratchSize: 0
; MemoryBound: 0
; FloatMode: 240
; IeeeMode: 1
; LDSByteSize: 0 bytes/workgroup (compile time only)
; SGPRBlocks: 0
; VGPRBlocks: 0
; NumSGPRsForWavesPerEU: 6
; NumVGPRsForWavesPerEU: 1
; AccumOffset: 4
; Occupancy: 8
; WaveLimiterHint : 0
; COMPUTE_PGM_RSRC2:SCRATCH_EN: 0
; COMPUTE_PGM_RSRC2:USER_SGPR: 2
; COMPUTE_PGM_RSRC2:TRAP_HANDLER: 0
; COMPUTE_PGM_RSRC2:TGID_X_EN: 1
; COMPUTE_PGM_RSRC2:TGID_Y_EN: 0
; COMPUTE_PGM_RSRC2:TGID_Z_EN: 0
; COMPUTE_PGM_RSRC2:TIDIG_COMP_CNT: 0
; COMPUTE_PGM_RSRC3_GFX90A:ACCUM_OFFSET: 0
; COMPUTE_PGM_RSRC3_GFX90A:TG_SPLIT: 0
	.section	.text._ZN7rocprim17ROCPRIM_400000_NS6detail17trampoline_kernelINS0_14default_configENS1_22reduce_config_selectorItEEZNS1_11reduce_implILb1ES3_N6thrust23THRUST_200600_302600_NS6detail15normal_iteratorINS8_10device_ptrItEEEEPiiNS8_4plusIiEEEE10hipError_tPvRmT1_T2_T3_mT4_P12ihipStream_tbEUlT_E1_NS1_11comp_targetILNS1_3genE3ELNS1_11target_archE908ELNS1_3gpuE7ELNS1_3repE0EEENS1_30default_config_static_selectorELNS0_4arch9wavefront6targetE1EEEvSK_,"axG",@progbits,_ZN7rocprim17ROCPRIM_400000_NS6detail17trampoline_kernelINS0_14default_configENS1_22reduce_config_selectorItEEZNS1_11reduce_implILb1ES3_N6thrust23THRUST_200600_302600_NS6detail15normal_iteratorINS8_10device_ptrItEEEEPiiNS8_4plusIiEEEE10hipError_tPvRmT1_T2_T3_mT4_P12ihipStream_tbEUlT_E1_NS1_11comp_targetILNS1_3genE3ELNS1_11target_archE908ELNS1_3gpuE7ELNS1_3repE0EEENS1_30default_config_static_selectorELNS0_4arch9wavefront6targetE1EEEvSK_,comdat
	.protected	_ZN7rocprim17ROCPRIM_400000_NS6detail17trampoline_kernelINS0_14default_configENS1_22reduce_config_selectorItEEZNS1_11reduce_implILb1ES3_N6thrust23THRUST_200600_302600_NS6detail15normal_iteratorINS8_10device_ptrItEEEEPiiNS8_4plusIiEEEE10hipError_tPvRmT1_T2_T3_mT4_P12ihipStream_tbEUlT_E1_NS1_11comp_targetILNS1_3genE3ELNS1_11target_archE908ELNS1_3gpuE7ELNS1_3repE0EEENS1_30default_config_static_selectorELNS0_4arch9wavefront6targetE1EEEvSK_ ; -- Begin function _ZN7rocprim17ROCPRIM_400000_NS6detail17trampoline_kernelINS0_14default_configENS1_22reduce_config_selectorItEEZNS1_11reduce_implILb1ES3_N6thrust23THRUST_200600_302600_NS6detail15normal_iteratorINS8_10device_ptrItEEEEPiiNS8_4plusIiEEEE10hipError_tPvRmT1_T2_T3_mT4_P12ihipStream_tbEUlT_E1_NS1_11comp_targetILNS1_3genE3ELNS1_11target_archE908ELNS1_3gpuE7ELNS1_3repE0EEENS1_30default_config_static_selectorELNS0_4arch9wavefront6targetE1EEEvSK_
	.globl	_ZN7rocprim17ROCPRIM_400000_NS6detail17trampoline_kernelINS0_14default_configENS1_22reduce_config_selectorItEEZNS1_11reduce_implILb1ES3_N6thrust23THRUST_200600_302600_NS6detail15normal_iteratorINS8_10device_ptrItEEEEPiiNS8_4plusIiEEEE10hipError_tPvRmT1_T2_T3_mT4_P12ihipStream_tbEUlT_E1_NS1_11comp_targetILNS1_3genE3ELNS1_11target_archE908ELNS1_3gpuE7ELNS1_3repE0EEENS1_30default_config_static_selectorELNS0_4arch9wavefront6targetE1EEEvSK_
	.p2align	8
	.type	_ZN7rocprim17ROCPRIM_400000_NS6detail17trampoline_kernelINS0_14default_configENS1_22reduce_config_selectorItEEZNS1_11reduce_implILb1ES3_N6thrust23THRUST_200600_302600_NS6detail15normal_iteratorINS8_10device_ptrItEEEEPiiNS8_4plusIiEEEE10hipError_tPvRmT1_T2_T3_mT4_P12ihipStream_tbEUlT_E1_NS1_11comp_targetILNS1_3genE3ELNS1_11target_archE908ELNS1_3gpuE7ELNS1_3repE0EEENS1_30default_config_static_selectorELNS0_4arch9wavefront6targetE1EEEvSK_,@function
_ZN7rocprim17ROCPRIM_400000_NS6detail17trampoline_kernelINS0_14default_configENS1_22reduce_config_selectorItEEZNS1_11reduce_implILb1ES3_N6thrust23THRUST_200600_302600_NS6detail15normal_iteratorINS8_10device_ptrItEEEEPiiNS8_4plusIiEEEE10hipError_tPvRmT1_T2_T3_mT4_P12ihipStream_tbEUlT_E1_NS1_11comp_targetILNS1_3genE3ELNS1_11target_archE908ELNS1_3gpuE7ELNS1_3repE0EEENS1_30default_config_static_selectorELNS0_4arch9wavefront6targetE1EEEvSK_: ; @_ZN7rocprim17ROCPRIM_400000_NS6detail17trampoline_kernelINS0_14default_configENS1_22reduce_config_selectorItEEZNS1_11reduce_implILb1ES3_N6thrust23THRUST_200600_302600_NS6detail15normal_iteratorINS8_10device_ptrItEEEEPiiNS8_4plusIiEEEE10hipError_tPvRmT1_T2_T3_mT4_P12ihipStream_tbEUlT_E1_NS1_11comp_targetILNS1_3genE3ELNS1_11target_archE908ELNS1_3gpuE7ELNS1_3repE0EEENS1_30default_config_static_selectorELNS0_4arch9wavefront6targetE1EEEvSK_
; %bb.0:
	.section	.rodata,"a",@progbits
	.p2align	6, 0x0
	.amdhsa_kernel _ZN7rocprim17ROCPRIM_400000_NS6detail17trampoline_kernelINS0_14default_configENS1_22reduce_config_selectorItEEZNS1_11reduce_implILb1ES3_N6thrust23THRUST_200600_302600_NS6detail15normal_iteratorINS8_10device_ptrItEEEEPiiNS8_4plusIiEEEE10hipError_tPvRmT1_T2_T3_mT4_P12ihipStream_tbEUlT_E1_NS1_11comp_targetILNS1_3genE3ELNS1_11target_archE908ELNS1_3gpuE7ELNS1_3repE0EEENS1_30default_config_static_selectorELNS0_4arch9wavefront6targetE1EEEvSK_
		.amdhsa_group_segment_fixed_size 0
		.amdhsa_private_segment_fixed_size 0
		.amdhsa_kernarg_size 40
		.amdhsa_user_sgpr_count 2
		.amdhsa_user_sgpr_dispatch_ptr 0
		.amdhsa_user_sgpr_queue_ptr 0
		.amdhsa_user_sgpr_kernarg_segment_ptr 1
		.amdhsa_user_sgpr_dispatch_id 0
		.amdhsa_user_sgpr_kernarg_preload_length 0
		.amdhsa_user_sgpr_kernarg_preload_offset 0
		.amdhsa_user_sgpr_private_segment_size 0
		.amdhsa_uses_dynamic_stack 0
		.amdhsa_enable_private_segment 0
		.amdhsa_system_sgpr_workgroup_id_x 1
		.amdhsa_system_sgpr_workgroup_id_y 0
		.amdhsa_system_sgpr_workgroup_id_z 0
		.amdhsa_system_sgpr_workgroup_info 0
		.amdhsa_system_vgpr_workitem_id 0
		.amdhsa_next_free_vgpr 1
		.amdhsa_next_free_sgpr 0
		.amdhsa_accum_offset 4
		.amdhsa_reserve_vcc 0
		.amdhsa_float_round_mode_32 0
		.amdhsa_float_round_mode_16_64 0
		.amdhsa_float_denorm_mode_32 3
		.amdhsa_float_denorm_mode_16_64 3
		.amdhsa_dx10_clamp 1
		.amdhsa_ieee_mode 1
		.amdhsa_fp16_overflow 0
		.amdhsa_tg_split 0
		.amdhsa_exception_fp_ieee_invalid_op 0
		.amdhsa_exception_fp_denorm_src 0
		.amdhsa_exception_fp_ieee_div_zero 0
		.amdhsa_exception_fp_ieee_overflow 0
		.amdhsa_exception_fp_ieee_underflow 0
		.amdhsa_exception_fp_ieee_inexact 0
		.amdhsa_exception_int_div_zero 0
	.end_amdhsa_kernel
	.section	.text._ZN7rocprim17ROCPRIM_400000_NS6detail17trampoline_kernelINS0_14default_configENS1_22reduce_config_selectorItEEZNS1_11reduce_implILb1ES3_N6thrust23THRUST_200600_302600_NS6detail15normal_iteratorINS8_10device_ptrItEEEEPiiNS8_4plusIiEEEE10hipError_tPvRmT1_T2_T3_mT4_P12ihipStream_tbEUlT_E1_NS1_11comp_targetILNS1_3genE3ELNS1_11target_archE908ELNS1_3gpuE7ELNS1_3repE0EEENS1_30default_config_static_selectorELNS0_4arch9wavefront6targetE1EEEvSK_,"axG",@progbits,_ZN7rocprim17ROCPRIM_400000_NS6detail17trampoline_kernelINS0_14default_configENS1_22reduce_config_selectorItEEZNS1_11reduce_implILb1ES3_N6thrust23THRUST_200600_302600_NS6detail15normal_iteratorINS8_10device_ptrItEEEEPiiNS8_4plusIiEEEE10hipError_tPvRmT1_T2_T3_mT4_P12ihipStream_tbEUlT_E1_NS1_11comp_targetILNS1_3genE3ELNS1_11target_archE908ELNS1_3gpuE7ELNS1_3repE0EEENS1_30default_config_static_selectorELNS0_4arch9wavefront6targetE1EEEvSK_,comdat
.Lfunc_end435:
	.size	_ZN7rocprim17ROCPRIM_400000_NS6detail17trampoline_kernelINS0_14default_configENS1_22reduce_config_selectorItEEZNS1_11reduce_implILb1ES3_N6thrust23THRUST_200600_302600_NS6detail15normal_iteratorINS8_10device_ptrItEEEEPiiNS8_4plusIiEEEE10hipError_tPvRmT1_T2_T3_mT4_P12ihipStream_tbEUlT_E1_NS1_11comp_targetILNS1_3genE3ELNS1_11target_archE908ELNS1_3gpuE7ELNS1_3repE0EEENS1_30default_config_static_selectorELNS0_4arch9wavefront6targetE1EEEvSK_, .Lfunc_end435-_ZN7rocprim17ROCPRIM_400000_NS6detail17trampoline_kernelINS0_14default_configENS1_22reduce_config_selectorItEEZNS1_11reduce_implILb1ES3_N6thrust23THRUST_200600_302600_NS6detail15normal_iteratorINS8_10device_ptrItEEEEPiiNS8_4plusIiEEEE10hipError_tPvRmT1_T2_T3_mT4_P12ihipStream_tbEUlT_E1_NS1_11comp_targetILNS1_3genE3ELNS1_11target_archE908ELNS1_3gpuE7ELNS1_3repE0EEENS1_30default_config_static_selectorELNS0_4arch9wavefront6targetE1EEEvSK_
                                        ; -- End function
	.set _ZN7rocprim17ROCPRIM_400000_NS6detail17trampoline_kernelINS0_14default_configENS1_22reduce_config_selectorItEEZNS1_11reduce_implILb1ES3_N6thrust23THRUST_200600_302600_NS6detail15normal_iteratorINS8_10device_ptrItEEEEPiiNS8_4plusIiEEEE10hipError_tPvRmT1_T2_T3_mT4_P12ihipStream_tbEUlT_E1_NS1_11comp_targetILNS1_3genE3ELNS1_11target_archE908ELNS1_3gpuE7ELNS1_3repE0EEENS1_30default_config_static_selectorELNS0_4arch9wavefront6targetE1EEEvSK_.num_vgpr, 0
	.set _ZN7rocprim17ROCPRIM_400000_NS6detail17trampoline_kernelINS0_14default_configENS1_22reduce_config_selectorItEEZNS1_11reduce_implILb1ES3_N6thrust23THRUST_200600_302600_NS6detail15normal_iteratorINS8_10device_ptrItEEEEPiiNS8_4plusIiEEEE10hipError_tPvRmT1_T2_T3_mT4_P12ihipStream_tbEUlT_E1_NS1_11comp_targetILNS1_3genE3ELNS1_11target_archE908ELNS1_3gpuE7ELNS1_3repE0EEENS1_30default_config_static_selectorELNS0_4arch9wavefront6targetE1EEEvSK_.num_agpr, 0
	.set _ZN7rocprim17ROCPRIM_400000_NS6detail17trampoline_kernelINS0_14default_configENS1_22reduce_config_selectorItEEZNS1_11reduce_implILb1ES3_N6thrust23THRUST_200600_302600_NS6detail15normal_iteratorINS8_10device_ptrItEEEEPiiNS8_4plusIiEEEE10hipError_tPvRmT1_T2_T3_mT4_P12ihipStream_tbEUlT_E1_NS1_11comp_targetILNS1_3genE3ELNS1_11target_archE908ELNS1_3gpuE7ELNS1_3repE0EEENS1_30default_config_static_selectorELNS0_4arch9wavefront6targetE1EEEvSK_.numbered_sgpr, 0
	.set _ZN7rocprim17ROCPRIM_400000_NS6detail17trampoline_kernelINS0_14default_configENS1_22reduce_config_selectorItEEZNS1_11reduce_implILb1ES3_N6thrust23THRUST_200600_302600_NS6detail15normal_iteratorINS8_10device_ptrItEEEEPiiNS8_4plusIiEEEE10hipError_tPvRmT1_T2_T3_mT4_P12ihipStream_tbEUlT_E1_NS1_11comp_targetILNS1_3genE3ELNS1_11target_archE908ELNS1_3gpuE7ELNS1_3repE0EEENS1_30default_config_static_selectorELNS0_4arch9wavefront6targetE1EEEvSK_.num_named_barrier, 0
	.set _ZN7rocprim17ROCPRIM_400000_NS6detail17trampoline_kernelINS0_14default_configENS1_22reduce_config_selectorItEEZNS1_11reduce_implILb1ES3_N6thrust23THRUST_200600_302600_NS6detail15normal_iteratorINS8_10device_ptrItEEEEPiiNS8_4plusIiEEEE10hipError_tPvRmT1_T2_T3_mT4_P12ihipStream_tbEUlT_E1_NS1_11comp_targetILNS1_3genE3ELNS1_11target_archE908ELNS1_3gpuE7ELNS1_3repE0EEENS1_30default_config_static_selectorELNS0_4arch9wavefront6targetE1EEEvSK_.private_seg_size, 0
	.set _ZN7rocprim17ROCPRIM_400000_NS6detail17trampoline_kernelINS0_14default_configENS1_22reduce_config_selectorItEEZNS1_11reduce_implILb1ES3_N6thrust23THRUST_200600_302600_NS6detail15normal_iteratorINS8_10device_ptrItEEEEPiiNS8_4plusIiEEEE10hipError_tPvRmT1_T2_T3_mT4_P12ihipStream_tbEUlT_E1_NS1_11comp_targetILNS1_3genE3ELNS1_11target_archE908ELNS1_3gpuE7ELNS1_3repE0EEENS1_30default_config_static_selectorELNS0_4arch9wavefront6targetE1EEEvSK_.uses_vcc, 0
	.set _ZN7rocprim17ROCPRIM_400000_NS6detail17trampoline_kernelINS0_14default_configENS1_22reduce_config_selectorItEEZNS1_11reduce_implILb1ES3_N6thrust23THRUST_200600_302600_NS6detail15normal_iteratorINS8_10device_ptrItEEEEPiiNS8_4plusIiEEEE10hipError_tPvRmT1_T2_T3_mT4_P12ihipStream_tbEUlT_E1_NS1_11comp_targetILNS1_3genE3ELNS1_11target_archE908ELNS1_3gpuE7ELNS1_3repE0EEENS1_30default_config_static_selectorELNS0_4arch9wavefront6targetE1EEEvSK_.uses_flat_scratch, 0
	.set _ZN7rocprim17ROCPRIM_400000_NS6detail17trampoline_kernelINS0_14default_configENS1_22reduce_config_selectorItEEZNS1_11reduce_implILb1ES3_N6thrust23THRUST_200600_302600_NS6detail15normal_iteratorINS8_10device_ptrItEEEEPiiNS8_4plusIiEEEE10hipError_tPvRmT1_T2_T3_mT4_P12ihipStream_tbEUlT_E1_NS1_11comp_targetILNS1_3genE3ELNS1_11target_archE908ELNS1_3gpuE7ELNS1_3repE0EEENS1_30default_config_static_selectorELNS0_4arch9wavefront6targetE1EEEvSK_.has_dyn_sized_stack, 0
	.set _ZN7rocprim17ROCPRIM_400000_NS6detail17trampoline_kernelINS0_14default_configENS1_22reduce_config_selectorItEEZNS1_11reduce_implILb1ES3_N6thrust23THRUST_200600_302600_NS6detail15normal_iteratorINS8_10device_ptrItEEEEPiiNS8_4plusIiEEEE10hipError_tPvRmT1_T2_T3_mT4_P12ihipStream_tbEUlT_E1_NS1_11comp_targetILNS1_3genE3ELNS1_11target_archE908ELNS1_3gpuE7ELNS1_3repE0EEENS1_30default_config_static_selectorELNS0_4arch9wavefront6targetE1EEEvSK_.has_recursion, 0
	.set _ZN7rocprim17ROCPRIM_400000_NS6detail17trampoline_kernelINS0_14default_configENS1_22reduce_config_selectorItEEZNS1_11reduce_implILb1ES3_N6thrust23THRUST_200600_302600_NS6detail15normal_iteratorINS8_10device_ptrItEEEEPiiNS8_4plusIiEEEE10hipError_tPvRmT1_T2_T3_mT4_P12ihipStream_tbEUlT_E1_NS1_11comp_targetILNS1_3genE3ELNS1_11target_archE908ELNS1_3gpuE7ELNS1_3repE0EEENS1_30default_config_static_selectorELNS0_4arch9wavefront6targetE1EEEvSK_.has_indirect_call, 0
	.section	.AMDGPU.csdata,"",@progbits
; Kernel info:
; codeLenInByte = 0
; TotalNumSgprs: 6
; NumVgprs: 0
; NumAgprs: 0
; TotalNumVgprs: 0
; ScratchSize: 0
; MemoryBound: 0
; FloatMode: 240
; IeeeMode: 1
; LDSByteSize: 0 bytes/workgroup (compile time only)
; SGPRBlocks: 0
; VGPRBlocks: 0
; NumSGPRsForWavesPerEU: 6
; NumVGPRsForWavesPerEU: 1
; AccumOffset: 4
; Occupancy: 8
; WaveLimiterHint : 0
; COMPUTE_PGM_RSRC2:SCRATCH_EN: 0
; COMPUTE_PGM_RSRC2:USER_SGPR: 2
; COMPUTE_PGM_RSRC2:TRAP_HANDLER: 0
; COMPUTE_PGM_RSRC2:TGID_X_EN: 1
; COMPUTE_PGM_RSRC2:TGID_Y_EN: 0
; COMPUTE_PGM_RSRC2:TGID_Z_EN: 0
; COMPUTE_PGM_RSRC2:TIDIG_COMP_CNT: 0
; COMPUTE_PGM_RSRC3_GFX90A:ACCUM_OFFSET: 0
; COMPUTE_PGM_RSRC3_GFX90A:TG_SPLIT: 0
	.section	.text._ZN7rocprim17ROCPRIM_400000_NS6detail17trampoline_kernelINS0_14default_configENS1_22reduce_config_selectorItEEZNS1_11reduce_implILb1ES3_N6thrust23THRUST_200600_302600_NS6detail15normal_iteratorINS8_10device_ptrItEEEEPiiNS8_4plusIiEEEE10hipError_tPvRmT1_T2_T3_mT4_P12ihipStream_tbEUlT_E1_NS1_11comp_targetILNS1_3genE2ELNS1_11target_archE906ELNS1_3gpuE6ELNS1_3repE0EEENS1_30default_config_static_selectorELNS0_4arch9wavefront6targetE1EEEvSK_,"axG",@progbits,_ZN7rocprim17ROCPRIM_400000_NS6detail17trampoline_kernelINS0_14default_configENS1_22reduce_config_selectorItEEZNS1_11reduce_implILb1ES3_N6thrust23THRUST_200600_302600_NS6detail15normal_iteratorINS8_10device_ptrItEEEEPiiNS8_4plusIiEEEE10hipError_tPvRmT1_T2_T3_mT4_P12ihipStream_tbEUlT_E1_NS1_11comp_targetILNS1_3genE2ELNS1_11target_archE906ELNS1_3gpuE6ELNS1_3repE0EEENS1_30default_config_static_selectorELNS0_4arch9wavefront6targetE1EEEvSK_,comdat
	.protected	_ZN7rocprim17ROCPRIM_400000_NS6detail17trampoline_kernelINS0_14default_configENS1_22reduce_config_selectorItEEZNS1_11reduce_implILb1ES3_N6thrust23THRUST_200600_302600_NS6detail15normal_iteratorINS8_10device_ptrItEEEEPiiNS8_4plusIiEEEE10hipError_tPvRmT1_T2_T3_mT4_P12ihipStream_tbEUlT_E1_NS1_11comp_targetILNS1_3genE2ELNS1_11target_archE906ELNS1_3gpuE6ELNS1_3repE0EEENS1_30default_config_static_selectorELNS0_4arch9wavefront6targetE1EEEvSK_ ; -- Begin function _ZN7rocprim17ROCPRIM_400000_NS6detail17trampoline_kernelINS0_14default_configENS1_22reduce_config_selectorItEEZNS1_11reduce_implILb1ES3_N6thrust23THRUST_200600_302600_NS6detail15normal_iteratorINS8_10device_ptrItEEEEPiiNS8_4plusIiEEEE10hipError_tPvRmT1_T2_T3_mT4_P12ihipStream_tbEUlT_E1_NS1_11comp_targetILNS1_3genE2ELNS1_11target_archE906ELNS1_3gpuE6ELNS1_3repE0EEENS1_30default_config_static_selectorELNS0_4arch9wavefront6targetE1EEEvSK_
	.globl	_ZN7rocprim17ROCPRIM_400000_NS6detail17trampoline_kernelINS0_14default_configENS1_22reduce_config_selectorItEEZNS1_11reduce_implILb1ES3_N6thrust23THRUST_200600_302600_NS6detail15normal_iteratorINS8_10device_ptrItEEEEPiiNS8_4plusIiEEEE10hipError_tPvRmT1_T2_T3_mT4_P12ihipStream_tbEUlT_E1_NS1_11comp_targetILNS1_3genE2ELNS1_11target_archE906ELNS1_3gpuE6ELNS1_3repE0EEENS1_30default_config_static_selectorELNS0_4arch9wavefront6targetE1EEEvSK_
	.p2align	8
	.type	_ZN7rocprim17ROCPRIM_400000_NS6detail17trampoline_kernelINS0_14default_configENS1_22reduce_config_selectorItEEZNS1_11reduce_implILb1ES3_N6thrust23THRUST_200600_302600_NS6detail15normal_iteratorINS8_10device_ptrItEEEEPiiNS8_4plusIiEEEE10hipError_tPvRmT1_T2_T3_mT4_P12ihipStream_tbEUlT_E1_NS1_11comp_targetILNS1_3genE2ELNS1_11target_archE906ELNS1_3gpuE6ELNS1_3repE0EEENS1_30default_config_static_selectorELNS0_4arch9wavefront6targetE1EEEvSK_,@function
_ZN7rocprim17ROCPRIM_400000_NS6detail17trampoline_kernelINS0_14default_configENS1_22reduce_config_selectorItEEZNS1_11reduce_implILb1ES3_N6thrust23THRUST_200600_302600_NS6detail15normal_iteratorINS8_10device_ptrItEEEEPiiNS8_4plusIiEEEE10hipError_tPvRmT1_T2_T3_mT4_P12ihipStream_tbEUlT_E1_NS1_11comp_targetILNS1_3genE2ELNS1_11target_archE906ELNS1_3gpuE6ELNS1_3repE0EEENS1_30default_config_static_selectorELNS0_4arch9wavefront6targetE1EEEvSK_: ; @_ZN7rocprim17ROCPRIM_400000_NS6detail17trampoline_kernelINS0_14default_configENS1_22reduce_config_selectorItEEZNS1_11reduce_implILb1ES3_N6thrust23THRUST_200600_302600_NS6detail15normal_iteratorINS8_10device_ptrItEEEEPiiNS8_4plusIiEEEE10hipError_tPvRmT1_T2_T3_mT4_P12ihipStream_tbEUlT_E1_NS1_11comp_targetILNS1_3genE2ELNS1_11target_archE906ELNS1_3gpuE6ELNS1_3repE0EEENS1_30default_config_static_selectorELNS0_4arch9wavefront6targetE1EEEvSK_
; %bb.0:
	.section	.rodata,"a",@progbits
	.p2align	6, 0x0
	.amdhsa_kernel _ZN7rocprim17ROCPRIM_400000_NS6detail17trampoline_kernelINS0_14default_configENS1_22reduce_config_selectorItEEZNS1_11reduce_implILb1ES3_N6thrust23THRUST_200600_302600_NS6detail15normal_iteratorINS8_10device_ptrItEEEEPiiNS8_4plusIiEEEE10hipError_tPvRmT1_T2_T3_mT4_P12ihipStream_tbEUlT_E1_NS1_11comp_targetILNS1_3genE2ELNS1_11target_archE906ELNS1_3gpuE6ELNS1_3repE0EEENS1_30default_config_static_selectorELNS0_4arch9wavefront6targetE1EEEvSK_
		.amdhsa_group_segment_fixed_size 0
		.amdhsa_private_segment_fixed_size 0
		.amdhsa_kernarg_size 40
		.amdhsa_user_sgpr_count 2
		.amdhsa_user_sgpr_dispatch_ptr 0
		.amdhsa_user_sgpr_queue_ptr 0
		.amdhsa_user_sgpr_kernarg_segment_ptr 1
		.amdhsa_user_sgpr_dispatch_id 0
		.amdhsa_user_sgpr_kernarg_preload_length 0
		.amdhsa_user_sgpr_kernarg_preload_offset 0
		.amdhsa_user_sgpr_private_segment_size 0
		.amdhsa_uses_dynamic_stack 0
		.amdhsa_enable_private_segment 0
		.amdhsa_system_sgpr_workgroup_id_x 1
		.amdhsa_system_sgpr_workgroup_id_y 0
		.amdhsa_system_sgpr_workgroup_id_z 0
		.amdhsa_system_sgpr_workgroup_info 0
		.amdhsa_system_vgpr_workitem_id 0
		.amdhsa_next_free_vgpr 1
		.amdhsa_next_free_sgpr 0
		.amdhsa_accum_offset 4
		.amdhsa_reserve_vcc 0
		.amdhsa_float_round_mode_32 0
		.amdhsa_float_round_mode_16_64 0
		.amdhsa_float_denorm_mode_32 3
		.amdhsa_float_denorm_mode_16_64 3
		.amdhsa_dx10_clamp 1
		.amdhsa_ieee_mode 1
		.amdhsa_fp16_overflow 0
		.amdhsa_tg_split 0
		.amdhsa_exception_fp_ieee_invalid_op 0
		.amdhsa_exception_fp_denorm_src 0
		.amdhsa_exception_fp_ieee_div_zero 0
		.amdhsa_exception_fp_ieee_overflow 0
		.amdhsa_exception_fp_ieee_underflow 0
		.amdhsa_exception_fp_ieee_inexact 0
		.amdhsa_exception_int_div_zero 0
	.end_amdhsa_kernel
	.section	.text._ZN7rocprim17ROCPRIM_400000_NS6detail17trampoline_kernelINS0_14default_configENS1_22reduce_config_selectorItEEZNS1_11reduce_implILb1ES3_N6thrust23THRUST_200600_302600_NS6detail15normal_iteratorINS8_10device_ptrItEEEEPiiNS8_4plusIiEEEE10hipError_tPvRmT1_T2_T3_mT4_P12ihipStream_tbEUlT_E1_NS1_11comp_targetILNS1_3genE2ELNS1_11target_archE906ELNS1_3gpuE6ELNS1_3repE0EEENS1_30default_config_static_selectorELNS0_4arch9wavefront6targetE1EEEvSK_,"axG",@progbits,_ZN7rocprim17ROCPRIM_400000_NS6detail17trampoline_kernelINS0_14default_configENS1_22reduce_config_selectorItEEZNS1_11reduce_implILb1ES3_N6thrust23THRUST_200600_302600_NS6detail15normal_iteratorINS8_10device_ptrItEEEEPiiNS8_4plusIiEEEE10hipError_tPvRmT1_T2_T3_mT4_P12ihipStream_tbEUlT_E1_NS1_11comp_targetILNS1_3genE2ELNS1_11target_archE906ELNS1_3gpuE6ELNS1_3repE0EEENS1_30default_config_static_selectorELNS0_4arch9wavefront6targetE1EEEvSK_,comdat
.Lfunc_end436:
	.size	_ZN7rocprim17ROCPRIM_400000_NS6detail17trampoline_kernelINS0_14default_configENS1_22reduce_config_selectorItEEZNS1_11reduce_implILb1ES3_N6thrust23THRUST_200600_302600_NS6detail15normal_iteratorINS8_10device_ptrItEEEEPiiNS8_4plusIiEEEE10hipError_tPvRmT1_T2_T3_mT4_P12ihipStream_tbEUlT_E1_NS1_11comp_targetILNS1_3genE2ELNS1_11target_archE906ELNS1_3gpuE6ELNS1_3repE0EEENS1_30default_config_static_selectorELNS0_4arch9wavefront6targetE1EEEvSK_, .Lfunc_end436-_ZN7rocprim17ROCPRIM_400000_NS6detail17trampoline_kernelINS0_14default_configENS1_22reduce_config_selectorItEEZNS1_11reduce_implILb1ES3_N6thrust23THRUST_200600_302600_NS6detail15normal_iteratorINS8_10device_ptrItEEEEPiiNS8_4plusIiEEEE10hipError_tPvRmT1_T2_T3_mT4_P12ihipStream_tbEUlT_E1_NS1_11comp_targetILNS1_3genE2ELNS1_11target_archE906ELNS1_3gpuE6ELNS1_3repE0EEENS1_30default_config_static_selectorELNS0_4arch9wavefront6targetE1EEEvSK_
                                        ; -- End function
	.set _ZN7rocprim17ROCPRIM_400000_NS6detail17trampoline_kernelINS0_14default_configENS1_22reduce_config_selectorItEEZNS1_11reduce_implILb1ES3_N6thrust23THRUST_200600_302600_NS6detail15normal_iteratorINS8_10device_ptrItEEEEPiiNS8_4plusIiEEEE10hipError_tPvRmT1_T2_T3_mT4_P12ihipStream_tbEUlT_E1_NS1_11comp_targetILNS1_3genE2ELNS1_11target_archE906ELNS1_3gpuE6ELNS1_3repE0EEENS1_30default_config_static_selectorELNS0_4arch9wavefront6targetE1EEEvSK_.num_vgpr, 0
	.set _ZN7rocprim17ROCPRIM_400000_NS6detail17trampoline_kernelINS0_14default_configENS1_22reduce_config_selectorItEEZNS1_11reduce_implILb1ES3_N6thrust23THRUST_200600_302600_NS6detail15normal_iteratorINS8_10device_ptrItEEEEPiiNS8_4plusIiEEEE10hipError_tPvRmT1_T2_T3_mT4_P12ihipStream_tbEUlT_E1_NS1_11comp_targetILNS1_3genE2ELNS1_11target_archE906ELNS1_3gpuE6ELNS1_3repE0EEENS1_30default_config_static_selectorELNS0_4arch9wavefront6targetE1EEEvSK_.num_agpr, 0
	.set _ZN7rocprim17ROCPRIM_400000_NS6detail17trampoline_kernelINS0_14default_configENS1_22reduce_config_selectorItEEZNS1_11reduce_implILb1ES3_N6thrust23THRUST_200600_302600_NS6detail15normal_iteratorINS8_10device_ptrItEEEEPiiNS8_4plusIiEEEE10hipError_tPvRmT1_T2_T3_mT4_P12ihipStream_tbEUlT_E1_NS1_11comp_targetILNS1_3genE2ELNS1_11target_archE906ELNS1_3gpuE6ELNS1_3repE0EEENS1_30default_config_static_selectorELNS0_4arch9wavefront6targetE1EEEvSK_.numbered_sgpr, 0
	.set _ZN7rocprim17ROCPRIM_400000_NS6detail17trampoline_kernelINS0_14default_configENS1_22reduce_config_selectorItEEZNS1_11reduce_implILb1ES3_N6thrust23THRUST_200600_302600_NS6detail15normal_iteratorINS8_10device_ptrItEEEEPiiNS8_4plusIiEEEE10hipError_tPvRmT1_T2_T3_mT4_P12ihipStream_tbEUlT_E1_NS1_11comp_targetILNS1_3genE2ELNS1_11target_archE906ELNS1_3gpuE6ELNS1_3repE0EEENS1_30default_config_static_selectorELNS0_4arch9wavefront6targetE1EEEvSK_.num_named_barrier, 0
	.set _ZN7rocprim17ROCPRIM_400000_NS6detail17trampoline_kernelINS0_14default_configENS1_22reduce_config_selectorItEEZNS1_11reduce_implILb1ES3_N6thrust23THRUST_200600_302600_NS6detail15normal_iteratorINS8_10device_ptrItEEEEPiiNS8_4plusIiEEEE10hipError_tPvRmT1_T2_T3_mT4_P12ihipStream_tbEUlT_E1_NS1_11comp_targetILNS1_3genE2ELNS1_11target_archE906ELNS1_3gpuE6ELNS1_3repE0EEENS1_30default_config_static_selectorELNS0_4arch9wavefront6targetE1EEEvSK_.private_seg_size, 0
	.set _ZN7rocprim17ROCPRIM_400000_NS6detail17trampoline_kernelINS0_14default_configENS1_22reduce_config_selectorItEEZNS1_11reduce_implILb1ES3_N6thrust23THRUST_200600_302600_NS6detail15normal_iteratorINS8_10device_ptrItEEEEPiiNS8_4plusIiEEEE10hipError_tPvRmT1_T2_T3_mT4_P12ihipStream_tbEUlT_E1_NS1_11comp_targetILNS1_3genE2ELNS1_11target_archE906ELNS1_3gpuE6ELNS1_3repE0EEENS1_30default_config_static_selectorELNS0_4arch9wavefront6targetE1EEEvSK_.uses_vcc, 0
	.set _ZN7rocprim17ROCPRIM_400000_NS6detail17trampoline_kernelINS0_14default_configENS1_22reduce_config_selectorItEEZNS1_11reduce_implILb1ES3_N6thrust23THRUST_200600_302600_NS6detail15normal_iteratorINS8_10device_ptrItEEEEPiiNS8_4plusIiEEEE10hipError_tPvRmT1_T2_T3_mT4_P12ihipStream_tbEUlT_E1_NS1_11comp_targetILNS1_3genE2ELNS1_11target_archE906ELNS1_3gpuE6ELNS1_3repE0EEENS1_30default_config_static_selectorELNS0_4arch9wavefront6targetE1EEEvSK_.uses_flat_scratch, 0
	.set _ZN7rocprim17ROCPRIM_400000_NS6detail17trampoline_kernelINS0_14default_configENS1_22reduce_config_selectorItEEZNS1_11reduce_implILb1ES3_N6thrust23THRUST_200600_302600_NS6detail15normal_iteratorINS8_10device_ptrItEEEEPiiNS8_4plusIiEEEE10hipError_tPvRmT1_T2_T3_mT4_P12ihipStream_tbEUlT_E1_NS1_11comp_targetILNS1_3genE2ELNS1_11target_archE906ELNS1_3gpuE6ELNS1_3repE0EEENS1_30default_config_static_selectorELNS0_4arch9wavefront6targetE1EEEvSK_.has_dyn_sized_stack, 0
	.set _ZN7rocprim17ROCPRIM_400000_NS6detail17trampoline_kernelINS0_14default_configENS1_22reduce_config_selectorItEEZNS1_11reduce_implILb1ES3_N6thrust23THRUST_200600_302600_NS6detail15normal_iteratorINS8_10device_ptrItEEEEPiiNS8_4plusIiEEEE10hipError_tPvRmT1_T2_T3_mT4_P12ihipStream_tbEUlT_E1_NS1_11comp_targetILNS1_3genE2ELNS1_11target_archE906ELNS1_3gpuE6ELNS1_3repE0EEENS1_30default_config_static_selectorELNS0_4arch9wavefront6targetE1EEEvSK_.has_recursion, 0
	.set _ZN7rocprim17ROCPRIM_400000_NS6detail17trampoline_kernelINS0_14default_configENS1_22reduce_config_selectorItEEZNS1_11reduce_implILb1ES3_N6thrust23THRUST_200600_302600_NS6detail15normal_iteratorINS8_10device_ptrItEEEEPiiNS8_4plusIiEEEE10hipError_tPvRmT1_T2_T3_mT4_P12ihipStream_tbEUlT_E1_NS1_11comp_targetILNS1_3genE2ELNS1_11target_archE906ELNS1_3gpuE6ELNS1_3repE0EEENS1_30default_config_static_selectorELNS0_4arch9wavefront6targetE1EEEvSK_.has_indirect_call, 0
	.section	.AMDGPU.csdata,"",@progbits
; Kernel info:
; codeLenInByte = 0
; TotalNumSgprs: 6
; NumVgprs: 0
; NumAgprs: 0
; TotalNumVgprs: 0
; ScratchSize: 0
; MemoryBound: 0
; FloatMode: 240
; IeeeMode: 1
; LDSByteSize: 0 bytes/workgroup (compile time only)
; SGPRBlocks: 0
; VGPRBlocks: 0
; NumSGPRsForWavesPerEU: 6
; NumVGPRsForWavesPerEU: 1
; AccumOffset: 4
; Occupancy: 8
; WaveLimiterHint : 0
; COMPUTE_PGM_RSRC2:SCRATCH_EN: 0
; COMPUTE_PGM_RSRC2:USER_SGPR: 2
; COMPUTE_PGM_RSRC2:TRAP_HANDLER: 0
; COMPUTE_PGM_RSRC2:TGID_X_EN: 1
; COMPUTE_PGM_RSRC2:TGID_Y_EN: 0
; COMPUTE_PGM_RSRC2:TGID_Z_EN: 0
; COMPUTE_PGM_RSRC2:TIDIG_COMP_CNT: 0
; COMPUTE_PGM_RSRC3_GFX90A:ACCUM_OFFSET: 0
; COMPUTE_PGM_RSRC3_GFX90A:TG_SPLIT: 0
	.section	.text._ZN7rocprim17ROCPRIM_400000_NS6detail17trampoline_kernelINS0_14default_configENS1_22reduce_config_selectorItEEZNS1_11reduce_implILb1ES3_N6thrust23THRUST_200600_302600_NS6detail15normal_iteratorINS8_10device_ptrItEEEEPiiNS8_4plusIiEEEE10hipError_tPvRmT1_T2_T3_mT4_P12ihipStream_tbEUlT_E1_NS1_11comp_targetILNS1_3genE10ELNS1_11target_archE1201ELNS1_3gpuE5ELNS1_3repE0EEENS1_30default_config_static_selectorELNS0_4arch9wavefront6targetE1EEEvSK_,"axG",@progbits,_ZN7rocprim17ROCPRIM_400000_NS6detail17trampoline_kernelINS0_14default_configENS1_22reduce_config_selectorItEEZNS1_11reduce_implILb1ES3_N6thrust23THRUST_200600_302600_NS6detail15normal_iteratorINS8_10device_ptrItEEEEPiiNS8_4plusIiEEEE10hipError_tPvRmT1_T2_T3_mT4_P12ihipStream_tbEUlT_E1_NS1_11comp_targetILNS1_3genE10ELNS1_11target_archE1201ELNS1_3gpuE5ELNS1_3repE0EEENS1_30default_config_static_selectorELNS0_4arch9wavefront6targetE1EEEvSK_,comdat
	.protected	_ZN7rocprim17ROCPRIM_400000_NS6detail17trampoline_kernelINS0_14default_configENS1_22reduce_config_selectorItEEZNS1_11reduce_implILb1ES3_N6thrust23THRUST_200600_302600_NS6detail15normal_iteratorINS8_10device_ptrItEEEEPiiNS8_4plusIiEEEE10hipError_tPvRmT1_T2_T3_mT4_P12ihipStream_tbEUlT_E1_NS1_11comp_targetILNS1_3genE10ELNS1_11target_archE1201ELNS1_3gpuE5ELNS1_3repE0EEENS1_30default_config_static_selectorELNS0_4arch9wavefront6targetE1EEEvSK_ ; -- Begin function _ZN7rocprim17ROCPRIM_400000_NS6detail17trampoline_kernelINS0_14default_configENS1_22reduce_config_selectorItEEZNS1_11reduce_implILb1ES3_N6thrust23THRUST_200600_302600_NS6detail15normal_iteratorINS8_10device_ptrItEEEEPiiNS8_4plusIiEEEE10hipError_tPvRmT1_T2_T3_mT4_P12ihipStream_tbEUlT_E1_NS1_11comp_targetILNS1_3genE10ELNS1_11target_archE1201ELNS1_3gpuE5ELNS1_3repE0EEENS1_30default_config_static_selectorELNS0_4arch9wavefront6targetE1EEEvSK_
	.globl	_ZN7rocprim17ROCPRIM_400000_NS6detail17trampoline_kernelINS0_14default_configENS1_22reduce_config_selectorItEEZNS1_11reduce_implILb1ES3_N6thrust23THRUST_200600_302600_NS6detail15normal_iteratorINS8_10device_ptrItEEEEPiiNS8_4plusIiEEEE10hipError_tPvRmT1_T2_T3_mT4_P12ihipStream_tbEUlT_E1_NS1_11comp_targetILNS1_3genE10ELNS1_11target_archE1201ELNS1_3gpuE5ELNS1_3repE0EEENS1_30default_config_static_selectorELNS0_4arch9wavefront6targetE1EEEvSK_
	.p2align	8
	.type	_ZN7rocprim17ROCPRIM_400000_NS6detail17trampoline_kernelINS0_14default_configENS1_22reduce_config_selectorItEEZNS1_11reduce_implILb1ES3_N6thrust23THRUST_200600_302600_NS6detail15normal_iteratorINS8_10device_ptrItEEEEPiiNS8_4plusIiEEEE10hipError_tPvRmT1_T2_T3_mT4_P12ihipStream_tbEUlT_E1_NS1_11comp_targetILNS1_3genE10ELNS1_11target_archE1201ELNS1_3gpuE5ELNS1_3repE0EEENS1_30default_config_static_selectorELNS0_4arch9wavefront6targetE1EEEvSK_,@function
_ZN7rocprim17ROCPRIM_400000_NS6detail17trampoline_kernelINS0_14default_configENS1_22reduce_config_selectorItEEZNS1_11reduce_implILb1ES3_N6thrust23THRUST_200600_302600_NS6detail15normal_iteratorINS8_10device_ptrItEEEEPiiNS8_4plusIiEEEE10hipError_tPvRmT1_T2_T3_mT4_P12ihipStream_tbEUlT_E1_NS1_11comp_targetILNS1_3genE10ELNS1_11target_archE1201ELNS1_3gpuE5ELNS1_3repE0EEENS1_30default_config_static_selectorELNS0_4arch9wavefront6targetE1EEEvSK_: ; @_ZN7rocprim17ROCPRIM_400000_NS6detail17trampoline_kernelINS0_14default_configENS1_22reduce_config_selectorItEEZNS1_11reduce_implILb1ES3_N6thrust23THRUST_200600_302600_NS6detail15normal_iteratorINS8_10device_ptrItEEEEPiiNS8_4plusIiEEEE10hipError_tPvRmT1_T2_T3_mT4_P12ihipStream_tbEUlT_E1_NS1_11comp_targetILNS1_3genE10ELNS1_11target_archE1201ELNS1_3gpuE5ELNS1_3repE0EEENS1_30default_config_static_selectorELNS0_4arch9wavefront6targetE1EEEvSK_
; %bb.0:
	.section	.rodata,"a",@progbits
	.p2align	6, 0x0
	.amdhsa_kernel _ZN7rocprim17ROCPRIM_400000_NS6detail17trampoline_kernelINS0_14default_configENS1_22reduce_config_selectorItEEZNS1_11reduce_implILb1ES3_N6thrust23THRUST_200600_302600_NS6detail15normal_iteratorINS8_10device_ptrItEEEEPiiNS8_4plusIiEEEE10hipError_tPvRmT1_T2_T3_mT4_P12ihipStream_tbEUlT_E1_NS1_11comp_targetILNS1_3genE10ELNS1_11target_archE1201ELNS1_3gpuE5ELNS1_3repE0EEENS1_30default_config_static_selectorELNS0_4arch9wavefront6targetE1EEEvSK_
		.amdhsa_group_segment_fixed_size 0
		.amdhsa_private_segment_fixed_size 0
		.amdhsa_kernarg_size 40
		.amdhsa_user_sgpr_count 2
		.amdhsa_user_sgpr_dispatch_ptr 0
		.amdhsa_user_sgpr_queue_ptr 0
		.amdhsa_user_sgpr_kernarg_segment_ptr 1
		.amdhsa_user_sgpr_dispatch_id 0
		.amdhsa_user_sgpr_kernarg_preload_length 0
		.amdhsa_user_sgpr_kernarg_preload_offset 0
		.amdhsa_user_sgpr_private_segment_size 0
		.amdhsa_uses_dynamic_stack 0
		.amdhsa_enable_private_segment 0
		.amdhsa_system_sgpr_workgroup_id_x 1
		.amdhsa_system_sgpr_workgroup_id_y 0
		.amdhsa_system_sgpr_workgroup_id_z 0
		.amdhsa_system_sgpr_workgroup_info 0
		.amdhsa_system_vgpr_workitem_id 0
		.amdhsa_next_free_vgpr 1
		.amdhsa_next_free_sgpr 0
		.amdhsa_accum_offset 4
		.amdhsa_reserve_vcc 0
		.amdhsa_float_round_mode_32 0
		.amdhsa_float_round_mode_16_64 0
		.amdhsa_float_denorm_mode_32 3
		.amdhsa_float_denorm_mode_16_64 3
		.amdhsa_dx10_clamp 1
		.amdhsa_ieee_mode 1
		.amdhsa_fp16_overflow 0
		.amdhsa_tg_split 0
		.amdhsa_exception_fp_ieee_invalid_op 0
		.amdhsa_exception_fp_denorm_src 0
		.amdhsa_exception_fp_ieee_div_zero 0
		.amdhsa_exception_fp_ieee_overflow 0
		.amdhsa_exception_fp_ieee_underflow 0
		.amdhsa_exception_fp_ieee_inexact 0
		.amdhsa_exception_int_div_zero 0
	.end_amdhsa_kernel
	.section	.text._ZN7rocprim17ROCPRIM_400000_NS6detail17trampoline_kernelINS0_14default_configENS1_22reduce_config_selectorItEEZNS1_11reduce_implILb1ES3_N6thrust23THRUST_200600_302600_NS6detail15normal_iteratorINS8_10device_ptrItEEEEPiiNS8_4plusIiEEEE10hipError_tPvRmT1_T2_T3_mT4_P12ihipStream_tbEUlT_E1_NS1_11comp_targetILNS1_3genE10ELNS1_11target_archE1201ELNS1_3gpuE5ELNS1_3repE0EEENS1_30default_config_static_selectorELNS0_4arch9wavefront6targetE1EEEvSK_,"axG",@progbits,_ZN7rocprim17ROCPRIM_400000_NS6detail17trampoline_kernelINS0_14default_configENS1_22reduce_config_selectorItEEZNS1_11reduce_implILb1ES3_N6thrust23THRUST_200600_302600_NS6detail15normal_iteratorINS8_10device_ptrItEEEEPiiNS8_4plusIiEEEE10hipError_tPvRmT1_T2_T3_mT4_P12ihipStream_tbEUlT_E1_NS1_11comp_targetILNS1_3genE10ELNS1_11target_archE1201ELNS1_3gpuE5ELNS1_3repE0EEENS1_30default_config_static_selectorELNS0_4arch9wavefront6targetE1EEEvSK_,comdat
.Lfunc_end437:
	.size	_ZN7rocprim17ROCPRIM_400000_NS6detail17trampoline_kernelINS0_14default_configENS1_22reduce_config_selectorItEEZNS1_11reduce_implILb1ES3_N6thrust23THRUST_200600_302600_NS6detail15normal_iteratorINS8_10device_ptrItEEEEPiiNS8_4plusIiEEEE10hipError_tPvRmT1_T2_T3_mT4_P12ihipStream_tbEUlT_E1_NS1_11comp_targetILNS1_3genE10ELNS1_11target_archE1201ELNS1_3gpuE5ELNS1_3repE0EEENS1_30default_config_static_selectorELNS0_4arch9wavefront6targetE1EEEvSK_, .Lfunc_end437-_ZN7rocprim17ROCPRIM_400000_NS6detail17trampoline_kernelINS0_14default_configENS1_22reduce_config_selectorItEEZNS1_11reduce_implILb1ES3_N6thrust23THRUST_200600_302600_NS6detail15normal_iteratorINS8_10device_ptrItEEEEPiiNS8_4plusIiEEEE10hipError_tPvRmT1_T2_T3_mT4_P12ihipStream_tbEUlT_E1_NS1_11comp_targetILNS1_3genE10ELNS1_11target_archE1201ELNS1_3gpuE5ELNS1_3repE0EEENS1_30default_config_static_selectorELNS0_4arch9wavefront6targetE1EEEvSK_
                                        ; -- End function
	.set _ZN7rocprim17ROCPRIM_400000_NS6detail17trampoline_kernelINS0_14default_configENS1_22reduce_config_selectorItEEZNS1_11reduce_implILb1ES3_N6thrust23THRUST_200600_302600_NS6detail15normal_iteratorINS8_10device_ptrItEEEEPiiNS8_4plusIiEEEE10hipError_tPvRmT1_T2_T3_mT4_P12ihipStream_tbEUlT_E1_NS1_11comp_targetILNS1_3genE10ELNS1_11target_archE1201ELNS1_3gpuE5ELNS1_3repE0EEENS1_30default_config_static_selectorELNS0_4arch9wavefront6targetE1EEEvSK_.num_vgpr, 0
	.set _ZN7rocprim17ROCPRIM_400000_NS6detail17trampoline_kernelINS0_14default_configENS1_22reduce_config_selectorItEEZNS1_11reduce_implILb1ES3_N6thrust23THRUST_200600_302600_NS6detail15normal_iteratorINS8_10device_ptrItEEEEPiiNS8_4plusIiEEEE10hipError_tPvRmT1_T2_T3_mT4_P12ihipStream_tbEUlT_E1_NS1_11comp_targetILNS1_3genE10ELNS1_11target_archE1201ELNS1_3gpuE5ELNS1_3repE0EEENS1_30default_config_static_selectorELNS0_4arch9wavefront6targetE1EEEvSK_.num_agpr, 0
	.set _ZN7rocprim17ROCPRIM_400000_NS6detail17trampoline_kernelINS0_14default_configENS1_22reduce_config_selectorItEEZNS1_11reduce_implILb1ES3_N6thrust23THRUST_200600_302600_NS6detail15normal_iteratorINS8_10device_ptrItEEEEPiiNS8_4plusIiEEEE10hipError_tPvRmT1_T2_T3_mT4_P12ihipStream_tbEUlT_E1_NS1_11comp_targetILNS1_3genE10ELNS1_11target_archE1201ELNS1_3gpuE5ELNS1_3repE0EEENS1_30default_config_static_selectorELNS0_4arch9wavefront6targetE1EEEvSK_.numbered_sgpr, 0
	.set _ZN7rocprim17ROCPRIM_400000_NS6detail17trampoline_kernelINS0_14default_configENS1_22reduce_config_selectorItEEZNS1_11reduce_implILb1ES3_N6thrust23THRUST_200600_302600_NS6detail15normal_iteratorINS8_10device_ptrItEEEEPiiNS8_4plusIiEEEE10hipError_tPvRmT1_T2_T3_mT4_P12ihipStream_tbEUlT_E1_NS1_11comp_targetILNS1_3genE10ELNS1_11target_archE1201ELNS1_3gpuE5ELNS1_3repE0EEENS1_30default_config_static_selectorELNS0_4arch9wavefront6targetE1EEEvSK_.num_named_barrier, 0
	.set _ZN7rocprim17ROCPRIM_400000_NS6detail17trampoline_kernelINS0_14default_configENS1_22reduce_config_selectorItEEZNS1_11reduce_implILb1ES3_N6thrust23THRUST_200600_302600_NS6detail15normal_iteratorINS8_10device_ptrItEEEEPiiNS8_4plusIiEEEE10hipError_tPvRmT1_T2_T3_mT4_P12ihipStream_tbEUlT_E1_NS1_11comp_targetILNS1_3genE10ELNS1_11target_archE1201ELNS1_3gpuE5ELNS1_3repE0EEENS1_30default_config_static_selectorELNS0_4arch9wavefront6targetE1EEEvSK_.private_seg_size, 0
	.set _ZN7rocprim17ROCPRIM_400000_NS6detail17trampoline_kernelINS0_14default_configENS1_22reduce_config_selectorItEEZNS1_11reduce_implILb1ES3_N6thrust23THRUST_200600_302600_NS6detail15normal_iteratorINS8_10device_ptrItEEEEPiiNS8_4plusIiEEEE10hipError_tPvRmT1_T2_T3_mT4_P12ihipStream_tbEUlT_E1_NS1_11comp_targetILNS1_3genE10ELNS1_11target_archE1201ELNS1_3gpuE5ELNS1_3repE0EEENS1_30default_config_static_selectorELNS0_4arch9wavefront6targetE1EEEvSK_.uses_vcc, 0
	.set _ZN7rocprim17ROCPRIM_400000_NS6detail17trampoline_kernelINS0_14default_configENS1_22reduce_config_selectorItEEZNS1_11reduce_implILb1ES3_N6thrust23THRUST_200600_302600_NS6detail15normal_iteratorINS8_10device_ptrItEEEEPiiNS8_4plusIiEEEE10hipError_tPvRmT1_T2_T3_mT4_P12ihipStream_tbEUlT_E1_NS1_11comp_targetILNS1_3genE10ELNS1_11target_archE1201ELNS1_3gpuE5ELNS1_3repE0EEENS1_30default_config_static_selectorELNS0_4arch9wavefront6targetE1EEEvSK_.uses_flat_scratch, 0
	.set _ZN7rocprim17ROCPRIM_400000_NS6detail17trampoline_kernelINS0_14default_configENS1_22reduce_config_selectorItEEZNS1_11reduce_implILb1ES3_N6thrust23THRUST_200600_302600_NS6detail15normal_iteratorINS8_10device_ptrItEEEEPiiNS8_4plusIiEEEE10hipError_tPvRmT1_T2_T3_mT4_P12ihipStream_tbEUlT_E1_NS1_11comp_targetILNS1_3genE10ELNS1_11target_archE1201ELNS1_3gpuE5ELNS1_3repE0EEENS1_30default_config_static_selectorELNS0_4arch9wavefront6targetE1EEEvSK_.has_dyn_sized_stack, 0
	.set _ZN7rocprim17ROCPRIM_400000_NS6detail17trampoline_kernelINS0_14default_configENS1_22reduce_config_selectorItEEZNS1_11reduce_implILb1ES3_N6thrust23THRUST_200600_302600_NS6detail15normal_iteratorINS8_10device_ptrItEEEEPiiNS8_4plusIiEEEE10hipError_tPvRmT1_T2_T3_mT4_P12ihipStream_tbEUlT_E1_NS1_11comp_targetILNS1_3genE10ELNS1_11target_archE1201ELNS1_3gpuE5ELNS1_3repE0EEENS1_30default_config_static_selectorELNS0_4arch9wavefront6targetE1EEEvSK_.has_recursion, 0
	.set _ZN7rocprim17ROCPRIM_400000_NS6detail17trampoline_kernelINS0_14default_configENS1_22reduce_config_selectorItEEZNS1_11reduce_implILb1ES3_N6thrust23THRUST_200600_302600_NS6detail15normal_iteratorINS8_10device_ptrItEEEEPiiNS8_4plusIiEEEE10hipError_tPvRmT1_T2_T3_mT4_P12ihipStream_tbEUlT_E1_NS1_11comp_targetILNS1_3genE10ELNS1_11target_archE1201ELNS1_3gpuE5ELNS1_3repE0EEENS1_30default_config_static_selectorELNS0_4arch9wavefront6targetE1EEEvSK_.has_indirect_call, 0
	.section	.AMDGPU.csdata,"",@progbits
; Kernel info:
; codeLenInByte = 0
; TotalNumSgprs: 6
; NumVgprs: 0
; NumAgprs: 0
; TotalNumVgprs: 0
; ScratchSize: 0
; MemoryBound: 0
; FloatMode: 240
; IeeeMode: 1
; LDSByteSize: 0 bytes/workgroup (compile time only)
; SGPRBlocks: 0
; VGPRBlocks: 0
; NumSGPRsForWavesPerEU: 6
; NumVGPRsForWavesPerEU: 1
; AccumOffset: 4
; Occupancy: 8
; WaveLimiterHint : 0
; COMPUTE_PGM_RSRC2:SCRATCH_EN: 0
; COMPUTE_PGM_RSRC2:USER_SGPR: 2
; COMPUTE_PGM_RSRC2:TRAP_HANDLER: 0
; COMPUTE_PGM_RSRC2:TGID_X_EN: 1
; COMPUTE_PGM_RSRC2:TGID_Y_EN: 0
; COMPUTE_PGM_RSRC2:TGID_Z_EN: 0
; COMPUTE_PGM_RSRC2:TIDIG_COMP_CNT: 0
; COMPUTE_PGM_RSRC3_GFX90A:ACCUM_OFFSET: 0
; COMPUTE_PGM_RSRC3_GFX90A:TG_SPLIT: 0
	.section	.text._ZN7rocprim17ROCPRIM_400000_NS6detail17trampoline_kernelINS0_14default_configENS1_22reduce_config_selectorItEEZNS1_11reduce_implILb1ES3_N6thrust23THRUST_200600_302600_NS6detail15normal_iteratorINS8_10device_ptrItEEEEPiiNS8_4plusIiEEEE10hipError_tPvRmT1_T2_T3_mT4_P12ihipStream_tbEUlT_E1_NS1_11comp_targetILNS1_3genE10ELNS1_11target_archE1200ELNS1_3gpuE4ELNS1_3repE0EEENS1_30default_config_static_selectorELNS0_4arch9wavefront6targetE1EEEvSK_,"axG",@progbits,_ZN7rocprim17ROCPRIM_400000_NS6detail17trampoline_kernelINS0_14default_configENS1_22reduce_config_selectorItEEZNS1_11reduce_implILb1ES3_N6thrust23THRUST_200600_302600_NS6detail15normal_iteratorINS8_10device_ptrItEEEEPiiNS8_4plusIiEEEE10hipError_tPvRmT1_T2_T3_mT4_P12ihipStream_tbEUlT_E1_NS1_11comp_targetILNS1_3genE10ELNS1_11target_archE1200ELNS1_3gpuE4ELNS1_3repE0EEENS1_30default_config_static_selectorELNS0_4arch9wavefront6targetE1EEEvSK_,comdat
	.protected	_ZN7rocprim17ROCPRIM_400000_NS6detail17trampoline_kernelINS0_14default_configENS1_22reduce_config_selectorItEEZNS1_11reduce_implILb1ES3_N6thrust23THRUST_200600_302600_NS6detail15normal_iteratorINS8_10device_ptrItEEEEPiiNS8_4plusIiEEEE10hipError_tPvRmT1_T2_T3_mT4_P12ihipStream_tbEUlT_E1_NS1_11comp_targetILNS1_3genE10ELNS1_11target_archE1200ELNS1_3gpuE4ELNS1_3repE0EEENS1_30default_config_static_selectorELNS0_4arch9wavefront6targetE1EEEvSK_ ; -- Begin function _ZN7rocprim17ROCPRIM_400000_NS6detail17trampoline_kernelINS0_14default_configENS1_22reduce_config_selectorItEEZNS1_11reduce_implILb1ES3_N6thrust23THRUST_200600_302600_NS6detail15normal_iteratorINS8_10device_ptrItEEEEPiiNS8_4plusIiEEEE10hipError_tPvRmT1_T2_T3_mT4_P12ihipStream_tbEUlT_E1_NS1_11comp_targetILNS1_3genE10ELNS1_11target_archE1200ELNS1_3gpuE4ELNS1_3repE0EEENS1_30default_config_static_selectorELNS0_4arch9wavefront6targetE1EEEvSK_
	.globl	_ZN7rocprim17ROCPRIM_400000_NS6detail17trampoline_kernelINS0_14default_configENS1_22reduce_config_selectorItEEZNS1_11reduce_implILb1ES3_N6thrust23THRUST_200600_302600_NS6detail15normal_iteratorINS8_10device_ptrItEEEEPiiNS8_4plusIiEEEE10hipError_tPvRmT1_T2_T3_mT4_P12ihipStream_tbEUlT_E1_NS1_11comp_targetILNS1_3genE10ELNS1_11target_archE1200ELNS1_3gpuE4ELNS1_3repE0EEENS1_30default_config_static_selectorELNS0_4arch9wavefront6targetE1EEEvSK_
	.p2align	8
	.type	_ZN7rocprim17ROCPRIM_400000_NS6detail17trampoline_kernelINS0_14default_configENS1_22reduce_config_selectorItEEZNS1_11reduce_implILb1ES3_N6thrust23THRUST_200600_302600_NS6detail15normal_iteratorINS8_10device_ptrItEEEEPiiNS8_4plusIiEEEE10hipError_tPvRmT1_T2_T3_mT4_P12ihipStream_tbEUlT_E1_NS1_11comp_targetILNS1_3genE10ELNS1_11target_archE1200ELNS1_3gpuE4ELNS1_3repE0EEENS1_30default_config_static_selectorELNS0_4arch9wavefront6targetE1EEEvSK_,@function
_ZN7rocprim17ROCPRIM_400000_NS6detail17trampoline_kernelINS0_14default_configENS1_22reduce_config_selectorItEEZNS1_11reduce_implILb1ES3_N6thrust23THRUST_200600_302600_NS6detail15normal_iteratorINS8_10device_ptrItEEEEPiiNS8_4plusIiEEEE10hipError_tPvRmT1_T2_T3_mT4_P12ihipStream_tbEUlT_E1_NS1_11comp_targetILNS1_3genE10ELNS1_11target_archE1200ELNS1_3gpuE4ELNS1_3repE0EEENS1_30default_config_static_selectorELNS0_4arch9wavefront6targetE1EEEvSK_: ; @_ZN7rocprim17ROCPRIM_400000_NS6detail17trampoline_kernelINS0_14default_configENS1_22reduce_config_selectorItEEZNS1_11reduce_implILb1ES3_N6thrust23THRUST_200600_302600_NS6detail15normal_iteratorINS8_10device_ptrItEEEEPiiNS8_4plusIiEEEE10hipError_tPvRmT1_T2_T3_mT4_P12ihipStream_tbEUlT_E1_NS1_11comp_targetILNS1_3genE10ELNS1_11target_archE1200ELNS1_3gpuE4ELNS1_3repE0EEENS1_30default_config_static_selectorELNS0_4arch9wavefront6targetE1EEEvSK_
; %bb.0:
	.section	.rodata,"a",@progbits
	.p2align	6, 0x0
	.amdhsa_kernel _ZN7rocprim17ROCPRIM_400000_NS6detail17trampoline_kernelINS0_14default_configENS1_22reduce_config_selectorItEEZNS1_11reduce_implILb1ES3_N6thrust23THRUST_200600_302600_NS6detail15normal_iteratorINS8_10device_ptrItEEEEPiiNS8_4plusIiEEEE10hipError_tPvRmT1_T2_T3_mT4_P12ihipStream_tbEUlT_E1_NS1_11comp_targetILNS1_3genE10ELNS1_11target_archE1200ELNS1_3gpuE4ELNS1_3repE0EEENS1_30default_config_static_selectorELNS0_4arch9wavefront6targetE1EEEvSK_
		.amdhsa_group_segment_fixed_size 0
		.amdhsa_private_segment_fixed_size 0
		.amdhsa_kernarg_size 40
		.amdhsa_user_sgpr_count 2
		.amdhsa_user_sgpr_dispatch_ptr 0
		.amdhsa_user_sgpr_queue_ptr 0
		.amdhsa_user_sgpr_kernarg_segment_ptr 1
		.amdhsa_user_sgpr_dispatch_id 0
		.amdhsa_user_sgpr_kernarg_preload_length 0
		.amdhsa_user_sgpr_kernarg_preload_offset 0
		.amdhsa_user_sgpr_private_segment_size 0
		.amdhsa_uses_dynamic_stack 0
		.amdhsa_enable_private_segment 0
		.amdhsa_system_sgpr_workgroup_id_x 1
		.amdhsa_system_sgpr_workgroup_id_y 0
		.amdhsa_system_sgpr_workgroup_id_z 0
		.amdhsa_system_sgpr_workgroup_info 0
		.amdhsa_system_vgpr_workitem_id 0
		.amdhsa_next_free_vgpr 1
		.amdhsa_next_free_sgpr 0
		.amdhsa_accum_offset 4
		.amdhsa_reserve_vcc 0
		.amdhsa_float_round_mode_32 0
		.amdhsa_float_round_mode_16_64 0
		.amdhsa_float_denorm_mode_32 3
		.amdhsa_float_denorm_mode_16_64 3
		.amdhsa_dx10_clamp 1
		.amdhsa_ieee_mode 1
		.amdhsa_fp16_overflow 0
		.amdhsa_tg_split 0
		.amdhsa_exception_fp_ieee_invalid_op 0
		.amdhsa_exception_fp_denorm_src 0
		.amdhsa_exception_fp_ieee_div_zero 0
		.amdhsa_exception_fp_ieee_overflow 0
		.amdhsa_exception_fp_ieee_underflow 0
		.amdhsa_exception_fp_ieee_inexact 0
		.amdhsa_exception_int_div_zero 0
	.end_amdhsa_kernel
	.section	.text._ZN7rocprim17ROCPRIM_400000_NS6detail17trampoline_kernelINS0_14default_configENS1_22reduce_config_selectorItEEZNS1_11reduce_implILb1ES3_N6thrust23THRUST_200600_302600_NS6detail15normal_iteratorINS8_10device_ptrItEEEEPiiNS8_4plusIiEEEE10hipError_tPvRmT1_T2_T3_mT4_P12ihipStream_tbEUlT_E1_NS1_11comp_targetILNS1_3genE10ELNS1_11target_archE1200ELNS1_3gpuE4ELNS1_3repE0EEENS1_30default_config_static_selectorELNS0_4arch9wavefront6targetE1EEEvSK_,"axG",@progbits,_ZN7rocprim17ROCPRIM_400000_NS6detail17trampoline_kernelINS0_14default_configENS1_22reduce_config_selectorItEEZNS1_11reduce_implILb1ES3_N6thrust23THRUST_200600_302600_NS6detail15normal_iteratorINS8_10device_ptrItEEEEPiiNS8_4plusIiEEEE10hipError_tPvRmT1_T2_T3_mT4_P12ihipStream_tbEUlT_E1_NS1_11comp_targetILNS1_3genE10ELNS1_11target_archE1200ELNS1_3gpuE4ELNS1_3repE0EEENS1_30default_config_static_selectorELNS0_4arch9wavefront6targetE1EEEvSK_,comdat
.Lfunc_end438:
	.size	_ZN7rocprim17ROCPRIM_400000_NS6detail17trampoline_kernelINS0_14default_configENS1_22reduce_config_selectorItEEZNS1_11reduce_implILb1ES3_N6thrust23THRUST_200600_302600_NS6detail15normal_iteratorINS8_10device_ptrItEEEEPiiNS8_4plusIiEEEE10hipError_tPvRmT1_T2_T3_mT4_P12ihipStream_tbEUlT_E1_NS1_11comp_targetILNS1_3genE10ELNS1_11target_archE1200ELNS1_3gpuE4ELNS1_3repE0EEENS1_30default_config_static_selectorELNS0_4arch9wavefront6targetE1EEEvSK_, .Lfunc_end438-_ZN7rocprim17ROCPRIM_400000_NS6detail17trampoline_kernelINS0_14default_configENS1_22reduce_config_selectorItEEZNS1_11reduce_implILb1ES3_N6thrust23THRUST_200600_302600_NS6detail15normal_iteratorINS8_10device_ptrItEEEEPiiNS8_4plusIiEEEE10hipError_tPvRmT1_T2_T3_mT4_P12ihipStream_tbEUlT_E1_NS1_11comp_targetILNS1_3genE10ELNS1_11target_archE1200ELNS1_3gpuE4ELNS1_3repE0EEENS1_30default_config_static_selectorELNS0_4arch9wavefront6targetE1EEEvSK_
                                        ; -- End function
	.set _ZN7rocprim17ROCPRIM_400000_NS6detail17trampoline_kernelINS0_14default_configENS1_22reduce_config_selectorItEEZNS1_11reduce_implILb1ES3_N6thrust23THRUST_200600_302600_NS6detail15normal_iteratorINS8_10device_ptrItEEEEPiiNS8_4plusIiEEEE10hipError_tPvRmT1_T2_T3_mT4_P12ihipStream_tbEUlT_E1_NS1_11comp_targetILNS1_3genE10ELNS1_11target_archE1200ELNS1_3gpuE4ELNS1_3repE0EEENS1_30default_config_static_selectorELNS0_4arch9wavefront6targetE1EEEvSK_.num_vgpr, 0
	.set _ZN7rocprim17ROCPRIM_400000_NS6detail17trampoline_kernelINS0_14default_configENS1_22reduce_config_selectorItEEZNS1_11reduce_implILb1ES3_N6thrust23THRUST_200600_302600_NS6detail15normal_iteratorINS8_10device_ptrItEEEEPiiNS8_4plusIiEEEE10hipError_tPvRmT1_T2_T3_mT4_P12ihipStream_tbEUlT_E1_NS1_11comp_targetILNS1_3genE10ELNS1_11target_archE1200ELNS1_3gpuE4ELNS1_3repE0EEENS1_30default_config_static_selectorELNS0_4arch9wavefront6targetE1EEEvSK_.num_agpr, 0
	.set _ZN7rocprim17ROCPRIM_400000_NS6detail17trampoline_kernelINS0_14default_configENS1_22reduce_config_selectorItEEZNS1_11reduce_implILb1ES3_N6thrust23THRUST_200600_302600_NS6detail15normal_iteratorINS8_10device_ptrItEEEEPiiNS8_4plusIiEEEE10hipError_tPvRmT1_T2_T3_mT4_P12ihipStream_tbEUlT_E1_NS1_11comp_targetILNS1_3genE10ELNS1_11target_archE1200ELNS1_3gpuE4ELNS1_3repE0EEENS1_30default_config_static_selectorELNS0_4arch9wavefront6targetE1EEEvSK_.numbered_sgpr, 0
	.set _ZN7rocprim17ROCPRIM_400000_NS6detail17trampoline_kernelINS0_14default_configENS1_22reduce_config_selectorItEEZNS1_11reduce_implILb1ES3_N6thrust23THRUST_200600_302600_NS6detail15normal_iteratorINS8_10device_ptrItEEEEPiiNS8_4plusIiEEEE10hipError_tPvRmT1_T2_T3_mT4_P12ihipStream_tbEUlT_E1_NS1_11comp_targetILNS1_3genE10ELNS1_11target_archE1200ELNS1_3gpuE4ELNS1_3repE0EEENS1_30default_config_static_selectorELNS0_4arch9wavefront6targetE1EEEvSK_.num_named_barrier, 0
	.set _ZN7rocprim17ROCPRIM_400000_NS6detail17trampoline_kernelINS0_14default_configENS1_22reduce_config_selectorItEEZNS1_11reduce_implILb1ES3_N6thrust23THRUST_200600_302600_NS6detail15normal_iteratorINS8_10device_ptrItEEEEPiiNS8_4plusIiEEEE10hipError_tPvRmT1_T2_T3_mT4_P12ihipStream_tbEUlT_E1_NS1_11comp_targetILNS1_3genE10ELNS1_11target_archE1200ELNS1_3gpuE4ELNS1_3repE0EEENS1_30default_config_static_selectorELNS0_4arch9wavefront6targetE1EEEvSK_.private_seg_size, 0
	.set _ZN7rocprim17ROCPRIM_400000_NS6detail17trampoline_kernelINS0_14default_configENS1_22reduce_config_selectorItEEZNS1_11reduce_implILb1ES3_N6thrust23THRUST_200600_302600_NS6detail15normal_iteratorINS8_10device_ptrItEEEEPiiNS8_4plusIiEEEE10hipError_tPvRmT1_T2_T3_mT4_P12ihipStream_tbEUlT_E1_NS1_11comp_targetILNS1_3genE10ELNS1_11target_archE1200ELNS1_3gpuE4ELNS1_3repE0EEENS1_30default_config_static_selectorELNS0_4arch9wavefront6targetE1EEEvSK_.uses_vcc, 0
	.set _ZN7rocprim17ROCPRIM_400000_NS6detail17trampoline_kernelINS0_14default_configENS1_22reduce_config_selectorItEEZNS1_11reduce_implILb1ES3_N6thrust23THRUST_200600_302600_NS6detail15normal_iteratorINS8_10device_ptrItEEEEPiiNS8_4plusIiEEEE10hipError_tPvRmT1_T2_T3_mT4_P12ihipStream_tbEUlT_E1_NS1_11comp_targetILNS1_3genE10ELNS1_11target_archE1200ELNS1_3gpuE4ELNS1_3repE0EEENS1_30default_config_static_selectorELNS0_4arch9wavefront6targetE1EEEvSK_.uses_flat_scratch, 0
	.set _ZN7rocprim17ROCPRIM_400000_NS6detail17trampoline_kernelINS0_14default_configENS1_22reduce_config_selectorItEEZNS1_11reduce_implILb1ES3_N6thrust23THRUST_200600_302600_NS6detail15normal_iteratorINS8_10device_ptrItEEEEPiiNS8_4plusIiEEEE10hipError_tPvRmT1_T2_T3_mT4_P12ihipStream_tbEUlT_E1_NS1_11comp_targetILNS1_3genE10ELNS1_11target_archE1200ELNS1_3gpuE4ELNS1_3repE0EEENS1_30default_config_static_selectorELNS0_4arch9wavefront6targetE1EEEvSK_.has_dyn_sized_stack, 0
	.set _ZN7rocprim17ROCPRIM_400000_NS6detail17trampoline_kernelINS0_14default_configENS1_22reduce_config_selectorItEEZNS1_11reduce_implILb1ES3_N6thrust23THRUST_200600_302600_NS6detail15normal_iteratorINS8_10device_ptrItEEEEPiiNS8_4plusIiEEEE10hipError_tPvRmT1_T2_T3_mT4_P12ihipStream_tbEUlT_E1_NS1_11comp_targetILNS1_3genE10ELNS1_11target_archE1200ELNS1_3gpuE4ELNS1_3repE0EEENS1_30default_config_static_selectorELNS0_4arch9wavefront6targetE1EEEvSK_.has_recursion, 0
	.set _ZN7rocprim17ROCPRIM_400000_NS6detail17trampoline_kernelINS0_14default_configENS1_22reduce_config_selectorItEEZNS1_11reduce_implILb1ES3_N6thrust23THRUST_200600_302600_NS6detail15normal_iteratorINS8_10device_ptrItEEEEPiiNS8_4plusIiEEEE10hipError_tPvRmT1_T2_T3_mT4_P12ihipStream_tbEUlT_E1_NS1_11comp_targetILNS1_3genE10ELNS1_11target_archE1200ELNS1_3gpuE4ELNS1_3repE0EEENS1_30default_config_static_selectorELNS0_4arch9wavefront6targetE1EEEvSK_.has_indirect_call, 0
	.section	.AMDGPU.csdata,"",@progbits
; Kernel info:
; codeLenInByte = 0
; TotalNumSgprs: 6
; NumVgprs: 0
; NumAgprs: 0
; TotalNumVgprs: 0
; ScratchSize: 0
; MemoryBound: 0
; FloatMode: 240
; IeeeMode: 1
; LDSByteSize: 0 bytes/workgroup (compile time only)
; SGPRBlocks: 0
; VGPRBlocks: 0
; NumSGPRsForWavesPerEU: 6
; NumVGPRsForWavesPerEU: 1
; AccumOffset: 4
; Occupancy: 8
; WaveLimiterHint : 0
; COMPUTE_PGM_RSRC2:SCRATCH_EN: 0
; COMPUTE_PGM_RSRC2:USER_SGPR: 2
; COMPUTE_PGM_RSRC2:TRAP_HANDLER: 0
; COMPUTE_PGM_RSRC2:TGID_X_EN: 1
; COMPUTE_PGM_RSRC2:TGID_Y_EN: 0
; COMPUTE_PGM_RSRC2:TGID_Z_EN: 0
; COMPUTE_PGM_RSRC2:TIDIG_COMP_CNT: 0
; COMPUTE_PGM_RSRC3_GFX90A:ACCUM_OFFSET: 0
; COMPUTE_PGM_RSRC3_GFX90A:TG_SPLIT: 0
	.section	.text._ZN7rocprim17ROCPRIM_400000_NS6detail17trampoline_kernelINS0_14default_configENS1_22reduce_config_selectorItEEZNS1_11reduce_implILb1ES3_N6thrust23THRUST_200600_302600_NS6detail15normal_iteratorINS8_10device_ptrItEEEEPiiNS8_4plusIiEEEE10hipError_tPvRmT1_T2_T3_mT4_P12ihipStream_tbEUlT_E1_NS1_11comp_targetILNS1_3genE9ELNS1_11target_archE1100ELNS1_3gpuE3ELNS1_3repE0EEENS1_30default_config_static_selectorELNS0_4arch9wavefront6targetE1EEEvSK_,"axG",@progbits,_ZN7rocprim17ROCPRIM_400000_NS6detail17trampoline_kernelINS0_14default_configENS1_22reduce_config_selectorItEEZNS1_11reduce_implILb1ES3_N6thrust23THRUST_200600_302600_NS6detail15normal_iteratorINS8_10device_ptrItEEEEPiiNS8_4plusIiEEEE10hipError_tPvRmT1_T2_T3_mT4_P12ihipStream_tbEUlT_E1_NS1_11comp_targetILNS1_3genE9ELNS1_11target_archE1100ELNS1_3gpuE3ELNS1_3repE0EEENS1_30default_config_static_selectorELNS0_4arch9wavefront6targetE1EEEvSK_,comdat
	.protected	_ZN7rocprim17ROCPRIM_400000_NS6detail17trampoline_kernelINS0_14default_configENS1_22reduce_config_selectorItEEZNS1_11reduce_implILb1ES3_N6thrust23THRUST_200600_302600_NS6detail15normal_iteratorINS8_10device_ptrItEEEEPiiNS8_4plusIiEEEE10hipError_tPvRmT1_T2_T3_mT4_P12ihipStream_tbEUlT_E1_NS1_11comp_targetILNS1_3genE9ELNS1_11target_archE1100ELNS1_3gpuE3ELNS1_3repE0EEENS1_30default_config_static_selectorELNS0_4arch9wavefront6targetE1EEEvSK_ ; -- Begin function _ZN7rocprim17ROCPRIM_400000_NS6detail17trampoline_kernelINS0_14default_configENS1_22reduce_config_selectorItEEZNS1_11reduce_implILb1ES3_N6thrust23THRUST_200600_302600_NS6detail15normal_iteratorINS8_10device_ptrItEEEEPiiNS8_4plusIiEEEE10hipError_tPvRmT1_T2_T3_mT4_P12ihipStream_tbEUlT_E1_NS1_11comp_targetILNS1_3genE9ELNS1_11target_archE1100ELNS1_3gpuE3ELNS1_3repE0EEENS1_30default_config_static_selectorELNS0_4arch9wavefront6targetE1EEEvSK_
	.globl	_ZN7rocprim17ROCPRIM_400000_NS6detail17trampoline_kernelINS0_14default_configENS1_22reduce_config_selectorItEEZNS1_11reduce_implILb1ES3_N6thrust23THRUST_200600_302600_NS6detail15normal_iteratorINS8_10device_ptrItEEEEPiiNS8_4plusIiEEEE10hipError_tPvRmT1_T2_T3_mT4_P12ihipStream_tbEUlT_E1_NS1_11comp_targetILNS1_3genE9ELNS1_11target_archE1100ELNS1_3gpuE3ELNS1_3repE0EEENS1_30default_config_static_selectorELNS0_4arch9wavefront6targetE1EEEvSK_
	.p2align	8
	.type	_ZN7rocprim17ROCPRIM_400000_NS6detail17trampoline_kernelINS0_14default_configENS1_22reduce_config_selectorItEEZNS1_11reduce_implILb1ES3_N6thrust23THRUST_200600_302600_NS6detail15normal_iteratorINS8_10device_ptrItEEEEPiiNS8_4plusIiEEEE10hipError_tPvRmT1_T2_T3_mT4_P12ihipStream_tbEUlT_E1_NS1_11comp_targetILNS1_3genE9ELNS1_11target_archE1100ELNS1_3gpuE3ELNS1_3repE0EEENS1_30default_config_static_selectorELNS0_4arch9wavefront6targetE1EEEvSK_,@function
_ZN7rocprim17ROCPRIM_400000_NS6detail17trampoline_kernelINS0_14default_configENS1_22reduce_config_selectorItEEZNS1_11reduce_implILb1ES3_N6thrust23THRUST_200600_302600_NS6detail15normal_iteratorINS8_10device_ptrItEEEEPiiNS8_4plusIiEEEE10hipError_tPvRmT1_T2_T3_mT4_P12ihipStream_tbEUlT_E1_NS1_11comp_targetILNS1_3genE9ELNS1_11target_archE1100ELNS1_3gpuE3ELNS1_3repE0EEENS1_30default_config_static_selectorELNS0_4arch9wavefront6targetE1EEEvSK_: ; @_ZN7rocprim17ROCPRIM_400000_NS6detail17trampoline_kernelINS0_14default_configENS1_22reduce_config_selectorItEEZNS1_11reduce_implILb1ES3_N6thrust23THRUST_200600_302600_NS6detail15normal_iteratorINS8_10device_ptrItEEEEPiiNS8_4plusIiEEEE10hipError_tPvRmT1_T2_T3_mT4_P12ihipStream_tbEUlT_E1_NS1_11comp_targetILNS1_3genE9ELNS1_11target_archE1100ELNS1_3gpuE3ELNS1_3repE0EEENS1_30default_config_static_selectorELNS0_4arch9wavefront6targetE1EEEvSK_
; %bb.0:
	.section	.rodata,"a",@progbits
	.p2align	6, 0x0
	.amdhsa_kernel _ZN7rocprim17ROCPRIM_400000_NS6detail17trampoline_kernelINS0_14default_configENS1_22reduce_config_selectorItEEZNS1_11reduce_implILb1ES3_N6thrust23THRUST_200600_302600_NS6detail15normal_iteratorINS8_10device_ptrItEEEEPiiNS8_4plusIiEEEE10hipError_tPvRmT1_T2_T3_mT4_P12ihipStream_tbEUlT_E1_NS1_11comp_targetILNS1_3genE9ELNS1_11target_archE1100ELNS1_3gpuE3ELNS1_3repE0EEENS1_30default_config_static_selectorELNS0_4arch9wavefront6targetE1EEEvSK_
		.amdhsa_group_segment_fixed_size 0
		.amdhsa_private_segment_fixed_size 0
		.amdhsa_kernarg_size 40
		.amdhsa_user_sgpr_count 2
		.amdhsa_user_sgpr_dispatch_ptr 0
		.amdhsa_user_sgpr_queue_ptr 0
		.amdhsa_user_sgpr_kernarg_segment_ptr 1
		.amdhsa_user_sgpr_dispatch_id 0
		.amdhsa_user_sgpr_kernarg_preload_length 0
		.amdhsa_user_sgpr_kernarg_preload_offset 0
		.amdhsa_user_sgpr_private_segment_size 0
		.amdhsa_uses_dynamic_stack 0
		.amdhsa_enable_private_segment 0
		.amdhsa_system_sgpr_workgroup_id_x 1
		.amdhsa_system_sgpr_workgroup_id_y 0
		.amdhsa_system_sgpr_workgroup_id_z 0
		.amdhsa_system_sgpr_workgroup_info 0
		.amdhsa_system_vgpr_workitem_id 0
		.amdhsa_next_free_vgpr 1
		.amdhsa_next_free_sgpr 0
		.amdhsa_accum_offset 4
		.amdhsa_reserve_vcc 0
		.amdhsa_float_round_mode_32 0
		.amdhsa_float_round_mode_16_64 0
		.amdhsa_float_denorm_mode_32 3
		.amdhsa_float_denorm_mode_16_64 3
		.amdhsa_dx10_clamp 1
		.amdhsa_ieee_mode 1
		.amdhsa_fp16_overflow 0
		.amdhsa_tg_split 0
		.amdhsa_exception_fp_ieee_invalid_op 0
		.amdhsa_exception_fp_denorm_src 0
		.amdhsa_exception_fp_ieee_div_zero 0
		.amdhsa_exception_fp_ieee_overflow 0
		.amdhsa_exception_fp_ieee_underflow 0
		.amdhsa_exception_fp_ieee_inexact 0
		.amdhsa_exception_int_div_zero 0
	.end_amdhsa_kernel
	.section	.text._ZN7rocprim17ROCPRIM_400000_NS6detail17trampoline_kernelINS0_14default_configENS1_22reduce_config_selectorItEEZNS1_11reduce_implILb1ES3_N6thrust23THRUST_200600_302600_NS6detail15normal_iteratorINS8_10device_ptrItEEEEPiiNS8_4plusIiEEEE10hipError_tPvRmT1_T2_T3_mT4_P12ihipStream_tbEUlT_E1_NS1_11comp_targetILNS1_3genE9ELNS1_11target_archE1100ELNS1_3gpuE3ELNS1_3repE0EEENS1_30default_config_static_selectorELNS0_4arch9wavefront6targetE1EEEvSK_,"axG",@progbits,_ZN7rocprim17ROCPRIM_400000_NS6detail17trampoline_kernelINS0_14default_configENS1_22reduce_config_selectorItEEZNS1_11reduce_implILb1ES3_N6thrust23THRUST_200600_302600_NS6detail15normal_iteratorINS8_10device_ptrItEEEEPiiNS8_4plusIiEEEE10hipError_tPvRmT1_T2_T3_mT4_P12ihipStream_tbEUlT_E1_NS1_11comp_targetILNS1_3genE9ELNS1_11target_archE1100ELNS1_3gpuE3ELNS1_3repE0EEENS1_30default_config_static_selectorELNS0_4arch9wavefront6targetE1EEEvSK_,comdat
.Lfunc_end439:
	.size	_ZN7rocprim17ROCPRIM_400000_NS6detail17trampoline_kernelINS0_14default_configENS1_22reduce_config_selectorItEEZNS1_11reduce_implILb1ES3_N6thrust23THRUST_200600_302600_NS6detail15normal_iteratorINS8_10device_ptrItEEEEPiiNS8_4plusIiEEEE10hipError_tPvRmT1_T2_T3_mT4_P12ihipStream_tbEUlT_E1_NS1_11comp_targetILNS1_3genE9ELNS1_11target_archE1100ELNS1_3gpuE3ELNS1_3repE0EEENS1_30default_config_static_selectorELNS0_4arch9wavefront6targetE1EEEvSK_, .Lfunc_end439-_ZN7rocprim17ROCPRIM_400000_NS6detail17trampoline_kernelINS0_14default_configENS1_22reduce_config_selectorItEEZNS1_11reduce_implILb1ES3_N6thrust23THRUST_200600_302600_NS6detail15normal_iteratorINS8_10device_ptrItEEEEPiiNS8_4plusIiEEEE10hipError_tPvRmT1_T2_T3_mT4_P12ihipStream_tbEUlT_E1_NS1_11comp_targetILNS1_3genE9ELNS1_11target_archE1100ELNS1_3gpuE3ELNS1_3repE0EEENS1_30default_config_static_selectorELNS0_4arch9wavefront6targetE1EEEvSK_
                                        ; -- End function
	.set _ZN7rocprim17ROCPRIM_400000_NS6detail17trampoline_kernelINS0_14default_configENS1_22reduce_config_selectorItEEZNS1_11reduce_implILb1ES3_N6thrust23THRUST_200600_302600_NS6detail15normal_iteratorINS8_10device_ptrItEEEEPiiNS8_4plusIiEEEE10hipError_tPvRmT1_T2_T3_mT4_P12ihipStream_tbEUlT_E1_NS1_11comp_targetILNS1_3genE9ELNS1_11target_archE1100ELNS1_3gpuE3ELNS1_3repE0EEENS1_30default_config_static_selectorELNS0_4arch9wavefront6targetE1EEEvSK_.num_vgpr, 0
	.set _ZN7rocprim17ROCPRIM_400000_NS6detail17trampoline_kernelINS0_14default_configENS1_22reduce_config_selectorItEEZNS1_11reduce_implILb1ES3_N6thrust23THRUST_200600_302600_NS6detail15normal_iteratorINS8_10device_ptrItEEEEPiiNS8_4plusIiEEEE10hipError_tPvRmT1_T2_T3_mT4_P12ihipStream_tbEUlT_E1_NS1_11comp_targetILNS1_3genE9ELNS1_11target_archE1100ELNS1_3gpuE3ELNS1_3repE0EEENS1_30default_config_static_selectorELNS0_4arch9wavefront6targetE1EEEvSK_.num_agpr, 0
	.set _ZN7rocprim17ROCPRIM_400000_NS6detail17trampoline_kernelINS0_14default_configENS1_22reduce_config_selectorItEEZNS1_11reduce_implILb1ES3_N6thrust23THRUST_200600_302600_NS6detail15normal_iteratorINS8_10device_ptrItEEEEPiiNS8_4plusIiEEEE10hipError_tPvRmT1_T2_T3_mT4_P12ihipStream_tbEUlT_E1_NS1_11comp_targetILNS1_3genE9ELNS1_11target_archE1100ELNS1_3gpuE3ELNS1_3repE0EEENS1_30default_config_static_selectorELNS0_4arch9wavefront6targetE1EEEvSK_.numbered_sgpr, 0
	.set _ZN7rocprim17ROCPRIM_400000_NS6detail17trampoline_kernelINS0_14default_configENS1_22reduce_config_selectorItEEZNS1_11reduce_implILb1ES3_N6thrust23THRUST_200600_302600_NS6detail15normal_iteratorINS8_10device_ptrItEEEEPiiNS8_4plusIiEEEE10hipError_tPvRmT1_T2_T3_mT4_P12ihipStream_tbEUlT_E1_NS1_11comp_targetILNS1_3genE9ELNS1_11target_archE1100ELNS1_3gpuE3ELNS1_3repE0EEENS1_30default_config_static_selectorELNS0_4arch9wavefront6targetE1EEEvSK_.num_named_barrier, 0
	.set _ZN7rocprim17ROCPRIM_400000_NS6detail17trampoline_kernelINS0_14default_configENS1_22reduce_config_selectorItEEZNS1_11reduce_implILb1ES3_N6thrust23THRUST_200600_302600_NS6detail15normal_iteratorINS8_10device_ptrItEEEEPiiNS8_4plusIiEEEE10hipError_tPvRmT1_T2_T3_mT4_P12ihipStream_tbEUlT_E1_NS1_11comp_targetILNS1_3genE9ELNS1_11target_archE1100ELNS1_3gpuE3ELNS1_3repE0EEENS1_30default_config_static_selectorELNS0_4arch9wavefront6targetE1EEEvSK_.private_seg_size, 0
	.set _ZN7rocprim17ROCPRIM_400000_NS6detail17trampoline_kernelINS0_14default_configENS1_22reduce_config_selectorItEEZNS1_11reduce_implILb1ES3_N6thrust23THRUST_200600_302600_NS6detail15normal_iteratorINS8_10device_ptrItEEEEPiiNS8_4plusIiEEEE10hipError_tPvRmT1_T2_T3_mT4_P12ihipStream_tbEUlT_E1_NS1_11comp_targetILNS1_3genE9ELNS1_11target_archE1100ELNS1_3gpuE3ELNS1_3repE0EEENS1_30default_config_static_selectorELNS0_4arch9wavefront6targetE1EEEvSK_.uses_vcc, 0
	.set _ZN7rocprim17ROCPRIM_400000_NS6detail17trampoline_kernelINS0_14default_configENS1_22reduce_config_selectorItEEZNS1_11reduce_implILb1ES3_N6thrust23THRUST_200600_302600_NS6detail15normal_iteratorINS8_10device_ptrItEEEEPiiNS8_4plusIiEEEE10hipError_tPvRmT1_T2_T3_mT4_P12ihipStream_tbEUlT_E1_NS1_11comp_targetILNS1_3genE9ELNS1_11target_archE1100ELNS1_3gpuE3ELNS1_3repE0EEENS1_30default_config_static_selectorELNS0_4arch9wavefront6targetE1EEEvSK_.uses_flat_scratch, 0
	.set _ZN7rocprim17ROCPRIM_400000_NS6detail17trampoline_kernelINS0_14default_configENS1_22reduce_config_selectorItEEZNS1_11reduce_implILb1ES3_N6thrust23THRUST_200600_302600_NS6detail15normal_iteratorINS8_10device_ptrItEEEEPiiNS8_4plusIiEEEE10hipError_tPvRmT1_T2_T3_mT4_P12ihipStream_tbEUlT_E1_NS1_11comp_targetILNS1_3genE9ELNS1_11target_archE1100ELNS1_3gpuE3ELNS1_3repE0EEENS1_30default_config_static_selectorELNS0_4arch9wavefront6targetE1EEEvSK_.has_dyn_sized_stack, 0
	.set _ZN7rocprim17ROCPRIM_400000_NS6detail17trampoline_kernelINS0_14default_configENS1_22reduce_config_selectorItEEZNS1_11reduce_implILb1ES3_N6thrust23THRUST_200600_302600_NS6detail15normal_iteratorINS8_10device_ptrItEEEEPiiNS8_4plusIiEEEE10hipError_tPvRmT1_T2_T3_mT4_P12ihipStream_tbEUlT_E1_NS1_11comp_targetILNS1_3genE9ELNS1_11target_archE1100ELNS1_3gpuE3ELNS1_3repE0EEENS1_30default_config_static_selectorELNS0_4arch9wavefront6targetE1EEEvSK_.has_recursion, 0
	.set _ZN7rocprim17ROCPRIM_400000_NS6detail17trampoline_kernelINS0_14default_configENS1_22reduce_config_selectorItEEZNS1_11reduce_implILb1ES3_N6thrust23THRUST_200600_302600_NS6detail15normal_iteratorINS8_10device_ptrItEEEEPiiNS8_4plusIiEEEE10hipError_tPvRmT1_T2_T3_mT4_P12ihipStream_tbEUlT_E1_NS1_11comp_targetILNS1_3genE9ELNS1_11target_archE1100ELNS1_3gpuE3ELNS1_3repE0EEENS1_30default_config_static_selectorELNS0_4arch9wavefront6targetE1EEEvSK_.has_indirect_call, 0
	.section	.AMDGPU.csdata,"",@progbits
; Kernel info:
; codeLenInByte = 0
; TotalNumSgprs: 6
; NumVgprs: 0
; NumAgprs: 0
; TotalNumVgprs: 0
; ScratchSize: 0
; MemoryBound: 0
; FloatMode: 240
; IeeeMode: 1
; LDSByteSize: 0 bytes/workgroup (compile time only)
; SGPRBlocks: 0
; VGPRBlocks: 0
; NumSGPRsForWavesPerEU: 6
; NumVGPRsForWavesPerEU: 1
; AccumOffset: 4
; Occupancy: 8
; WaveLimiterHint : 0
; COMPUTE_PGM_RSRC2:SCRATCH_EN: 0
; COMPUTE_PGM_RSRC2:USER_SGPR: 2
; COMPUTE_PGM_RSRC2:TRAP_HANDLER: 0
; COMPUTE_PGM_RSRC2:TGID_X_EN: 1
; COMPUTE_PGM_RSRC2:TGID_Y_EN: 0
; COMPUTE_PGM_RSRC2:TGID_Z_EN: 0
; COMPUTE_PGM_RSRC2:TIDIG_COMP_CNT: 0
; COMPUTE_PGM_RSRC3_GFX90A:ACCUM_OFFSET: 0
; COMPUTE_PGM_RSRC3_GFX90A:TG_SPLIT: 0
	.section	.text._ZN7rocprim17ROCPRIM_400000_NS6detail17trampoline_kernelINS0_14default_configENS1_22reduce_config_selectorItEEZNS1_11reduce_implILb1ES3_N6thrust23THRUST_200600_302600_NS6detail15normal_iteratorINS8_10device_ptrItEEEEPiiNS8_4plusIiEEEE10hipError_tPvRmT1_T2_T3_mT4_P12ihipStream_tbEUlT_E1_NS1_11comp_targetILNS1_3genE8ELNS1_11target_archE1030ELNS1_3gpuE2ELNS1_3repE0EEENS1_30default_config_static_selectorELNS0_4arch9wavefront6targetE1EEEvSK_,"axG",@progbits,_ZN7rocprim17ROCPRIM_400000_NS6detail17trampoline_kernelINS0_14default_configENS1_22reduce_config_selectorItEEZNS1_11reduce_implILb1ES3_N6thrust23THRUST_200600_302600_NS6detail15normal_iteratorINS8_10device_ptrItEEEEPiiNS8_4plusIiEEEE10hipError_tPvRmT1_T2_T3_mT4_P12ihipStream_tbEUlT_E1_NS1_11comp_targetILNS1_3genE8ELNS1_11target_archE1030ELNS1_3gpuE2ELNS1_3repE0EEENS1_30default_config_static_selectorELNS0_4arch9wavefront6targetE1EEEvSK_,comdat
	.protected	_ZN7rocprim17ROCPRIM_400000_NS6detail17trampoline_kernelINS0_14default_configENS1_22reduce_config_selectorItEEZNS1_11reduce_implILb1ES3_N6thrust23THRUST_200600_302600_NS6detail15normal_iteratorINS8_10device_ptrItEEEEPiiNS8_4plusIiEEEE10hipError_tPvRmT1_T2_T3_mT4_P12ihipStream_tbEUlT_E1_NS1_11comp_targetILNS1_3genE8ELNS1_11target_archE1030ELNS1_3gpuE2ELNS1_3repE0EEENS1_30default_config_static_selectorELNS0_4arch9wavefront6targetE1EEEvSK_ ; -- Begin function _ZN7rocprim17ROCPRIM_400000_NS6detail17trampoline_kernelINS0_14default_configENS1_22reduce_config_selectorItEEZNS1_11reduce_implILb1ES3_N6thrust23THRUST_200600_302600_NS6detail15normal_iteratorINS8_10device_ptrItEEEEPiiNS8_4plusIiEEEE10hipError_tPvRmT1_T2_T3_mT4_P12ihipStream_tbEUlT_E1_NS1_11comp_targetILNS1_3genE8ELNS1_11target_archE1030ELNS1_3gpuE2ELNS1_3repE0EEENS1_30default_config_static_selectorELNS0_4arch9wavefront6targetE1EEEvSK_
	.globl	_ZN7rocprim17ROCPRIM_400000_NS6detail17trampoline_kernelINS0_14default_configENS1_22reduce_config_selectorItEEZNS1_11reduce_implILb1ES3_N6thrust23THRUST_200600_302600_NS6detail15normal_iteratorINS8_10device_ptrItEEEEPiiNS8_4plusIiEEEE10hipError_tPvRmT1_T2_T3_mT4_P12ihipStream_tbEUlT_E1_NS1_11comp_targetILNS1_3genE8ELNS1_11target_archE1030ELNS1_3gpuE2ELNS1_3repE0EEENS1_30default_config_static_selectorELNS0_4arch9wavefront6targetE1EEEvSK_
	.p2align	8
	.type	_ZN7rocprim17ROCPRIM_400000_NS6detail17trampoline_kernelINS0_14default_configENS1_22reduce_config_selectorItEEZNS1_11reduce_implILb1ES3_N6thrust23THRUST_200600_302600_NS6detail15normal_iteratorINS8_10device_ptrItEEEEPiiNS8_4plusIiEEEE10hipError_tPvRmT1_T2_T3_mT4_P12ihipStream_tbEUlT_E1_NS1_11comp_targetILNS1_3genE8ELNS1_11target_archE1030ELNS1_3gpuE2ELNS1_3repE0EEENS1_30default_config_static_selectorELNS0_4arch9wavefront6targetE1EEEvSK_,@function
_ZN7rocprim17ROCPRIM_400000_NS6detail17trampoline_kernelINS0_14default_configENS1_22reduce_config_selectorItEEZNS1_11reduce_implILb1ES3_N6thrust23THRUST_200600_302600_NS6detail15normal_iteratorINS8_10device_ptrItEEEEPiiNS8_4plusIiEEEE10hipError_tPvRmT1_T2_T3_mT4_P12ihipStream_tbEUlT_E1_NS1_11comp_targetILNS1_3genE8ELNS1_11target_archE1030ELNS1_3gpuE2ELNS1_3repE0EEENS1_30default_config_static_selectorELNS0_4arch9wavefront6targetE1EEEvSK_: ; @_ZN7rocprim17ROCPRIM_400000_NS6detail17trampoline_kernelINS0_14default_configENS1_22reduce_config_selectorItEEZNS1_11reduce_implILb1ES3_N6thrust23THRUST_200600_302600_NS6detail15normal_iteratorINS8_10device_ptrItEEEEPiiNS8_4plusIiEEEE10hipError_tPvRmT1_T2_T3_mT4_P12ihipStream_tbEUlT_E1_NS1_11comp_targetILNS1_3genE8ELNS1_11target_archE1030ELNS1_3gpuE2ELNS1_3repE0EEENS1_30default_config_static_selectorELNS0_4arch9wavefront6targetE1EEEvSK_
; %bb.0:
	.section	.rodata,"a",@progbits
	.p2align	6, 0x0
	.amdhsa_kernel _ZN7rocprim17ROCPRIM_400000_NS6detail17trampoline_kernelINS0_14default_configENS1_22reduce_config_selectorItEEZNS1_11reduce_implILb1ES3_N6thrust23THRUST_200600_302600_NS6detail15normal_iteratorINS8_10device_ptrItEEEEPiiNS8_4plusIiEEEE10hipError_tPvRmT1_T2_T3_mT4_P12ihipStream_tbEUlT_E1_NS1_11comp_targetILNS1_3genE8ELNS1_11target_archE1030ELNS1_3gpuE2ELNS1_3repE0EEENS1_30default_config_static_selectorELNS0_4arch9wavefront6targetE1EEEvSK_
		.amdhsa_group_segment_fixed_size 0
		.amdhsa_private_segment_fixed_size 0
		.amdhsa_kernarg_size 40
		.amdhsa_user_sgpr_count 2
		.amdhsa_user_sgpr_dispatch_ptr 0
		.amdhsa_user_sgpr_queue_ptr 0
		.amdhsa_user_sgpr_kernarg_segment_ptr 1
		.amdhsa_user_sgpr_dispatch_id 0
		.amdhsa_user_sgpr_kernarg_preload_length 0
		.amdhsa_user_sgpr_kernarg_preload_offset 0
		.amdhsa_user_sgpr_private_segment_size 0
		.amdhsa_uses_dynamic_stack 0
		.amdhsa_enable_private_segment 0
		.amdhsa_system_sgpr_workgroup_id_x 1
		.amdhsa_system_sgpr_workgroup_id_y 0
		.amdhsa_system_sgpr_workgroup_id_z 0
		.amdhsa_system_sgpr_workgroup_info 0
		.amdhsa_system_vgpr_workitem_id 0
		.amdhsa_next_free_vgpr 1
		.amdhsa_next_free_sgpr 0
		.amdhsa_accum_offset 4
		.amdhsa_reserve_vcc 0
		.amdhsa_float_round_mode_32 0
		.amdhsa_float_round_mode_16_64 0
		.amdhsa_float_denorm_mode_32 3
		.amdhsa_float_denorm_mode_16_64 3
		.amdhsa_dx10_clamp 1
		.amdhsa_ieee_mode 1
		.amdhsa_fp16_overflow 0
		.amdhsa_tg_split 0
		.amdhsa_exception_fp_ieee_invalid_op 0
		.amdhsa_exception_fp_denorm_src 0
		.amdhsa_exception_fp_ieee_div_zero 0
		.amdhsa_exception_fp_ieee_overflow 0
		.amdhsa_exception_fp_ieee_underflow 0
		.amdhsa_exception_fp_ieee_inexact 0
		.amdhsa_exception_int_div_zero 0
	.end_amdhsa_kernel
	.section	.text._ZN7rocprim17ROCPRIM_400000_NS6detail17trampoline_kernelINS0_14default_configENS1_22reduce_config_selectorItEEZNS1_11reduce_implILb1ES3_N6thrust23THRUST_200600_302600_NS6detail15normal_iteratorINS8_10device_ptrItEEEEPiiNS8_4plusIiEEEE10hipError_tPvRmT1_T2_T3_mT4_P12ihipStream_tbEUlT_E1_NS1_11comp_targetILNS1_3genE8ELNS1_11target_archE1030ELNS1_3gpuE2ELNS1_3repE0EEENS1_30default_config_static_selectorELNS0_4arch9wavefront6targetE1EEEvSK_,"axG",@progbits,_ZN7rocprim17ROCPRIM_400000_NS6detail17trampoline_kernelINS0_14default_configENS1_22reduce_config_selectorItEEZNS1_11reduce_implILb1ES3_N6thrust23THRUST_200600_302600_NS6detail15normal_iteratorINS8_10device_ptrItEEEEPiiNS8_4plusIiEEEE10hipError_tPvRmT1_T2_T3_mT4_P12ihipStream_tbEUlT_E1_NS1_11comp_targetILNS1_3genE8ELNS1_11target_archE1030ELNS1_3gpuE2ELNS1_3repE0EEENS1_30default_config_static_selectorELNS0_4arch9wavefront6targetE1EEEvSK_,comdat
.Lfunc_end440:
	.size	_ZN7rocprim17ROCPRIM_400000_NS6detail17trampoline_kernelINS0_14default_configENS1_22reduce_config_selectorItEEZNS1_11reduce_implILb1ES3_N6thrust23THRUST_200600_302600_NS6detail15normal_iteratorINS8_10device_ptrItEEEEPiiNS8_4plusIiEEEE10hipError_tPvRmT1_T2_T3_mT4_P12ihipStream_tbEUlT_E1_NS1_11comp_targetILNS1_3genE8ELNS1_11target_archE1030ELNS1_3gpuE2ELNS1_3repE0EEENS1_30default_config_static_selectorELNS0_4arch9wavefront6targetE1EEEvSK_, .Lfunc_end440-_ZN7rocprim17ROCPRIM_400000_NS6detail17trampoline_kernelINS0_14default_configENS1_22reduce_config_selectorItEEZNS1_11reduce_implILb1ES3_N6thrust23THRUST_200600_302600_NS6detail15normal_iteratorINS8_10device_ptrItEEEEPiiNS8_4plusIiEEEE10hipError_tPvRmT1_T2_T3_mT4_P12ihipStream_tbEUlT_E1_NS1_11comp_targetILNS1_3genE8ELNS1_11target_archE1030ELNS1_3gpuE2ELNS1_3repE0EEENS1_30default_config_static_selectorELNS0_4arch9wavefront6targetE1EEEvSK_
                                        ; -- End function
	.set _ZN7rocprim17ROCPRIM_400000_NS6detail17trampoline_kernelINS0_14default_configENS1_22reduce_config_selectorItEEZNS1_11reduce_implILb1ES3_N6thrust23THRUST_200600_302600_NS6detail15normal_iteratorINS8_10device_ptrItEEEEPiiNS8_4plusIiEEEE10hipError_tPvRmT1_T2_T3_mT4_P12ihipStream_tbEUlT_E1_NS1_11comp_targetILNS1_3genE8ELNS1_11target_archE1030ELNS1_3gpuE2ELNS1_3repE0EEENS1_30default_config_static_selectorELNS0_4arch9wavefront6targetE1EEEvSK_.num_vgpr, 0
	.set _ZN7rocprim17ROCPRIM_400000_NS6detail17trampoline_kernelINS0_14default_configENS1_22reduce_config_selectorItEEZNS1_11reduce_implILb1ES3_N6thrust23THRUST_200600_302600_NS6detail15normal_iteratorINS8_10device_ptrItEEEEPiiNS8_4plusIiEEEE10hipError_tPvRmT1_T2_T3_mT4_P12ihipStream_tbEUlT_E1_NS1_11comp_targetILNS1_3genE8ELNS1_11target_archE1030ELNS1_3gpuE2ELNS1_3repE0EEENS1_30default_config_static_selectorELNS0_4arch9wavefront6targetE1EEEvSK_.num_agpr, 0
	.set _ZN7rocprim17ROCPRIM_400000_NS6detail17trampoline_kernelINS0_14default_configENS1_22reduce_config_selectorItEEZNS1_11reduce_implILb1ES3_N6thrust23THRUST_200600_302600_NS6detail15normal_iteratorINS8_10device_ptrItEEEEPiiNS8_4plusIiEEEE10hipError_tPvRmT1_T2_T3_mT4_P12ihipStream_tbEUlT_E1_NS1_11comp_targetILNS1_3genE8ELNS1_11target_archE1030ELNS1_3gpuE2ELNS1_3repE0EEENS1_30default_config_static_selectorELNS0_4arch9wavefront6targetE1EEEvSK_.numbered_sgpr, 0
	.set _ZN7rocprim17ROCPRIM_400000_NS6detail17trampoline_kernelINS0_14default_configENS1_22reduce_config_selectorItEEZNS1_11reduce_implILb1ES3_N6thrust23THRUST_200600_302600_NS6detail15normal_iteratorINS8_10device_ptrItEEEEPiiNS8_4plusIiEEEE10hipError_tPvRmT1_T2_T3_mT4_P12ihipStream_tbEUlT_E1_NS1_11comp_targetILNS1_3genE8ELNS1_11target_archE1030ELNS1_3gpuE2ELNS1_3repE0EEENS1_30default_config_static_selectorELNS0_4arch9wavefront6targetE1EEEvSK_.num_named_barrier, 0
	.set _ZN7rocprim17ROCPRIM_400000_NS6detail17trampoline_kernelINS0_14default_configENS1_22reduce_config_selectorItEEZNS1_11reduce_implILb1ES3_N6thrust23THRUST_200600_302600_NS6detail15normal_iteratorINS8_10device_ptrItEEEEPiiNS8_4plusIiEEEE10hipError_tPvRmT1_T2_T3_mT4_P12ihipStream_tbEUlT_E1_NS1_11comp_targetILNS1_3genE8ELNS1_11target_archE1030ELNS1_3gpuE2ELNS1_3repE0EEENS1_30default_config_static_selectorELNS0_4arch9wavefront6targetE1EEEvSK_.private_seg_size, 0
	.set _ZN7rocprim17ROCPRIM_400000_NS6detail17trampoline_kernelINS0_14default_configENS1_22reduce_config_selectorItEEZNS1_11reduce_implILb1ES3_N6thrust23THRUST_200600_302600_NS6detail15normal_iteratorINS8_10device_ptrItEEEEPiiNS8_4plusIiEEEE10hipError_tPvRmT1_T2_T3_mT4_P12ihipStream_tbEUlT_E1_NS1_11comp_targetILNS1_3genE8ELNS1_11target_archE1030ELNS1_3gpuE2ELNS1_3repE0EEENS1_30default_config_static_selectorELNS0_4arch9wavefront6targetE1EEEvSK_.uses_vcc, 0
	.set _ZN7rocprim17ROCPRIM_400000_NS6detail17trampoline_kernelINS0_14default_configENS1_22reduce_config_selectorItEEZNS1_11reduce_implILb1ES3_N6thrust23THRUST_200600_302600_NS6detail15normal_iteratorINS8_10device_ptrItEEEEPiiNS8_4plusIiEEEE10hipError_tPvRmT1_T2_T3_mT4_P12ihipStream_tbEUlT_E1_NS1_11comp_targetILNS1_3genE8ELNS1_11target_archE1030ELNS1_3gpuE2ELNS1_3repE0EEENS1_30default_config_static_selectorELNS0_4arch9wavefront6targetE1EEEvSK_.uses_flat_scratch, 0
	.set _ZN7rocprim17ROCPRIM_400000_NS6detail17trampoline_kernelINS0_14default_configENS1_22reduce_config_selectorItEEZNS1_11reduce_implILb1ES3_N6thrust23THRUST_200600_302600_NS6detail15normal_iteratorINS8_10device_ptrItEEEEPiiNS8_4plusIiEEEE10hipError_tPvRmT1_T2_T3_mT4_P12ihipStream_tbEUlT_E1_NS1_11comp_targetILNS1_3genE8ELNS1_11target_archE1030ELNS1_3gpuE2ELNS1_3repE0EEENS1_30default_config_static_selectorELNS0_4arch9wavefront6targetE1EEEvSK_.has_dyn_sized_stack, 0
	.set _ZN7rocprim17ROCPRIM_400000_NS6detail17trampoline_kernelINS0_14default_configENS1_22reduce_config_selectorItEEZNS1_11reduce_implILb1ES3_N6thrust23THRUST_200600_302600_NS6detail15normal_iteratorINS8_10device_ptrItEEEEPiiNS8_4plusIiEEEE10hipError_tPvRmT1_T2_T3_mT4_P12ihipStream_tbEUlT_E1_NS1_11comp_targetILNS1_3genE8ELNS1_11target_archE1030ELNS1_3gpuE2ELNS1_3repE0EEENS1_30default_config_static_selectorELNS0_4arch9wavefront6targetE1EEEvSK_.has_recursion, 0
	.set _ZN7rocprim17ROCPRIM_400000_NS6detail17trampoline_kernelINS0_14default_configENS1_22reduce_config_selectorItEEZNS1_11reduce_implILb1ES3_N6thrust23THRUST_200600_302600_NS6detail15normal_iteratorINS8_10device_ptrItEEEEPiiNS8_4plusIiEEEE10hipError_tPvRmT1_T2_T3_mT4_P12ihipStream_tbEUlT_E1_NS1_11comp_targetILNS1_3genE8ELNS1_11target_archE1030ELNS1_3gpuE2ELNS1_3repE0EEENS1_30default_config_static_selectorELNS0_4arch9wavefront6targetE1EEEvSK_.has_indirect_call, 0
	.section	.AMDGPU.csdata,"",@progbits
; Kernel info:
; codeLenInByte = 0
; TotalNumSgprs: 6
; NumVgprs: 0
; NumAgprs: 0
; TotalNumVgprs: 0
; ScratchSize: 0
; MemoryBound: 0
; FloatMode: 240
; IeeeMode: 1
; LDSByteSize: 0 bytes/workgroup (compile time only)
; SGPRBlocks: 0
; VGPRBlocks: 0
; NumSGPRsForWavesPerEU: 6
; NumVGPRsForWavesPerEU: 1
; AccumOffset: 4
; Occupancy: 8
; WaveLimiterHint : 0
; COMPUTE_PGM_RSRC2:SCRATCH_EN: 0
; COMPUTE_PGM_RSRC2:USER_SGPR: 2
; COMPUTE_PGM_RSRC2:TRAP_HANDLER: 0
; COMPUTE_PGM_RSRC2:TGID_X_EN: 1
; COMPUTE_PGM_RSRC2:TGID_Y_EN: 0
; COMPUTE_PGM_RSRC2:TGID_Z_EN: 0
; COMPUTE_PGM_RSRC2:TIDIG_COMP_CNT: 0
; COMPUTE_PGM_RSRC3_GFX90A:ACCUM_OFFSET: 0
; COMPUTE_PGM_RSRC3_GFX90A:TG_SPLIT: 0
	.section	.text._ZN7rocprim17ROCPRIM_400000_NS6detail17trampoline_kernelINS0_14default_configENS1_22reduce_config_selectorItEEZNS1_11reduce_implILb1ES3_N6thrust23THRUST_200600_302600_NS6detail15normal_iteratorINS8_10device_ptrItEEEEPffNS8_4plusIfEEEE10hipError_tPvRmT1_T2_T3_mT4_P12ihipStream_tbEUlT_E0_NS1_11comp_targetILNS1_3genE0ELNS1_11target_archE4294967295ELNS1_3gpuE0ELNS1_3repE0EEENS1_30default_config_static_selectorELNS0_4arch9wavefront6targetE1EEEvSK_,"axG",@progbits,_ZN7rocprim17ROCPRIM_400000_NS6detail17trampoline_kernelINS0_14default_configENS1_22reduce_config_selectorItEEZNS1_11reduce_implILb1ES3_N6thrust23THRUST_200600_302600_NS6detail15normal_iteratorINS8_10device_ptrItEEEEPffNS8_4plusIfEEEE10hipError_tPvRmT1_T2_T3_mT4_P12ihipStream_tbEUlT_E0_NS1_11comp_targetILNS1_3genE0ELNS1_11target_archE4294967295ELNS1_3gpuE0ELNS1_3repE0EEENS1_30default_config_static_selectorELNS0_4arch9wavefront6targetE1EEEvSK_,comdat
	.protected	_ZN7rocprim17ROCPRIM_400000_NS6detail17trampoline_kernelINS0_14default_configENS1_22reduce_config_selectorItEEZNS1_11reduce_implILb1ES3_N6thrust23THRUST_200600_302600_NS6detail15normal_iteratorINS8_10device_ptrItEEEEPffNS8_4plusIfEEEE10hipError_tPvRmT1_T2_T3_mT4_P12ihipStream_tbEUlT_E0_NS1_11comp_targetILNS1_3genE0ELNS1_11target_archE4294967295ELNS1_3gpuE0ELNS1_3repE0EEENS1_30default_config_static_selectorELNS0_4arch9wavefront6targetE1EEEvSK_ ; -- Begin function _ZN7rocprim17ROCPRIM_400000_NS6detail17trampoline_kernelINS0_14default_configENS1_22reduce_config_selectorItEEZNS1_11reduce_implILb1ES3_N6thrust23THRUST_200600_302600_NS6detail15normal_iteratorINS8_10device_ptrItEEEEPffNS8_4plusIfEEEE10hipError_tPvRmT1_T2_T3_mT4_P12ihipStream_tbEUlT_E0_NS1_11comp_targetILNS1_3genE0ELNS1_11target_archE4294967295ELNS1_3gpuE0ELNS1_3repE0EEENS1_30default_config_static_selectorELNS0_4arch9wavefront6targetE1EEEvSK_
	.globl	_ZN7rocprim17ROCPRIM_400000_NS6detail17trampoline_kernelINS0_14default_configENS1_22reduce_config_selectorItEEZNS1_11reduce_implILb1ES3_N6thrust23THRUST_200600_302600_NS6detail15normal_iteratorINS8_10device_ptrItEEEEPffNS8_4plusIfEEEE10hipError_tPvRmT1_T2_T3_mT4_P12ihipStream_tbEUlT_E0_NS1_11comp_targetILNS1_3genE0ELNS1_11target_archE4294967295ELNS1_3gpuE0ELNS1_3repE0EEENS1_30default_config_static_selectorELNS0_4arch9wavefront6targetE1EEEvSK_
	.p2align	8
	.type	_ZN7rocprim17ROCPRIM_400000_NS6detail17trampoline_kernelINS0_14default_configENS1_22reduce_config_selectorItEEZNS1_11reduce_implILb1ES3_N6thrust23THRUST_200600_302600_NS6detail15normal_iteratorINS8_10device_ptrItEEEEPffNS8_4plusIfEEEE10hipError_tPvRmT1_T2_T3_mT4_P12ihipStream_tbEUlT_E0_NS1_11comp_targetILNS1_3genE0ELNS1_11target_archE4294967295ELNS1_3gpuE0ELNS1_3repE0EEENS1_30default_config_static_selectorELNS0_4arch9wavefront6targetE1EEEvSK_,@function
_ZN7rocprim17ROCPRIM_400000_NS6detail17trampoline_kernelINS0_14default_configENS1_22reduce_config_selectorItEEZNS1_11reduce_implILb1ES3_N6thrust23THRUST_200600_302600_NS6detail15normal_iteratorINS8_10device_ptrItEEEEPffNS8_4plusIfEEEE10hipError_tPvRmT1_T2_T3_mT4_P12ihipStream_tbEUlT_E0_NS1_11comp_targetILNS1_3genE0ELNS1_11target_archE4294967295ELNS1_3gpuE0ELNS1_3repE0EEENS1_30default_config_static_selectorELNS0_4arch9wavefront6targetE1EEEvSK_: ; @_ZN7rocprim17ROCPRIM_400000_NS6detail17trampoline_kernelINS0_14default_configENS1_22reduce_config_selectorItEEZNS1_11reduce_implILb1ES3_N6thrust23THRUST_200600_302600_NS6detail15normal_iteratorINS8_10device_ptrItEEEEPffNS8_4plusIfEEEE10hipError_tPvRmT1_T2_T3_mT4_P12ihipStream_tbEUlT_E0_NS1_11comp_targetILNS1_3genE0ELNS1_11target_archE4294967295ELNS1_3gpuE0ELNS1_3repE0EEENS1_30default_config_static_selectorELNS0_4arch9wavefront6targetE1EEEvSK_
; %bb.0:
	s_load_dwordx8 s[12:19], s[0:1], 0x0
	s_load_dwordx4 s[20:23], s[0:1], 0x20
	v_lshlrev_b32_e32 v10, 1, v0
	v_mbcnt_lo_u32_b32 v1, -1, 0
	s_waitcnt lgkmcnt(0)
	s_lshl_b64 s[4:5], s[14:15], 1
	s_add_u32 s10, s12, s4
	s_addc_u32 s11, s13, s5
	s_lshl_b32 s4, s2, 10
	s_mov_b32 s5, 0
	s_lshr_b64 s[6:7], s[16:17], 10
	s_lshl_b64 s[8:9], s[4:5], 1
	s_add_u32 s14, s10, s8
	s_mov_b32 s3, s5
	s_addc_u32 s15, s11, s9
	s_cmp_lg_u64 s[6:7], s[2:3]
	s_cbranch_scc0 .LBB441_6
; %bb.1:
	v_mov_b32_e32 v11, 0
	v_lshl_add_u64 v[2:3], s[14:15], 0, v[10:11]
	flat_load_ushort v5, v[2:3]
	flat_load_ushort v6, v[2:3] offset:256
	flat_load_ushort v7, v[2:3] offset:512
	;; [unrolled: 1-line block ×7, first 2 shown]
	v_mbcnt_hi_u32_b32 v3, -1, v1
	v_lshlrev_b32_e32 v4, 2, v3
	v_cmp_eq_u32_e32 vcc, 0, v3
	s_waitcnt vmcnt(0) lgkmcnt(0)
	v_cvt_f32_u32_e32 v2, v5
	v_cvt_f32_u32_e32 v5, v6
	;; [unrolled: 1-line block ×6, first 2 shown]
	v_add_f32_e32 v2, v2, v5
	v_cvt_f32_u32_e32 v11, v12
	v_add_f32_e32 v2, v2, v6
	v_cvt_f32_u32_e32 v12, v13
	v_add_f32_e32 v2, v2, v7
	v_add_f32_e32 v2, v2, v8
	;; [unrolled: 1-line block ×5, first 2 shown]
	v_or_b32_e32 v5, 0xfc, v4
	s_nop 0
	v_add_f32_dpp v2, v2, v2 quad_perm:[1,0,3,2] row_mask:0xf bank_mask:0xf bound_ctrl:1
	s_nop 1
	v_add_f32_dpp v2, v2, v2 quad_perm:[2,3,0,1] row_mask:0xf bank_mask:0xf bound_ctrl:1
	s_nop 1
	v_add_f32_dpp v2, v2, v2 row_ror:4 row_mask:0xf bank_mask:0xf bound_ctrl:1
	s_nop 1
	v_add_f32_dpp v2, v2, v2 row_ror:8 row_mask:0xf bank_mask:0xf bound_ctrl:1
	s_nop 1
	v_add_f32_dpp v2, v2, v2 row_bcast:15 row_mask:0xf bank_mask:0xf bound_ctrl:1
	s_nop 1
	v_add_f32_dpp v2, v2, v2 row_bcast:31 row_mask:0xf bank_mask:0xf bound_ctrl:1
	ds_bpermute_b32 v2, v5, v2
	s_and_saveexec_b64 s[6:7], vcc
	s_cbranch_execz .LBB441_3
; %bb.2:
	v_lshrrev_b32_e32 v5, 4, v0
	v_and_b32_e32 v5, 4, v5
	s_waitcnt lgkmcnt(0)
	ds_write_b32 v5, v2
.LBB441_3:
	s_or_b64 exec, exec, s[6:7]
	v_cmp_gt_u32_e32 vcc, 64, v0
	s_waitcnt lgkmcnt(0)
	s_barrier
	s_and_saveexec_b64 s[6:7], vcc
	s_cbranch_execz .LBB441_5
; %bb.4:
	v_and_b32_e32 v2, 1, v3
	v_lshlrev_b32_e32 v2, 2, v2
	ds_read_b32 v2, v2
	v_or_b32_e32 v3, 4, v4
	s_waitcnt lgkmcnt(0)
	ds_bpermute_b32 v3, v3, v2
	s_waitcnt lgkmcnt(0)
	v_add_f32_e32 v2, v2, v3
.LBB441_5:
	s_or_b64 exec, exec, s[6:7]
	s_load_dword s26, s[0:1], 0x30
	s_branch .LBB441_28
.LBB441_6:
                                        ; implicit-def: $vgpr2
	s_load_dword s26, s[0:1], 0x30
	s_cbranch_execz .LBB441_28
; %bb.7:
	s_sub_i32 s27, s16, s4
	v_mov_b32_e32 v2, 0
	v_cmp_gt_u32_e32 vcc, s27, v0
	v_mov_b32_e32 v3, v2
	v_mov_b32_e32 v4, v2
	;; [unrolled: 1-line block ×7, first 2 shown]
	s_and_saveexec_b64 s[0:1], vcc
	s_cbranch_execz .LBB441_9
; %bb.8:
	v_mov_b32_e32 v11, v2
	v_lshl_add_u64 v[4:5], s[14:15], 0, v[10:11]
	flat_load_ushort v3, v[4:5]
	v_mov_b32_e32 v13, v2
	v_mov_b32_e32 v14, v2
	;; [unrolled: 1-line block ×7, first 2 shown]
	s_waitcnt vmcnt(0) lgkmcnt(0)
	v_cvt_f32_u32_e32 v12, v3
	v_mov_b64_e32 v[2:3], v[12:13]
	v_mov_b64_e32 v[4:5], v[14:15]
	;; [unrolled: 1-line block ×4, first 2 shown]
.LBB441_9:
	s_or_b64 exec, exec, s[0:1]
	v_or_b32_e32 v11, 0x80, v0
	v_cmp_gt_u32_e32 vcc, s27, v11
	s_and_saveexec_b64 s[0:1], vcc
	s_cbranch_execz .LBB441_11
; %bb.10:
	v_mov_b32_e32 v11, 0
	v_lshl_add_u64 v[12:13], s[14:15], 0, v[10:11]
	flat_load_ushort v3, v[12:13] offset:256
	s_waitcnt vmcnt(0) lgkmcnt(0)
	v_cvt_f32_u32_e32 v3, v3
.LBB441_11:
	s_or_b64 exec, exec, s[0:1]
	v_or_b32_e32 v11, 0x100, v0
	v_cmp_gt_u32_e64 s[0:1], s27, v11
	s_and_saveexec_b64 s[4:5], s[0:1]
	s_cbranch_execz .LBB441_13
; %bb.12:
	v_mov_b32_e32 v11, 0
	v_lshl_add_u64 v[12:13], s[14:15], 0, v[10:11]
	flat_load_ushort v4, v[12:13] offset:512
	s_waitcnt vmcnt(0) lgkmcnt(0)
	v_cvt_f32_u32_e32 v4, v4
.LBB441_13:
	s_or_b64 exec, exec, s[4:5]
	v_or_b32_e32 v11, 0x180, v0
	v_cmp_gt_u32_e64 s[4:5], s27, v11
	s_and_saveexec_b64 s[6:7], s[4:5]
	;; [unrolled: 12-line block ×6, first 2 shown]
	s_cbranch_execz .LBB441_23
; %bb.22:
	v_mov_b32_e32 v11, 0
	v_lshl_add_u64 v[10:11], s[14:15], 0, v[10:11]
	flat_load_ushort v9, v[10:11] offset:1792
	s_waitcnt vmcnt(0) lgkmcnt(0)
	v_cvt_f32_u32_e32 v9, v9
.LBB441_23:
	s_or_b64 exec, exec, s[24:25]
	v_add_f32_e32 v3, v2, v3
	v_cndmask_b32_e32 v2, v2, v3, vcc
	v_add_f32_e32 v3, v4, v2
	v_cndmask_b32_e64 v2, v2, v3, s[0:1]
	v_add_f32_e32 v3, v5, v2
	v_cndmask_b32_e64 v2, v2, v3, s[4:5]
	;; [unrolled: 2-line block ×4, first 2 shown]
	v_add_f32_e32 v3, v8, v2
	v_mbcnt_hi_u32_b32 v1, -1, v1
	v_cndmask_b32_e64 v2, v2, v3, s[10:11]
	v_and_b32_e32 v4, 63, v1
	v_add_f32_e32 v3, v9, v2
	v_cmp_ne_u32_e32 vcc, 63, v4
	v_cndmask_b32_e64 v2, v2, v3, s[12:13]
	s_min_u32 s4, s27, 0x80
	v_addc_co_u32_e32 v3, vcc, 0, v1, vcc
	v_lshlrev_b32_e32 v3, 2, v3
	ds_bpermute_b32 v3, v3, v2
	v_and_b32_e32 v5, 64, v0
	v_sub_u32_e64 v5, s4, v5 clamp
	v_add_u32_e32 v6, 1, v4
	v_cmp_gt_u32_e64 s[0:1], 62, v4
	s_waitcnt lgkmcnt(0)
	v_add_f32_e32 v3, v2, v3
	v_cmp_lt_u32_e32 vcc, v6, v5
	v_cndmask_b32_e64 v6, 0, 2, s[0:1]
	v_add_lshl_u32 v6, v6, v1, 2
	v_cndmask_b32_e32 v3, v2, v3, vcc
	ds_bpermute_b32 v6, v6, v3
	v_add_u32_e32 v7, 2, v4
	v_cmp_lt_u32_e64 s[0:1], v7, v5
	v_add_u32_e32 v7, 4, v4
	s_waitcnt lgkmcnt(0)
	v_add_f32_e32 v6, v3, v6
	v_cndmask_b32_e64 v3, v3, v6, s[0:1]
	v_cmp_gt_u32_e64 s[0:1], 60, v4
	s_nop 1
	v_cndmask_b32_e64 v6, 0, 4, s[0:1]
	v_add_lshl_u32 v6, v6, v1, 2
	ds_bpermute_b32 v6, v6, v3
	v_cmp_lt_u32_e64 s[0:1], v7, v5
	v_add_u32_e32 v7, 8, v4
	s_waitcnt lgkmcnt(0)
	v_add_f32_e32 v6, v3, v6
	v_cndmask_b32_e64 v3, v3, v6, s[0:1]
	v_cmp_gt_u32_e64 s[0:1], 56, v4
	s_nop 1
	v_cndmask_b32_e64 v6, 0, 8, s[0:1]
	v_add_lshl_u32 v6, v6, v1, 2
	ds_bpermute_b32 v6, v6, v3
	v_cmp_lt_u32_e64 s[0:1], v7, v5
	v_add_u32_e32 v7, 16, v4
	s_waitcnt lgkmcnt(0)
	v_add_f32_e32 v6, v3, v6
	v_cndmask_b32_e64 v3, v3, v6, s[0:1]
	v_cmp_gt_u32_e64 s[0:1], 48, v4
	v_add_u32_e32 v4, 32, v4
	s_nop 0
	v_cndmask_b32_e64 v6, 0, 16, s[0:1]
	v_add_lshl_u32 v6, v6, v1, 2
	ds_bpermute_b32 v6, v6, v3
	v_cmp_lt_u32_e64 s[0:1], v7, v5
	s_waitcnt lgkmcnt(0)
	v_add_f32_e32 v6, v3, v6
	v_cndmask_b32_e64 v6, v3, v6, s[0:1]
	v_lshlrev_b32_e32 v3, 2, v1
	v_or_b32_e32 v7, 0x80, v3
	ds_bpermute_b32 v7, v7, v6
	v_cmp_lt_u32_e64 s[0:1], v4, v5
	s_waitcnt lgkmcnt(0)
	v_add_f32_e32 v7, v6, v7
	v_cndmask_b32_e64 v4, v6, v7, s[0:1]
	v_cndmask_b32_e32 v2, v2, v4, vcc
	v_cmp_eq_u32_e32 vcc, 0, v1
	s_and_saveexec_b64 s[0:1], vcc
; %bb.24:
	v_lshrrev_b32_e32 v4, 4, v0
	v_and_b32_e32 v4, 4, v4
	ds_write_b32 v4, v2 offset:8
; %bb.25:
	s_or_b64 exec, exec, s[0:1]
	v_cmp_gt_u32_e32 vcc, 2, v0
	s_waitcnt lgkmcnt(0)
	s_barrier
	s_and_saveexec_b64 s[0:1], vcc
	s_cbranch_execz .LBB441_27
; %bb.26:
	ds_read_b32 v2, v3 offset:8
	v_or_b32_e32 v3, 4, v3
	s_add_i32 s4, s4, 63
	v_and_b32_e32 v1, 1, v1
	s_lshr_b32 s4, s4, 6
	s_waitcnt lgkmcnt(0)
	ds_bpermute_b32 v3, v3, v2
	v_add_u32_e32 v1, 1, v1
	v_cmp_gt_u32_e32 vcc, s4, v1
	s_waitcnt lgkmcnt(0)
	v_add_f32_e32 v3, v2, v3
	v_cndmask_b32_e32 v2, v2, v3, vcc
.LBB441_27:
	s_or_b64 exec, exec, s[0:1]
.LBB441_28:
	v_cmp_eq_u32_e32 vcc, 0, v0
	s_and_saveexec_b64 s[0:1], vcc
	s_cbranch_execnz .LBB441_30
; %bb.29:
	s_endpgm
.LBB441_30:
	s_mul_i32 s0, s22, s21
	s_mul_hi_u32 s1, s22, s20
	s_add_i32 s0, s1, s0
	s_mul_i32 s1, s23, s20
	s_add_i32 s1, s0, s1
	s_mul_i32 s0, s22, s20
	s_lshl_b64 s[0:1], s[0:1], 2
	s_add_u32 s4, s18, s0
	s_addc_u32 s5, s19, s1
	s_cmp_eq_u64 s[16:17], 0
	s_cselect_b64 vcc, -1, 0
	s_lshl_b64 s[0:1], s[2:3], 2
	s_waitcnt lgkmcnt(0)
	v_mov_b32_e32 v0, s26
	s_add_u32 s0, s4, s0
	v_cndmask_b32_e32 v0, v2, v0, vcc
	s_addc_u32 s1, s5, s1
	v_mov_b32_e32 v1, 0
	global_store_dword v1, v0, s[0:1]
	s_endpgm
	.section	.rodata,"a",@progbits
	.p2align	6, 0x0
	.amdhsa_kernel _ZN7rocprim17ROCPRIM_400000_NS6detail17trampoline_kernelINS0_14default_configENS1_22reduce_config_selectorItEEZNS1_11reduce_implILb1ES3_N6thrust23THRUST_200600_302600_NS6detail15normal_iteratorINS8_10device_ptrItEEEEPffNS8_4plusIfEEEE10hipError_tPvRmT1_T2_T3_mT4_P12ihipStream_tbEUlT_E0_NS1_11comp_targetILNS1_3genE0ELNS1_11target_archE4294967295ELNS1_3gpuE0ELNS1_3repE0EEENS1_30default_config_static_selectorELNS0_4arch9wavefront6targetE1EEEvSK_
		.amdhsa_group_segment_fixed_size 16
		.amdhsa_private_segment_fixed_size 0
		.amdhsa_kernarg_size 56
		.amdhsa_user_sgpr_count 2
		.amdhsa_user_sgpr_dispatch_ptr 0
		.amdhsa_user_sgpr_queue_ptr 0
		.amdhsa_user_sgpr_kernarg_segment_ptr 1
		.amdhsa_user_sgpr_dispatch_id 0
		.amdhsa_user_sgpr_kernarg_preload_length 0
		.amdhsa_user_sgpr_kernarg_preload_offset 0
		.amdhsa_user_sgpr_private_segment_size 0
		.amdhsa_uses_dynamic_stack 0
		.amdhsa_enable_private_segment 0
		.amdhsa_system_sgpr_workgroup_id_x 1
		.amdhsa_system_sgpr_workgroup_id_y 0
		.amdhsa_system_sgpr_workgroup_id_z 0
		.amdhsa_system_sgpr_workgroup_info 0
		.amdhsa_system_vgpr_workitem_id 0
		.amdhsa_next_free_vgpr 20
		.amdhsa_next_free_sgpr 28
		.amdhsa_accum_offset 20
		.amdhsa_reserve_vcc 1
		.amdhsa_float_round_mode_32 0
		.amdhsa_float_round_mode_16_64 0
		.amdhsa_float_denorm_mode_32 3
		.amdhsa_float_denorm_mode_16_64 3
		.amdhsa_dx10_clamp 1
		.amdhsa_ieee_mode 1
		.amdhsa_fp16_overflow 0
		.amdhsa_tg_split 0
		.amdhsa_exception_fp_ieee_invalid_op 0
		.amdhsa_exception_fp_denorm_src 0
		.amdhsa_exception_fp_ieee_div_zero 0
		.amdhsa_exception_fp_ieee_overflow 0
		.amdhsa_exception_fp_ieee_underflow 0
		.amdhsa_exception_fp_ieee_inexact 0
		.amdhsa_exception_int_div_zero 0
	.end_amdhsa_kernel
	.section	.text._ZN7rocprim17ROCPRIM_400000_NS6detail17trampoline_kernelINS0_14default_configENS1_22reduce_config_selectorItEEZNS1_11reduce_implILb1ES3_N6thrust23THRUST_200600_302600_NS6detail15normal_iteratorINS8_10device_ptrItEEEEPffNS8_4plusIfEEEE10hipError_tPvRmT1_T2_T3_mT4_P12ihipStream_tbEUlT_E0_NS1_11comp_targetILNS1_3genE0ELNS1_11target_archE4294967295ELNS1_3gpuE0ELNS1_3repE0EEENS1_30default_config_static_selectorELNS0_4arch9wavefront6targetE1EEEvSK_,"axG",@progbits,_ZN7rocprim17ROCPRIM_400000_NS6detail17trampoline_kernelINS0_14default_configENS1_22reduce_config_selectorItEEZNS1_11reduce_implILb1ES3_N6thrust23THRUST_200600_302600_NS6detail15normal_iteratorINS8_10device_ptrItEEEEPffNS8_4plusIfEEEE10hipError_tPvRmT1_T2_T3_mT4_P12ihipStream_tbEUlT_E0_NS1_11comp_targetILNS1_3genE0ELNS1_11target_archE4294967295ELNS1_3gpuE0ELNS1_3repE0EEENS1_30default_config_static_selectorELNS0_4arch9wavefront6targetE1EEEvSK_,comdat
.Lfunc_end441:
	.size	_ZN7rocprim17ROCPRIM_400000_NS6detail17trampoline_kernelINS0_14default_configENS1_22reduce_config_selectorItEEZNS1_11reduce_implILb1ES3_N6thrust23THRUST_200600_302600_NS6detail15normal_iteratorINS8_10device_ptrItEEEEPffNS8_4plusIfEEEE10hipError_tPvRmT1_T2_T3_mT4_P12ihipStream_tbEUlT_E0_NS1_11comp_targetILNS1_3genE0ELNS1_11target_archE4294967295ELNS1_3gpuE0ELNS1_3repE0EEENS1_30default_config_static_selectorELNS0_4arch9wavefront6targetE1EEEvSK_, .Lfunc_end441-_ZN7rocprim17ROCPRIM_400000_NS6detail17trampoline_kernelINS0_14default_configENS1_22reduce_config_selectorItEEZNS1_11reduce_implILb1ES3_N6thrust23THRUST_200600_302600_NS6detail15normal_iteratorINS8_10device_ptrItEEEEPffNS8_4plusIfEEEE10hipError_tPvRmT1_T2_T3_mT4_P12ihipStream_tbEUlT_E0_NS1_11comp_targetILNS1_3genE0ELNS1_11target_archE4294967295ELNS1_3gpuE0ELNS1_3repE0EEENS1_30default_config_static_selectorELNS0_4arch9wavefront6targetE1EEEvSK_
                                        ; -- End function
	.set _ZN7rocprim17ROCPRIM_400000_NS6detail17trampoline_kernelINS0_14default_configENS1_22reduce_config_selectorItEEZNS1_11reduce_implILb1ES3_N6thrust23THRUST_200600_302600_NS6detail15normal_iteratorINS8_10device_ptrItEEEEPffNS8_4plusIfEEEE10hipError_tPvRmT1_T2_T3_mT4_P12ihipStream_tbEUlT_E0_NS1_11comp_targetILNS1_3genE0ELNS1_11target_archE4294967295ELNS1_3gpuE0ELNS1_3repE0EEENS1_30default_config_static_selectorELNS0_4arch9wavefront6targetE1EEEvSK_.num_vgpr, 20
	.set _ZN7rocprim17ROCPRIM_400000_NS6detail17trampoline_kernelINS0_14default_configENS1_22reduce_config_selectorItEEZNS1_11reduce_implILb1ES3_N6thrust23THRUST_200600_302600_NS6detail15normal_iteratorINS8_10device_ptrItEEEEPffNS8_4plusIfEEEE10hipError_tPvRmT1_T2_T3_mT4_P12ihipStream_tbEUlT_E0_NS1_11comp_targetILNS1_3genE0ELNS1_11target_archE4294967295ELNS1_3gpuE0ELNS1_3repE0EEENS1_30default_config_static_selectorELNS0_4arch9wavefront6targetE1EEEvSK_.num_agpr, 0
	.set _ZN7rocprim17ROCPRIM_400000_NS6detail17trampoline_kernelINS0_14default_configENS1_22reduce_config_selectorItEEZNS1_11reduce_implILb1ES3_N6thrust23THRUST_200600_302600_NS6detail15normal_iteratorINS8_10device_ptrItEEEEPffNS8_4plusIfEEEE10hipError_tPvRmT1_T2_T3_mT4_P12ihipStream_tbEUlT_E0_NS1_11comp_targetILNS1_3genE0ELNS1_11target_archE4294967295ELNS1_3gpuE0ELNS1_3repE0EEENS1_30default_config_static_selectorELNS0_4arch9wavefront6targetE1EEEvSK_.numbered_sgpr, 28
	.set _ZN7rocprim17ROCPRIM_400000_NS6detail17trampoline_kernelINS0_14default_configENS1_22reduce_config_selectorItEEZNS1_11reduce_implILb1ES3_N6thrust23THRUST_200600_302600_NS6detail15normal_iteratorINS8_10device_ptrItEEEEPffNS8_4plusIfEEEE10hipError_tPvRmT1_T2_T3_mT4_P12ihipStream_tbEUlT_E0_NS1_11comp_targetILNS1_3genE0ELNS1_11target_archE4294967295ELNS1_3gpuE0ELNS1_3repE0EEENS1_30default_config_static_selectorELNS0_4arch9wavefront6targetE1EEEvSK_.num_named_barrier, 0
	.set _ZN7rocprim17ROCPRIM_400000_NS6detail17trampoline_kernelINS0_14default_configENS1_22reduce_config_selectorItEEZNS1_11reduce_implILb1ES3_N6thrust23THRUST_200600_302600_NS6detail15normal_iteratorINS8_10device_ptrItEEEEPffNS8_4plusIfEEEE10hipError_tPvRmT1_T2_T3_mT4_P12ihipStream_tbEUlT_E0_NS1_11comp_targetILNS1_3genE0ELNS1_11target_archE4294967295ELNS1_3gpuE0ELNS1_3repE0EEENS1_30default_config_static_selectorELNS0_4arch9wavefront6targetE1EEEvSK_.private_seg_size, 0
	.set _ZN7rocprim17ROCPRIM_400000_NS6detail17trampoline_kernelINS0_14default_configENS1_22reduce_config_selectorItEEZNS1_11reduce_implILb1ES3_N6thrust23THRUST_200600_302600_NS6detail15normal_iteratorINS8_10device_ptrItEEEEPffNS8_4plusIfEEEE10hipError_tPvRmT1_T2_T3_mT4_P12ihipStream_tbEUlT_E0_NS1_11comp_targetILNS1_3genE0ELNS1_11target_archE4294967295ELNS1_3gpuE0ELNS1_3repE0EEENS1_30default_config_static_selectorELNS0_4arch9wavefront6targetE1EEEvSK_.uses_vcc, 1
	.set _ZN7rocprim17ROCPRIM_400000_NS6detail17trampoline_kernelINS0_14default_configENS1_22reduce_config_selectorItEEZNS1_11reduce_implILb1ES3_N6thrust23THRUST_200600_302600_NS6detail15normal_iteratorINS8_10device_ptrItEEEEPffNS8_4plusIfEEEE10hipError_tPvRmT1_T2_T3_mT4_P12ihipStream_tbEUlT_E0_NS1_11comp_targetILNS1_3genE0ELNS1_11target_archE4294967295ELNS1_3gpuE0ELNS1_3repE0EEENS1_30default_config_static_selectorELNS0_4arch9wavefront6targetE1EEEvSK_.uses_flat_scratch, 0
	.set _ZN7rocprim17ROCPRIM_400000_NS6detail17trampoline_kernelINS0_14default_configENS1_22reduce_config_selectorItEEZNS1_11reduce_implILb1ES3_N6thrust23THRUST_200600_302600_NS6detail15normal_iteratorINS8_10device_ptrItEEEEPffNS8_4plusIfEEEE10hipError_tPvRmT1_T2_T3_mT4_P12ihipStream_tbEUlT_E0_NS1_11comp_targetILNS1_3genE0ELNS1_11target_archE4294967295ELNS1_3gpuE0ELNS1_3repE0EEENS1_30default_config_static_selectorELNS0_4arch9wavefront6targetE1EEEvSK_.has_dyn_sized_stack, 0
	.set _ZN7rocprim17ROCPRIM_400000_NS6detail17trampoline_kernelINS0_14default_configENS1_22reduce_config_selectorItEEZNS1_11reduce_implILb1ES3_N6thrust23THRUST_200600_302600_NS6detail15normal_iteratorINS8_10device_ptrItEEEEPffNS8_4plusIfEEEE10hipError_tPvRmT1_T2_T3_mT4_P12ihipStream_tbEUlT_E0_NS1_11comp_targetILNS1_3genE0ELNS1_11target_archE4294967295ELNS1_3gpuE0ELNS1_3repE0EEENS1_30default_config_static_selectorELNS0_4arch9wavefront6targetE1EEEvSK_.has_recursion, 0
	.set _ZN7rocprim17ROCPRIM_400000_NS6detail17trampoline_kernelINS0_14default_configENS1_22reduce_config_selectorItEEZNS1_11reduce_implILb1ES3_N6thrust23THRUST_200600_302600_NS6detail15normal_iteratorINS8_10device_ptrItEEEEPffNS8_4plusIfEEEE10hipError_tPvRmT1_T2_T3_mT4_P12ihipStream_tbEUlT_E0_NS1_11comp_targetILNS1_3genE0ELNS1_11target_archE4294967295ELNS1_3gpuE0ELNS1_3repE0EEENS1_30default_config_static_selectorELNS0_4arch9wavefront6targetE1EEEvSK_.has_indirect_call, 0
	.section	.AMDGPU.csdata,"",@progbits
; Kernel info:
; codeLenInByte = 1620
; TotalNumSgprs: 34
; NumVgprs: 20
; NumAgprs: 0
; TotalNumVgprs: 20
; ScratchSize: 0
; MemoryBound: 0
; FloatMode: 240
; IeeeMode: 1
; LDSByteSize: 16 bytes/workgroup (compile time only)
; SGPRBlocks: 4
; VGPRBlocks: 2
; NumSGPRsForWavesPerEU: 34
; NumVGPRsForWavesPerEU: 20
; AccumOffset: 20
; Occupancy: 8
; WaveLimiterHint : 1
; COMPUTE_PGM_RSRC2:SCRATCH_EN: 0
; COMPUTE_PGM_RSRC2:USER_SGPR: 2
; COMPUTE_PGM_RSRC2:TRAP_HANDLER: 0
; COMPUTE_PGM_RSRC2:TGID_X_EN: 1
; COMPUTE_PGM_RSRC2:TGID_Y_EN: 0
; COMPUTE_PGM_RSRC2:TGID_Z_EN: 0
; COMPUTE_PGM_RSRC2:TIDIG_COMP_CNT: 0
; COMPUTE_PGM_RSRC3_GFX90A:ACCUM_OFFSET: 4
; COMPUTE_PGM_RSRC3_GFX90A:TG_SPLIT: 0
	.section	.text._ZN7rocprim17ROCPRIM_400000_NS6detail17trampoline_kernelINS0_14default_configENS1_22reduce_config_selectorItEEZNS1_11reduce_implILb1ES3_N6thrust23THRUST_200600_302600_NS6detail15normal_iteratorINS8_10device_ptrItEEEEPffNS8_4plusIfEEEE10hipError_tPvRmT1_T2_T3_mT4_P12ihipStream_tbEUlT_E0_NS1_11comp_targetILNS1_3genE5ELNS1_11target_archE942ELNS1_3gpuE9ELNS1_3repE0EEENS1_30default_config_static_selectorELNS0_4arch9wavefront6targetE1EEEvSK_,"axG",@progbits,_ZN7rocprim17ROCPRIM_400000_NS6detail17trampoline_kernelINS0_14default_configENS1_22reduce_config_selectorItEEZNS1_11reduce_implILb1ES3_N6thrust23THRUST_200600_302600_NS6detail15normal_iteratorINS8_10device_ptrItEEEEPffNS8_4plusIfEEEE10hipError_tPvRmT1_T2_T3_mT4_P12ihipStream_tbEUlT_E0_NS1_11comp_targetILNS1_3genE5ELNS1_11target_archE942ELNS1_3gpuE9ELNS1_3repE0EEENS1_30default_config_static_selectorELNS0_4arch9wavefront6targetE1EEEvSK_,comdat
	.protected	_ZN7rocprim17ROCPRIM_400000_NS6detail17trampoline_kernelINS0_14default_configENS1_22reduce_config_selectorItEEZNS1_11reduce_implILb1ES3_N6thrust23THRUST_200600_302600_NS6detail15normal_iteratorINS8_10device_ptrItEEEEPffNS8_4plusIfEEEE10hipError_tPvRmT1_T2_T3_mT4_P12ihipStream_tbEUlT_E0_NS1_11comp_targetILNS1_3genE5ELNS1_11target_archE942ELNS1_3gpuE9ELNS1_3repE0EEENS1_30default_config_static_selectorELNS0_4arch9wavefront6targetE1EEEvSK_ ; -- Begin function _ZN7rocprim17ROCPRIM_400000_NS6detail17trampoline_kernelINS0_14default_configENS1_22reduce_config_selectorItEEZNS1_11reduce_implILb1ES3_N6thrust23THRUST_200600_302600_NS6detail15normal_iteratorINS8_10device_ptrItEEEEPffNS8_4plusIfEEEE10hipError_tPvRmT1_T2_T3_mT4_P12ihipStream_tbEUlT_E0_NS1_11comp_targetILNS1_3genE5ELNS1_11target_archE942ELNS1_3gpuE9ELNS1_3repE0EEENS1_30default_config_static_selectorELNS0_4arch9wavefront6targetE1EEEvSK_
	.globl	_ZN7rocprim17ROCPRIM_400000_NS6detail17trampoline_kernelINS0_14default_configENS1_22reduce_config_selectorItEEZNS1_11reduce_implILb1ES3_N6thrust23THRUST_200600_302600_NS6detail15normal_iteratorINS8_10device_ptrItEEEEPffNS8_4plusIfEEEE10hipError_tPvRmT1_T2_T3_mT4_P12ihipStream_tbEUlT_E0_NS1_11comp_targetILNS1_3genE5ELNS1_11target_archE942ELNS1_3gpuE9ELNS1_3repE0EEENS1_30default_config_static_selectorELNS0_4arch9wavefront6targetE1EEEvSK_
	.p2align	8
	.type	_ZN7rocprim17ROCPRIM_400000_NS6detail17trampoline_kernelINS0_14default_configENS1_22reduce_config_selectorItEEZNS1_11reduce_implILb1ES3_N6thrust23THRUST_200600_302600_NS6detail15normal_iteratorINS8_10device_ptrItEEEEPffNS8_4plusIfEEEE10hipError_tPvRmT1_T2_T3_mT4_P12ihipStream_tbEUlT_E0_NS1_11comp_targetILNS1_3genE5ELNS1_11target_archE942ELNS1_3gpuE9ELNS1_3repE0EEENS1_30default_config_static_selectorELNS0_4arch9wavefront6targetE1EEEvSK_,@function
_ZN7rocprim17ROCPRIM_400000_NS6detail17trampoline_kernelINS0_14default_configENS1_22reduce_config_selectorItEEZNS1_11reduce_implILb1ES3_N6thrust23THRUST_200600_302600_NS6detail15normal_iteratorINS8_10device_ptrItEEEEPffNS8_4plusIfEEEE10hipError_tPvRmT1_T2_T3_mT4_P12ihipStream_tbEUlT_E0_NS1_11comp_targetILNS1_3genE5ELNS1_11target_archE942ELNS1_3gpuE9ELNS1_3repE0EEENS1_30default_config_static_selectorELNS0_4arch9wavefront6targetE1EEEvSK_: ; @_ZN7rocprim17ROCPRIM_400000_NS6detail17trampoline_kernelINS0_14default_configENS1_22reduce_config_selectorItEEZNS1_11reduce_implILb1ES3_N6thrust23THRUST_200600_302600_NS6detail15normal_iteratorINS8_10device_ptrItEEEEPffNS8_4plusIfEEEE10hipError_tPvRmT1_T2_T3_mT4_P12ihipStream_tbEUlT_E0_NS1_11comp_targetILNS1_3genE5ELNS1_11target_archE942ELNS1_3gpuE9ELNS1_3repE0EEENS1_30default_config_static_selectorELNS0_4arch9wavefront6targetE1EEEvSK_
; %bb.0:
	.section	.rodata,"a",@progbits
	.p2align	6, 0x0
	.amdhsa_kernel _ZN7rocprim17ROCPRIM_400000_NS6detail17trampoline_kernelINS0_14default_configENS1_22reduce_config_selectorItEEZNS1_11reduce_implILb1ES3_N6thrust23THRUST_200600_302600_NS6detail15normal_iteratorINS8_10device_ptrItEEEEPffNS8_4plusIfEEEE10hipError_tPvRmT1_T2_T3_mT4_P12ihipStream_tbEUlT_E0_NS1_11comp_targetILNS1_3genE5ELNS1_11target_archE942ELNS1_3gpuE9ELNS1_3repE0EEENS1_30default_config_static_selectorELNS0_4arch9wavefront6targetE1EEEvSK_
		.amdhsa_group_segment_fixed_size 0
		.amdhsa_private_segment_fixed_size 0
		.amdhsa_kernarg_size 56
		.amdhsa_user_sgpr_count 2
		.amdhsa_user_sgpr_dispatch_ptr 0
		.amdhsa_user_sgpr_queue_ptr 0
		.amdhsa_user_sgpr_kernarg_segment_ptr 1
		.amdhsa_user_sgpr_dispatch_id 0
		.amdhsa_user_sgpr_kernarg_preload_length 0
		.amdhsa_user_sgpr_kernarg_preload_offset 0
		.amdhsa_user_sgpr_private_segment_size 0
		.amdhsa_uses_dynamic_stack 0
		.amdhsa_enable_private_segment 0
		.amdhsa_system_sgpr_workgroup_id_x 1
		.amdhsa_system_sgpr_workgroup_id_y 0
		.amdhsa_system_sgpr_workgroup_id_z 0
		.amdhsa_system_sgpr_workgroup_info 0
		.amdhsa_system_vgpr_workitem_id 0
		.amdhsa_next_free_vgpr 1
		.amdhsa_next_free_sgpr 0
		.amdhsa_accum_offset 4
		.amdhsa_reserve_vcc 0
		.amdhsa_float_round_mode_32 0
		.amdhsa_float_round_mode_16_64 0
		.amdhsa_float_denorm_mode_32 3
		.amdhsa_float_denorm_mode_16_64 3
		.amdhsa_dx10_clamp 1
		.amdhsa_ieee_mode 1
		.amdhsa_fp16_overflow 0
		.amdhsa_tg_split 0
		.amdhsa_exception_fp_ieee_invalid_op 0
		.amdhsa_exception_fp_denorm_src 0
		.amdhsa_exception_fp_ieee_div_zero 0
		.amdhsa_exception_fp_ieee_overflow 0
		.amdhsa_exception_fp_ieee_underflow 0
		.amdhsa_exception_fp_ieee_inexact 0
		.amdhsa_exception_int_div_zero 0
	.end_amdhsa_kernel
	.section	.text._ZN7rocprim17ROCPRIM_400000_NS6detail17trampoline_kernelINS0_14default_configENS1_22reduce_config_selectorItEEZNS1_11reduce_implILb1ES3_N6thrust23THRUST_200600_302600_NS6detail15normal_iteratorINS8_10device_ptrItEEEEPffNS8_4plusIfEEEE10hipError_tPvRmT1_T2_T3_mT4_P12ihipStream_tbEUlT_E0_NS1_11comp_targetILNS1_3genE5ELNS1_11target_archE942ELNS1_3gpuE9ELNS1_3repE0EEENS1_30default_config_static_selectorELNS0_4arch9wavefront6targetE1EEEvSK_,"axG",@progbits,_ZN7rocprim17ROCPRIM_400000_NS6detail17trampoline_kernelINS0_14default_configENS1_22reduce_config_selectorItEEZNS1_11reduce_implILb1ES3_N6thrust23THRUST_200600_302600_NS6detail15normal_iteratorINS8_10device_ptrItEEEEPffNS8_4plusIfEEEE10hipError_tPvRmT1_T2_T3_mT4_P12ihipStream_tbEUlT_E0_NS1_11comp_targetILNS1_3genE5ELNS1_11target_archE942ELNS1_3gpuE9ELNS1_3repE0EEENS1_30default_config_static_selectorELNS0_4arch9wavefront6targetE1EEEvSK_,comdat
.Lfunc_end442:
	.size	_ZN7rocprim17ROCPRIM_400000_NS6detail17trampoline_kernelINS0_14default_configENS1_22reduce_config_selectorItEEZNS1_11reduce_implILb1ES3_N6thrust23THRUST_200600_302600_NS6detail15normal_iteratorINS8_10device_ptrItEEEEPffNS8_4plusIfEEEE10hipError_tPvRmT1_T2_T3_mT4_P12ihipStream_tbEUlT_E0_NS1_11comp_targetILNS1_3genE5ELNS1_11target_archE942ELNS1_3gpuE9ELNS1_3repE0EEENS1_30default_config_static_selectorELNS0_4arch9wavefront6targetE1EEEvSK_, .Lfunc_end442-_ZN7rocprim17ROCPRIM_400000_NS6detail17trampoline_kernelINS0_14default_configENS1_22reduce_config_selectorItEEZNS1_11reduce_implILb1ES3_N6thrust23THRUST_200600_302600_NS6detail15normal_iteratorINS8_10device_ptrItEEEEPffNS8_4plusIfEEEE10hipError_tPvRmT1_T2_T3_mT4_P12ihipStream_tbEUlT_E0_NS1_11comp_targetILNS1_3genE5ELNS1_11target_archE942ELNS1_3gpuE9ELNS1_3repE0EEENS1_30default_config_static_selectorELNS0_4arch9wavefront6targetE1EEEvSK_
                                        ; -- End function
	.set _ZN7rocprim17ROCPRIM_400000_NS6detail17trampoline_kernelINS0_14default_configENS1_22reduce_config_selectorItEEZNS1_11reduce_implILb1ES3_N6thrust23THRUST_200600_302600_NS6detail15normal_iteratorINS8_10device_ptrItEEEEPffNS8_4plusIfEEEE10hipError_tPvRmT1_T2_T3_mT4_P12ihipStream_tbEUlT_E0_NS1_11comp_targetILNS1_3genE5ELNS1_11target_archE942ELNS1_3gpuE9ELNS1_3repE0EEENS1_30default_config_static_selectorELNS0_4arch9wavefront6targetE1EEEvSK_.num_vgpr, 0
	.set _ZN7rocprim17ROCPRIM_400000_NS6detail17trampoline_kernelINS0_14default_configENS1_22reduce_config_selectorItEEZNS1_11reduce_implILb1ES3_N6thrust23THRUST_200600_302600_NS6detail15normal_iteratorINS8_10device_ptrItEEEEPffNS8_4plusIfEEEE10hipError_tPvRmT1_T2_T3_mT4_P12ihipStream_tbEUlT_E0_NS1_11comp_targetILNS1_3genE5ELNS1_11target_archE942ELNS1_3gpuE9ELNS1_3repE0EEENS1_30default_config_static_selectorELNS0_4arch9wavefront6targetE1EEEvSK_.num_agpr, 0
	.set _ZN7rocprim17ROCPRIM_400000_NS6detail17trampoline_kernelINS0_14default_configENS1_22reduce_config_selectorItEEZNS1_11reduce_implILb1ES3_N6thrust23THRUST_200600_302600_NS6detail15normal_iteratorINS8_10device_ptrItEEEEPffNS8_4plusIfEEEE10hipError_tPvRmT1_T2_T3_mT4_P12ihipStream_tbEUlT_E0_NS1_11comp_targetILNS1_3genE5ELNS1_11target_archE942ELNS1_3gpuE9ELNS1_3repE0EEENS1_30default_config_static_selectorELNS0_4arch9wavefront6targetE1EEEvSK_.numbered_sgpr, 0
	.set _ZN7rocprim17ROCPRIM_400000_NS6detail17trampoline_kernelINS0_14default_configENS1_22reduce_config_selectorItEEZNS1_11reduce_implILb1ES3_N6thrust23THRUST_200600_302600_NS6detail15normal_iteratorINS8_10device_ptrItEEEEPffNS8_4plusIfEEEE10hipError_tPvRmT1_T2_T3_mT4_P12ihipStream_tbEUlT_E0_NS1_11comp_targetILNS1_3genE5ELNS1_11target_archE942ELNS1_3gpuE9ELNS1_3repE0EEENS1_30default_config_static_selectorELNS0_4arch9wavefront6targetE1EEEvSK_.num_named_barrier, 0
	.set _ZN7rocprim17ROCPRIM_400000_NS6detail17trampoline_kernelINS0_14default_configENS1_22reduce_config_selectorItEEZNS1_11reduce_implILb1ES3_N6thrust23THRUST_200600_302600_NS6detail15normal_iteratorINS8_10device_ptrItEEEEPffNS8_4plusIfEEEE10hipError_tPvRmT1_T2_T3_mT4_P12ihipStream_tbEUlT_E0_NS1_11comp_targetILNS1_3genE5ELNS1_11target_archE942ELNS1_3gpuE9ELNS1_3repE0EEENS1_30default_config_static_selectorELNS0_4arch9wavefront6targetE1EEEvSK_.private_seg_size, 0
	.set _ZN7rocprim17ROCPRIM_400000_NS6detail17trampoline_kernelINS0_14default_configENS1_22reduce_config_selectorItEEZNS1_11reduce_implILb1ES3_N6thrust23THRUST_200600_302600_NS6detail15normal_iteratorINS8_10device_ptrItEEEEPffNS8_4plusIfEEEE10hipError_tPvRmT1_T2_T3_mT4_P12ihipStream_tbEUlT_E0_NS1_11comp_targetILNS1_3genE5ELNS1_11target_archE942ELNS1_3gpuE9ELNS1_3repE0EEENS1_30default_config_static_selectorELNS0_4arch9wavefront6targetE1EEEvSK_.uses_vcc, 0
	.set _ZN7rocprim17ROCPRIM_400000_NS6detail17trampoline_kernelINS0_14default_configENS1_22reduce_config_selectorItEEZNS1_11reduce_implILb1ES3_N6thrust23THRUST_200600_302600_NS6detail15normal_iteratorINS8_10device_ptrItEEEEPffNS8_4plusIfEEEE10hipError_tPvRmT1_T2_T3_mT4_P12ihipStream_tbEUlT_E0_NS1_11comp_targetILNS1_3genE5ELNS1_11target_archE942ELNS1_3gpuE9ELNS1_3repE0EEENS1_30default_config_static_selectorELNS0_4arch9wavefront6targetE1EEEvSK_.uses_flat_scratch, 0
	.set _ZN7rocprim17ROCPRIM_400000_NS6detail17trampoline_kernelINS0_14default_configENS1_22reduce_config_selectorItEEZNS1_11reduce_implILb1ES3_N6thrust23THRUST_200600_302600_NS6detail15normal_iteratorINS8_10device_ptrItEEEEPffNS8_4plusIfEEEE10hipError_tPvRmT1_T2_T3_mT4_P12ihipStream_tbEUlT_E0_NS1_11comp_targetILNS1_3genE5ELNS1_11target_archE942ELNS1_3gpuE9ELNS1_3repE0EEENS1_30default_config_static_selectorELNS0_4arch9wavefront6targetE1EEEvSK_.has_dyn_sized_stack, 0
	.set _ZN7rocprim17ROCPRIM_400000_NS6detail17trampoline_kernelINS0_14default_configENS1_22reduce_config_selectorItEEZNS1_11reduce_implILb1ES3_N6thrust23THRUST_200600_302600_NS6detail15normal_iteratorINS8_10device_ptrItEEEEPffNS8_4plusIfEEEE10hipError_tPvRmT1_T2_T3_mT4_P12ihipStream_tbEUlT_E0_NS1_11comp_targetILNS1_3genE5ELNS1_11target_archE942ELNS1_3gpuE9ELNS1_3repE0EEENS1_30default_config_static_selectorELNS0_4arch9wavefront6targetE1EEEvSK_.has_recursion, 0
	.set _ZN7rocprim17ROCPRIM_400000_NS6detail17trampoline_kernelINS0_14default_configENS1_22reduce_config_selectorItEEZNS1_11reduce_implILb1ES3_N6thrust23THRUST_200600_302600_NS6detail15normal_iteratorINS8_10device_ptrItEEEEPffNS8_4plusIfEEEE10hipError_tPvRmT1_T2_T3_mT4_P12ihipStream_tbEUlT_E0_NS1_11comp_targetILNS1_3genE5ELNS1_11target_archE942ELNS1_3gpuE9ELNS1_3repE0EEENS1_30default_config_static_selectorELNS0_4arch9wavefront6targetE1EEEvSK_.has_indirect_call, 0
	.section	.AMDGPU.csdata,"",@progbits
; Kernel info:
; codeLenInByte = 0
; TotalNumSgprs: 6
; NumVgprs: 0
; NumAgprs: 0
; TotalNumVgprs: 0
; ScratchSize: 0
; MemoryBound: 0
; FloatMode: 240
; IeeeMode: 1
; LDSByteSize: 0 bytes/workgroup (compile time only)
; SGPRBlocks: 0
; VGPRBlocks: 0
; NumSGPRsForWavesPerEU: 6
; NumVGPRsForWavesPerEU: 1
; AccumOffset: 4
; Occupancy: 8
; WaveLimiterHint : 0
; COMPUTE_PGM_RSRC2:SCRATCH_EN: 0
; COMPUTE_PGM_RSRC2:USER_SGPR: 2
; COMPUTE_PGM_RSRC2:TRAP_HANDLER: 0
; COMPUTE_PGM_RSRC2:TGID_X_EN: 1
; COMPUTE_PGM_RSRC2:TGID_Y_EN: 0
; COMPUTE_PGM_RSRC2:TGID_Z_EN: 0
; COMPUTE_PGM_RSRC2:TIDIG_COMP_CNT: 0
; COMPUTE_PGM_RSRC3_GFX90A:ACCUM_OFFSET: 0
; COMPUTE_PGM_RSRC3_GFX90A:TG_SPLIT: 0
	.section	.text._ZN7rocprim17ROCPRIM_400000_NS6detail17trampoline_kernelINS0_14default_configENS1_22reduce_config_selectorItEEZNS1_11reduce_implILb1ES3_N6thrust23THRUST_200600_302600_NS6detail15normal_iteratorINS8_10device_ptrItEEEEPffNS8_4plusIfEEEE10hipError_tPvRmT1_T2_T3_mT4_P12ihipStream_tbEUlT_E0_NS1_11comp_targetILNS1_3genE4ELNS1_11target_archE910ELNS1_3gpuE8ELNS1_3repE0EEENS1_30default_config_static_selectorELNS0_4arch9wavefront6targetE1EEEvSK_,"axG",@progbits,_ZN7rocprim17ROCPRIM_400000_NS6detail17trampoline_kernelINS0_14default_configENS1_22reduce_config_selectorItEEZNS1_11reduce_implILb1ES3_N6thrust23THRUST_200600_302600_NS6detail15normal_iteratorINS8_10device_ptrItEEEEPffNS8_4plusIfEEEE10hipError_tPvRmT1_T2_T3_mT4_P12ihipStream_tbEUlT_E0_NS1_11comp_targetILNS1_3genE4ELNS1_11target_archE910ELNS1_3gpuE8ELNS1_3repE0EEENS1_30default_config_static_selectorELNS0_4arch9wavefront6targetE1EEEvSK_,comdat
	.protected	_ZN7rocprim17ROCPRIM_400000_NS6detail17trampoline_kernelINS0_14default_configENS1_22reduce_config_selectorItEEZNS1_11reduce_implILb1ES3_N6thrust23THRUST_200600_302600_NS6detail15normal_iteratorINS8_10device_ptrItEEEEPffNS8_4plusIfEEEE10hipError_tPvRmT1_T2_T3_mT4_P12ihipStream_tbEUlT_E0_NS1_11comp_targetILNS1_3genE4ELNS1_11target_archE910ELNS1_3gpuE8ELNS1_3repE0EEENS1_30default_config_static_selectorELNS0_4arch9wavefront6targetE1EEEvSK_ ; -- Begin function _ZN7rocprim17ROCPRIM_400000_NS6detail17trampoline_kernelINS0_14default_configENS1_22reduce_config_selectorItEEZNS1_11reduce_implILb1ES3_N6thrust23THRUST_200600_302600_NS6detail15normal_iteratorINS8_10device_ptrItEEEEPffNS8_4plusIfEEEE10hipError_tPvRmT1_T2_T3_mT4_P12ihipStream_tbEUlT_E0_NS1_11comp_targetILNS1_3genE4ELNS1_11target_archE910ELNS1_3gpuE8ELNS1_3repE0EEENS1_30default_config_static_selectorELNS0_4arch9wavefront6targetE1EEEvSK_
	.globl	_ZN7rocprim17ROCPRIM_400000_NS6detail17trampoline_kernelINS0_14default_configENS1_22reduce_config_selectorItEEZNS1_11reduce_implILb1ES3_N6thrust23THRUST_200600_302600_NS6detail15normal_iteratorINS8_10device_ptrItEEEEPffNS8_4plusIfEEEE10hipError_tPvRmT1_T2_T3_mT4_P12ihipStream_tbEUlT_E0_NS1_11comp_targetILNS1_3genE4ELNS1_11target_archE910ELNS1_3gpuE8ELNS1_3repE0EEENS1_30default_config_static_selectorELNS0_4arch9wavefront6targetE1EEEvSK_
	.p2align	8
	.type	_ZN7rocprim17ROCPRIM_400000_NS6detail17trampoline_kernelINS0_14default_configENS1_22reduce_config_selectorItEEZNS1_11reduce_implILb1ES3_N6thrust23THRUST_200600_302600_NS6detail15normal_iteratorINS8_10device_ptrItEEEEPffNS8_4plusIfEEEE10hipError_tPvRmT1_T2_T3_mT4_P12ihipStream_tbEUlT_E0_NS1_11comp_targetILNS1_3genE4ELNS1_11target_archE910ELNS1_3gpuE8ELNS1_3repE0EEENS1_30default_config_static_selectorELNS0_4arch9wavefront6targetE1EEEvSK_,@function
_ZN7rocprim17ROCPRIM_400000_NS6detail17trampoline_kernelINS0_14default_configENS1_22reduce_config_selectorItEEZNS1_11reduce_implILb1ES3_N6thrust23THRUST_200600_302600_NS6detail15normal_iteratorINS8_10device_ptrItEEEEPffNS8_4plusIfEEEE10hipError_tPvRmT1_T2_T3_mT4_P12ihipStream_tbEUlT_E0_NS1_11comp_targetILNS1_3genE4ELNS1_11target_archE910ELNS1_3gpuE8ELNS1_3repE0EEENS1_30default_config_static_selectorELNS0_4arch9wavefront6targetE1EEEvSK_: ; @_ZN7rocprim17ROCPRIM_400000_NS6detail17trampoline_kernelINS0_14default_configENS1_22reduce_config_selectorItEEZNS1_11reduce_implILb1ES3_N6thrust23THRUST_200600_302600_NS6detail15normal_iteratorINS8_10device_ptrItEEEEPffNS8_4plusIfEEEE10hipError_tPvRmT1_T2_T3_mT4_P12ihipStream_tbEUlT_E0_NS1_11comp_targetILNS1_3genE4ELNS1_11target_archE910ELNS1_3gpuE8ELNS1_3repE0EEENS1_30default_config_static_selectorELNS0_4arch9wavefront6targetE1EEEvSK_
; %bb.0:
	.section	.rodata,"a",@progbits
	.p2align	6, 0x0
	.amdhsa_kernel _ZN7rocprim17ROCPRIM_400000_NS6detail17trampoline_kernelINS0_14default_configENS1_22reduce_config_selectorItEEZNS1_11reduce_implILb1ES3_N6thrust23THRUST_200600_302600_NS6detail15normal_iteratorINS8_10device_ptrItEEEEPffNS8_4plusIfEEEE10hipError_tPvRmT1_T2_T3_mT4_P12ihipStream_tbEUlT_E0_NS1_11comp_targetILNS1_3genE4ELNS1_11target_archE910ELNS1_3gpuE8ELNS1_3repE0EEENS1_30default_config_static_selectorELNS0_4arch9wavefront6targetE1EEEvSK_
		.amdhsa_group_segment_fixed_size 0
		.amdhsa_private_segment_fixed_size 0
		.amdhsa_kernarg_size 56
		.amdhsa_user_sgpr_count 2
		.amdhsa_user_sgpr_dispatch_ptr 0
		.amdhsa_user_sgpr_queue_ptr 0
		.amdhsa_user_sgpr_kernarg_segment_ptr 1
		.amdhsa_user_sgpr_dispatch_id 0
		.amdhsa_user_sgpr_kernarg_preload_length 0
		.amdhsa_user_sgpr_kernarg_preload_offset 0
		.amdhsa_user_sgpr_private_segment_size 0
		.amdhsa_uses_dynamic_stack 0
		.amdhsa_enable_private_segment 0
		.amdhsa_system_sgpr_workgroup_id_x 1
		.amdhsa_system_sgpr_workgroup_id_y 0
		.amdhsa_system_sgpr_workgroup_id_z 0
		.amdhsa_system_sgpr_workgroup_info 0
		.amdhsa_system_vgpr_workitem_id 0
		.amdhsa_next_free_vgpr 1
		.amdhsa_next_free_sgpr 0
		.amdhsa_accum_offset 4
		.amdhsa_reserve_vcc 0
		.amdhsa_float_round_mode_32 0
		.amdhsa_float_round_mode_16_64 0
		.amdhsa_float_denorm_mode_32 3
		.amdhsa_float_denorm_mode_16_64 3
		.amdhsa_dx10_clamp 1
		.amdhsa_ieee_mode 1
		.amdhsa_fp16_overflow 0
		.amdhsa_tg_split 0
		.amdhsa_exception_fp_ieee_invalid_op 0
		.amdhsa_exception_fp_denorm_src 0
		.amdhsa_exception_fp_ieee_div_zero 0
		.amdhsa_exception_fp_ieee_overflow 0
		.amdhsa_exception_fp_ieee_underflow 0
		.amdhsa_exception_fp_ieee_inexact 0
		.amdhsa_exception_int_div_zero 0
	.end_amdhsa_kernel
	.section	.text._ZN7rocprim17ROCPRIM_400000_NS6detail17trampoline_kernelINS0_14default_configENS1_22reduce_config_selectorItEEZNS1_11reduce_implILb1ES3_N6thrust23THRUST_200600_302600_NS6detail15normal_iteratorINS8_10device_ptrItEEEEPffNS8_4plusIfEEEE10hipError_tPvRmT1_T2_T3_mT4_P12ihipStream_tbEUlT_E0_NS1_11comp_targetILNS1_3genE4ELNS1_11target_archE910ELNS1_3gpuE8ELNS1_3repE0EEENS1_30default_config_static_selectorELNS0_4arch9wavefront6targetE1EEEvSK_,"axG",@progbits,_ZN7rocprim17ROCPRIM_400000_NS6detail17trampoline_kernelINS0_14default_configENS1_22reduce_config_selectorItEEZNS1_11reduce_implILb1ES3_N6thrust23THRUST_200600_302600_NS6detail15normal_iteratorINS8_10device_ptrItEEEEPffNS8_4plusIfEEEE10hipError_tPvRmT1_T2_T3_mT4_P12ihipStream_tbEUlT_E0_NS1_11comp_targetILNS1_3genE4ELNS1_11target_archE910ELNS1_3gpuE8ELNS1_3repE0EEENS1_30default_config_static_selectorELNS0_4arch9wavefront6targetE1EEEvSK_,comdat
.Lfunc_end443:
	.size	_ZN7rocprim17ROCPRIM_400000_NS6detail17trampoline_kernelINS0_14default_configENS1_22reduce_config_selectorItEEZNS1_11reduce_implILb1ES3_N6thrust23THRUST_200600_302600_NS6detail15normal_iteratorINS8_10device_ptrItEEEEPffNS8_4plusIfEEEE10hipError_tPvRmT1_T2_T3_mT4_P12ihipStream_tbEUlT_E0_NS1_11comp_targetILNS1_3genE4ELNS1_11target_archE910ELNS1_3gpuE8ELNS1_3repE0EEENS1_30default_config_static_selectorELNS0_4arch9wavefront6targetE1EEEvSK_, .Lfunc_end443-_ZN7rocprim17ROCPRIM_400000_NS6detail17trampoline_kernelINS0_14default_configENS1_22reduce_config_selectorItEEZNS1_11reduce_implILb1ES3_N6thrust23THRUST_200600_302600_NS6detail15normal_iteratorINS8_10device_ptrItEEEEPffNS8_4plusIfEEEE10hipError_tPvRmT1_T2_T3_mT4_P12ihipStream_tbEUlT_E0_NS1_11comp_targetILNS1_3genE4ELNS1_11target_archE910ELNS1_3gpuE8ELNS1_3repE0EEENS1_30default_config_static_selectorELNS0_4arch9wavefront6targetE1EEEvSK_
                                        ; -- End function
	.set _ZN7rocprim17ROCPRIM_400000_NS6detail17trampoline_kernelINS0_14default_configENS1_22reduce_config_selectorItEEZNS1_11reduce_implILb1ES3_N6thrust23THRUST_200600_302600_NS6detail15normal_iteratorINS8_10device_ptrItEEEEPffNS8_4plusIfEEEE10hipError_tPvRmT1_T2_T3_mT4_P12ihipStream_tbEUlT_E0_NS1_11comp_targetILNS1_3genE4ELNS1_11target_archE910ELNS1_3gpuE8ELNS1_3repE0EEENS1_30default_config_static_selectorELNS0_4arch9wavefront6targetE1EEEvSK_.num_vgpr, 0
	.set _ZN7rocprim17ROCPRIM_400000_NS6detail17trampoline_kernelINS0_14default_configENS1_22reduce_config_selectorItEEZNS1_11reduce_implILb1ES3_N6thrust23THRUST_200600_302600_NS6detail15normal_iteratorINS8_10device_ptrItEEEEPffNS8_4plusIfEEEE10hipError_tPvRmT1_T2_T3_mT4_P12ihipStream_tbEUlT_E0_NS1_11comp_targetILNS1_3genE4ELNS1_11target_archE910ELNS1_3gpuE8ELNS1_3repE0EEENS1_30default_config_static_selectorELNS0_4arch9wavefront6targetE1EEEvSK_.num_agpr, 0
	.set _ZN7rocprim17ROCPRIM_400000_NS6detail17trampoline_kernelINS0_14default_configENS1_22reduce_config_selectorItEEZNS1_11reduce_implILb1ES3_N6thrust23THRUST_200600_302600_NS6detail15normal_iteratorINS8_10device_ptrItEEEEPffNS8_4plusIfEEEE10hipError_tPvRmT1_T2_T3_mT4_P12ihipStream_tbEUlT_E0_NS1_11comp_targetILNS1_3genE4ELNS1_11target_archE910ELNS1_3gpuE8ELNS1_3repE0EEENS1_30default_config_static_selectorELNS0_4arch9wavefront6targetE1EEEvSK_.numbered_sgpr, 0
	.set _ZN7rocprim17ROCPRIM_400000_NS6detail17trampoline_kernelINS0_14default_configENS1_22reduce_config_selectorItEEZNS1_11reduce_implILb1ES3_N6thrust23THRUST_200600_302600_NS6detail15normal_iteratorINS8_10device_ptrItEEEEPffNS8_4plusIfEEEE10hipError_tPvRmT1_T2_T3_mT4_P12ihipStream_tbEUlT_E0_NS1_11comp_targetILNS1_3genE4ELNS1_11target_archE910ELNS1_3gpuE8ELNS1_3repE0EEENS1_30default_config_static_selectorELNS0_4arch9wavefront6targetE1EEEvSK_.num_named_barrier, 0
	.set _ZN7rocprim17ROCPRIM_400000_NS6detail17trampoline_kernelINS0_14default_configENS1_22reduce_config_selectorItEEZNS1_11reduce_implILb1ES3_N6thrust23THRUST_200600_302600_NS6detail15normal_iteratorINS8_10device_ptrItEEEEPffNS8_4plusIfEEEE10hipError_tPvRmT1_T2_T3_mT4_P12ihipStream_tbEUlT_E0_NS1_11comp_targetILNS1_3genE4ELNS1_11target_archE910ELNS1_3gpuE8ELNS1_3repE0EEENS1_30default_config_static_selectorELNS0_4arch9wavefront6targetE1EEEvSK_.private_seg_size, 0
	.set _ZN7rocprim17ROCPRIM_400000_NS6detail17trampoline_kernelINS0_14default_configENS1_22reduce_config_selectorItEEZNS1_11reduce_implILb1ES3_N6thrust23THRUST_200600_302600_NS6detail15normal_iteratorINS8_10device_ptrItEEEEPffNS8_4plusIfEEEE10hipError_tPvRmT1_T2_T3_mT4_P12ihipStream_tbEUlT_E0_NS1_11comp_targetILNS1_3genE4ELNS1_11target_archE910ELNS1_3gpuE8ELNS1_3repE0EEENS1_30default_config_static_selectorELNS0_4arch9wavefront6targetE1EEEvSK_.uses_vcc, 0
	.set _ZN7rocprim17ROCPRIM_400000_NS6detail17trampoline_kernelINS0_14default_configENS1_22reduce_config_selectorItEEZNS1_11reduce_implILb1ES3_N6thrust23THRUST_200600_302600_NS6detail15normal_iteratorINS8_10device_ptrItEEEEPffNS8_4plusIfEEEE10hipError_tPvRmT1_T2_T3_mT4_P12ihipStream_tbEUlT_E0_NS1_11comp_targetILNS1_3genE4ELNS1_11target_archE910ELNS1_3gpuE8ELNS1_3repE0EEENS1_30default_config_static_selectorELNS0_4arch9wavefront6targetE1EEEvSK_.uses_flat_scratch, 0
	.set _ZN7rocprim17ROCPRIM_400000_NS6detail17trampoline_kernelINS0_14default_configENS1_22reduce_config_selectorItEEZNS1_11reduce_implILb1ES3_N6thrust23THRUST_200600_302600_NS6detail15normal_iteratorINS8_10device_ptrItEEEEPffNS8_4plusIfEEEE10hipError_tPvRmT1_T2_T3_mT4_P12ihipStream_tbEUlT_E0_NS1_11comp_targetILNS1_3genE4ELNS1_11target_archE910ELNS1_3gpuE8ELNS1_3repE0EEENS1_30default_config_static_selectorELNS0_4arch9wavefront6targetE1EEEvSK_.has_dyn_sized_stack, 0
	.set _ZN7rocprim17ROCPRIM_400000_NS6detail17trampoline_kernelINS0_14default_configENS1_22reduce_config_selectorItEEZNS1_11reduce_implILb1ES3_N6thrust23THRUST_200600_302600_NS6detail15normal_iteratorINS8_10device_ptrItEEEEPffNS8_4plusIfEEEE10hipError_tPvRmT1_T2_T3_mT4_P12ihipStream_tbEUlT_E0_NS1_11comp_targetILNS1_3genE4ELNS1_11target_archE910ELNS1_3gpuE8ELNS1_3repE0EEENS1_30default_config_static_selectorELNS0_4arch9wavefront6targetE1EEEvSK_.has_recursion, 0
	.set _ZN7rocprim17ROCPRIM_400000_NS6detail17trampoline_kernelINS0_14default_configENS1_22reduce_config_selectorItEEZNS1_11reduce_implILb1ES3_N6thrust23THRUST_200600_302600_NS6detail15normal_iteratorINS8_10device_ptrItEEEEPffNS8_4plusIfEEEE10hipError_tPvRmT1_T2_T3_mT4_P12ihipStream_tbEUlT_E0_NS1_11comp_targetILNS1_3genE4ELNS1_11target_archE910ELNS1_3gpuE8ELNS1_3repE0EEENS1_30default_config_static_selectorELNS0_4arch9wavefront6targetE1EEEvSK_.has_indirect_call, 0
	.section	.AMDGPU.csdata,"",@progbits
; Kernel info:
; codeLenInByte = 0
; TotalNumSgprs: 6
; NumVgprs: 0
; NumAgprs: 0
; TotalNumVgprs: 0
; ScratchSize: 0
; MemoryBound: 0
; FloatMode: 240
; IeeeMode: 1
; LDSByteSize: 0 bytes/workgroup (compile time only)
; SGPRBlocks: 0
; VGPRBlocks: 0
; NumSGPRsForWavesPerEU: 6
; NumVGPRsForWavesPerEU: 1
; AccumOffset: 4
; Occupancy: 8
; WaveLimiterHint : 0
; COMPUTE_PGM_RSRC2:SCRATCH_EN: 0
; COMPUTE_PGM_RSRC2:USER_SGPR: 2
; COMPUTE_PGM_RSRC2:TRAP_HANDLER: 0
; COMPUTE_PGM_RSRC2:TGID_X_EN: 1
; COMPUTE_PGM_RSRC2:TGID_Y_EN: 0
; COMPUTE_PGM_RSRC2:TGID_Z_EN: 0
; COMPUTE_PGM_RSRC2:TIDIG_COMP_CNT: 0
; COMPUTE_PGM_RSRC3_GFX90A:ACCUM_OFFSET: 0
; COMPUTE_PGM_RSRC3_GFX90A:TG_SPLIT: 0
	.section	.text._ZN7rocprim17ROCPRIM_400000_NS6detail17trampoline_kernelINS0_14default_configENS1_22reduce_config_selectorItEEZNS1_11reduce_implILb1ES3_N6thrust23THRUST_200600_302600_NS6detail15normal_iteratorINS8_10device_ptrItEEEEPffNS8_4plusIfEEEE10hipError_tPvRmT1_T2_T3_mT4_P12ihipStream_tbEUlT_E0_NS1_11comp_targetILNS1_3genE3ELNS1_11target_archE908ELNS1_3gpuE7ELNS1_3repE0EEENS1_30default_config_static_selectorELNS0_4arch9wavefront6targetE1EEEvSK_,"axG",@progbits,_ZN7rocprim17ROCPRIM_400000_NS6detail17trampoline_kernelINS0_14default_configENS1_22reduce_config_selectorItEEZNS1_11reduce_implILb1ES3_N6thrust23THRUST_200600_302600_NS6detail15normal_iteratorINS8_10device_ptrItEEEEPffNS8_4plusIfEEEE10hipError_tPvRmT1_T2_T3_mT4_P12ihipStream_tbEUlT_E0_NS1_11comp_targetILNS1_3genE3ELNS1_11target_archE908ELNS1_3gpuE7ELNS1_3repE0EEENS1_30default_config_static_selectorELNS0_4arch9wavefront6targetE1EEEvSK_,comdat
	.protected	_ZN7rocprim17ROCPRIM_400000_NS6detail17trampoline_kernelINS0_14default_configENS1_22reduce_config_selectorItEEZNS1_11reduce_implILb1ES3_N6thrust23THRUST_200600_302600_NS6detail15normal_iteratorINS8_10device_ptrItEEEEPffNS8_4plusIfEEEE10hipError_tPvRmT1_T2_T3_mT4_P12ihipStream_tbEUlT_E0_NS1_11comp_targetILNS1_3genE3ELNS1_11target_archE908ELNS1_3gpuE7ELNS1_3repE0EEENS1_30default_config_static_selectorELNS0_4arch9wavefront6targetE1EEEvSK_ ; -- Begin function _ZN7rocprim17ROCPRIM_400000_NS6detail17trampoline_kernelINS0_14default_configENS1_22reduce_config_selectorItEEZNS1_11reduce_implILb1ES3_N6thrust23THRUST_200600_302600_NS6detail15normal_iteratorINS8_10device_ptrItEEEEPffNS8_4plusIfEEEE10hipError_tPvRmT1_T2_T3_mT4_P12ihipStream_tbEUlT_E0_NS1_11comp_targetILNS1_3genE3ELNS1_11target_archE908ELNS1_3gpuE7ELNS1_3repE0EEENS1_30default_config_static_selectorELNS0_4arch9wavefront6targetE1EEEvSK_
	.globl	_ZN7rocprim17ROCPRIM_400000_NS6detail17trampoline_kernelINS0_14default_configENS1_22reduce_config_selectorItEEZNS1_11reduce_implILb1ES3_N6thrust23THRUST_200600_302600_NS6detail15normal_iteratorINS8_10device_ptrItEEEEPffNS8_4plusIfEEEE10hipError_tPvRmT1_T2_T3_mT4_P12ihipStream_tbEUlT_E0_NS1_11comp_targetILNS1_3genE3ELNS1_11target_archE908ELNS1_3gpuE7ELNS1_3repE0EEENS1_30default_config_static_selectorELNS0_4arch9wavefront6targetE1EEEvSK_
	.p2align	8
	.type	_ZN7rocprim17ROCPRIM_400000_NS6detail17trampoline_kernelINS0_14default_configENS1_22reduce_config_selectorItEEZNS1_11reduce_implILb1ES3_N6thrust23THRUST_200600_302600_NS6detail15normal_iteratorINS8_10device_ptrItEEEEPffNS8_4plusIfEEEE10hipError_tPvRmT1_T2_T3_mT4_P12ihipStream_tbEUlT_E0_NS1_11comp_targetILNS1_3genE3ELNS1_11target_archE908ELNS1_3gpuE7ELNS1_3repE0EEENS1_30default_config_static_selectorELNS0_4arch9wavefront6targetE1EEEvSK_,@function
_ZN7rocprim17ROCPRIM_400000_NS6detail17trampoline_kernelINS0_14default_configENS1_22reduce_config_selectorItEEZNS1_11reduce_implILb1ES3_N6thrust23THRUST_200600_302600_NS6detail15normal_iteratorINS8_10device_ptrItEEEEPffNS8_4plusIfEEEE10hipError_tPvRmT1_T2_T3_mT4_P12ihipStream_tbEUlT_E0_NS1_11comp_targetILNS1_3genE3ELNS1_11target_archE908ELNS1_3gpuE7ELNS1_3repE0EEENS1_30default_config_static_selectorELNS0_4arch9wavefront6targetE1EEEvSK_: ; @_ZN7rocprim17ROCPRIM_400000_NS6detail17trampoline_kernelINS0_14default_configENS1_22reduce_config_selectorItEEZNS1_11reduce_implILb1ES3_N6thrust23THRUST_200600_302600_NS6detail15normal_iteratorINS8_10device_ptrItEEEEPffNS8_4plusIfEEEE10hipError_tPvRmT1_T2_T3_mT4_P12ihipStream_tbEUlT_E0_NS1_11comp_targetILNS1_3genE3ELNS1_11target_archE908ELNS1_3gpuE7ELNS1_3repE0EEENS1_30default_config_static_selectorELNS0_4arch9wavefront6targetE1EEEvSK_
; %bb.0:
	.section	.rodata,"a",@progbits
	.p2align	6, 0x0
	.amdhsa_kernel _ZN7rocprim17ROCPRIM_400000_NS6detail17trampoline_kernelINS0_14default_configENS1_22reduce_config_selectorItEEZNS1_11reduce_implILb1ES3_N6thrust23THRUST_200600_302600_NS6detail15normal_iteratorINS8_10device_ptrItEEEEPffNS8_4plusIfEEEE10hipError_tPvRmT1_T2_T3_mT4_P12ihipStream_tbEUlT_E0_NS1_11comp_targetILNS1_3genE3ELNS1_11target_archE908ELNS1_3gpuE7ELNS1_3repE0EEENS1_30default_config_static_selectorELNS0_4arch9wavefront6targetE1EEEvSK_
		.amdhsa_group_segment_fixed_size 0
		.amdhsa_private_segment_fixed_size 0
		.amdhsa_kernarg_size 56
		.amdhsa_user_sgpr_count 2
		.amdhsa_user_sgpr_dispatch_ptr 0
		.amdhsa_user_sgpr_queue_ptr 0
		.amdhsa_user_sgpr_kernarg_segment_ptr 1
		.amdhsa_user_sgpr_dispatch_id 0
		.amdhsa_user_sgpr_kernarg_preload_length 0
		.amdhsa_user_sgpr_kernarg_preload_offset 0
		.amdhsa_user_sgpr_private_segment_size 0
		.amdhsa_uses_dynamic_stack 0
		.amdhsa_enable_private_segment 0
		.amdhsa_system_sgpr_workgroup_id_x 1
		.amdhsa_system_sgpr_workgroup_id_y 0
		.amdhsa_system_sgpr_workgroup_id_z 0
		.amdhsa_system_sgpr_workgroup_info 0
		.amdhsa_system_vgpr_workitem_id 0
		.amdhsa_next_free_vgpr 1
		.amdhsa_next_free_sgpr 0
		.amdhsa_accum_offset 4
		.amdhsa_reserve_vcc 0
		.amdhsa_float_round_mode_32 0
		.amdhsa_float_round_mode_16_64 0
		.amdhsa_float_denorm_mode_32 3
		.amdhsa_float_denorm_mode_16_64 3
		.amdhsa_dx10_clamp 1
		.amdhsa_ieee_mode 1
		.amdhsa_fp16_overflow 0
		.amdhsa_tg_split 0
		.amdhsa_exception_fp_ieee_invalid_op 0
		.amdhsa_exception_fp_denorm_src 0
		.amdhsa_exception_fp_ieee_div_zero 0
		.amdhsa_exception_fp_ieee_overflow 0
		.amdhsa_exception_fp_ieee_underflow 0
		.amdhsa_exception_fp_ieee_inexact 0
		.amdhsa_exception_int_div_zero 0
	.end_amdhsa_kernel
	.section	.text._ZN7rocprim17ROCPRIM_400000_NS6detail17trampoline_kernelINS0_14default_configENS1_22reduce_config_selectorItEEZNS1_11reduce_implILb1ES3_N6thrust23THRUST_200600_302600_NS6detail15normal_iteratorINS8_10device_ptrItEEEEPffNS8_4plusIfEEEE10hipError_tPvRmT1_T2_T3_mT4_P12ihipStream_tbEUlT_E0_NS1_11comp_targetILNS1_3genE3ELNS1_11target_archE908ELNS1_3gpuE7ELNS1_3repE0EEENS1_30default_config_static_selectorELNS0_4arch9wavefront6targetE1EEEvSK_,"axG",@progbits,_ZN7rocprim17ROCPRIM_400000_NS6detail17trampoline_kernelINS0_14default_configENS1_22reduce_config_selectorItEEZNS1_11reduce_implILb1ES3_N6thrust23THRUST_200600_302600_NS6detail15normal_iteratorINS8_10device_ptrItEEEEPffNS8_4plusIfEEEE10hipError_tPvRmT1_T2_T3_mT4_P12ihipStream_tbEUlT_E0_NS1_11comp_targetILNS1_3genE3ELNS1_11target_archE908ELNS1_3gpuE7ELNS1_3repE0EEENS1_30default_config_static_selectorELNS0_4arch9wavefront6targetE1EEEvSK_,comdat
.Lfunc_end444:
	.size	_ZN7rocprim17ROCPRIM_400000_NS6detail17trampoline_kernelINS0_14default_configENS1_22reduce_config_selectorItEEZNS1_11reduce_implILb1ES3_N6thrust23THRUST_200600_302600_NS6detail15normal_iteratorINS8_10device_ptrItEEEEPffNS8_4plusIfEEEE10hipError_tPvRmT1_T2_T3_mT4_P12ihipStream_tbEUlT_E0_NS1_11comp_targetILNS1_3genE3ELNS1_11target_archE908ELNS1_3gpuE7ELNS1_3repE0EEENS1_30default_config_static_selectorELNS0_4arch9wavefront6targetE1EEEvSK_, .Lfunc_end444-_ZN7rocprim17ROCPRIM_400000_NS6detail17trampoline_kernelINS0_14default_configENS1_22reduce_config_selectorItEEZNS1_11reduce_implILb1ES3_N6thrust23THRUST_200600_302600_NS6detail15normal_iteratorINS8_10device_ptrItEEEEPffNS8_4plusIfEEEE10hipError_tPvRmT1_T2_T3_mT4_P12ihipStream_tbEUlT_E0_NS1_11comp_targetILNS1_3genE3ELNS1_11target_archE908ELNS1_3gpuE7ELNS1_3repE0EEENS1_30default_config_static_selectorELNS0_4arch9wavefront6targetE1EEEvSK_
                                        ; -- End function
	.set _ZN7rocprim17ROCPRIM_400000_NS6detail17trampoline_kernelINS0_14default_configENS1_22reduce_config_selectorItEEZNS1_11reduce_implILb1ES3_N6thrust23THRUST_200600_302600_NS6detail15normal_iteratorINS8_10device_ptrItEEEEPffNS8_4plusIfEEEE10hipError_tPvRmT1_T2_T3_mT4_P12ihipStream_tbEUlT_E0_NS1_11comp_targetILNS1_3genE3ELNS1_11target_archE908ELNS1_3gpuE7ELNS1_3repE0EEENS1_30default_config_static_selectorELNS0_4arch9wavefront6targetE1EEEvSK_.num_vgpr, 0
	.set _ZN7rocprim17ROCPRIM_400000_NS6detail17trampoline_kernelINS0_14default_configENS1_22reduce_config_selectorItEEZNS1_11reduce_implILb1ES3_N6thrust23THRUST_200600_302600_NS6detail15normal_iteratorINS8_10device_ptrItEEEEPffNS8_4plusIfEEEE10hipError_tPvRmT1_T2_T3_mT4_P12ihipStream_tbEUlT_E0_NS1_11comp_targetILNS1_3genE3ELNS1_11target_archE908ELNS1_3gpuE7ELNS1_3repE0EEENS1_30default_config_static_selectorELNS0_4arch9wavefront6targetE1EEEvSK_.num_agpr, 0
	.set _ZN7rocprim17ROCPRIM_400000_NS6detail17trampoline_kernelINS0_14default_configENS1_22reduce_config_selectorItEEZNS1_11reduce_implILb1ES3_N6thrust23THRUST_200600_302600_NS6detail15normal_iteratorINS8_10device_ptrItEEEEPffNS8_4plusIfEEEE10hipError_tPvRmT1_T2_T3_mT4_P12ihipStream_tbEUlT_E0_NS1_11comp_targetILNS1_3genE3ELNS1_11target_archE908ELNS1_3gpuE7ELNS1_3repE0EEENS1_30default_config_static_selectorELNS0_4arch9wavefront6targetE1EEEvSK_.numbered_sgpr, 0
	.set _ZN7rocprim17ROCPRIM_400000_NS6detail17trampoline_kernelINS0_14default_configENS1_22reduce_config_selectorItEEZNS1_11reduce_implILb1ES3_N6thrust23THRUST_200600_302600_NS6detail15normal_iteratorINS8_10device_ptrItEEEEPffNS8_4plusIfEEEE10hipError_tPvRmT1_T2_T3_mT4_P12ihipStream_tbEUlT_E0_NS1_11comp_targetILNS1_3genE3ELNS1_11target_archE908ELNS1_3gpuE7ELNS1_3repE0EEENS1_30default_config_static_selectorELNS0_4arch9wavefront6targetE1EEEvSK_.num_named_barrier, 0
	.set _ZN7rocprim17ROCPRIM_400000_NS6detail17trampoline_kernelINS0_14default_configENS1_22reduce_config_selectorItEEZNS1_11reduce_implILb1ES3_N6thrust23THRUST_200600_302600_NS6detail15normal_iteratorINS8_10device_ptrItEEEEPffNS8_4plusIfEEEE10hipError_tPvRmT1_T2_T3_mT4_P12ihipStream_tbEUlT_E0_NS1_11comp_targetILNS1_3genE3ELNS1_11target_archE908ELNS1_3gpuE7ELNS1_3repE0EEENS1_30default_config_static_selectorELNS0_4arch9wavefront6targetE1EEEvSK_.private_seg_size, 0
	.set _ZN7rocprim17ROCPRIM_400000_NS6detail17trampoline_kernelINS0_14default_configENS1_22reduce_config_selectorItEEZNS1_11reduce_implILb1ES3_N6thrust23THRUST_200600_302600_NS6detail15normal_iteratorINS8_10device_ptrItEEEEPffNS8_4plusIfEEEE10hipError_tPvRmT1_T2_T3_mT4_P12ihipStream_tbEUlT_E0_NS1_11comp_targetILNS1_3genE3ELNS1_11target_archE908ELNS1_3gpuE7ELNS1_3repE0EEENS1_30default_config_static_selectorELNS0_4arch9wavefront6targetE1EEEvSK_.uses_vcc, 0
	.set _ZN7rocprim17ROCPRIM_400000_NS6detail17trampoline_kernelINS0_14default_configENS1_22reduce_config_selectorItEEZNS1_11reduce_implILb1ES3_N6thrust23THRUST_200600_302600_NS6detail15normal_iteratorINS8_10device_ptrItEEEEPffNS8_4plusIfEEEE10hipError_tPvRmT1_T2_T3_mT4_P12ihipStream_tbEUlT_E0_NS1_11comp_targetILNS1_3genE3ELNS1_11target_archE908ELNS1_3gpuE7ELNS1_3repE0EEENS1_30default_config_static_selectorELNS0_4arch9wavefront6targetE1EEEvSK_.uses_flat_scratch, 0
	.set _ZN7rocprim17ROCPRIM_400000_NS6detail17trampoline_kernelINS0_14default_configENS1_22reduce_config_selectorItEEZNS1_11reduce_implILb1ES3_N6thrust23THRUST_200600_302600_NS6detail15normal_iteratorINS8_10device_ptrItEEEEPffNS8_4plusIfEEEE10hipError_tPvRmT1_T2_T3_mT4_P12ihipStream_tbEUlT_E0_NS1_11comp_targetILNS1_3genE3ELNS1_11target_archE908ELNS1_3gpuE7ELNS1_3repE0EEENS1_30default_config_static_selectorELNS0_4arch9wavefront6targetE1EEEvSK_.has_dyn_sized_stack, 0
	.set _ZN7rocprim17ROCPRIM_400000_NS6detail17trampoline_kernelINS0_14default_configENS1_22reduce_config_selectorItEEZNS1_11reduce_implILb1ES3_N6thrust23THRUST_200600_302600_NS6detail15normal_iteratorINS8_10device_ptrItEEEEPffNS8_4plusIfEEEE10hipError_tPvRmT1_T2_T3_mT4_P12ihipStream_tbEUlT_E0_NS1_11comp_targetILNS1_3genE3ELNS1_11target_archE908ELNS1_3gpuE7ELNS1_3repE0EEENS1_30default_config_static_selectorELNS0_4arch9wavefront6targetE1EEEvSK_.has_recursion, 0
	.set _ZN7rocprim17ROCPRIM_400000_NS6detail17trampoline_kernelINS0_14default_configENS1_22reduce_config_selectorItEEZNS1_11reduce_implILb1ES3_N6thrust23THRUST_200600_302600_NS6detail15normal_iteratorINS8_10device_ptrItEEEEPffNS8_4plusIfEEEE10hipError_tPvRmT1_T2_T3_mT4_P12ihipStream_tbEUlT_E0_NS1_11comp_targetILNS1_3genE3ELNS1_11target_archE908ELNS1_3gpuE7ELNS1_3repE0EEENS1_30default_config_static_selectorELNS0_4arch9wavefront6targetE1EEEvSK_.has_indirect_call, 0
	.section	.AMDGPU.csdata,"",@progbits
; Kernel info:
; codeLenInByte = 0
; TotalNumSgprs: 6
; NumVgprs: 0
; NumAgprs: 0
; TotalNumVgprs: 0
; ScratchSize: 0
; MemoryBound: 0
; FloatMode: 240
; IeeeMode: 1
; LDSByteSize: 0 bytes/workgroup (compile time only)
; SGPRBlocks: 0
; VGPRBlocks: 0
; NumSGPRsForWavesPerEU: 6
; NumVGPRsForWavesPerEU: 1
; AccumOffset: 4
; Occupancy: 8
; WaveLimiterHint : 0
; COMPUTE_PGM_RSRC2:SCRATCH_EN: 0
; COMPUTE_PGM_RSRC2:USER_SGPR: 2
; COMPUTE_PGM_RSRC2:TRAP_HANDLER: 0
; COMPUTE_PGM_RSRC2:TGID_X_EN: 1
; COMPUTE_PGM_RSRC2:TGID_Y_EN: 0
; COMPUTE_PGM_RSRC2:TGID_Z_EN: 0
; COMPUTE_PGM_RSRC2:TIDIG_COMP_CNT: 0
; COMPUTE_PGM_RSRC3_GFX90A:ACCUM_OFFSET: 0
; COMPUTE_PGM_RSRC3_GFX90A:TG_SPLIT: 0
	.section	.text._ZN7rocprim17ROCPRIM_400000_NS6detail17trampoline_kernelINS0_14default_configENS1_22reduce_config_selectorItEEZNS1_11reduce_implILb1ES3_N6thrust23THRUST_200600_302600_NS6detail15normal_iteratorINS8_10device_ptrItEEEEPffNS8_4plusIfEEEE10hipError_tPvRmT1_T2_T3_mT4_P12ihipStream_tbEUlT_E0_NS1_11comp_targetILNS1_3genE2ELNS1_11target_archE906ELNS1_3gpuE6ELNS1_3repE0EEENS1_30default_config_static_selectorELNS0_4arch9wavefront6targetE1EEEvSK_,"axG",@progbits,_ZN7rocprim17ROCPRIM_400000_NS6detail17trampoline_kernelINS0_14default_configENS1_22reduce_config_selectorItEEZNS1_11reduce_implILb1ES3_N6thrust23THRUST_200600_302600_NS6detail15normal_iteratorINS8_10device_ptrItEEEEPffNS8_4plusIfEEEE10hipError_tPvRmT1_T2_T3_mT4_P12ihipStream_tbEUlT_E0_NS1_11comp_targetILNS1_3genE2ELNS1_11target_archE906ELNS1_3gpuE6ELNS1_3repE0EEENS1_30default_config_static_selectorELNS0_4arch9wavefront6targetE1EEEvSK_,comdat
	.protected	_ZN7rocprim17ROCPRIM_400000_NS6detail17trampoline_kernelINS0_14default_configENS1_22reduce_config_selectorItEEZNS1_11reduce_implILb1ES3_N6thrust23THRUST_200600_302600_NS6detail15normal_iteratorINS8_10device_ptrItEEEEPffNS8_4plusIfEEEE10hipError_tPvRmT1_T2_T3_mT4_P12ihipStream_tbEUlT_E0_NS1_11comp_targetILNS1_3genE2ELNS1_11target_archE906ELNS1_3gpuE6ELNS1_3repE0EEENS1_30default_config_static_selectorELNS0_4arch9wavefront6targetE1EEEvSK_ ; -- Begin function _ZN7rocprim17ROCPRIM_400000_NS6detail17trampoline_kernelINS0_14default_configENS1_22reduce_config_selectorItEEZNS1_11reduce_implILb1ES3_N6thrust23THRUST_200600_302600_NS6detail15normal_iteratorINS8_10device_ptrItEEEEPffNS8_4plusIfEEEE10hipError_tPvRmT1_T2_T3_mT4_P12ihipStream_tbEUlT_E0_NS1_11comp_targetILNS1_3genE2ELNS1_11target_archE906ELNS1_3gpuE6ELNS1_3repE0EEENS1_30default_config_static_selectorELNS0_4arch9wavefront6targetE1EEEvSK_
	.globl	_ZN7rocprim17ROCPRIM_400000_NS6detail17trampoline_kernelINS0_14default_configENS1_22reduce_config_selectorItEEZNS1_11reduce_implILb1ES3_N6thrust23THRUST_200600_302600_NS6detail15normal_iteratorINS8_10device_ptrItEEEEPffNS8_4plusIfEEEE10hipError_tPvRmT1_T2_T3_mT4_P12ihipStream_tbEUlT_E0_NS1_11comp_targetILNS1_3genE2ELNS1_11target_archE906ELNS1_3gpuE6ELNS1_3repE0EEENS1_30default_config_static_selectorELNS0_4arch9wavefront6targetE1EEEvSK_
	.p2align	8
	.type	_ZN7rocprim17ROCPRIM_400000_NS6detail17trampoline_kernelINS0_14default_configENS1_22reduce_config_selectorItEEZNS1_11reduce_implILb1ES3_N6thrust23THRUST_200600_302600_NS6detail15normal_iteratorINS8_10device_ptrItEEEEPffNS8_4plusIfEEEE10hipError_tPvRmT1_T2_T3_mT4_P12ihipStream_tbEUlT_E0_NS1_11comp_targetILNS1_3genE2ELNS1_11target_archE906ELNS1_3gpuE6ELNS1_3repE0EEENS1_30default_config_static_selectorELNS0_4arch9wavefront6targetE1EEEvSK_,@function
_ZN7rocprim17ROCPRIM_400000_NS6detail17trampoline_kernelINS0_14default_configENS1_22reduce_config_selectorItEEZNS1_11reduce_implILb1ES3_N6thrust23THRUST_200600_302600_NS6detail15normal_iteratorINS8_10device_ptrItEEEEPffNS8_4plusIfEEEE10hipError_tPvRmT1_T2_T3_mT4_P12ihipStream_tbEUlT_E0_NS1_11comp_targetILNS1_3genE2ELNS1_11target_archE906ELNS1_3gpuE6ELNS1_3repE0EEENS1_30default_config_static_selectorELNS0_4arch9wavefront6targetE1EEEvSK_: ; @_ZN7rocprim17ROCPRIM_400000_NS6detail17trampoline_kernelINS0_14default_configENS1_22reduce_config_selectorItEEZNS1_11reduce_implILb1ES3_N6thrust23THRUST_200600_302600_NS6detail15normal_iteratorINS8_10device_ptrItEEEEPffNS8_4plusIfEEEE10hipError_tPvRmT1_T2_T3_mT4_P12ihipStream_tbEUlT_E0_NS1_11comp_targetILNS1_3genE2ELNS1_11target_archE906ELNS1_3gpuE6ELNS1_3repE0EEENS1_30default_config_static_selectorELNS0_4arch9wavefront6targetE1EEEvSK_
; %bb.0:
	.section	.rodata,"a",@progbits
	.p2align	6, 0x0
	.amdhsa_kernel _ZN7rocprim17ROCPRIM_400000_NS6detail17trampoline_kernelINS0_14default_configENS1_22reduce_config_selectorItEEZNS1_11reduce_implILb1ES3_N6thrust23THRUST_200600_302600_NS6detail15normal_iteratorINS8_10device_ptrItEEEEPffNS8_4plusIfEEEE10hipError_tPvRmT1_T2_T3_mT4_P12ihipStream_tbEUlT_E0_NS1_11comp_targetILNS1_3genE2ELNS1_11target_archE906ELNS1_3gpuE6ELNS1_3repE0EEENS1_30default_config_static_selectorELNS0_4arch9wavefront6targetE1EEEvSK_
		.amdhsa_group_segment_fixed_size 0
		.amdhsa_private_segment_fixed_size 0
		.amdhsa_kernarg_size 56
		.amdhsa_user_sgpr_count 2
		.amdhsa_user_sgpr_dispatch_ptr 0
		.amdhsa_user_sgpr_queue_ptr 0
		.amdhsa_user_sgpr_kernarg_segment_ptr 1
		.amdhsa_user_sgpr_dispatch_id 0
		.amdhsa_user_sgpr_kernarg_preload_length 0
		.amdhsa_user_sgpr_kernarg_preload_offset 0
		.amdhsa_user_sgpr_private_segment_size 0
		.amdhsa_uses_dynamic_stack 0
		.amdhsa_enable_private_segment 0
		.amdhsa_system_sgpr_workgroup_id_x 1
		.amdhsa_system_sgpr_workgroup_id_y 0
		.amdhsa_system_sgpr_workgroup_id_z 0
		.amdhsa_system_sgpr_workgroup_info 0
		.amdhsa_system_vgpr_workitem_id 0
		.amdhsa_next_free_vgpr 1
		.amdhsa_next_free_sgpr 0
		.amdhsa_accum_offset 4
		.amdhsa_reserve_vcc 0
		.amdhsa_float_round_mode_32 0
		.amdhsa_float_round_mode_16_64 0
		.amdhsa_float_denorm_mode_32 3
		.amdhsa_float_denorm_mode_16_64 3
		.amdhsa_dx10_clamp 1
		.amdhsa_ieee_mode 1
		.amdhsa_fp16_overflow 0
		.amdhsa_tg_split 0
		.amdhsa_exception_fp_ieee_invalid_op 0
		.amdhsa_exception_fp_denorm_src 0
		.amdhsa_exception_fp_ieee_div_zero 0
		.amdhsa_exception_fp_ieee_overflow 0
		.amdhsa_exception_fp_ieee_underflow 0
		.amdhsa_exception_fp_ieee_inexact 0
		.amdhsa_exception_int_div_zero 0
	.end_amdhsa_kernel
	.section	.text._ZN7rocprim17ROCPRIM_400000_NS6detail17trampoline_kernelINS0_14default_configENS1_22reduce_config_selectorItEEZNS1_11reduce_implILb1ES3_N6thrust23THRUST_200600_302600_NS6detail15normal_iteratorINS8_10device_ptrItEEEEPffNS8_4plusIfEEEE10hipError_tPvRmT1_T2_T3_mT4_P12ihipStream_tbEUlT_E0_NS1_11comp_targetILNS1_3genE2ELNS1_11target_archE906ELNS1_3gpuE6ELNS1_3repE0EEENS1_30default_config_static_selectorELNS0_4arch9wavefront6targetE1EEEvSK_,"axG",@progbits,_ZN7rocprim17ROCPRIM_400000_NS6detail17trampoline_kernelINS0_14default_configENS1_22reduce_config_selectorItEEZNS1_11reduce_implILb1ES3_N6thrust23THRUST_200600_302600_NS6detail15normal_iteratorINS8_10device_ptrItEEEEPffNS8_4plusIfEEEE10hipError_tPvRmT1_T2_T3_mT4_P12ihipStream_tbEUlT_E0_NS1_11comp_targetILNS1_3genE2ELNS1_11target_archE906ELNS1_3gpuE6ELNS1_3repE0EEENS1_30default_config_static_selectorELNS0_4arch9wavefront6targetE1EEEvSK_,comdat
.Lfunc_end445:
	.size	_ZN7rocprim17ROCPRIM_400000_NS6detail17trampoline_kernelINS0_14default_configENS1_22reduce_config_selectorItEEZNS1_11reduce_implILb1ES3_N6thrust23THRUST_200600_302600_NS6detail15normal_iteratorINS8_10device_ptrItEEEEPffNS8_4plusIfEEEE10hipError_tPvRmT1_T2_T3_mT4_P12ihipStream_tbEUlT_E0_NS1_11comp_targetILNS1_3genE2ELNS1_11target_archE906ELNS1_3gpuE6ELNS1_3repE0EEENS1_30default_config_static_selectorELNS0_4arch9wavefront6targetE1EEEvSK_, .Lfunc_end445-_ZN7rocprim17ROCPRIM_400000_NS6detail17trampoline_kernelINS0_14default_configENS1_22reduce_config_selectorItEEZNS1_11reduce_implILb1ES3_N6thrust23THRUST_200600_302600_NS6detail15normal_iteratorINS8_10device_ptrItEEEEPffNS8_4plusIfEEEE10hipError_tPvRmT1_T2_T3_mT4_P12ihipStream_tbEUlT_E0_NS1_11comp_targetILNS1_3genE2ELNS1_11target_archE906ELNS1_3gpuE6ELNS1_3repE0EEENS1_30default_config_static_selectorELNS0_4arch9wavefront6targetE1EEEvSK_
                                        ; -- End function
	.set _ZN7rocprim17ROCPRIM_400000_NS6detail17trampoline_kernelINS0_14default_configENS1_22reduce_config_selectorItEEZNS1_11reduce_implILb1ES3_N6thrust23THRUST_200600_302600_NS6detail15normal_iteratorINS8_10device_ptrItEEEEPffNS8_4plusIfEEEE10hipError_tPvRmT1_T2_T3_mT4_P12ihipStream_tbEUlT_E0_NS1_11comp_targetILNS1_3genE2ELNS1_11target_archE906ELNS1_3gpuE6ELNS1_3repE0EEENS1_30default_config_static_selectorELNS0_4arch9wavefront6targetE1EEEvSK_.num_vgpr, 0
	.set _ZN7rocprim17ROCPRIM_400000_NS6detail17trampoline_kernelINS0_14default_configENS1_22reduce_config_selectorItEEZNS1_11reduce_implILb1ES3_N6thrust23THRUST_200600_302600_NS6detail15normal_iteratorINS8_10device_ptrItEEEEPffNS8_4plusIfEEEE10hipError_tPvRmT1_T2_T3_mT4_P12ihipStream_tbEUlT_E0_NS1_11comp_targetILNS1_3genE2ELNS1_11target_archE906ELNS1_3gpuE6ELNS1_3repE0EEENS1_30default_config_static_selectorELNS0_4arch9wavefront6targetE1EEEvSK_.num_agpr, 0
	.set _ZN7rocprim17ROCPRIM_400000_NS6detail17trampoline_kernelINS0_14default_configENS1_22reduce_config_selectorItEEZNS1_11reduce_implILb1ES3_N6thrust23THRUST_200600_302600_NS6detail15normal_iteratorINS8_10device_ptrItEEEEPffNS8_4plusIfEEEE10hipError_tPvRmT1_T2_T3_mT4_P12ihipStream_tbEUlT_E0_NS1_11comp_targetILNS1_3genE2ELNS1_11target_archE906ELNS1_3gpuE6ELNS1_3repE0EEENS1_30default_config_static_selectorELNS0_4arch9wavefront6targetE1EEEvSK_.numbered_sgpr, 0
	.set _ZN7rocprim17ROCPRIM_400000_NS6detail17trampoline_kernelINS0_14default_configENS1_22reduce_config_selectorItEEZNS1_11reduce_implILb1ES3_N6thrust23THRUST_200600_302600_NS6detail15normal_iteratorINS8_10device_ptrItEEEEPffNS8_4plusIfEEEE10hipError_tPvRmT1_T2_T3_mT4_P12ihipStream_tbEUlT_E0_NS1_11comp_targetILNS1_3genE2ELNS1_11target_archE906ELNS1_3gpuE6ELNS1_3repE0EEENS1_30default_config_static_selectorELNS0_4arch9wavefront6targetE1EEEvSK_.num_named_barrier, 0
	.set _ZN7rocprim17ROCPRIM_400000_NS6detail17trampoline_kernelINS0_14default_configENS1_22reduce_config_selectorItEEZNS1_11reduce_implILb1ES3_N6thrust23THRUST_200600_302600_NS6detail15normal_iteratorINS8_10device_ptrItEEEEPffNS8_4plusIfEEEE10hipError_tPvRmT1_T2_T3_mT4_P12ihipStream_tbEUlT_E0_NS1_11comp_targetILNS1_3genE2ELNS1_11target_archE906ELNS1_3gpuE6ELNS1_3repE0EEENS1_30default_config_static_selectorELNS0_4arch9wavefront6targetE1EEEvSK_.private_seg_size, 0
	.set _ZN7rocprim17ROCPRIM_400000_NS6detail17trampoline_kernelINS0_14default_configENS1_22reduce_config_selectorItEEZNS1_11reduce_implILb1ES3_N6thrust23THRUST_200600_302600_NS6detail15normal_iteratorINS8_10device_ptrItEEEEPffNS8_4plusIfEEEE10hipError_tPvRmT1_T2_T3_mT4_P12ihipStream_tbEUlT_E0_NS1_11comp_targetILNS1_3genE2ELNS1_11target_archE906ELNS1_3gpuE6ELNS1_3repE0EEENS1_30default_config_static_selectorELNS0_4arch9wavefront6targetE1EEEvSK_.uses_vcc, 0
	.set _ZN7rocprim17ROCPRIM_400000_NS6detail17trampoline_kernelINS0_14default_configENS1_22reduce_config_selectorItEEZNS1_11reduce_implILb1ES3_N6thrust23THRUST_200600_302600_NS6detail15normal_iteratorINS8_10device_ptrItEEEEPffNS8_4plusIfEEEE10hipError_tPvRmT1_T2_T3_mT4_P12ihipStream_tbEUlT_E0_NS1_11comp_targetILNS1_3genE2ELNS1_11target_archE906ELNS1_3gpuE6ELNS1_3repE0EEENS1_30default_config_static_selectorELNS0_4arch9wavefront6targetE1EEEvSK_.uses_flat_scratch, 0
	.set _ZN7rocprim17ROCPRIM_400000_NS6detail17trampoline_kernelINS0_14default_configENS1_22reduce_config_selectorItEEZNS1_11reduce_implILb1ES3_N6thrust23THRUST_200600_302600_NS6detail15normal_iteratorINS8_10device_ptrItEEEEPffNS8_4plusIfEEEE10hipError_tPvRmT1_T2_T3_mT4_P12ihipStream_tbEUlT_E0_NS1_11comp_targetILNS1_3genE2ELNS1_11target_archE906ELNS1_3gpuE6ELNS1_3repE0EEENS1_30default_config_static_selectorELNS0_4arch9wavefront6targetE1EEEvSK_.has_dyn_sized_stack, 0
	.set _ZN7rocprim17ROCPRIM_400000_NS6detail17trampoline_kernelINS0_14default_configENS1_22reduce_config_selectorItEEZNS1_11reduce_implILb1ES3_N6thrust23THRUST_200600_302600_NS6detail15normal_iteratorINS8_10device_ptrItEEEEPffNS8_4plusIfEEEE10hipError_tPvRmT1_T2_T3_mT4_P12ihipStream_tbEUlT_E0_NS1_11comp_targetILNS1_3genE2ELNS1_11target_archE906ELNS1_3gpuE6ELNS1_3repE0EEENS1_30default_config_static_selectorELNS0_4arch9wavefront6targetE1EEEvSK_.has_recursion, 0
	.set _ZN7rocprim17ROCPRIM_400000_NS6detail17trampoline_kernelINS0_14default_configENS1_22reduce_config_selectorItEEZNS1_11reduce_implILb1ES3_N6thrust23THRUST_200600_302600_NS6detail15normal_iteratorINS8_10device_ptrItEEEEPffNS8_4plusIfEEEE10hipError_tPvRmT1_T2_T3_mT4_P12ihipStream_tbEUlT_E0_NS1_11comp_targetILNS1_3genE2ELNS1_11target_archE906ELNS1_3gpuE6ELNS1_3repE0EEENS1_30default_config_static_selectorELNS0_4arch9wavefront6targetE1EEEvSK_.has_indirect_call, 0
	.section	.AMDGPU.csdata,"",@progbits
; Kernel info:
; codeLenInByte = 0
; TotalNumSgprs: 6
; NumVgprs: 0
; NumAgprs: 0
; TotalNumVgprs: 0
; ScratchSize: 0
; MemoryBound: 0
; FloatMode: 240
; IeeeMode: 1
; LDSByteSize: 0 bytes/workgroup (compile time only)
; SGPRBlocks: 0
; VGPRBlocks: 0
; NumSGPRsForWavesPerEU: 6
; NumVGPRsForWavesPerEU: 1
; AccumOffset: 4
; Occupancy: 8
; WaveLimiterHint : 0
; COMPUTE_PGM_RSRC2:SCRATCH_EN: 0
; COMPUTE_PGM_RSRC2:USER_SGPR: 2
; COMPUTE_PGM_RSRC2:TRAP_HANDLER: 0
; COMPUTE_PGM_RSRC2:TGID_X_EN: 1
; COMPUTE_PGM_RSRC2:TGID_Y_EN: 0
; COMPUTE_PGM_RSRC2:TGID_Z_EN: 0
; COMPUTE_PGM_RSRC2:TIDIG_COMP_CNT: 0
; COMPUTE_PGM_RSRC3_GFX90A:ACCUM_OFFSET: 0
; COMPUTE_PGM_RSRC3_GFX90A:TG_SPLIT: 0
	.section	.text._ZN7rocprim17ROCPRIM_400000_NS6detail17trampoline_kernelINS0_14default_configENS1_22reduce_config_selectorItEEZNS1_11reduce_implILb1ES3_N6thrust23THRUST_200600_302600_NS6detail15normal_iteratorINS8_10device_ptrItEEEEPffNS8_4plusIfEEEE10hipError_tPvRmT1_T2_T3_mT4_P12ihipStream_tbEUlT_E0_NS1_11comp_targetILNS1_3genE10ELNS1_11target_archE1201ELNS1_3gpuE5ELNS1_3repE0EEENS1_30default_config_static_selectorELNS0_4arch9wavefront6targetE1EEEvSK_,"axG",@progbits,_ZN7rocprim17ROCPRIM_400000_NS6detail17trampoline_kernelINS0_14default_configENS1_22reduce_config_selectorItEEZNS1_11reduce_implILb1ES3_N6thrust23THRUST_200600_302600_NS6detail15normal_iteratorINS8_10device_ptrItEEEEPffNS8_4plusIfEEEE10hipError_tPvRmT1_T2_T3_mT4_P12ihipStream_tbEUlT_E0_NS1_11comp_targetILNS1_3genE10ELNS1_11target_archE1201ELNS1_3gpuE5ELNS1_3repE0EEENS1_30default_config_static_selectorELNS0_4arch9wavefront6targetE1EEEvSK_,comdat
	.protected	_ZN7rocprim17ROCPRIM_400000_NS6detail17trampoline_kernelINS0_14default_configENS1_22reduce_config_selectorItEEZNS1_11reduce_implILb1ES3_N6thrust23THRUST_200600_302600_NS6detail15normal_iteratorINS8_10device_ptrItEEEEPffNS8_4plusIfEEEE10hipError_tPvRmT1_T2_T3_mT4_P12ihipStream_tbEUlT_E0_NS1_11comp_targetILNS1_3genE10ELNS1_11target_archE1201ELNS1_3gpuE5ELNS1_3repE0EEENS1_30default_config_static_selectorELNS0_4arch9wavefront6targetE1EEEvSK_ ; -- Begin function _ZN7rocprim17ROCPRIM_400000_NS6detail17trampoline_kernelINS0_14default_configENS1_22reduce_config_selectorItEEZNS1_11reduce_implILb1ES3_N6thrust23THRUST_200600_302600_NS6detail15normal_iteratorINS8_10device_ptrItEEEEPffNS8_4plusIfEEEE10hipError_tPvRmT1_T2_T3_mT4_P12ihipStream_tbEUlT_E0_NS1_11comp_targetILNS1_3genE10ELNS1_11target_archE1201ELNS1_3gpuE5ELNS1_3repE0EEENS1_30default_config_static_selectorELNS0_4arch9wavefront6targetE1EEEvSK_
	.globl	_ZN7rocprim17ROCPRIM_400000_NS6detail17trampoline_kernelINS0_14default_configENS1_22reduce_config_selectorItEEZNS1_11reduce_implILb1ES3_N6thrust23THRUST_200600_302600_NS6detail15normal_iteratorINS8_10device_ptrItEEEEPffNS8_4plusIfEEEE10hipError_tPvRmT1_T2_T3_mT4_P12ihipStream_tbEUlT_E0_NS1_11comp_targetILNS1_3genE10ELNS1_11target_archE1201ELNS1_3gpuE5ELNS1_3repE0EEENS1_30default_config_static_selectorELNS0_4arch9wavefront6targetE1EEEvSK_
	.p2align	8
	.type	_ZN7rocprim17ROCPRIM_400000_NS6detail17trampoline_kernelINS0_14default_configENS1_22reduce_config_selectorItEEZNS1_11reduce_implILb1ES3_N6thrust23THRUST_200600_302600_NS6detail15normal_iteratorINS8_10device_ptrItEEEEPffNS8_4plusIfEEEE10hipError_tPvRmT1_T2_T3_mT4_P12ihipStream_tbEUlT_E0_NS1_11comp_targetILNS1_3genE10ELNS1_11target_archE1201ELNS1_3gpuE5ELNS1_3repE0EEENS1_30default_config_static_selectorELNS0_4arch9wavefront6targetE1EEEvSK_,@function
_ZN7rocprim17ROCPRIM_400000_NS6detail17trampoline_kernelINS0_14default_configENS1_22reduce_config_selectorItEEZNS1_11reduce_implILb1ES3_N6thrust23THRUST_200600_302600_NS6detail15normal_iteratorINS8_10device_ptrItEEEEPffNS8_4plusIfEEEE10hipError_tPvRmT1_T2_T3_mT4_P12ihipStream_tbEUlT_E0_NS1_11comp_targetILNS1_3genE10ELNS1_11target_archE1201ELNS1_3gpuE5ELNS1_3repE0EEENS1_30default_config_static_selectorELNS0_4arch9wavefront6targetE1EEEvSK_: ; @_ZN7rocprim17ROCPRIM_400000_NS6detail17trampoline_kernelINS0_14default_configENS1_22reduce_config_selectorItEEZNS1_11reduce_implILb1ES3_N6thrust23THRUST_200600_302600_NS6detail15normal_iteratorINS8_10device_ptrItEEEEPffNS8_4plusIfEEEE10hipError_tPvRmT1_T2_T3_mT4_P12ihipStream_tbEUlT_E0_NS1_11comp_targetILNS1_3genE10ELNS1_11target_archE1201ELNS1_3gpuE5ELNS1_3repE0EEENS1_30default_config_static_selectorELNS0_4arch9wavefront6targetE1EEEvSK_
; %bb.0:
	.section	.rodata,"a",@progbits
	.p2align	6, 0x0
	.amdhsa_kernel _ZN7rocprim17ROCPRIM_400000_NS6detail17trampoline_kernelINS0_14default_configENS1_22reduce_config_selectorItEEZNS1_11reduce_implILb1ES3_N6thrust23THRUST_200600_302600_NS6detail15normal_iteratorINS8_10device_ptrItEEEEPffNS8_4plusIfEEEE10hipError_tPvRmT1_T2_T3_mT4_P12ihipStream_tbEUlT_E0_NS1_11comp_targetILNS1_3genE10ELNS1_11target_archE1201ELNS1_3gpuE5ELNS1_3repE0EEENS1_30default_config_static_selectorELNS0_4arch9wavefront6targetE1EEEvSK_
		.amdhsa_group_segment_fixed_size 0
		.amdhsa_private_segment_fixed_size 0
		.amdhsa_kernarg_size 56
		.amdhsa_user_sgpr_count 2
		.amdhsa_user_sgpr_dispatch_ptr 0
		.amdhsa_user_sgpr_queue_ptr 0
		.amdhsa_user_sgpr_kernarg_segment_ptr 1
		.amdhsa_user_sgpr_dispatch_id 0
		.amdhsa_user_sgpr_kernarg_preload_length 0
		.amdhsa_user_sgpr_kernarg_preload_offset 0
		.amdhsa_user_sgpr_private_segment_size 0
		.amdhsa_uses_dynamic_stack 0
		.amdhsa_enable_private_segment 0
		.amdhsa_system_sgpr_workgroup_id_x 1
		.amdhsa_system_sgpr_workgroup_id_y 0
		.amdhsa_system_sgpr_workgroup_id_z 0
		.amdhsa_system_sgpr_workgroup_info 0
		.amdhsa_system_vgpr_workitem_id 0
		.amdhsa_next_free_vgpr 1
		.amdhsa_next_free_sgpr 0
		.amdhsa_accum_offset 4
		.amdhsa_reserve_vcc 0
		.amdhsa_float_round_mode_32 0
		.amdhsa_float_round_mode_16_64 0
		.amdhsa_float_denorm_mode_32 3
		.amdhsa_float_denorm_mode_16_64 3
		.amdhsa_dx10_clamp 1
		.amdhsa_ieee_mode 1
		.amdhsa_fp16_overflow 0
		.amdhsa_tg_split 0
		.amdhsa_exception_fp_ieee_invalid_op 0
		.amdhsa_exception_fp_denorm_src 0
		.amdhsa_exception_fp_ieee_div_zero 0
		.amdhsa_exception_fp_ieee_overflow 0
		.amdhsa_exception_fp_ieee_underflow 0
		.amdhsa_exception_fp_ieee_inexact 0
		.amdhsa_exception_int_div_zero 0
	.end_amdhsa_kernel
	.section	.text._ZN7rocprim17ROCPRIM_400000_NS6detail17trampoline_kernelINS0_14default_configENS1_22reduce_config_selectorItEEZNS1_11reduce_implILb1ES3_N6thrust23THRUST_200600_302600_NS6detail15normal_iteratorINS8_10device_ptrItEEEEPffNS8_4plusIfEEEE10hipError_tPvRmT1_T2_T3_mT4_P12ihipStream_tbEUlT_E0_NS1_11comp_targetILNS1_3genE10ELNS1_11target_archE1201ELNS1_3gpuE5ELNS1_3repE0EEENS1_30default_config_static_selectorELNS0_4arch9wavefront6targetE1EEEvSK_,"axG",@progbits,_ZN7rocprim17ROCPRIM_400000_NS6detail17trampoline_kernelINS0_14default_configENS1_22reduce_config_selectorItEEZNS1_11reduce_implILb1ES3_N6thrust23THRUST_200600_302600_NS6detail15normal_iteratorINS8_10device_ptrItEEEEPffNS8_4plusIfEEEE10hipError_tPvRmT1_T2_T3_mT4_P12ihipStream_tbEUlT_E0_NS1_11comp_targetILNS1_3genE10ELNS1_11target_archE1201ELNS1_3gpuE5ELNS1_3repE0EEENS1_30default_config_static_selectorELNS0_4arch9wavefront6targetE1EEEvSK_,comdat
.Lfunc_end446:
	.size	_ZN7rocprim17ROCPRIM_400000_NS6detail17trampoline_kernelINS0_14default_configENS1_22reduce_config_selectorItEEZNS1_11reduce_implILb1ES3_N6thrust23THRUST_200600_302600_NS6detail15normal_iteratorINS8_10device_ptrItEEEEPffNS8_4plusIfEEEE10hipError_tPvRmT1_T2_T3_mT4_P12ihipStream_tbEUlT_E0_NS1_11comp_targetILNS1_3genE10ELNS1_11target_archE1201ELNS1_3gpuE5ELNS1_3repE0EEENS1_30default_config_static_selectorELNS0_4arch9wavefront6targetE1EEEvSK_, .Lfunc_end446-_ZN7rocprim17ROCPRIM_400000_NS6detail17trampoline_kernelINS0_14default_configENS1_22reduce_config_selectorItEEZNS1_11reduce_implILb1ES3_N6thrust23THRUST_200600_302600_NS6detail15normal_iteratorINS8_10device_ptrItEEEEPffNS8_4plusIfEEEE10hipError_tPvRmT1_T2_T3_mT4_P12ihipStream_tbEUlT_E0_NS1_11comp_targetILNS1_3genE10ELNS1_11target_archE1201ELNS1_3gpuE5ELNS1_3repE0EEENS1_30default_config_static_selectorELNS0_4arch9wavefront6targetE1EEEvSK_
                                        ; -- End function
	.set _ZN7rocprim17ROCPRIM_400000_NS6detail17trampoline_kernelINS0_14default_configENS1_22reduce_config_selectorItEEZNS1_11reduce_implILb1ES3_N6thrust23THRUST_200600_302600_NS6detail15normal_iteratorINS8_10device_ptrItEEEEPffNS8_4plusIfEEEE10hipError_tPvRmT1_T2_T3_mT4_P12ihipStream_tbEUlT_E0_NS1_11comp_targetILNS1_3genE10ELNS1_11target_archE1201ELNS1_3gpuE5ELNS1_3repE0EEENS1_30default_config_static_selectorELNS0_4arch9wavefront6targetE1EEEvSK_.num_vgpr, 0
	.set _ZN7rocprim17ROCPRIM_400000_NS6detail17trampoline_kernelINS0_14default_configENS1_22reduce_config_selectorItEEZNS1_11reduce_implILb1ES3_N6thrust23THRUST_200600_302600_NS6detail15normal_iteratorINS8_10device_ptrItEEEEPffNS8_4plusIfEEEE10hipError_tPvRmT1_T2_T3_mT4_P12ihipStream_tbEUlT_E0_NS1_11comp_targetILNS1_3genE10ELNS1_11target_archE1201ELNS1_3gpuE5ELNS1_3repE0EEENS1_30default_config_static_selectorELNS0_4arch9wavefront6targetE1EEEvSK_.num_agpr, 0
	.set _ZN7rocprim17ROCPRIM_400000_NS6detail17trampoline_kernelINS0_14default_configENS1_22reduce_config_selectorItEEZNS1_11reduce_implILb1ES3_N6thrust23THRUST_200600_302600_NS6detail15normal_iteratorINS8_10device_ptrItEEEEPffNS8_4plusIfEEEE10hipError_tPvRmT1_T2_T3_mT4_P12ihipStream_tbEUlT_E0_NS1_11comp_targetILNS1_3genE10ELNS1_11target_archE1201ELNS1_3gpuE5ELNS1_3repE0EEENS1_30default_config_static_selectorELNS0_4arch9wavefront6targetE1EEEvSK_.numbered_sgpr, 0
	.set _ZN7rocprim17ROCPRIM_400000_NS6detail17trampoline_kernelINS0_14default_configENS1_22reduce_config_selectorItEEZNS1_11reduce_implILb1ES3_N6thrust23THRUST_200600_302600_NS6detail15normal_iteratorINS8_10device_ptrItEEEEPffNS8_4plusIfEEEE10hipError_tPvRmT1_T2_T3_mT4_P12ihipStream_tbEUlT_E0_NS1_11comp_targetILNS1_3genE10ELNS1_11target_archE1201ELNS1_3gpuE5ELNS1_3repE0EEENS1_30default_config_static_selectorELNS0_4arch9wavefront6targetE1EEEvSK_.num_named_barrier, 0
	.set _ZN7rocprim17ROCPRIM_400000_NS6detail17trampoline_kernelINS0_14default_configENS1_22reduce_config_selectorItEEZNS1_11reduce_implILb1ES3_N6thrust23THRUST_200600_302600_NS6detail15normal_iteratorINS8_10device_ptrItEEEEPffNS8_4plusIfEEEE10hipError_tPvRmT1_T2_T3_mT4_P12ihipStream_tbEUlT_E0_NS1_11comp_targetILNS1_3genE10ELNS1_11target_archE1201ELNS1_3gpuE5ELNS1_3repE0EEENS1_30default_config_static_selectorELNS0_4arch9wavefront6targetE1EEEvSK_.private_seg_size, 0
	.set _ZN7rocprim17ROCPRIM_400000_NS6detail17trampoline_kernelINS0_14default_configENS1_22reduce_config_selectorItEEZNS1_11reduce_implILb1ES3_N6thrust23THRUST_200600_302600_NS6detail15normal_iteratorINS8_10device_ptrItEEEEPffNS8_4plusIfEEEE10hipError_tPvRmT1_T2_T3_mT4_P12ihipStream_tbEUlT_E0_NS1_11comp_targetILNS1_3genE10ELNS1_11target_archE1201ELNS1_3gpuE5ELNS1_3repE0EEENS1_30default_config_static_selectorELNS0_4arch9wavefront6targetE1EEEvSK_.uses_vcc, 0
	.set _ZN7rocprim17ROCPRIM_400000_NS6detail17trampoline_kernelINS0_14default_configENS1_22reduce_config_selectorItEEZNS1_11reduce_implILb1ES3_N6thrust23THRUST_200600_302600_NS6detail15normal_iteratorINS8_10device_ptrItEEEEPffNS8_4plusIfEEEE10hipError_tPvRmT1_T2_T3_mT4_P12ihipStream_tbEUlT_E0_NS1_11comp_targetILNS1_3genE10ELNS1_11target_archE1201ELNS1_3gpuE5ELNS1_3repE0EEENS1_30default_config_static_selectorELNS0_4arch9wavefront6targetE1EEEvSK_.uses_flat_scratch, 0
	.set _ZN7rocprim17ROCPRIM_400000_NS6detail17trampoline_kernelINS0_14default_configENS1_22reduce_config_selectorItEEZNS1_11reduce_implILb1ES3_N6thrust23THRUST_200600_302600_NS6detail15normal_iteratorINS8_10device_ptrItEEEEPffNS8_4plusIfEEEE10hipError_tPvRmT1_T2_T3_mT4_P12ihipStream_tbEUlT_E0_NS1_11comp_targetILNS1_3genE10ELNS1_11target_archE1201ELNS1_3gpuE5ELNS1_3repE0EEENS1_30default_config_static_selectorELNS0_4arch9wavefront6targetE1EEEvSK_.has_dyn_sized_stack, 0
	.set _ZN7rocprim17ROCPRIM_400000_NS6detail17trampoline_kernelINS0_14default_configENS1_22reduce_config_selectorItEEZNS1_11reduce_implILb1ES3_N6thrust23THRUST_200600_302600_NS6detail15normal_iteratorINS8_10device_ptrItEEEEPffNS8_4plusIfEEEE10hipError_tPvRmT1_T2_T3_mT4_P12ihipStream_tbEUlT_E0_NS1_11comp_targetILNS1_3genE10ELNS1_11target_archE1201ELNS1_3gpuE5ELNS1_3repE0EEENS1_30default_config_static_selectorELNS0_4arch9wavefront6targetE1EEEvSK_.has_recursion, 0
	.set _ZN7rocprim17ROCPRIM_400000_NS6detail17trampoline_kernelINS0_14default_configENS1_22reduce_config_selectorItEEZNS1_11reduce_implILb1ES3_N6thrust23THRUST_200600_302600_NS6detail15normal_iteratorINS8_10device_ptrItEEEEPffNS8_4plusIfEEEE10hipError_tPvRmT1_T2_T3_mT4_P12ihipStream_tbEUlT_E0_NS1_11comp_targetILNS1_3genE10ELNS1_11target_archE1201ELNS1_3gpuE5ELNS1_3repE0EEENS1_30default_config_static_selectorELNS0_4arch9wavefront6targetE1EEEvSK_.has_indirect_call, 0
	.section	.AMDGPU.csdata,"",@progbits
; Kernel info:
; codeLenInByte = 0
; TotalNumSgprs: 6
; NumVgprs: 0
; NumAgprs: 0
; TotalNumVgprs: 0
; ScratchSize: 0
; MemoryBound: 0
; FloatMode: 240
; IeeeMode: 1
; LDSByteSize: 0 bytes/workgroup (compile time only)
; SGPRBlocks: 0
; VGPRBlocks: 0
; NumSGPRsForWavesPerEU: 6
; NumVGPRsForWavesPerEU: 1
; AccumOffset: 4
; Occupancy: 8
; WaveLimiterHint : 0
; COMPUTE_PGM_RSRC2:SCRATCH_EN: 0
; COMPUTE_PGM_RSRC2:USER_SGPR: 2
; COMPUTE_PGM_RSRC2:TRAP_HANDLER: 0
; COMPUTE_PGM_RSRC2:TGID_X_EN: 1
; COMPUTE_PGM_RSRC2:TGID_Y_EN: 0
; COMPUTE_PGM_RSRC2:TGID_Z_EN: 0
; COMPUTE_PGM_RSRC2:TIDIG_COMP_CNT: 0
; COMPUTE_PGM_RSRC3_GFX90A:ACCUM_OFFSET: 0
; COMPUTE_PGM_RSRC3_GFX90A:TG_SPLIT: 0
	.section	.text._ZN7rocprim17ROCPRIM_400000_NS6detail17trampoline_kernelINS0_14default_configENS1_22reduce_config_selectorItEEZNS1_11reduce_implILb1ES3_N6thrust23THRUST_200600_302600_NS6detail15normal_iteratorINS8_10device_ptrItEEEEPffNS8_4plusIfEEEE10hipError_tPvRmT1_T2_T3_mT4_P12ihipStream_tbEUlT_E0_NS1_11comp_targetILNS1_3genE10ELNS1_11target_archE1200ELNS1_3gpuE4ELNS1_3repE0EEENS1_30default_config_static_selectorELNS0_4arch9wavefront6targetE1EEEvSK_,"axG",@progbits,_ZN7rocprim17ROCPRIM_400000_NS6detail17trampoline_kernelINS0_14default_configENS1_22reduce_config_selectorItEEZNS1_11reduce_implILb1ES3_N6thrust23THRUST_200600_302600_NS6detail15normal_iteratorINS8_10device_ptrItEEEEPffNS8_4plusIfEEEE10hipError_tPvRmT1_T2_T3_mT4_P12ihipStream_tbEUlT_E0_NS1_11comp_targetILNS1_3genE10ELNS1_11target_archE1200ELNS1_3gpuE4ELNS1_3repE0EEENS1_30default_config_static_selectorELNS0_4arch9wavefront6targetE1EEEvSK_,comdat
	.protected	_ZN7rocprim17ROCPRIM_400000_NS6detail17trampoline_kernelINS0_14default_configENS1_22reduce_config_selectorItEEZNS1_11reduce_implILb1ES3_N6thrust23THRUST_200600_302600_NS6detail15normal_iteratorINS8_10device_ptrItEEEEPffNS8_4plusIfEEEE10hipError_tPvRmT1_T2_T3_mT4_P12ihipStream_tbEUlT_E0_NS1_11comp_targetILNS1_3genE10ELNS1_11target_archE1200ELNS1_3gpuE4ELNS1_3repE0EEENS1_30default_config_static_selectorELNS0_4arch9wavefront6targetE1EEEvSK_ ; -- Begin function _ZN7rocprim17ROCPRIM_400000_NS6detail17trampoline_kernelINS0_14default_configENS1_22reduce_config_selectorItEEZNS1_11reduce_implILb1ES3_N6thrust23THRUST_200600_302600_NS6detail15normal_iteratorINS8_10device_ptrItEEEEPffNS8_4plusIfEEEE10hipError_tPvRmT1_T2_T3_mT4_P12ihipStream_tbEUlT_E0_NS1_11comp_targetILNS1_3genE10ELNS1_11target_archE1200ELNS1_3gpuE4ELNS1_3repE0EEENS1_30default_config_static_selectorELNS0_4arch9wavefront6targetE1EEEvSK_
	.globl	_ZN7rocprim17ROCPRIM_400000_NS6detail17trampoline_kernelINS0_14default_configENS1_22reduce_config_selectorItEEZNS1_11reduce_implILb1ES3_N6thrust23THRUST_200600_302600_NS6detail15normal_iteratorINS8_10device_ptrItEEEEPffNS8_4plusIfEEEE10hipError_tPvRmT1_T2_T3_mT4_P12ihipStream_tbEUlT_E0_NS1_11comp_targetILNS1_3genE10ELNS1_11target_archE1200ELNS1_3gpuE4ELNS1_3repE0EEENS1_30default_config_static_selectorELNS0_4arch9wavefront6targetE1EEEvSK_
	.p2align	8
	.type	_ZN7rocprim17ROCPRIM_400000_NS6detail17trampoline_kernelINS0_14default_configENS1_22reduce_config_selectorItEEZNS1_11reduce_implILb1ES3_N6thrust23THRUST_200600_302600_NS6detail15normal_iteratorINS8_10device_ptrItEEEEPffNS8_4plusIfEEEE10hipError_tPvRmT1_T2_T3_mT4_P12ihipStream_tbEUlT_E0_NS1_11comp_targetILNS1_3genE10ELNS1_11target_archE1200ELNS1_3gpuE4ELNS1_3repE0EEENS1_30default_config_static_selectorELNS0_4arch9wavefront6targetE1EEEvSK_,@function
_ZN7rocprim17ROCPRIM_400000_NS6detail17trampoline_kernelINS0_14default_configENS1_22reduce_config_selectorItEEZNS1_11reduce_implILb1ES3_N6thrust23THRUST_200600_302600_NS6detail15normal_iteratorINS8_10device_ptrItEEEEPffNS8_4plusIfEEEE10hipError_tPvRmT1_T2_T3_mT4_P12ihipStream_tbEUlT_E0_NS1_11comp_targetILNS1_3genE10ELNS1_11target_archE1200ELNS1_3gpuE4ELNS1_3repE0EEENS1_30default_config_static_selectorELNS0_4arch9wavefront6targetE1EEEvSK_: ; @_ZN7rocprim17ROCPRIM_400000_NS6detail17trampoline_kernelINS0_14default_configENS1_22reduce_config_selectorItEEZNS1_11reduce_implILb1ES3_N6thrust23THRUST_200600_302600_NS6detail15normal_iteratorINS8_10device_ptrItEEEEPffNS8_4plusIfEEEE10hipError_tPvRmT1_T2_T3_mT4_P12ihipStream_tbEUlT_E0_NS1_11comp_targetILNS1_3genE10ELNS1_11target_archE1200ELNS1_3gpuE4ELNS1_3repE0EEENS1_30default_config_static_selectorELNS0_4arch9wavefront6targetE1EEEvSK_
; %bb.0:
	.section	.rodata,"a",@progbits
	.p2align	6, 0x0
	.amdhsa_kernel _ZN7rocprim17ROCPRIM_400000_NS6detail17trampoline_kernelINS0_14default_configENS1_22reduce_config_selectorItEEZNS1_11reduce_implILb1ES3_N6thrust23THRUST_200600_302600_NS6detail15normal_iteratorINS8_10device_ptrItEEEEPffNS8_4plusIfEEEE10hipError_tPvRmT1_T2_T3_mT4_P12ihipStream_tbEUlT_E0_NS1_11comp_targetILNS1_3genE10ELNS1_11target_archE1200ELNS1_3gpuE4ELNS1_3repE0EEENS1_30default_config_static_selectorELNS0_4arch9wavefront6targetE1EEEvSK_
		.amdhsa_group_segment_fixed_size 0
		.amdhsa_private_segment_fixed_size 0
		.amdhsa_kernarg_size 56
		.amdhsa_user_sgpr_count 2
		.amdhsa_user_sgpr_dispatch_ptr 0
		.amdhsa_user_sgpr_queue_ptr 0
		.amdhsa_user_sgpr_kernarg_segment_ptr 1
		.amdhsa_user_sgpr_dispatch_id 0
		.amdhsa_user_sgpr_kernarg_preload_length 0
		.amdhsa_user_sgpr_kernarg_preload_offset 0
		.amdhsa_user_sgpr_private_segment_size 0
		.amdhsa_uses_dynamic_stack 0
		.amdhsa_enable_private_segment 0
		.amdhsa_system_sgpr_workgroup_id_x 1
		.amdhsa_system_sgpr_workgroup_id_y 0
		.amdhsa_system_sgpr_workgroup_id_z 0
		.amdhsa_system_sgpr_workgroup_info 0
		.amdhsa_system_vgpr_workitem_id 0
		.amdhsa_next_free_vgpr 1
		.amdhsa_next_free_sgpr 0
		.amdhsa_accum_offset 4
		.amdhsa_reserve_vcc 0
		.amdhsa_float_round_mode_32 0
		.amdhsa_float_round_mode_16_64 0
		.amdhsa_float_denorm_mode_32 3
		.amdhsa_float_denorm_mode_16_64 3
		.amdhsa_dx10_clamp 1
		.amdhsa_ieee_mode 1
		.amdhsa_fp16_overflow 0
		.amdhsa_tg_split 0
		.amdhsa_exception_fp_ieee_invalid_op 0
		.amdhsa_exception_fp_denorm_src 0
		.amdhsa_exception_fp_ieee_div_zero 0
		.amdhsa_exception_fp_ieee_overflow 0
		.amdhsa_exception_fp_ieee_underflow 0
		.amdhsa_exception_fp_ieee_inexact 0
		.amdhsa_exception_int_div_zero 0
	.end_amdhsa_kernel
	.section	.text._ZN7rocprim17ROCPRIM_400000_NS6detail17trampoline_kernelINS0_14default_configENS1_22reduce_config_selectorItEEZNS1_11reduce_implILb1ES3_N6thrust23THRUST_200600_302600_NS6detail15normal_iteratorINS8_10device_ptrItEEEEPffNS8_4plusIfEEEE10hipError_tPvRmT1_T2_T3_mT4_P12ihipStream_tbEUlT_E0_NS1_11comp_targetILNS1_3genE10ELNS1_11target_archE1200ELNS1_3gpuE4ELNS1_3repE0EEENS1_30default_config_static_selectorELNS0_4arch9wavefront6targetE1EEEvSK_,"axG",@progbits,_ZN7rocprim17ROCPRIM_400000_NS6detail17trampoline_kernelINS0_14default_configENS1_22reduce_config_selectorItEEZNS1_11reduce_implILb1ES3_N6thrust23THRUST_200600_302600_NS6detail15normal_iteratorINS8_10device_ptrItEEEEPffNS8_4plusIfEEEE10hipError_tPvRmT1_T2_T3_mT4_P12ihipStream_tbEUlT_E0_NS1_11comp_targetILNS1_3genE10ELNS1_11target_archE1200ELNS1_3gpuE4ELNS1_3repE0EEENS1_30default_config_static_selectorELNS0_4arch9wavefront6targetE1EEEvSK_,comdat
.Lfunc_end447:
	.size	_ZN7rocprim17ROCPRIM_400000_NS6detail17trampoline_kernelINS0_14default_configENS1_22reduce_config_selectorItEEZNS1_11reduce_implILb1ES3_N6thrust23THRUST_200600_302600_NS6detail15normal_iteratorINS8_10device_ptrItEEEEPffNS8_4plusIfEEEE10hipError_tPvRmT1_T2_T3_mT4_P12ihipStream_tbEUlT_E0_NS1_11comp_targetILNS1_3genE10ELNS1_11target_archE1200ELNS1_3gpuE4ELNS1_3repE0EEENS1_30default_config_static_selectorELNS0_4arch9wavefront6targetE1EEEvSK_, .Lfunc_end447-_ZN7rocprim17ROCPRIM_400000_NS6detail17trampoline_kernelINS0_14default_configENS1_22reduce_config_selectorItEEZNS1_11reduce_implILb1ES3_N6thrust23THRUST_200600_302600_NS6detail15normal_iteratorINS8_10device_ptrItEEEEPffNS8_4plusIfEEEE10hipError_tPvRmT1_T2_T3_mT4_P12ihipStream_tbEUlT_E0_NS1_11comp_targetILNS1_3genE10ELNS1_11target_archE1200ELNS1_3gpuE4ELNS1_3repE0EEENS1_30default_config_static_selectorELNS0_4arch9wavefront6targetE1EEEvSK_
                                        ; -- End function
	.set _ZN7rocprim17ROCPRIM_400000_NS6detail17trampoline_kernelINS0_14default_configENS1_22reduce_config_selectorItEEZNS1_11reduce_implILb1ES3_N6thrust23THRUST_200600_302600_NS6detail15normal_iteratorINS8_10device_ptrItEEEEPffNS8_4plusIfEEEE10hipError_tPvRmT1_T2_T3_mT4_P12ihipStream_tbEUlT_E0_NS1_11comp_targetILNS1_3genE10ELNS1_11target_archE1200ELNS1_3gpuE4ELNS1_3repE0EEENS1_30default_config_static_selectorELNS0_4arch9wavefront6targetE1EEEvSK_.num_vgpr, 0
	.set _ZN7rocprim17ROCPRIM_400000_NS6detail17trampoline_kernelINS0_14default_configENS1_22reduce_config_selectorItEEZNS1_11reduce_implILb1ES3_N6thrust23THRUST_200600_302600_NS6detail15normal_iteratorINS8_10device_ptrItEEEEPffNS8_4plusIfEEEE10hipError_tPvRmT1_T2_T3_mT4_P12ihipStream_tbEUlT_E0_NS1_11comp_targetILNS1_3genE10ELNS1_11target_archE1200ELNS1_3gpuE4ELNS1_3repE0EEENS1_30default_config_static_selectorELNS0_4arch9wavefront6targetE1EEEvSK_.num_agpr, 0
	.set _ZN7rocprim17ROCPRIM_400000_NS6detail17trampoline_kernelINS0_14default_configENS1_22reduce_config_selectorItEEZNS1_11reduce_implILb1ES3_N6thrust23THRUST_200600_302600_NS6detail15normal_iteratorINS8_10device_ptrItEEEEPffNS8_4plusIfEEEE10hipError_tPvRmT1_T2_T3_mT4_P12ihipStream_tbEUlT_E0_NS1_11comp_targetILNS1_3genE10ELNS1_11target_archE1200ELNS1_3gpuE4ELNS1_3repE0EEENS1_30default_config_static_selectorELNS0_4arch9wavefront6targetE1EEEvSK_.numbered_sgpr, 0
	.set _ZN7rocprim17ROCPRIM_400000_NS6detail17trampoline_kernelINS0_14default_configENS1_22reduce_config_selectorItEEZNS1_11reduce_implILb1ES3_N6thrust23THRUST_200600_302600_NS6detail15normal_iteratorINS8_10device_ptrItEEEEPffNS8_4plusIfEEEE10hipError_tPvRmT1_T2_T3_mT4_P12ihipStream_tbEUlT_E0_NS1_11comp_targetILNS1_3genE10ELNS1_11target_archE1200ELNS1_3gpuE4ELNS1_3repE0EEENS1_30default_config_static_selectorELNS0_4arch9wavefront6targetE1EEEvSK_.num_named_barrier, 0
	.set _ZN7rocprim17ROCPRIM_400000_NS6detail17trampoline_kernelINS0_14default_configENS1_22reduce_config_selectorItEEZNS1_11reduce_implILb1ES3_N6thrust23THRUST_200600_302600_NS6detail15normal_iteratorINS8_10device_ptrItEEEEPffNS8_4plusIfEEEE10hipError_tPvRmT1_T2_T3_mT4_P12ihipStream_tbEUlT_E0_NS1_11comp_targetILNS1_3genE10ELNS1_11target_archE1200ELNS1_3gpuE4ELNS1_3repE0EEENS1_30default_config_static_selectorELNS0_4arch9wavefront6targetE1EEEvSK_.private_seg_size, 0
	.set _ZN7rocprim17ROCPRIM_400000_NS6detail17trampoline_kernelINS0_14default_configENS1_22reduce_config_selectorItEEZNS1_11reduce_implILb1ES3_N6thrust23THRUST_200600_302600_NS6detail15normal_iteratorINS8_10device_ptrItEEEEPffNS8_4plusIfEEEE10hipError_tPvRmT1_T2_T3_mT4_P12ihipStream_tbEUlT_E0_NS1_11comp_targetILNS1_3genE10ELNS1_11target_archE1200ELNS1_3gpuE4ELNS1_3repE0EEENS1_30default_config_static_selectorELNS0_4arch9wavefront6targetE1EEEvSK_.uses_vcc, 0
	.set _ZN7rocprim17ROCPRIM_400000_NS6detail17trampoline_kernelINS0_14default_configENS1_22reduce_config_selectorItEEZNS1_11reduce_implILb1ES3_N6thrust23THRUST_200600_302600_NS6detail15normal_iteratorINS8_10device_ptrItEEEEPffNS8_4plusIfEEEE10hipError_tPvRmT1_T2_T3_mT4_P12ihipStream_tbEUlT_E0_NS1_11comp_targetILNS1_3genE10ELNS1_11target_archE1200ELNS1_3gpuE4ELNS1_3repE0EEENS1_30default_config_static_selectorELNS0_4arch9wavefront6targetE1EEEvSK_.uses_flat_scratch, 0
	.set _ZN7rocprim17ROCPRIM_400000_NS6detail17trampoline_kernelINS0_14default_configENS1_22reduce_config_selectorItEEZNS1_11reduce_implILb1ES3_N6thrust23THRUST_200600_302600_NS6detail15normal_iteratorINS8_10device_ptrItEEEEPffNS8_4plusIfEEEE10hipError_tPvRmT1_T2_T3_mT4_P12ihipStream_tbEUlT_E0_NS1_11comp_targetILNS1_3genE10ELNS1_11target_archE1200ELNS1_3gpuE4ELNS1_3repE0EEENS1_30default_config_static_selectorELNS0_4arch9wavefront6targetE1EEEvSK_.has_dyn_sized_stack, 0
	.set _ZN7rocprim17ROCPRIM_400000_NS6detail17trampoline_kernelINS0_14default_configENS1_22reduce_config_selectorItEEZNS1_11reduce_implILb1ES3_N6thrust23THRUST_200600_302600_NS6detail15normal_iteratorINS8_10device_ptrItEEEEPffNS8_4plusIfEEEE10hipError_tPvRmT1_T2_T3_mT4_P12ihipStream_tbEUlT_E0_NS1_11comp_targetILNS1_3genE10ELNS1_11target_archE1200ELNS1_3gpuE4ELNS1_3repE0EEENS1_30default_config_static_selectorELNS0_4arch9wavefront6targetE1EEEvSK_.has_recursion, 0
	.set _ZN7rocprim17ROCPRIM_400000_NS6detail17trampoline_kernelINS0_14default_configENS1_22reduce_config_selectorItEEZNS1_11reduce_implILb1ES3_N6thrust23THRUST_200600_302600_NS6detail15normal_iteratorINS8_10device_ptrItEEEEPffNS8_4plusIfEEEE10hipError_tPvRmT1_T2_T3_mT4_P12ihipStream_tbEUlT_E0_NS1_11comp_targetILNS1_3genE10ELNS1_11target_archE1200ELNS1_3gpuE4ELNS1_3repE0EEENS1_30default_config_static_selectorELNS0_4arch9wavefront6targetE1EEEvSK_.has_indirect_call, 0
	.section	.AMDGPU.csdata,"",@progbits
; Kernel info:
; codeLenInByte = 0
; TotalNumSgprs: 6
; NumVgprs: 0
; NumAgprs: 0
; TotalNumVgprs: 0
; ScratchSize: 0
; MemoryBound: 0
; FloatMode: 240
; IeeeMode: 1
; LDSByteSize: 0 bytes/workgroup (compile time only)
; SGPRBlocks: 0
; VGPRBlocks: 0
; NumSGPRsForWavesPerEU: 6
; NumVGPRsForWavesPerEU: 1
; AccumOffset: 4
; Occupancy: 8
; WaveLimiterHint : 0
; COMPUTE_PGM_RSRC2:SCRATCH_EN: 0
; COMPUTE_PGM_RSRC2:USER_SGPR: 2
; COMPUTE_PGM_RSRC2:TRAP_HANDLER: 0
; COMPUTE_PGM_RSRC2:TGID_X_EN: 1
; COMPUTE_PGM_RSRC2:TGID_Y_EN: 0
; COMPUTE_PGM_RSRC2:TGID_Z_EN: 0
; COMPUTE_PGM_RSRC2:TIDIG_COMP_CNT: 0
; COMPUTE_PGM_RSRC3_GFX90A:ACCUM_OFFSET: 0
; COMPUTE_PGM_RSRC3_GFX90A:TG_SPLIT: 0
	.section	.text._ZN7rocprim17ROCPRIM_400000_NS6detail17trampoline_kernelINS0_14default_configENS1_22reduce_config_selectorItEEZNS1_11reduce_implILb1ES3_N6thrust23THRUST_200600_302600_NS6detail15normal_iteratorINS8_10device_ptrItEEEEPffNS8_4plusIfEEEE10hipError_tPvRmT1_T2_T3_mT4_P12ihipStream_tbEUlT_E0_NS1_11comp_targetILNS1_3genE9ELNS1_11target_archE1100ELNS1_3gpuE3ELNS1_3repE0EEENS1_30default_config_static_selectorELNS0_4arch9wavefront6targetE1EEEvSK_,"axG",@progbits,_ZN7rocprim17ROCPRIM_400000_NS6detail17trampoline_kernelINS0_14default_configENS1_22reduce_config_selectorItEEZNS1_11reduce_implILb1ES3_N6thrust23THRUST_200600_302600_NS6detail15normal_iteratorINS8_10device_ptrItEEEEPffNS8_4plusIfEEEE10hipError_tPvRmT1_T2_T3_mT4_P12ihipStream_tbEUlT_E0_NS1_11comp_targetILNS1_3genE9ELNS1_11target_archE1100ELNS1_3gpuE3ELNS1_3repE0EEENS1_30default_config_static_selectorELNS0_4arch9wavefront6targetE1EEEvSK_,comdat
	.protected	_ZN7rocprim17ROCPRIM_400000_NS6detail17trampoline_kernelINS0_14default_configENS1_22reduce_config_selectorItEEZNS1_11reduce_implILb1ES3_N6thrust23THRUST_200600_302600_NS6detail15normal_iteratorINS8_10device_ptrItEEEEPffNS8_4plusIfEEEE10hipError_tPvRmT1_T2_T3_mT4_P12ihipStream_tbEUlT_E0_NS1_11comp_targetILNS1_3genE9ELNS1_11target_archE1100ELNS1_3gpuE3ELNS1_3repE0EEENS1_30default_config_static_selectorELNS0_4arch9wavefront6targetE1EEEvSK_ ; -- Begin function _ZN7rocprim17ROCPRIM_400000_NS6detail17trampoline_kernelINS0_14default_configENS1_22reduce_config_selectorItEEZNS1_11reduce_implILb1ES3_N6thrust23THRUST_200600_302600_NS6detail15normal_iteratorINS8_10device_ptrItEEEEPffNS8_4plusIfEEEE10hipError_tPvRmT1_T2_T3_mT4_P12ihipStream_tbEUlT_E0_NS1_11comp_targetILNS1_3genE9ELNS1_11target_archE1100ELNS1_3gpuE3ELNS1_3repE0EEENS1_30default_config_static_selectorELNS0_4arch9wavefront6targetE1EEEvSK_
	.globl	_ZN7rocprim17ROCPRIM_400000_NS6detail17trampoline_kernelINS0_14default_configENS1_22reduce_config_selectorItEEZNS1_11reduce_implILb1ES3_N6thrust23THRUST_200600_302600_NS6detail15normal_iteratorINS8_10device_ptrItEEEEPffNS8_4plusIfEEEE10hipError_tPvRmT1_T2_T3_mT4_P12ihipStream_tbEUlT_E0_NS1_11comp_targetILNS1_3genE9ELNS1_11target_archE1100ELNS1_3gpuE3ELNS1_3repE0EEENS1_30default_config_static_selectorELNS0_4arch9wavefront6targetE1EEEvSK_
	.p2align	8
	.type	_ZN7rocprim17ROCPRIM_400000_NS6detail17trampoline_kernelINS0_14default_configENS1_22reduce_config_selectorItEEZNS1_11reduce_implILb1ES3_N6thrust23THRUST_200600_302600_NS6detail15normal_iteratorINS8_10device_ptrItEEEEPffNS8_4plusIfEEEE10hipError_tPvRmT1_T2_T3_mT4_P12ihipStream_tbEUlT_E0_NS1_11comp_targetILNS1_3genE9ELNS1_11target_archE1100ELNS1_3gpuE3ELNS1_3repE0EEENS1_30default_config_static_selectorELNS0_4arch9wavefront6targetE1EEEvSK_,@function
_ZN7rocprim17ROCPRIM_400000_NS6detail17trampoline_kernelINS0_14default_configENS1_22reduce_config_selectorItEEZNS1_11reduce_implILb1ES3_N6thrust23THRUST_200600_302600_NS6detail15normal_iteratorINS8_10device_ptrItEEEEPffNS8_4plusIfEEEE10hipError_tPvRmT1_T2_T3_mT4_P12ihipStream_tbEUlT_E0_NS1_11comp_targetILNS1_3genE9ELNS1_11target_archE1100ELNS1_3gpuE3ELNS1_3repE0EEENS1_30default_config_static_selectorELNS0_4arch9wavefront6targetE1EEEvSK_: ; @_ZN7rocprim17ROCPRIM_400000_NS6detail17trampoline_kernelINS0_14default_configENS1_22reduce_config_selectorItEEZNS1_11reduce_implILb1ES3_N6thrust23THRUST_200600_302600_NS6detail15normal_iteratorINS8_10device_ptrItEEEEPffNS8_4plusIfEEEE10hipError_tPvRmT1_T2_T3_mT4_P12ihipStream_tbEUlT_E0_NS1_11comp_targetILNS1_3genE9ELNS1_11target_archE1100ELNS1_3gpuE3ELNS1_3repE0EEENS1_30default_config_static_selectorELNS0_4arch9wavefront6targetE1EEEvSK_
; %bb.0:
	.section	.rodata,"a",@progbits
	.p2align	6, 0x0
	.amdhsa_kernel _ZN7rocprim17ROCPRIM_400000_NS6detail17trampoline_kernelINS0_14default_configENS1_22reduce_config_selectorItEEZNS1_11reduce_implILb1ES3_N6thrust23THRUST_200600_302600_NS6detail15normal_iteratorINS8_10device_ptrItEEEEPffNS8_4plusIfEEEE10hipError_tPvRmT1_T2_T3_mT4_P12ihipStream_tbEUlT_E0_NS1_11comp_targetILNS1_3genE9ELNS1_11target_archE1100ELNS1_3gpuE3ELNS1_3repE0EEENS1_30default_config_static_selectorELNS0_4arch9wavefront6targetE1EEEvSK_
		.amdhsa_group_segment_fixed_size 0
		.amdhsa_private_segment_fixed_size 0
		.amdhsa_kernarg_size 56
		.amdhsa_user_sgpr_count 2
		.amdhsa_user_sgpr_dispatch_ptr 0
		.amdhsa_user_sgpr_queue_ptr 0
		.amdhsa_user_sgpr_kernarg_segment_ptr 1
		.amdhsa_user_sgpr_dispatch_id 0
		.amdhsa_user_sgpr_kernarg_preload_length 0
		.amdhsa_user_sgpr_kernarg_preload_offset 0
		.amdhsa_user_sgpr_private_segment_size 0
		.amdhsa_uses_dynamic_stack 0
		.amdhsa_enable_private_segment 0
		.amdhsa_system_sgpr_workgroup_id_x 1
		.amdhsa_system_sgpr_workgroup_id_y 0
		.amdhsa_system_sgpr_workgroup_id_z 0
		.amdhsa_system_sgpr_workgroup_info 0
		.amdhsa_system_vgpr_workitem_id 0
		.amdhsa_next_free_vgpr 1
		.amdhsa_next_free_sgpr 0
		.amdhsa_accum_offset 4
		.amdhsa_reserve_vcc 0
		.amdhsa_float_round_mode_32 0
		.amdhsa_float_round_mode_16_64 0
		.amdhsa_float_denorm_mode_32 3
		.amdhsa_float_denorm_mode_16_64 3
		.amdhsa_dx10_clamp 1
		.amdhsa_ieee_mode 1
		.amdhsa_fp16_overflow 0
		.amdhsa_tg_split 0
		.amdhsa_exception_fp_ieee_invalid_op 0
		.amdhsa_exception_fp_denorm_src 0
		.amdhsa_exception_fp_ieee_div_zero 0
		.amdhsa_exception_fp_ieee_overflow 0
		.amdhsa_exception_fp_ieee_underflow 0
		.amdhsa_exception_fp_ieee_inexact 0
		.amdhsa_exception_int_div_zero 0
	.end_amdhsa_kernel
	.section	.text._ZN7rocprim17ROCPRIM_400000_NS6detail17trampoline_kernelINS0_14default_configENS1_22reduce_config_selectorItEEZNS1_11reduce_implILb1ES3_N6thrust23THRUST_200600_302600_NS6detail15normal_iteratorINS8_10device_ptrItEEEEPffNS8_4plusIfEEEE10hipError_tPvRmT1_T2_T3_mT4_P12ihipStream_tbEUlT_E0_NS1_11comp_targetILNS1_3genE9ELNS1_11target_archE1100ELNS1_3gpuE3ELNS1_3repE0EEENS1_30default_config_static_selectorELNS0_4arch9wavefront6targetE1EEEvSK_,"axG",@progbits,_ZN7rocprim17ROCPRIM_400000_NS6detail17trampoline_kernelINS0_14default_configENS1_22reduce_config_selectorItEEZNS1_11reduce_implILb1ES3_N6thrust23THRUST_200600_302600_NS6detail15normal_iteratorINS8_10device_ptrItEEEEPffNS8_4plusIfEEEE10hipError_tPvRmT1_T2_T3_mT4_P12ihipStream_tbEUlT_E0_NS1_11comp_targetILNS1_3genE9ELNS1_11target_archE1100ELNS1_3gpuE3ELNS1_3repE0EEENS1_30default_config_static_selectorELNS0_4arch9wavefront6targetE1EEEvSK_,comdat
.Lfunc_end448:
	.size	_ZN7rocprim17ROCPRIM_400000_NS6detail17trampoline_kernelINS0_14default_configENS1_22reduce_config_selectorItEEZNS1_11reduce_implILb1ES3_N6thrust23THRUST_200600_302600_NS6detail15normal_iteratorINS8_10device_ptrItEEEEPffNS8_4plusIfEEEE10hipError_tPvRmT1_T2_T3_mT4_P12ihipStream_tbEUlT_E0_NS1_11comp_targetILNS1_3genE9ELNS1_11target_archE1100ELNS1_3gpuE3ELNS1_3repE0EEENS1_30default_config_static_selectorELNS0_4arch9wavefront6targetE1EEEvSK_, .Lfunc_end448-_ZN7rocprim17ROCPRIM_400000_NS6detail17trampoline_kernelINS0_14default_configENS1_22reduce_config_selectorItEEZNS1_11reduce_implILb1ES3_N6thrust23THRUST_200600_302600_NS6detail15normal_iteratorINS8_10device_ptrItEEEEPffNS8_4plusIfEEEE10hipError_tPvRmT1_T2_T3_mT4_P12ihipStream_tbEUlT_E0_NS1_11comp_targetILNS1_3genE9ELNS1_11target_archE1100ELNS1_3gpuE3ELNS1_3repE0EEENS1_30default_config_static_selectorELNS0_4arch9wavefront6targetE1EEEvSK_
                                        ; -- End function
	.set _ZN7rocprim17ROCPRIM_400000_NS6detail17trampoline_kernelINS0_14default_configENS1_22reduce_config_selectorItEEZNS1_11reduce_implILb1ES3_N6thrust23THRUST_200600_302600_NS6detail15normal_iteratorINS8_10device_ptrItEEEEPffNS8_4plusIfEEEE10hipError_tPvRmT1_T2_T3_mT4_P12ihipStream_tbEUlT_E0_NS1_11comp_targetILNS1_3genE9ELNS1_11target_archE1100ELNS1_3gpuE3ELNS1_3repE0EEENS1_30default_config_static_selectorELNS0_4arch9wavefront6targetE1EEEvSK_.num_vgpr, 0
	.set _ZN7rocprim17ROCPRIM_400000_NS6detail17trampoline_kernelINS0_14default_configENS1_22reduce_config_selectorItEEZNS1_11reduce_implILb1ES3_N6thrust23THRUST_200600_302600_NS6detail15normal_iteratorINS8_10device_ptrItEEEEPffNS8_4plusIfEEEE10hipError_tPvRmT1_T2_T3_mT4_P12ihipStream_tbEUlT_E0_NS1_11comp_targetILNS1_3genE9ELNS1_11target_archE1100ELNS1_3gpuE3ELNS1_3repE0EEENS1_30default_config_static_selectorELNS0_4arch9wavefront6targetE1EEEvSK_.num_agpr, 0
	.set _ZN7rocprim17ROCPRIM_400000_NS6detail17trampoline_kernelINS0_14default_configENS1_22reduce_config_selectorItEEZNS1_11reduce_implILb1ES3_N6thrust23THRUST_200600_302600_NS6detail15normal_iteratorINS8_10device_ptrItEEEEPffNS8_4plusIfEEEE10hipError_tPvRmT1_T2_T3_mT4_P12ihipStream_tbEUlT_E0_NS1_11comp_targetILNS1_3genE9ELNS1_11target_archE1100ELNS1_3gpuE3ELNS1_3repE0EEENS1_30default_config_static_selectorELNS0_4arch9wavefront6targetE1EEEvSK_.numbered_sgpr, 0
	.set _ZN7rocprim17ROCPRIM_400000_NS6detail17trampoline_kernelINS0_14default_configENS1_22reduce_config_selectorItEEZNS1_11reduce_implILb1ES3_N6thrust23THRUST_200600_302600_NS6detail15normal_iteratorINS8_10device_ptrItEEEEPffNS8_4plusIfEEEE10hipError_tPvRmT1_T2_T3_mT4_P12ihipStream_tbEUlT_E0_NS1_11comp_targetILNS1_3genE9ELNS1_11target_archE1100ELNS1_3gpuE3ELNS1_3repE0EEENS1_30default_config_static_selectorELNS0_4arch9wavefront6targetE1EEEvSK_.num_named_barrier, 0
	.set _ZN7rocprim17ROCPRIM_400000_NS6detail17trampoline_kernelINS0_14default_configENS1_22reduce_config_selectorItEEZNS1_11reduce_implILb1ES3_N6thrust23THRUST_200600_302600_NS6detail15normal_iteratorINS8_10device_ptrItEEEEPffNS8_4plusIfEEEE10hipError_tPvRmT1_T2_T3_mT4_P12ihipStream_tbEUlT_E0_NS1_11comp_targetILNS1_3genE9ELNS1_11target_archE1100ELNS1_3gpuE3ELNS1_3repE0EEENS1_30default_config_static_selectorELNS0_4arch9wavefront6targetE1EEEvSK_.private_seg_size, 0
	.set _ZN7rocprim17ROCPRIM_400000_NS6detail17trampoline_kernelINS0_14default_configENS1_22reduce_config_selectorItEEZNS1_11reduce_implILb1ES3_N6thrust23THRUST_200600_302600_NS6detail15normal_iteratorINS8_10device_ptrItEEEEPffNS8_4plusIfEEEE10hipError_tPvRmT1_T2_T3_mT4_P12ihipStream_tbEUlT_E0_NS1_11comp_targetILNS1_3genE9ELNS1_11target_archE1100ELNS1_3gpuE3ELNS1_3repE0EEENS1_30default_config_static_selectorELNS0_4arch9wavefront6targetE1EEEvSK_.uses_vcc, 0
	.set _ZN7rocprim17ROCPRIM_400000_NS6detail17trampoline_kernelINS0_14default_configENS1_22reduce_config_selectorItEEZNS1_11reduce_implILb1ES3_N6thrust23THRUST_200600_302600_NS6detail15normal_iteratorINS8_10device_ptrItEEEEPffNS8_4plusIfEEEE10hipError_tPvRmT1_T2_T3_mT4_P12ihipStream_tbEUlT_E0_NS1_11comp_targetILNS1_3genE9ELNS1_11target_archE1100ELNS1_3gpuE3ELNS1_3repE0EEENS1_30default_config_static_selectorELNS0_4arch9wavefront6targetE1EEEvSK_.uses_flat_scratch, 0
	.set _ZN7rocprim17ROCPRIM_400000_NS6detail17trampoline_kernelINS0_14default_configENS1_22reduce_config_selectorItEEZNS1_11reduce_implILb1ES3_N6thrust23THRUST_200600_302600_NS6detail15normal_iteratorINS8_10device_ptrItEEEEPffNS8_4plusIfEEEE10hipError_tPvRmT1_T2_T3_mT4_P12ihipStream_tbEUlT_E0_NS1_11comp_targetILNS1_3genE9ELNS1_11target_archE1100ELNS1_3gpuE3ELNS1_3repE0EEENS1_30default_config_static_selectorELNS0_4arch9wavefront6targetE1EEEvSK_.has_dyn_sized_stack, 0
	.set _ZN7rocprim17ROCPRIM_400000_NS6detail17trampoline_kernelINS0_14default_configENS1_22reduce_config_selectorItEEZNS1_11reduce_implILb1ES3_N6thrust23THRUST_200600_302600_NS6detail15normal_iteratorINS8_10device_ptrItEEEEPffNS8_4plusIfEEEE10hipError_tPvRmT1_T2_T3_mT4_P12ihipStream_tbEUlT_E0_NS1_11comp_targetILNS1_3genE9ELNS1_11target_archE1100ELNS1_3gpuE3ELNS1_3repE0EEENS1_30default_config_static_selectorELNS0_4arch9wavefront6targetE1EEEvSK_.has_recursion, 0
	.set _ZN7rocprim17ROCPRIM_400000_NS6detail17trampoline_kernelINS0_14default_configENS1_22reduce_config_selectorItEEZNS1_11reduce_implILb1ES3_N6thrust23THRUST_200600_302600_NS6detail15normal_iteratorINS8_10device_ptrItEEEEPffNS8_4plusIfEEEE10hipError_tPvRmT1_T2_T3_mT4_P12ihipStream_tbEUlT_E0_NS1_11comp_targetILNS1_3genE9ELNS1_11target_archE1100ELNS1_3gpuE3ELNS1_3repE0EEENS1_30default_config_static_selectorELNS0_4arch9wavefront6targetE1EEEvSK_.has_indirect_call, 0
	.section	.AMDGPU.csdata,"",@progbits
; Kernel info:
; codeLenInByte = 0
; TotalNumSgprs: 6
; NumVgprs: 0
; NumAgprs: 0
; TotalNumVgprs: 0
; ScratchSize: 0
; MemoryBound: 0
; FloatMode: 240
; IeeeMode: 1
; LDSByteSize: 0 bytes/workgroup (compile time only)
; SGPRBlocks: 0
; VGPRBlocks: 0
; NumSGPRsForWavesPerEU: 6
; NumVGPRsForWavesPerEU: 1
; AccumOffset: 4
; Occupancy: 8
; WaveLimiterHint : 0
; COMPUTE_PGM_RSRC2:SCRATCH_EN: 0
; COMPUTE_PGM_RSRC2:USER_SGPR: 2
; COMPUTE_PGM_RSRC2:TRAP_HANDLER: 0
; COMPUTE_PGM_RSRC2:TGID_X_EN: 1
; COMPUTE_PGM_RSRC2:TGID_Y_EN: 0
; COMPUTE_PGM_RSRC2:TGID_Z_EN: 0
; COMPUTE_PGM_RSRC2:TIDIG_COMP_CNT: 0
; COMPUTE_PGM_RSRC3_GFX90A:ACCUM_OFFSET: 0
; COMPUTE_PGM_RSRC3_GFX90A:TG_SPLIT: 0
	.section	.text._ZN7rocprim17ROCPRIM_400000_NS6detail17trampoline_kernelINS0_14default_configENS1_22reduce_config_selectorItEEZNS1_11reduce_implILb1ES3_N6thrust23THRUST_200600_302600_NS6detail15normal_iteratorINS8_10device_ptrItEEEEPffNS8_4plusIfEEEE10hipError_tPvRmT1_T2_T3_mT4_P12ihipStream_tbEUlT_E0_NS1_11comp_targetILNS1_3genE8ELNS1_11target_archE1030ELNS1_3gpuE2ELNS1_3repE0EEENS1_30default_config_static_selectorELNS0_4arch9wavefront6targetE1EEEvSK_,"axG",@progbits,_ZN7rocprim17ROCPRIM_400000_NS6detail17trampoline_kernelINS0_14default_configENS1_22reduce_config_selectorItEEZNS1_11reduce_implILb1ES3_N6thrust23THRUST_200600_302600_NS6detail15normal_iteratorINS8_10device_ptrItEEEEPffNS8_4plusIfEEEE10hipError_tPvRmT1_T2_T3_mT4_P12ihipStream_tbEUlT_E0_NS1_11comp_targetILNS1_3genE8ELNS1_11target_archE1030ELNS1_3gpuE2ELNS1_3repE0EEENS1_30default_config_static_selectorELNS0_4arch9wavefront6targetE1EEEvSK_,comdat
	.protected	_ZN7rocprim17ROCPRIM_400000_NS6detail17trampoline_kernelINS0_14default_configENS1_22reduce_config_selectorItEEZNS1_11reduce_implILb1ES3_N6thrust23THRUST_200600_302600_NS6detail15normal_iteratorINS8_10device_ptrItEEEEPffNS8_4plusIfEEEE10hipError_tPvRmT1_T2_T3_mT4_P12ihipStream_tbEUlT_E0_NS1_11comp_targetILNS1_3genE8ELNS1_11target_archE1030ELNS1_3gpuE2ELNS1_3repE0EEENS1_30default_config_static_selectorELNS0_4arch9wavefront6targetE1EEEvSK_ ; -- Begin function _ZN7rocprim17ROCPRIM_400000_NS6detail17trampoline_kernelINS0_14default_configENS1_22reduce_config_selectorItEEZNS1_11reduce_implILb1ES3_N6thrust23THRUST_200600_302600_NS6detail15normal_iteratorINS8_10device_ptrItEEEEPffNS8_4plusIfEEEE10hipError_tPvRmT1_T2_T3_mT4_P12ihipStream_tbEUlT_E0_NS1_11comp_targetILNS1_3genE8ELNS1_11target_archE1030ELNS1_3gpuE2ELNS1_3repE0EEENS1_30default_config_static_selectorELNS0_4arch9wavefront6targetE1EEEvSK_
	.globl	_ZN7rocprim17ROCPRIM_400000_NS6detail17trampoline_kernelINS0_14default_configENS1_22reduce_config_selectorItEEZNS1_11reduce_implILb1ES3_N6thrust23THRUST_200600_302600_NS6detail15normal_iteratorINS8_10device_ptrItEEEEPffNS8_4plusIfEEEE10hipError_tPvRmT1_T2_T3_mT4_P12ihipStream_tbEUlT_E0_NS1_11comp_targetILNS1_3genE8ELNS1_11target_archE1030ELNS1_3gpuE2ELNS1_3repE0EEENS1_30default_config_static_selectorELNS0_4arch9wavefront6targetE1EEEvSK_
	.p2align	8
	.type	_ZN7rocprim17ROCPRIM_400000_NS6detail17trampoline_kernelINS0_14default_configENS1_22reduce_config_selectorItEEZNS1_11reduce_implILb1ES3_N6thrust23THRUST_200600_302600_NS6detail15normal_iteratorINS8_10device_ptrItEEEEPffNS8_4plusIfEEEE10hipError_tPvRmT1_T2_T3_mT4_P12ihipStream_tbEUlT_E0_NS1_11comp_targetILNS1_3genE8ELNS1_11target_archE1030ELNS1_3gpuE2ELNS1_3repE0EEENS1_30default_config_static_selectorELNS0_4arch9wavefront6targetE1EEEvSK_,@function
_ZN7rocprim17ROCPRIM_400000_NS6detail17trampoline_kernelINS0_14default_configENS1_22reduce_config_selectorItEEZNS1_11reduce_implILb1ES3_N6thrust23THRUST_200600_302600_NS6detail15normal_iteratorINS8_10device_ptrItEEEEPffNS8_4plusIfEEEE10hipError_tPvRmT1_T2_T3_mT4_P12ihipStream_tbEUlT_E0_NS1_11comp_targetILNS1_3genE8ELNS1_11target_archE1030ELNS1_3gpuE2ELNS1_3repE0EEENS1_30default_config_static_selectorELNS0_4arch9wavefront6targetE1EEEvSK_: ; @_ZN7rocprim17ROCPRIM_400000_NS6detail17trampoline_kernelINS0_14default_configENS1_22reduce_config_selectorItEEZNS1_11reduce_implILb1ES3_N6thrust23THRUST_200600_302600_NS6detail15normal_iteratorINS8_10device_ptrItEEEEPffNS8_4plusIfEEEE10hipError_tPvRmT1_T2_T3_mT4_P12ihipStream_tbEUlT_E0_NS1_11comp_targetILNS1_3genE8ELNS1_11target_archE1030ELNS1_3gpuE2ELNS1_3repE0EEENS1_30default_config_static_selectorELNS0_4arch9wavefront6targetE1EEEvSK_
; %bb.0:
	.section	.rodata,"a",@progbits
	.p2align	6, 0x0
	.amdhsa_kernel _ZN7rocprim17ROCPRIM_400000_NS6detail17trampoline_kernelINS0_14default_configENS1_22reduce_config_selectorItEEZNS1_11reduce_implILb1ES3_N6thrust23THRUST_200600_302600_NS6detail15normal_iteratorINS8_10device_ptrItEEEEPffNS8_4plusIfEEEE10hipError_tPvRmT1_T2_T3_mT4_P12ihipStream_tbEUlT_E0_NS1_11comp_targetILNS1_3genE8ELNS1_11target_archE1030ELNS1_3gpuE2ELNS1_3repE0EEENS1_30default_config_static_selectorELNS0_4arch9wavefront6targetE1EEEvSK_
		.amdhsa_group_segment_fixed_size 0
		.amdhsa_private_segment_fixed_size 0
		.amdhsa_kernarg_size 56
		.amdhsa_user_sgpr_count 2
		.amdhsa_user_sgpr_dispatch_ptr 0
		.amdhsa_user_sgpr_queue_ptr 0
		.amdhsa_user_sgpr_kernarg_segment_ptr 1
		.amdhsa_user_sgpr_dispatch_id 0
		.amdhsa_user_sgpr_kernarg_preload_length 0
		.amdhsa_user_sgpr_kernarg_preload_offset 0
		.amdhsa_user_sgpr_private_segment_size 0
		.amdhsa_uses_dynamic_stack 0
		.amdhsa_enable_private_segment 0
		.amdhsa_system_sgpr_workgroup_id_x 1
		.amdhsa_system_sgpr_workgroup_id_y 0
		.amdhsa_system_sgpr_workgroup_id_z 0
		.amdhsa_system_sgpr_workgroup_info 0
		.amdhsa_system_vgpr_workitem_id 0
		.amdhsa_next_free_vgpr 1
		.amdhsa_next_free_sgpr 0
		.amdhsa_accum_offset 4
		.amdhsa_reserve_vcc 0
		.amdhsa_float_round_mode_32 0
		.amdhsa_float_round_mode_16_64 0
		.amdhsa_float_denorm_mode_32 3
		.amdhsa_float_denorm_mode_16_64 3
		.amdhsa_dx10_clamp 1
		.amdhsa_ieee_mode 1
		.amdhsa_fp16_overflow 0
		.amdhsa_tg_split 0
		.amdhsa_exception_fp_ieee_invalid_op 0
		.amdhsa_exception_fp_denorm_src 0
		.amdhsa_exception_fp_ieee_div_zero 0
		.amdhsa_exception_fp_ieee_overflow 0
		.amdhsa_exception_fp_ieee_underflow 0
		.amdhsa_exception_fp_ieee_inexact 0
		.amdhsa_exception_int_div_zero 0
	.end_amdhsa_kernel
	.section	.text._ZN7rocprim17ROCPRIM_400000_NS6detail17trampoline_kernelINS0_14default_configENS1_22reduce_config_selectorItEEZNS1_11reduce_implILb1ES3_N6thrust23THRUST_200600_302600_NS6detail15normal_iteratorINS8_10device_ptrItEEEEPffNS8_4plusIfEEEE10hipError_tPvRmT1_T2_T3_mT4_P12ihipStream_tbEUlT_E0_NS1_11comp_targetILNS1_3genE8ELNS1_11target_archE1030ELNS1_3gpuE2ELNS1_3repE0EEENS1_30default_config_static_selectorELNS0_4arch9wavefront6targetE1EEEvSK_,"axG",@progbits,_ZN7rocprim17ROCPRIM_400000_NS6detail17trampoline_kernelINS0_14default_configENS1_22reduce_config_selectorItEEZNS1_11reduce_implILb1ES3_N6thrust23THRUST_200600_302600_NS6detail15normal_iteratorINS8_10device_ptrItEEEEPffNS8_4plusIfEEEE10hipError_tPvRmT1_T2_T3_mT4_P12ihipStream_tbEUlT_E0_NS1_11comp_targetILNS1_3genE8ELNS1_11target_archE1030ELNS1_3gpuE2ELNS1_3repE0EEENS1_30default_config_static_selectorELNS0_4arch9wavefront6targetE1EEEvSK_,comdat
.Lfunc_end449:
	.size	_ZN7rocprim17ROCPRIM_400000_NS6detail17trampoline_kernelINS0_14default_configENS1_22reduce_config_selectorItEEZNS1_11reduce_implILb1ES3_N6thrust23THRUST_200600_302600_NS6detail15normal_iteratorINS8_10device_ptrItEEEEPffNS8_4plusIfEEEE10hipError_tPvRmT1_T2_T3_mT4_P12ihipStream_tbEUlT_E0_NS1_11comp_targetILNS1_3genE8ELNS1_11target_archE1030ELNS1_3gpuE2ELNS1_3repE0EEENS1_30default_config_static_selectorELNS0_4arch9wavefront6targetE1EEEvSK_, .Lfunc_end449-_ZN7rocprim17ROCPRIM_400000_NS6detail17trampoline_kernelINS0_14default_configENS1_22reduce_config_selectorItEEZNS1_11reduce_implILb1ES3_N6thrust23THRUST_200600_302600_NS6detail15normal_iteratorINS8_10device_ptrItEEEEPffNS8_4plusIfEEEE10hipError_tPvRmT1_T2_T3_mT4_P12ihipStream_tbEUlT_E0_NS1_11comp_targetILNS1_3genE8ELNS1_11target_archE1030ELNS1_3gpuE2ELNS1_3repE0EEENS1_30default_config_static_selectorELNS0_4arch9wavefront6targetE1EEEvSK_
                                        ; -- End function
	.set _ZN7rocprim17ROCPRIM_400000_NS6detail17trampoline_kernelINS0_14default_configENS1_22reduce_config_selectorItEEZNS1_11reduce_implILb1ES3_N6thrust23THRUST_200600_302600_NS6detail15normal_iteratorINS8_10device_ptrItEEEEPffNS8_4plusIfEEEE10hipError_tPvRmT1_T2_T3_mT4_P12ihipStream_tbEUlT_E0_NS1_11comp_targetILNS1_3genE8ELNS1_11target_archE1030ELNS1_3gpuE2ELNS1_3repE0EEENS1_30default_config_static_selectorELNS0_4arch9wavefront6targetE1EEEvSK_.num_vgpr, 0
	.set _ZN7rocprim17ROCPRIM_400000_NS6detail17trampoline_kernelINS0_14default_configENS1_22reduce_config_selectorItEEZNS1_11reduce_implILb1ES3_N6thrust23THRUST_200600_302600_NS6detail15normal_iteratorINS8_10device_ptrItEEEEPffNS8_4plusIfEEEE10hipError_tPvRmT1_T2_T3_mT4_P12ihipStream_tbEUlT_E0_NS1_11comp_targetILNS1_3genE8ELNS1_11target_archE1030ELNS1_3gpuE2ELNS1_3repE0EEENS1_30default_config_static_selectorELNS0_4arch9wavefront6targetE1EEEvSK_.num_agpr, 0
	.set _ZN7rocprim17ROCPRIM_400000_NS6detail17trampoline_kernelINS0_14default_configENS1_22reduce_config_selectorItEEZNS1_11reduce_implILb1ES3_N6thrust23THRUST_200600_302600_NS6detail15normal_iteratorINS8_10device_ptrItEEEEPffNS8_4plusIfEEEE10hipError_tPvRmT1_T2_T3_mT4_P12ihipStream_tbEUlT_E0_NS1_11comp_targetILNS1_3genE8ELNS1_11target_archE1030ELNS1_3gpuE2ELNS1_3repE0EEENS1_30default_config_static_selectorELNS0_4arch9wavefront6targetE1EEEvSK_.numbered_sgpr, 0
	.set _ZN7rocprim17ROCPRIM_400000_NS6detail17trampoline_kernelINS0_14default_configENS1_22reduce_config_selectorItEEZNS1_11reduce_implILb1ES3_N6thrust23THRUST_200600_302600_NS6detail15normal_iteratorINS8_10device_ptrItEEEEPffNS8_4plusIfEEEE10hipError_tPvRmT1_T2_T3_mT4_P12ihipStream_tbEUlT_E0_NS1_11comp_targetILNS1_3genE8ELNS1_11target_archE1030ELNS1_3gpuE2ELNS1_3repE0EEENS1_30default_config_static_selectorELNS0_4arch9wavefront6targetE1EEEvSK_.num_named_barrier, 0
	.set _ZN7rocprim17ROCPRIM_400000_NS6detail17trampoline_kernelINS0_14default_configENS1_22reduce_config_selectorItEEZNS1_11reduce_implILb1ES3_N6thrust23THRUST_200600_302600_NS6detail15normal_iteratorINS8_10device_ptrItEEEEPffNS8_4plusIfEEEE10hipError_tPvRmT1_T2_T3_mT4_P12ihipStream_tbEUlT_E0_NS1_11comp_targetILNS1_3genE8ELNS1_11target_archE1030ELNS1_3gpuE2ELNS1_3repE0EEENS1_30default_config_static_selectorELNS0_4arch9wavefront6targetE1EEEvSK_.private_seg_size, 0
	.set _ZN7rocprim17ROCPRIM_400000_NS6detail17trampoline_kernelINS0_14default_configENS1_22reduce_config_selectorItEEZNS1_11reduce_implILb1ES3_N6thrust23THRUST_200600_302600_NS6detail15normal_iteratorINS8_10device_ptrItEEEEPffNS8_4plusIfEEEE10hipError_tPvRmT1_T2_T3_mT4_P12ihipStream_tbEUlT_E0_NS1_11comp_targetILNS1_3genE8ELNS1_11target_archE1030ELNS1_3gpuE2ELNS1_3repE0EEENS1_30default_config_static_selectorELNS0_4arch9wavefront6targetE1EEEvSK_.uses_vcc, 0
	.set _ZN7rocprim17ROCPRIM_400000_NS6detail17trampoline_kernelINS0_14default_configENS1_22reduce_config_selectorItEEZNS1_11reduce_implILb1ES3_N6thrust23THRUST_200600_302600_NS6detail15normal_iteratorINS8_10device_ptrItEEEEPffNS8_4plusIfEEEE10hipError_tPvRmT1_T2_T3_mT4_P12ihipStream_tbEUlT_E0_NS1_11comp_targetILNS1_3genE8ELNS1_11target_archE1030ELNS1_3gpuE2ELNS1_3repE0EEENS1_30default_config_static_selectorELNS0_4arch9wavefront6targetE1EEEvSK_.uses_flat_scratch, 0
	.set _ZN7rocprim17ROCPRIM_400000_NS6detail17trampoline_kernelINS0_14default_configENS1_22reduce_config_selectorItEEZNS1_11reduce_implILb1ES3_N6thrust23THRUST_200600_302600_NS6detail15normal_iteratorINS8_10device_ptrItEEEEPffNS8_4plusIfEEEE10hipError_tPvRmT1_T2_T3_mT4_P12ihipStream_tbEUlT_E0_NS1_11comp_targetILNS1_3genE8ELNS1_11target_archE1030ELNS1_3gpuE2ELNS1_3repE0EEENS1_30default_config_static_selectorELNS0_4arch9wavefront6targetE1EEEvSK_.has_dyn_sized_stack, 0
	.set _ZN7rocprim17ROCPRIM_400000_NS6detail17trampoline_kernelINS0_14default_configENS1_22reduce_config_selectorItEEZNS1_11reduce_implILb1ES3_N6thrust23THRUST_200600_302600_NS6detail15normal_iteratorINS8_10device_ptrItEEEEPffNS8_4plusIfEEEE10hipError_tPvRmT1_T2_T3_mT4_P12ihipStream_tbEUlT_E0_NS1_11comp_targetILNS1_3genE8ELNS1_11target_archE1030ELNS1_3gpuE2ELNS1_3repE0EEENS1_30default_config_static_selectorELNS0_4arch9wavefront6targetE1EEEvSK_.has_recursion, 0
	.set _ZN7rocprim17ROCPRIM_400000_NS6detail17trampoline_kernelINS0_14default_configENS1_22reduce_config_selectorItEEZNS1_11reduce_implILb1ES3_N6thrust23THRUST_200600_302600_NS6detail15normal_iteratorINS8_10device_ptrItEEEEPffNS8_4plusIfEEEE10hipError_tPvRmT1_T2_T3_mT4_P12ihipStream_tbEUlT_E0_NS1_11comp_targetILNS1_3genE8ELNS1_11target_archE1030ELNS1_3gpuE2ELNS1_3repE0EEENS1_30default_config_static_selectorELNS0_4arch9wavefront6targetE1EEEvSK_.has_indirect_call, 0
	.section	.AMDGPU.csdata,"",@progbits
; Kernel info:
; codeLenInByte = 0
; TotalNumSgprs: 6
; NumVgprs: 0
; NumAgprs: 0
; TotalNumVgprs: 0
; ScratchSize: 0
; MemoryBound: 0
; FloatMode: 240
; IeeeMode: 1
; LDSByteSize: 0 bytes/workgroup (compile time only)
; SGPRBlocks: 0
; VGPRBlocks: 0
; NumSGPRsForWavesPerEU: 6
; NumVGPRsForWavesPerEU: 1
; AccumOffset: 4
; Occupancy: 8
; WaveLimiterHint : 0
; COMPUTE_PGM_RSRC2:SCRATCH_EN: 0
; COMPUTE_PGM_RSRC2:USER_SGPR: 2
; COMPUTE_PGM_RSRC2:TRAP_HANDLER: 0
; COMPUTE_PGM_RSRC2:TGID_X_EN: 1
; COMPUTE_PGM_RSRC2:TGID_Y_EN: 0
; COMPUTE_PGM_RSRC2:TGID_Z_EN: 0
; COMPUTE_PGM_RSRC2:TIDIG_COMP_CNT: 0
; COMPUTE_PGM_RSRC3_GFX90A:ACCUM_OFFSET: 0
; COMPUTE_PGM_RSRC3_GFX90A:TG_SPLIT: 0
	.section	.text._ZN7rocprim17ROCPRIM_400000_NS6detail17trampoline_kernelINS0_14default_configENS1_22reduce_config_selectorItEEZNS1_11reduce_implILb1ES3_N6thrust23THRUST_200600_302600_NS6detail15normal_iteratorINS8_10device_ptrItEEEEPffNS8_4plusIfEEEE10hipError_tPvRmT1_T2_T3_mT4_P12ihipStream_tbEUlT_E1_NS1_11comp_targetILNS1_3genE0ELNS1_11target_archE4294967295ELNS1_3gpuE0ELNS1_3repE0EEENS1_30default_config_static_selectorELNS0_4arch9wavefront6targetE1EEEvSK_,"axG",@progbits,_ZN7rocprim17ROCPRIM_400000_NS6detail17trampoline_kernelINS0_14default_configENS1_22reduce_config_selectorItEEZNS1_11reduce_implILb1ES3_N6thrust23THRUST_200600_302600_NS6detail15normal_iteratorINS8_10device_ptrItEEEEPffNS8_4plusIfEEEE10hipError_tPvRmT1_T2_T3_mT4_P12ihipStream_tbEUlT_E1_NS1_11comp_targetILNS1_3genE0ELNS1_11target_archE4294967295ELNS1_3gpuE0ELNS1_3repE0EEENS1_30default_config_static_selectorELNS0_4arch9wavefront6targetE1EEEvSK_,comdat
	.protected	_ZN7rocprim17ROCPRIM_400000_NS6detail17trampoline_kernelINS0_14default_configENS1_22reduce_config_selectorItEEZNS1_11reduce_implILb1ES3_N6thrust23THRUST_200600_302600_NS6detail15normal_iteratorINS8_10device_ptrItEEEEPffNS8_4plusIfEEEE10hipError_tPvRmT1_T2_T3_mT4_P12ihipStream_tbEUlT_E1_NS1_11comp_targetILNS1_3genE0ELNS1_11target_archE4294967295ELNS1_3gpuE0ELNS1_3repE0EEENS1_30default_config_static_selectorELNS0_4arch9wavefront6targetE1EEEvSK_ ; -- Begin function _ZN7rocprim17ROCPRIM_400000_NS6detail17trampoline_kernelINS0_14default_configENS1_22reduce_config_selectorItEEZNS1_11reduce_implILb1ES3_N6thrust23THRUST_200600_302600_NS6detail15normal_iteratorINS8_10device_ptrItEEEEPffNS8_4plusIfEEEE10hipError_tPvRmT1_T2_T3_mT4_P12ihipStream_tbEUlT_E1_NS1_11comp_targetILNS1_3genE0ELNS1_11target_archE4294967295ELNS1_3gpuE0ELNS1_3repE0EEENS1_30default_config_static_selectorELNS0_4arch9wavefront6targetE1EEEvSK_
	.globl	_ZN7rocprim17ROCPRIM_400000_NS6detail17trampoline_kernelINS0_14default_configENS1_22reduce_config_selectorItEEZNS1_11reduce_implILb1ES3_N6thrust23THRUST_200600_302600_NS6detail15normal_iteratorINS8_10device_ptrItEEEEPffNS8_4plusIfEEEE10hipError_tPvRmT1_T2_T3_mT4_P12ihipStream_tbEUlT_E1_NS1_11comp_targetILNS1_3genE0ELNS1_11target_archE4294967295ELNS1_3gpuE0ELNS1_3repE0EEENS1_30default_config_static_selectorELNS0_4arch9wavefront6targetE1EEEvSK_
	.p2align	8
	.type	_ZN7rocprim17ROCPRIM_400000_NS6detail17trampoline_kernelINS0_14default_configENS1_22reduce_config_selectorItEEZNS1_11reduce_implILb1ES3_N6thrust23THRUST_200600_302600_NS6detail15normal_iteratorINS8_10device_ptrItEEEEPffNS8_4plusIfEEEE10hipError_tPvRmT1_T2_T3_mT4_P12ihipStream_tbEUlT_E1_NS1_11comp_targetILNS1_3genE0ELNS1_11target_archE4294967295ELNS1_3gpuE0ELNS1_3repE0EEENS1_30default_config_static_selectorELNS0_4arch9wavefront6targetE1EEEvSK_,@function
_ZN7rocprim17ROCPRIM_400000_NS6detail17trampoline_kernelINS0_14default_configENS1_22reduce_config_selectorItEEZNS1_11reduce_implILb1ES3_N6thrust23THRUST_200600_302600_NS6detail15normal_iteratorINS8_10device_ptrItEEEEPffNS8_4plusIfEEEE10hipError_tPvRmT1_T2_T3_mT4_P12ihipStream_tbEUlT_E1_NS1_11comp_targetILNS1_3genE0ELNS1_11target_archE4294967295ELNS1_3gpuE0ELNS1_3repE0EEENS1_30default_config_static_selectorELNS0_4arch9wavefront6targetE1EEEvSK_: ; @_ZN7rocprim17ROCPRIM_400000_NS6detail17trampoline_kernelINS0_14default_configENS1_22reduce_config_selectorItEEZNS1_11reduce_implILb1ES3_N6thrust23THRUST_200600_302600_NS6detail15normal_iteratorINS8_10device_ptrItEEEEPffNS8_4plusIfEEEE10hipError_tPvRmT1_T2_T3_mT4_P12ihipStream_tbEUlT_E1_NS1_11comp_targetILNS1_3genE0ELNS1_11target_archE4294967295ELNS1_3gpuE0ELNS1_3repE0EEENS1_30default_config_static_selectorELNS0_4arch9wavefront6targetE1EEEvSK_
; %bb.0:
	s_load_dword s33, s[0:1], 0x4
	s_load_dwordx4 s[68:71], s[0:1], 0x8
	s_waitcnt lgkmcnt(0)
	s_cmp_lt_i32 s33, 8
	s_cbranch_scc1 .LBB450_12
; %bb.1:
	s_cmp_gt_i32 s33, 31
	s_cbranch_scc0 .LBB450_13
; %bb.2:
	s_cmp_gt_i32 s33, 63
	s_cbranch_scc0 .LBB450_22
; %bb.3:
	s_cmp_eq_u32 s33, 64
	s_mov_b64 s[38:39], 0
	s_cbranch_scc0 .LBB450_23
; %bb.4:
	s_mov_b32 s3, 0
	s_lshl_b32 s4, s2, 13
	s_mov_b32 s5, s3
	s_lshr_b64 s[6:7], s[70:71], 13
	s_lshl_b64 s[8:9], s[4:5], 1
	s_add_u32 s40, s68, s8
	s_addc_u32 s41, s69, s9
	s_cmp_lg_u64 s[6:7], s[2:3]
	s_cbranch_scc0 .LBB450_34
; %bb.5:
	v_lshlrev_b32_e32 v2, 1, v0
	global_load_ushort v1, v2, s[40:41]
	global_load_ushort v10, v2, s[40:41] offset:256
	global_load_ushort v11, v2, s[40:41] offset:512
	;; [unrolled: 1-line block ×8, first 2 shown]
	v_mov_b32_e32 v3, 0
	v_lshl_add_u64 v[4:5], s[40:41], 0, v[2:3]
	s_movk_i32 s5, 0x1000
	v_add_co_u32_e32 v6, vcc, s5, v4
	s_movk_i32 s5, 0x2000
	s_nop 0
	v_addc_co_u32_e32 v7, vcc, 0, v5, vcc
	v_add_co_u32_e32 v8, vcc, s5, v4
	s_movk_i32 s5, 0x3000
	s_nop 0
	v_addc_co_u32_e32 v9, vcc, 0, v5, vcc
	global_load_ushort v18, v2, s[40:41] offset:2304
	global_load_ushort v19, v2, s[40:41] offset:2560
	;; [unrolled: 1-line block ×7, first 2 shown]
	global_load_ushort v25, v[8:9], off offset:-4096
	global_load_ushort v26, v[6:7], off offset:256
	global_load_ushort v27, v[6:7], off offset:512
	;; [unrolled: 1-line block ×7, first 2 shown]
                                        ; kill: killed $vgpr2
	global_load_ushort v33, v[6:7], off offset:2048
	global_load_ushort v34, v[6:7], off offset:2304
	;; [unrolled: 1-line block ×8, first 2 shown]
	global_load_ushort v41, v[8:9], off
	global_load_ushort v42, v[8:9], off offset:256
	global_load_ushort v43, v[8:9], off offset:512
	;; [unrolled: 1-line block ×6, first 2 shown]
                                        ; kill: killed $vgpr6 killed $vgpr7
	global_load_ushort v6, v[8:9], off offset:1792
	global_load_ushort v7, v[8:9], off offset:2048
	;; [unrolled: 1-line block ×9, first 2 shown]
	v_add_co_u32_e32 v2, vcc, s5, v4
	s_waitcnt vmcnt(47)
	v_cvt_f32_u32_e32 v1, v1
	v_addc_co_u32_e32 v3, vcc, 0, v5, vcc
	global_load_ushort v4, v[2:3], off
	global_load_ushort v5, v[2:3], off offset:256
	global_load_ushort v8, v[2:3], off offset:512
	global_load_ushort v9, v[2:3], off offset:768
	global_load_ushort v55, v[2:3], off offset:1024
	global_load_ushort v56, v[2:3], off offset:1280
	global_load_ushort v57, v[2:3], off offset:1536
	global_load_ushort v58, v[2:3], off offset:1792
	global_load_ushort v59, v[2:3], off offset:2048
	global_load_ushort v60, v[2:3], off offset:2304
	global_load_ushort v61, v[2:3], off offset:2560
	global_load_ushort v62, v[2:3], off offset:2816
	global_load_ushort v63, v[2:3], off offset:3072
	global_load_ushort v64, v[2:3], off offset:3328
	global_load_ushort v65, v[2:3], off offset:3584
	s_nop 0
	global_load_ushort v2, v[2:3], off offset:3840
	s_waitcnt vmcnt(62)
	v_cvt_f32_u32_e32 v3, v10
	s_waitcnt vmcnt(61)
	v_cvt_f32_u32_e32 v10, v11
	;; [unrolled: 2-line block ×5, first 2 shown]
	v_add_f32_e32 v1, v1, v3
	s_waitcnt vmcnt(57)
	v_cvt_f32_u32_e32 v14, v15
	v_add_f32_e32 v1, v1, v10
	s_waitcnt vmcnt(56)
	v_cvt_f32_u32_e32 v15, v16
	;; [unrolled: 3-line block ×58, first 2 shown]
	v_add_f32_e32 v1, v1, v61
	v_add_f32_e32 v1, v1, v62
	v_add_f32_e32 v1, v1, v63
	v_add_f32_e32 v1, v1, v64
	v_add_f32_e32 v1, v1, v2
	v_mbcnt_lo_u32_b32 v2, -1, 0
	v_mbcnt_hi_u32_b32 v2, -1, v2
	v_add_f32_dpp v1, v1, v1 quad_perm:[1,0,3,2] row_mask:0xf bank_mask:0xf bound_ctrl:1
	v_lshlrev_b32_e32 v3, 2, v2
	v_or_b32_e32 v4, 0xfc, v3
	v_add_f32_dpp v1, v1, v1 quad_perm:[2,3,0,1] row_mask:0xf bank_mask:0xf bound_ctrl:1
	v_cmp_eq_u32_e32 vcc, 0, v2
	s_nop 0
	v_add_f32_dpp v1, v1, v1 row_ror:4 row_mask:0xf bank_mask:0xf bound_ctrl:1
	s_nop 1
	v_add_f32_dpp v1, v1, v1 row_ror:8 row_mask:0xf bank_mask:0xf bound_ctrl:1
	s_nop 1
	v_add_f32_dpp v1, v1, v1 row_bcast:15 row_mask:0xf bank_mask:0xf bound_ctrl:1
	s_nop 1
	v_add_f32_dpp v1, v1, v1 row_bcast:31 row_mask:0xf bank_mask:0xf bound_ctrl:1
	ds_bpermute_b32 v1, v4, v1
	s_and_saveexec_b64 s[6:7], vcc
	s_cbranch_execz .LBB450_7
; %bb.6:
	v_lshrrev_b32_e32 v4, 4, v0
	v_and_b32_e32 v4, 4, v4
	s_waitcnt lgkmcnt(0)
	ds_write_b32 v4, v1 offset:40
.LBB450_7:
	s_or_b64 exec, exec, s[6:7]
	v_cmp_gt_u32_e32 vcc, 64, v0
	s_waitcnt lgkmcnt(0)
	s_barrier
	s_and_saveexec_b64 s[6:7], vcc
	s_cbranch_execz .LBB450_9
; %bb.8:
	v_and_b32_e32 v1, 1, v2
	v_lshlrev_b32_e32 v1, 2, v1
	ds_read_b32 v1, v1 offset:40
	v_or_b32_e32 v2, 4, v3
	s_waitcnt lgkmcnt(0)
	ds_bpermute_b32 v2, v2, v1
	s_waitcnt lgkmcnt(0)
	v_add_f32_e32 v1, v1, v2
.LBB450_9:
	s_or_b64 exec, exec, s[6:7]
.LBB450_10:
	v_cmp_eq_u32_e64 s[4:5], 0, v0
	s_and_b64 vcc, exec, s[38:39]
	s_cbranch_vccnz .LBB450_24
.LBB450_11:
	s_branch .LBB450_288
.LBB450_12:
	s_mov_b64 s[4:5], 0
                                        ; implicit-def: $vgpr1
	s_cbranch_execz .LBB450_371
	s_branch .LBB450_289
.LBB450_13:
	s_mov_b64 s[4:5], 0
                                        ; implicit-def: $vgpr1
	s_cbranch_execz .LBB450_288
; %bb.14:
	s_cmp_gt_i32 s33, 15
	s_cbranch_scc0 .LBB450_31
; %bb.15:
	s_cmp_eq_u32 s33, 16
	s_cbranch_scc0 .LBB450_32
; %bb.16:
	s_mov_b32 s3, 0
	s_lshl_b32 s4, s2, 11
	s_mov_b32 s5, s3
	s_lshr_b64 s[6:7], s[70:71], 11
	s_lshl_b64 s[8:9], s[4:5], 1
	s_add_u32 s34, s68, s8
	s_addc_u32 s35, s69, s9
	s_cmp_lg_u64 s[6:7], s[2:3]
	s_cbranch_scc0 .LBB450_168
; %bb.17:
	v_lshlrev_b32_e32 v1, 1, v0
	global_load_ushort v4, v1, s[34:35]
	global_load_ushort v5, v1, s[34:35] offset:256
	global_load_ushort v6, v1, s[34:35] offset:512
	;; [unrolled: 1-line block ×14, first 2 shown]
	s_nop 0
	global_load_ushort v1, v1, s[34:35] offset:3840
	v_mbcnt_lo_u32_b32 v2, -1, 0
	v_mbcnt_hi_u32_b32 v2, -1, v2
	v_lshlrev_b32_e32 v3, 2, v2
	v_cmp_eq_u32_e32 vcc, 0, v2
	s_waitcnt vmcnt(15)
	v_cvt_f32_u32_e32 v4, v4
	s_waitcnt vmcnt(14)
	v_cvt_f32_u32_e32 v5, v5
	;; [unrolled: 2-line block ×6, first 2 shown]
	v_add_f32_e32 v4, v4, v5
	s_waitcnt vmcnt(9)
	v_cvt_f32_u32_e32 v10, v10
	v_add_f32_e32 v4, v4, v6
	s_waitcnt vmcnt(8)
	v_cvt_f32_u32_e32 v11, v11
	v_add_f32_e32 v4, v4, v7
	s_waitcnt vmcnt(7)
	v_cvt_f32_u32_e32 v12, v12
	v_add_f32_e32 v4, v4, v8
	s_waitcnt vmcnt(6)
	v_cvt_f32_u32_e32 v13, v13
	v_add_f32_e32 v4, v4, v9
	s_waitcnt vmcnt(5)
	v_cvt_f32_u32_e32 v14, v14
	v_add_f32_e32 v4, v4, v10
	s_waitcnt vmcnt(4)
	v_cvt_f32_u32_e32 v15, v15
	v_add_f32_e32 v4, v4, v11
	s_waitcnt vmcnt(3)
	v_cvt_f32_u32_e32 v16, v16
	v_add_f32_e32 v4, v4, v12
	s_waitcnt vmcnt(2)
	v_cvt_f32_u32_e32 v17, v17
	v_add_f32_e32 v4, v4, v13
	s_waitcnt vmcnt(1)
	v_cvt_f32_u32_e32 v18, v18
	v_add_f32_e32 v4, v4, v14
	s_waitcnt vmcnt(0)
	v_cvt_f32_u32_e32 v1, v1
	v_add_f32_e32 v4, v4, v15
	v_add_f32_e32 v4, v4, v16
	;; [unrolled: 1-line block ×5, first 2 shown]
	v_or_b32_e32 v4, 0xfc, v3
	s_nop 0
	v_add_f32_dpp v1, v1, v1 quad_perm:[1,0,3,2] row_mask:0xf bank_mask:0xf bound_ctrl:1
	s_nop 1
	v_add_f32_dpp v1, v1, v1 quad_perm:[2,3,0,1] row_mask:0xf bank_mask:0xf bound_ctrl:1
	s_nop 1
	v_add_f32_dpp v1, v1, v1 row_ror:4 row_mask:0xf bank_mask:0xf bound_ctrl:1
	s_nop 1
	v_add_f32_dpp v1, v1, v1 row_ror:8 row_mask:0xf bank_mask:0xf bound_ctrl:1
	s_nop 1
	v_add_f32_dpp v1, v1, v1 row_bcast:15 row_mask:0xf bank_mask:0xf bound_ctrl:1
	s_nop 1
	v_add_f32_dpp v1, v1, v1 row_bcast:31 row_mask:0xf bank_mask:0xf bound_ctrl:1
	ds_bpermute_b32 v1, v4, v1
	s_and_saveexec_b64 s[6:7], vcc
	s_cbranch_execz .LBB450_19
; %bb.18:
	v_lshrrev_b32_e32 v4, 4, v0
	v_and_b32_e32 v4, 4, v4
	s_waitcnt lgkmcnt(0)
	ds_write_b32 v4, v1
.LBB450_19:
	s_or_b64 exec, exec, s[6:7]
	v_cmp_gt_u32_e32 vcc, 64, v0
	s_waitcnt lgkmcnt(0)
	s_barrier
	s_and_saveexec_b64 s[6:7], vcc
	s_cbranch_execz .LBB450_21
; %bb.20:
	v_and_b32_e32 v1, 1, v2
	v_lshlrev_b32_e32 v1, 2, v1
	ds_read_b32 v1, v1
	v_or_b32_e32 v2, 4, v3
	s_waitcnt lgkmcnt(0)
	ds_bpermute_b32 v2, v2, v1
	s_waitcnt lgkmcnt(0)
	v_add_f32_e32 v1, v1, v2
.LBB450_21:
	s_or_b64 exec, exec, s[6:7]
	s_mov_b64 s[6:7], 0
	s_branch .LBB450_169
.LBB450_22:
	s_mov_b64 s[38:39], -1
.LBB450_23:
	s_mov_b64 s[4:5], 0
                                        ; implicit-def: $vgpr1
	s_and_b64 vcc, exec, s[38:39]
	s_cbranch_vccz .LBB450_11
.LBB450_24:
	s_cmp_eq_u32 s33, 32
	s_cbranch_scc0 .LBB450_33
; %bb.25:
	s_mov_b32 s3, 0
	s_lshl_b32 s4, s2, 12
	s_mov_b32 s5, s3
	s_lshr_b64 s[6:7], s[70:71], 12
	s_lshl_b64 s[8:9], s[4:5], 1
	s_add_u32 s66, s68, s8
	s_addc_u32 s67, s69, s9
	s_cmp_lg_u64 s[6:7], s[2:3]
	s_cbranch_scc0 .LBB450_216
; %bb.26:
	v_lshlrev_b32_e32 v2, 1, v0
	global_load_ushort v1, v2, s[66:67]
	global_load_ushort v6, v2, s[66:67] offset:256
	global_load_ushort v7, v2, s[66:67] offset:512
	;; [unrolled: 1-line block ×15, first 2 shown]
	v_mov_b32_e32 v3, 0
	v_lshl_add_u64 v[4:5], s[66:67], 0, v[2:3]
	s_movk_i32 s5, 0x1000
	v_add_co_u32_e32 v2, vcc, s5, v4
	s_waitcnt vmcnt(15)
	v_cvt_f32_u32_e32 v1, v1
	v_addc_co_u32_e32 v3, vcc, 0, v5, vcc
	global_load_ushort v4, v[2:3], off
	global_load_ushort v5, v[2:3], off offset:256
	global_load_ushort v21, v[2:3], off offset:512
	;; [unrolled: 1-line block ×15, first 2 shown]
	s_waitcnt vmcnt(30)
	v_cvt_f32_u32_e32 v6, v6
	s_waitcnt vmcnt(29)
	v_cvt_f32_u32_e32 v7, v7
	;; [unrolled: 2-line block ×5, first 2 shown]
	v_add_f32_e32 v1, v1, v6
	s_waitcnt vmcnt(25)
	v_cvt_f32_u32_e32 v11, v11
	v_add_f32_e32 v1, v1, v7
	s_waitcnt vmcnt(24)
	v_cvt_f32_u32_e32 v12, v12
	;; [unrolled: 3-line block ×10, first 2 shown]
	v_add_f32_e32 v1, v1, v16
	v_add_f32_e32 v1, v1, v17
	;; [unrolled: 1-line block ×5, first 2 shown]
	v_mbcnt_lo_u32_b32 v2, -1, 0
	v_mbcnt_hi_u32_b32 v2, -1, v2
	v_lshlrev_b32_e32 v3, 2, v2
	v_cmp_eq_u32_e32 vcc, 0, v2
	s_waitcnt vmcnt(15)
	v_cvt_f32_u32_e32 v4, v4
	s_waitcnt vmcnt(14)
	v_cvt_f32_u32_e32 v5, v5
	;; [unrolled: 2-line block ×5, first 2 shown]
	v_add_f32_e32 v1, v1, v4
	s_waitcnt vmcnt(10)
	v_cvt_f32_u32_e32 v24, v24
	v_add_f32_e32 v1, v1, v5
	s_waitcnt vmcnt(9)
	v_cvt_f32_u32_e32 v25, v25
	;; [unrolled: 3-line block ×11, first 2 shown]
	v_add_f32_e32 v1, v1, v30
	v_add_f32_e32 v1, v1, v31
	v_add_f32_e32 v1, v1, v32
	v_add_f32_e32 v1, v1, v33
	v_add_f32_e32 v1, v1, v34
	v_or_b32_e32 v4, 0xfc, v3
	s_nop 0
	v_add_f32_dpp v1, v1, v1 quad_perm:[1,0,3,2] row_mask:0xf bank_mask:0xf bound_ctrl:1
	s_nop 1
	v_add_f32_dpp v1, v1, v1 quad_perm:[2,3,0,1] row_mask:0xf bank_mask:0xf bound_ctrl:1
	s_nop 1
	v_add_f32_dpp v1, v1, v1 row_ror:4 row_mask:0xf bank_mask:0xf bound_ctrl:1
	s_nop 1
	v_add_f32_dpp v1, v1, v1 row_ror:8 row_mask:0xf bank_mask:0xf bound_ctrl:1
	s_nop 1
	v_add_f32_dpp v1, v1, v1 row_bcast:15 row_mask:0xf bank_mask:0xf bound_ctrl:1
	s_nop 1
	v_add_f32_dpp v1, v1, v1 row_bcast:31 row_mask:0xf bank_mask:0xf bound_ctrl:1
	ds_bpermute_b32 v1, v4, v1
	s_and_saveexec_b64 s[6:7], vcc
	s_cbranch_execz .LBB450_28
; %bb.27:
	v_lshrrev_b32_e32 v4, 4, v0
	v_and_b32_e32 v4, 4, v4
	s_waitcnt lgkmcnt(0)
	ds_write_b32 v4, v1 offset:24
.LBB450_28:
	s_or_b64 exec, exec, s[6:7]
	v_cmp_gt_u32_e32 vcc, 64, v0
	s_waitcnt lgkmcnt(0)
	s_barrier
	s_and_saveexec_b64 s[6:7], vcc
	s_cbranch_execz .LBB450_30
; %bb.29:
	v_and_b32_e32 v1, 1, v2
	v_lshlrev_b32_e32 v1, 2, v1
	ds_read_b32 v1, v1 offset:24
	v_or_b32_e32 v2, 4, v3
	s_waitcnt lgkmcnt(0)
	ds_bpermute_b32 v2, v2, v1
	s_waitcnt lgkmcnt(0)
	v_add_f32_e32 v1, v1, v2
.LBB450_30:
	s_or_b64 exec, exec, s[6:7]
	s_mov_b64 s[6:7], 0
	s_branch .LBB450_217
.LBB450_31:
                                        ; implicit-def: $vgpr1
	s_cbranch_execz .LBB450_288
	s_branch .LBB450_208
.LBB450_32:
                                        ; implicit-def: $vgpr1
	s_branch .LBB450_288
.LBB450_33:
                                        ; implicit-def: $vgpr1
	s_branch .LBB450_288
.LBB450_34:
                                        ; implicit-def: $vgpr1
	s_cbranch_execz .LBB450_10
; %bb.35:
	s_sub_i32 s44, s70, s4
	v_cmp_gt_u32_e32 vcc, s44, v0
                                        ; implicit-def: $vgpr1
	s_and_saveexec_b64 s[4:5], vcc
	s_cbranch_execz .LBB450_37
; %bb.36:
	v_lshlrev_b32_e32 v1, 1, v0
	global_load_ushort v1, v1, s[40:41]
	s_waitcnt vmcnt(0)
	v_cvt_f32_u32_e32 v1, v1
.LBB450_37:
	s_or_b64 exec, exec, s[4:5]
	v_or_b32_e32 v2, 0x80, v0
	v_cmp_gt_u32_e64 s[6:7], s44, v2
                                        ; implicit-def: $vgpr2
	s_mov_b64 s[4:5], exec
                                        ; implicit-def: $vgpr66 : SGPR spill to VGPR lane
	s_nop 0
	v_writelane_b32 v66, s6, 0
	s_nop 1
	v_writelane_b32 v66, s7, 1
	s_and_b64 s[6:7], s[4:5], s[6:7]
	s_mov_b64 exec, s[6:7]
	s_cbranch_execz .LBB450_39
; %bb.38:
	v_lshlrev_b32_e32 v2, 1, v0
	global_load_ushort v2, v2, s[40:41] offset:256
	s_waitcnt vmcnt(0)
	v_cvt_f32_u32_e32 v2, v2
.LBB450_39:
	s_or_b64 exec, exec, s[4:5]
	v_or_b32_e32 v3, 0x100, v0
	v_cmp_gt_u32_e64 s[6:7], s44, v3
                                        ; implicit-def: $vgpr3
	s_mov_b64 s[4:5], exec
	s_nop 0
	v_writelane_b32 v66, s6, 2
	s_nop 1
	v_writelane_b32 v66, s7, 3
	s_and_b64 s[6:7], s[4:5], s[6:7]
	s_mov_b64 exec, s[6:7]
	s_cbranch_execz .LBB450_41
; %bb.40:
	v_lshlrev_b32_e32 v3, 1, v0
	global_load_ushort v3, v3, s[40:41] offset:512
	s_waitcnt vmcnt(0)
	v_cvt_f32_u32_e32 v3, v3
.LBB450_41:
	s_or_b64 exec, exec, s[4:5]
	v_or_b32_e32 v4, 0x180, v0
	v_cmp_gt_u32_e64 s[6:7], s44, v4
                                        ; implicit-def: $vgpr4
	s_mov_b64 s[4:5], exec
	s_nop 0
	v_writelane_b32 v66, s6, 4
	s_nop 1
	v_writelane_b32 v66, s7, 5
	s_and_b64 s[6:7], s[4:5], s[6:7]
	s_mov_b64 exec, s[6:7]
	s_cbranch_execz .LBB450_43
; %bb.42:
	v_lshlrev_b32_e32 v4, 1, v0
	global_load_ushort v4, v4, s[40:41] offset:768
	s_waitcnt vmcnt(0)
	v_cvt_f32_u32_e32 v4, v4
.LBB450_43:
	s_or_b64 exec, exec, s[4:5]
	v_or_b32_e32 v5, 0x200, v0
	v_cmp_gt_u32_e64 s[6:7], s44, v5
                                        ; implicit-def: $vgpr5
	s_mov_b64 s[4:5], exec
	s_nop 0
	v_writelane_b32 v66, s6, 6
	s_nop 1
	v_writelane_b32 v66, s7, 7
	s_and_b64 s[6:7], s[4:5], s[6:7]
	s_mov_b64 exec, s[6:7]
	s_cbranch_execz .LBB450_45
; %bb.44:
	v_lshlrev_b32_e32 v5, 1, v0
	global_load_ushort v5, v5, s[40:41] offset:1024
	s_waitcnt vmcnt(0)
	v_cvt_f32_u32_e32 v5, v5
.LBB450_45:
	s_or_b64 exec, exec, s[4:5]
	v_or_b32_e32 v6, 0x280, v0
	v_cmp_gt_u32_e64 s[6:7], s44, v6
                                        ; implicit-def: $vgpr6
	s_mov_b64 s[4:5], exec
	s_nop 0
	v_writelane_b32 v66, s6, 8
	s_nop 1
	v_writelane_b32 v66, s7, 9
	s_and_b64 s[6:7], s[4:5], s[6:7]
	s_mov_b64 exec, s[6:7]
	s_cbranch_execz .LBB450_47
; %bb.46:
	v_lshlrev_b32_e32 v6, 1, v0
	global_load_ushort v6, v6, s[40:41] offset:1280
	s_waitcnt vmcnt(0)
	v_cvt_f32_u32_e32 v6, v6
.LBB450_47:
	s_or_b64 exec, exec, s[4:5]
	v_or_b32_e32 v7, 0x300, v0
	v_cmp_gt_u32_e64 s[6:7], s44, v7
                                        ; implicit-def: $vgpr7
	s_mov_b64 s[4:5], exec
	s_nop 0
	v_writelane_b32 v66, s6, 10
	s_nop 1
	v_writelane_b32 v66, s7, 11
	s_and_b64 s[6:7], s[4:5], s[6:7]
	s_mov_b64 exec, s[6:7]
	s_cbranch_execz .LBB450_49
; %bb.48:
	v_lshlrev_b32_e32 v7, 1, v0
	global_load_ushort v7, v7, s[40:41] offset:1536
	s_waitcnt vmcnt(0)
	v_cvt_f32_u32_e32 v7, v7
.LBB450_49:
	s_or_b64 exec, exec, s[4:5]
	v_or_b32_e32 v8, 0x380, v0
	v_cmp_gt_u32_e64 s[6:7], s44, v8
                                        ; implicit-def: $vgpr8
	s_mov_b64 s[4:5], exec
	s_nop 0
	v_writelane_b32 v66, s6, 12
	s_nop 1
	v_writelane_b32 v66, s7, 13
	s_and_b64 s[6:7], s[4:5], s[6:7]
	s_mov_b64 exec, s[6:7]
	s_cbranch_execz .LBB450_51
; %bb.50:
	v_lshlrev_b32_e32 v8, 1, v0
	global_load_ushort v8, v8, s[40:41] offset:1792
	s_waitcnt vmcnt(0)
	v_cvt_f32_u32_e32 v8, v8
.LBB450_51:
	s_or_b64 exec, exec, s[4:5]
	v_or_b32_e32 v9, 0x400, v0
	v_cmp_gt_u32_e64 s[6:7], s44, v9
                                        ; implicit-def: $vgpr9
	s_mov_b64 s[4:5], exec
	s_nop 0
	v_writelane_b32 v66, s6, 14
	s_nop 1
	v_writelane_b32 v66, s7, 15
	s_and_b64 s[6:7], s[4:5], s[6:7]
	s_mov_b64 exec, s[6:7]
	s_cbranch_execz .LBB450_53
; %bb.52:
	v_lshlrev_b32_e32 v9, 1, v0
	global_load_ushort v9, v9, s[40:41] offset:2048
	s_waitcnt vmcnt(0)
	v_cvt_f32_u32_e32 v9, v9
.LBB450_53:
	s_or_b64 exec, exec, s[4:5]
	v_or_b32_e32 v10, 0x480, v0
	v_cmp_gt_u32_e64 s[6:7], s44, v10
                                        ; implicit-def: $vgpr10
	s_mov_b64 s[4:5], exec
	s_nop 0
	v_writelane_b32 v66, s6, 16
	s_nop 1
	v_writelane_b32 v66, s7, 17
	s_and_b64 s[6:7], s[4:5], s[6:7]
	s_mov_b64 exec, s[6:7]
	s_cbranch_execz .LBB450_55
; %bb.54:
	v_lshlrev_b32_e32 v10, 1, v0
	global_load_ushort v10, v10, s[40:41] offset:2304
	s_waitcnt vmcnt(0)
	v_cvt_f32_u32_e32 v10, v10
.LBB450_55:
	s_or_b64 exec, exec, s[4:5]
	v_or_b32_e32 v11, 0x500, v0
	v_cmp_gt_u32_e64 s[6:7], s44, v11
                                        ; implicit-def: $vgpr11
	s_mov_b64 s[4:5], exec
	s_nop 0
	v_writelane_b32 v66, s6, 18
	s_nop 1
	v_writelane_b32 v66, s7, 19
	s_and_b64 s[6:7], s[4:5], s[6:7]
	s_mov_b64 exec, s[6:7]
	s_cbranch_execz .LBB450_57
; %bb.56:
	v_lshlrev_b32_e32 v11, 1, v0
	global_load_ushort v11, v11, s[40:41] offset:2560
	s_waitcnt vmcnt(0)
	v_cvt_f32_u32_e32 v11, v11
.LBB450_57:
	s_or_b64 exec, exec, s[4:5]
	v_or_b32_e32 v12, 0x580, v0
	v_cmp_gt_u32_e64 s[6:7], s44, v12
                                        ; implicit-def: $vgpr12
	s_mov_b64 s[4:5], exec
	s_nop 0
	v_writelane_b32 v66, s6, 20
	s_nop 1
	v_writelane_b32 v66, s7, 21
	s_and_b64 s[6:7], s[4:5], s[6:7]
	s_mov_b64 exec, s[6:7]
	s_cbranch_execz .LBB450_59
; %bb.58:
	v_lshlrev_b32_e32 v12, 1, v0
	global_load_ushort v12, v12, s[40:41] offset:2816
	s_waitcnt vmcnt(0)
	v_cvt_f32_u32_e32 v12, v12
.LBB450_59:
	s_or_b64 exec, exec, s[4:5]
	v_or_b32_e32 v13, 0x600, v0
	v_cmp_gt_u32_e64 s[6:7], s44, v13
                                        ; implicit-def: $vgpr13
	s_mov_b64 s[4:5], exec
	s_nop 0
	v_writelane_b32 v66, s6, 22
	s_nop 1
	v_writelane_b32 v66, s7, 23
	s_and_b64 s[6:7], s[4:5], s[6:7]
	s_mov_b64 exec, s[6:7]
	s_cbranch_execz .LBB450_61
; %bb.60:
	v_lshlrev_b32_e32 v13, 1, v0
	global_load_ushort v13, v13, s[40:41] offset:3072
	s_waitcnt vmcnt(0)
	v_cvt_f32_u32_e32 v13, v13
.LBB450_61:
	s_or_b64 exec, exec, s[4:5]
	v_or_b32_e32 v14, 0x680, v0
	v_cmp_gt_u32_e64 s[6:7], s44, v14
                                        ; implicit-def: $vgpr14
	s_mov_b64 s[4:5], exec
	s_nop 0
	v_writelane_b32 v66, s6, 24
	s_nop 1
	v_writelane_b32 v66, s7, 25
	s_and_b64 s[6:7], s[4:5], s[6:7]
	s_mov_b64 exec, s[6:7]
	s_cbranch_execz .LBB450_63
; %bb.62:
	v_lshlrev_b32_e32 v14, 1, v0
	global_load_ushort v14, v14, s[40:41] offset:3328
	s_waitcnt vmcnt(0)
	v_cvt_f32_u32_e32 v14, v14
.LBB450_63:
	s_or_b64 exec, exec, s[4:5]
	v_or_b32_e32 v15, 0x700, v0
	v_cmp_gt_u32_e64 s[6:7], s44, v15
                                        ; implicit-def: $vgpr15
	s_mov_b64 s[4:5], exec
	s_nop 0
	v_writelane_b32 v66, s6, 26
	s_nop 1
	v_writelane_b32 v66, s7, 27
	s_and_b64 s[6:7], s[4:5], s[6:7]
	s_mov_b64 exec, s[6:7]
	s_cbranch_execz .LBB450_65
; %bb.64:
	v_lshlrev_b32_e32 v15, 1, v0
	global_load_ushort v15, v15, s[40:41] offset:3584
	s_waitcnt vmcnt(0)
	v_cvt_f32_u32_e32 v15, v15
.LBB450_65:
	s_or_b64 exec, exec, s[4:5]
	v_or_b32_e32 v16, 0x780, v0
	v_cmp_gt_u32_e64 s[6:7], s44, v16
                                        ; implicit-def: $vgpr16
	s_mov_b64 s[4:5], exec
	s_nop 0
	v_writelane_b32 v66, s6, 28
	s_nop 1
	v_writelane_b32 v66, s7, 29
	s_and_b64 s[6:7], s[4:5], s[6:7]
	s_mov_b64 exec, s[6:7]
	s_cbranch_execz .LBB450_67
; %bb.66:
	v_lshlrev_b32_e32 v16, 1, v0
	global_load_ushort v16, v16, s[40:41] offset:3840
	s_waitcnt vmcnt(0)
	v_cvt_f32_u32_e32 v16, v16
.LBB450_67:
	s_or_b64 exec, exec, s[4:5]
	v_or_b32_e32 v18, 0x800, v0
	v_cmp_gt_u32_e64 s[6:7], s44, v18
                                        ; implicit-def: $vgpr17
	s_mov_b64 s[4:5], exec
	s_nop 0
	v_writelane_b32 v66, s6, 30
	s_nop 1
	v_writelane_b32 v66, s7, 31
	s_and_b64 s[6:7], s[4:5], s[6:7]
	s_mov_b64 exec, s[6:7]
	s_cbranch_execz .LBB450_69
; %bb.68:
	v_lshlrev_b32_e32 v17, 1, v18
	global_load_ushort v17, v17, s[40:41]
	s_waitcnt vmcnt(0)
	v_cvt_f32_u32_e32 v17, v17
.LBB450_69:
	s_or_b64 exec, exec, s[4:5]
	v_or_b32_e32 v19, 0x880, v0
	v_cmp_gt_u32_e64 s[6:7], s44, v19
                                        ; implicit-def: $vgpr18
	s_mov_b64 s[4:5], exec
	s_nop 0
	v_writelane_b32 v66, s6, 32
	s_nop 1
	v_writelane_b32 v66, s7, 33
	s_and_b64 s[6:7], s[4:5], s[6:7]
	s_mov_b64 exec, s[6:7]
	s_cbranch_execz .LBB450_71
; %bb.70:
	v_lshlrev_b32_e32 v18, 1, v19
	global_load_ushort v18, v18, s[40:41]
	s_waitcnt vmcnt(0)
	v_cvt_f32_u32_e32 v18, v18
.LBB450_71:
	s_or_b64 exec, exec, s[4:5]
	v_or_b32_e32 v20, 0x900, v0
	v_cmp_gt_u32_e64 s[6:7], s44, v20
                                        ; implicit-def: $vgpr19
	s_mov_b64 s[4:5], exec
	s_nop 0
	v_writelane_b32 v66, s6, 34
	s_nop 1
	v_writelane_b32 v66, s7, 35
	s_and_b64 s[6:7], s[4:5], s[6:7]
	s_mov_b64 exec, s[6:7]
	s_cbranch_execz .LBB450_73
; %bb.72:
	v_lshlrev_b32_e32 v19, 1, v20
	global_load_ushort v19, v19, s[40:41]
	s_waitcnt vmcnt(0)
	v_cvt_f32_u32_e32 v19, v19
.LBB450_73:
	s_or_b64 exec, exec, s[4:5]
	v_or_b32_e32 v21, 0x980, v0
	v_cmp_gt_u32_e64 s[6:7], s44, v21
                                        ; implicit-def: $vgpr20
	s_mov_b64 s[4:5], exec
	s_nop 0
	v_writelane_b32 v66, s6, 36
	s_nop 1
	v_writelane_b32 v66, s7, 37
	s_and_b64 s[6:7], s[4:5], s[6:7]
	s_mov_b64 exec, s[6:7]
	s_cbranch_execz .LBB450_75
; %bb.74:
	v_lshlrev_b32_e32 v20, 1, v21
	global_load_ushort v20, v20, s[40:41]
	s_waitcnt vmcnt(0)
	v_cvt_f32_u32_e32 v20, v20
.LBB450_75:
	s_or_b64 exec, exec, s[4:5]
	v_or_b32_e32 v22, 0xa00, v0
	v_cmp_gt_u32_e64 s[6:7], s44, v22
                                        ; implicit-def: $vgpr21
	s_mov_b64 s[4:5], exec
	s_nop 0
	v_writelane_b32 v66, s6, 38
	s_nop 1
	v_writelane_b32 v66, s7, 39
	s_and_b64 s[6:7], s[4:5], s[6:7]
	s_mov_b64 exec, s[6:7]
	s_cbranch_execz .LBB450_77
; %bb.76:
	v_lshlrev_b32_e32 v21, 1, v22
	global_load_ushort v21, v21, s[40:41]
	s_waitcnt vmcnt(0)
	v_cvt_f32_u32_e32 v21, v21
.LBB450_77:
	s_or_b64 exec, exec, s[4:5]
	v_or_b32_e32 v23, 0xa80, v0
	v_cmp_gt_u32_e64 s[6:7], s44, v23
                                        ; implicit-def: $vgpr22
	s_mov_b64 s[4:5], exec
	s_nop 0
	v_writelane_b32 v66, s6, 40
	s_nop 1
	v_writelane_b32 v66, s7, 41
	s_and_b64 s[6:7], s[4:5], s[6:7]
	s_mov_b64 exec, s[6:7]
	s_cbranch_execz .LBB450_79
; %bb.78:
	v_lshlrev_b32_e32 v22, 1, v23
	global_load_ushort v22, v22, s[40:41]
	s_waitcnt vmcnt(0)
	v_cvt_f32_u32_e32 v22, v22
.LBB450_79:
	s_or_b64 exec, exec, s[4:5]
	v_or_b32_e32 v24, 0xb00, v0
	v_cmp_gt_u32_e64 s[6:7], s44, v24
                                        ; implicit-def: $vgpr23
	s_mov_b64 s[4:5], exec
	s_nop 0
	v_writelane_b32 v66, s6, 42
	s_nop 1
	v_writelane_b32 v66, s7, 43
	s_and_b64 s[6:7], s[4:5], s[6:7]
	s_mov_b64 exec, s[6:7]
	s_cbranch_execz .LBB450_81
; %bb.80:
	v_lshlrev_b32_e32 v23, 1, v24
	global_load_ushort v23, v23, s[40:41]
	s_waitcnt vmcnt(0)
	v_cvt_f32_u32_e32 v23, v23
.LBB450_81:
	s_or_b64 exec, exec, s[4:5]
	v_or_b32_e32 v25, 0xb80, v0
	v_cmp_gt_u32_e64 s[48:49], s44, v25
                                        ; implicit-def: $vgpr24
	s_and_saveexec_b64 s[4:5], s[48:49]
	s_cbranch_execz .LBB450_83
; %bb.82:
	v_lshlrev_b32_e32 v24, 1, v25
	global_load_ushort v24, v24, s[40:41]
	s_waitcnt vmcnt(0)
	v_cvt_f32_u32_e32 v24, v24
.LBB450_83:
	s_or_b64 exec, exec, s[4:5]
	v_or_b32_e32 v26, 0xc00, v0
	v_cmp_gt_u32_e64 s[50:51], s44, v26
                                        ; implicit-def: $vgpr25
	s_and_saveexec_b64 s[4:5], s[50:51]
	s_cbranch_execz .LBB450_85
; %bb.84:
	v_lshlrev_b32_e32 v25, 1, v26
	global_load_ushort v25, v25, s[40:41]
	s_waitcnt vmcnt(0)
	v_cvt_f32_u32_e32 v25, v25
.LBB450_85:
	s_or_b64 exec, exec, s[4:5]
	v_or_b32_e32 v27, 0xc80, v0
	v_cmp_gt_u32_e64 s[52:53], s44, v27
                                        ; implicit-def: $vgpr26
	s_and_saveexec_b64 s[4:5], s[52:53]
	s_cbranch_execz .LBB450_87
; %bb.86:
	v_lshlrev_b32_e32 v26, 1, v27
	global_load_ushort v26, v26, s[40:41]
	s_waitcnt vmcnt(0)
	v_cvt_f32_u32_e32 v26, v26
.LBB450_87:
	s_or_b64 exec, exec, s[4:5]
	v_or_b32_e32 v28, 0xd00, v0
	v_cmp_gt_u32_e64 s[54:55], s44, v28
                                        ; implicit-def: $vgpr27
	s_and_saveexec_b64 s[4:5], s[54:55]
	s_cbranch_execz .LBB450_89
; %bb.88:
	v_lshlrev_b32_e32 v27, 1, v28
	global_load_ushort v27, v27, s[40:41]
	s_waitcnt vmcnt(0)
	v_cvt_f32_u32_e32 v27, v27
.LBB450_89:
	s_or_b64 exec, exec, s[4:5]
	v_or_b32_e32 v29, 0xd80, v0
	v_cmp_gt_u32_e64 s[56:57], s44, v29
                                        ; implicit-def: $vgpr28
	s_and_saveexec_b64 s[4:5], s[56:57]
	s_cbranch_execz .LBB450_91
; %bb.90:
	v_lshlrev_b32_e32 v28, 1, v29
	global_load_ushort v28, v28, s[40:41]
	s_waitcnt vmcnt(0)
	v_cvt_f32_u32_e32 v28, v28
.LBB450_91:
	s_or_b64 exec, exec, s[4:5]
	v_or_b32_e32 v30, 0xe00, v0
	v_cmp_gt_u32_e64 s[58:59], s44, v30
                                        ; implicit-def: $vgpr29
	s_and_saveexec_b64 s[4:5], s[58:59]
	s_cbranch_execz .LBB450_93
; %bb.92:
	v_lshlrev_b32_e32 v29, 1, v30
	global_load_ushort v29, v29, s[40:41]
	s_waitcnt vmcnt(0)
	v_cvt_f32_u32_e32 v29, v29
.LBB450_93:
	s_or_b64 exec, exec, s[4:5]
	v_or_b32_e32 v31, 0xe80, v0
	v_cmp_gt_u32_e64 s[60:61], s44, v31
                                        ; implicit-def: $vgpr30
	s_and_saveexec_b64 s[4:5], s[60:61]
	s_cbranch_execz .LBB450_95
; %bb.94:
	v_lshlrev_b32_e32 v30, 1, v31
	global_load_ushort v30, v30, s[40:41]
	s_waitcnt vmcnt(0)
	v_cvt_f32_u32_e32 v30, v30
.LBB450_95:
	s_or_b64 exec, exec, s[4:5]
	v_or_b32_e32 v32, 0xf00, v0
	v_cmp_gt_u32_e64 s[62:63], s44, v32
                                        ; implicit-def: $vgpr31
	s_and_saveexec_b64 s[4:5], s[62:63]
	s_cbranch_execz .LBB450_97
; %bb.96:
	v_lshlrev_b32_e32 v31, 1, v32
	global_load_ushort v31, v31, s[40:41]
	s_waitcnt vmcnt(0)
	v_cvt_f32_u32_e32 v31, v31
.LBB450_97:
	s_or_b64 exec, exec, s[4:5]
	v_or_b32_e32 v33, 0xf80, v0
	v_cmp_gt_u32_e64 s[64:65], s44, v33
                                        ; implicit-def: $vgpr32
	s_and_saveexec_b64 s[4:5], s[64:65]
	s_cbranch_execz .LBB450_99
; %bb.98:
	v_lshlrev_b32_e32 v32, 1, v33
	global_load_ushort v32, v32, s[40:41]
	s_waitcnt vmcnt(0)
	v_cvt_f32_u32_e32 v32, v32
.LBB450_99:
	s_or_b64 exec, exec, s[4:5]
	v_or_b32_e32 v34, 0x1000, v0
	v_cmp_gt_u32_e64 s[66:67], s44, v34
                                        ; implicit-def: $vgpr33
	s_and_saveexec_b64 s[4:5], s[66:67]
	s_cbranch_execz .LBB450_101
; %bb.100:
	v_lshlrev_b32_e32 v33, 1, v34
	global_load_ushort v33, v33, s[40:41]
	s_waitcnt vmcnt(0)
	v_cvt_f32_u32_e32 v33, v33
.LBB450_101:
	s_or_b64 exec, exec, s[4:5]
	v_or_b32_e32 v35, 0x1080, v0
	v_cmp_gt_u32_e64 s[34:35], s44, v35
                                        ; implicit-def: $vgpr34
	s_and_saveexec_b64 s[4:5], s[34:35]
	s_cbranch_execz .LBB450_103
; %bb.102:
	v_lshlrev_b32_e32 v34, 1, v35
	global_load_ushort v34, v34, s[40:41]
	s_waitcnt vmcnt(0)
	v_cvt_f32_u32_e32 v34, v34
.LBB450_103:
	s_or_b64 exec, exec, s[4:5]
	v_or_b32_e32 v36, 0x1100, v0
	v_cmp_gt_u32_e64 s[36:37], s44, v36
                                        ; implicit-def: $vgpr35
	s_and_saveexec_b64 s[4:5], s[36:37]
	s_cbranch_execz .LBB450_105
; %bb.104:
	v_lshlrev_b32_e32 v35, 1, v36
	global_load_ushort v35, v35, s[40:41]
	s_waitcnt vmcnt(0)
	v_cvt_f32_u32_e32 v35, v35
.LBB450_105:
	s_or_b64 exec, exec, s[4:5]
	v_or_b32_e32 v37, 0x1180, v0
	v_cmp_gt_u32_e64 s[72:73], s44, v37
                                        ; implicit-def: $vgpr36
	s_and_saveexec_b64 s[4:5], s[72:73]
	s_cbranch_execz .LBB450_107
; %bb.106:
	v_lshlrev_b32_e32 v36, 1, v37
	global_load_ushort v36, v36, s[40:41]
	s_waitcnt vmcnt(0)
	v_cvt_f32_u32_e32 v36, v36
.LBB450_107:
	s_or_b64 exec, exec, s[4:5]
	v_or_b32_e32 v38, 0x1200, v0
	v_cmp_gt_u32_e64 s[74:75], s44, v38
                                        ; implicit-def: $vgpr37
	s_and_saveexec_b64 s[4:5], s[74:75]
	s_cbranch_execz .LBB450_109
; %bb.108:
	v_lshlrev_b32_e32 v37, 1, v38
	global_load_ushort v37, v37, s[40:41]
	s_waitcnt vmcnt(0)
	v_cvt_f32_u32_e32 v37, v37
.LBB450_109:
	s_or_b64 exec, exec, s[4:5]
	v_or_b32_e32 v39, 0x1280, v0
	v_cmp_gt_u32_e64 s[76:77], s44, v39
                                        ; implicit-def: $vgpr38
	s_and_saveexec_b64 s[4:5], s[76:77]
	s_cbranch_execz .LBB450_111
; %bb.110:
	v_lshlrev_b32_e32 v38, 1, v39
	global_load_ushort v38, v38, s[40:41]
	s_waitcnt vmcnt(0)
	v_cvt_f32_u32_e32 v38, v38
.LBB450_111:
	s_or_b64 exec, exec, s[4:5]
	v_or_b32_e32 v40, 0x1300, v0
	v_cmp_gt_u32_e64 s[78:79], s44, v40
                                        ; implicit-def: $vgpr39
	s_and_saveexec_b64 s[4:5], s[78:79]
	s_cbranch_execz .LBB450_113
; %bb.112:
	v_lshlrev_b32_e32 v39, 1, v40
	global_load_ushort v39, v39, s[40:41]
	s_waitcnt vmcnt(0)
	v_cvt_f32_u32_e32 v39, v39
.LBB450_113:
	s_or_b64 exec, exec, s[4:5]
	v_or_b32_e32 v41, 0x1380, v0
	v_cmp_gt_u32_e64 s[80:81], s44, v41
                                        ; implicit-def: $vgpr40
	s_and_saveexec_b64 s[4:5], s[80:81]
	s_cbranch_execz .LBB450_115
; %bb.114:
	v_lshlrev_b32_e32 v40, 1, v41
	global_load_ushort v40, v40, s[40:41]
	s_waitcnt vmcnt(0)
	v_cvt_f32_u32_e32 v40, v40
.LBB450_115:
	s_or_b64 exec, exec, s[4:5]
	v_or_b32_e32 v42, 0x1400, v0
	v_cmp_gt_u32_e64 s[82:83], s44, v42
                                        ; implicit-def: $vgpr41
	s_and_saveexec_b64 s[4:5], s[82:83]
	s_cbranch_execz .LBB450_117
; %bb.116:
	v_lshlrev_b32_e32 v41, 1, v42
	global_load_ushort v41, v41, s[40:41]
	s_waitcnt vmcnt(0)
	v_cvt_f32_u32_e32 v41, v41
.LBB450_117:
	s_or_b64 exec, exec, s[4:5]
	v_or_b32_e32 v43, 0x1480, v0
	v_cmp_gt_u32_e64 s[84:85], s44, v43
                                        ; implicit-def: $vgpr42
	s_and_saveexec_b64 s[4:5], s[84:85]
	s_cbranch_execz .LBB450_119
; %bb.118:
	v_lshlrev_b32_e32 v42, 1, v43
	global_load_ushort v42, v42, s[40:41]
	s_waitcnt vmcnt(0)
	v_cvt_f32_u32_e32 v42, v42
.LBB450_119:
	s_or_b64 exec, exec, s[4:5]
	v_or_b32_e32 v44, 0x1500, v0
	v_cmp_gt_u32_e64 s[86:87], s44, v44
                                        ; implicit-def: $vgpr43
	s_and_saveexec_b64 s[4:5], s[86:87]
	s_cbranch_execz .LBB450_121
; %bb.120:
	v_lshlrev_b32_e32 v43, 1, v44
	global_load_ushort v43, v43, s[40:41]
	s_waitcnt vmcnt(0)
	v_cvt_f32_u32_e32 v43, v43
.LBB450_121:
	s_or_b64 exec, exec, s[4:5]
	v_or_b32_e32 v45, 0x1580, v0
	v_cmp_gt_u32_e64 s[88:89], s44, v45
                                        ; implicit-def: $vgpr44
	s_and_saveexec_b64 s[4:5], s[88:89]
	s_cbranch_execz .LBB450_123
; %bb.122:
	v_lshlrev_b32_e32 v44, 1, v45
	global_load_ushort v44, v44, s[40:41]
	s_waitcnt vmcnt(0)
	v_cvt_f32_u32_e32 v44, v44
.LBB450_123:
	s_or_b64 exec, exec, s[4:5]
	v_or_b32_e32 v46, 0x1600, v0
	v_cmp_gt_u32_e64 s[90:91], s44, v46
                                        ; implicit-def: $vgpr45
	s_and_saveexec_b64 s[4:5], s[90:91]
	s_cbranch_execz .LBB450_125
; %bb.124:
	v_lshlrev_b32_e32 v45, 1, v46
	global_load_ushort v45, v45, s[40:41]
	s_waitcnt vmcnt(0)
	v_cvt_f32_u32_e32 v45, v45
.LBB450_125:
	s_or_b64 exec, exec, s[4:5]
	v_or_b32_e32 v47, 0x1680, v0
	v_cmp_gt_u32_e64 s[92:93], s44, v47
                                        ; implicit-def: $vgpr46
	s_and_saveexec_b64 s[4:5], s[92:93]
	s_cbranch_execz .LBB450_127
; %bb.126:
	v_lshlrev_b32_e32 v46, 1, v47
	global_load_ushort v46, v46, s[40:41]
	s_waitcnt vmcnt(0)
	v_cvt_f32_u32_e32 v46, v46
.LBB450_127:
	s_or_b64 exec, exec, s[4:5]
	v_or_b32_e32 v48, 0x1700, v0
	v_cmp_gt_u32_e64 s[94:95], s44, v48
                                        ; implicit-def: $vgpr47
	s_and_saveexec_b64 s[4:5], s[94:95]
	s_cbranch_execz .LBB450_129
; %bb.128:
	v_lshlrev_b32_e32 v47, 1, v48
	global_load_ushort v47, v47, s[40:41]
	s_waitcnt vmcnt(0)
	v_cvt_f32_u32_e32 v47, v47
.LBB450_129:
	s_or_b64 exec, exec, s[4:5]
	v_or_b32_e32 v49, 0x1780, v0
	v_cmp_gt_u32_e64 s[96:97], s44, v49
                                        ; implicit-def: $vgpr48
	s_and_saveexec_b64 s[4:5], s[96:97]
	s_cbranch_execz .LBB450_131
; %bb.130:
	v_lshlrev_b32_e32 v48, 1, v49
	global_load_ushort v48, v48, s[40:41]
	s_waitcnt vmcnt(0)
	v_cvt_f32_u32_e32 v48, v48
.LBB450_131:
	s_or_b64 exec, exec, s[4:5]
	v_or_b32_e32 v50, 0x1800, v0
	v_cmp_gt_u32_e64 s[98:99], s44, v50
                                        ; implicit-def: $vgpr49
	s_and_saveexec_b64 s[4:5], s[98:99]
	s_cbranch_execz .LBB450_133
; %bb.132:
	v_lshlrev_b32_e32 v49, 1, v50
	global_load_ushort v49, v49, s[40:41]
	s_waitcnt vmcnt(0)
	v_cvt_f32_u32_e32 v49, v49
.LBB450_133:
	s_or_b64 exec, exec, s[4:5]
	v_or_b32_e32 v51, 0x1880, v0
	v_cmp_gt_u32_e64 s[4:5], s44, v51
                                        ; implicit-def: $vgpr50
	s_and_saveexec_b64 s[6:7], s[4:5]
	s_cbranch_execz .LBB450_135
; %bb.134:
	v_lshlrev_b32_e32 v50, 1, v51
	global_load_ushort v50, v50, s[40:41]
	s_waitcnt vmcnt(0)
	v_cvt_f32_u32_e32 v50, v50
.LBB450_135:
	s_or_b64 exec, exec, s[6:7]
	v_or_b32_e32 v52, 0x1900, v0
	v_cmp_gt_u32_e64 s[6:7], s44, v52
                                        ; implicit-def: $vgpr51
	s_and_saveexec_b64 s[8:9], s[6:7]
	s_cbranch_execz .LBB450_137
; %bb.136:
	v_lshlrev_b32_e32 v51, 1, v52
	global_load_ushort v51, v51, s[40:41]
	s_waitcnt vmcnt(0)
	v_cvt_f32_u32_e32 v51, v51
.LBB450_137:
	s_or_b64 exec, exec, s[8:9]
	v_or_b32_e32 v53, 0x1980, v0
	v_cmp_gt_u32_e64 s[8:9], s44, v53
                                        ; implicit-def: $vgpr52
	s_and_saveexec_b64 s[10:11], s[8:9]
	s_cbranch_execz .LBB450_139
; %bb.138:
	v_lshlrev_b32_e32 v52, 1, v53
	global_load_ushort v52, v52, s[40:41]
	s_waitcnt vmcnt(0)
	v_cvt_f32_u32_e32 v52, v52
.LBB450_139:
	s_or_b64 exec, exec, s[10:11]
	v_or_b32_e32 v54, 0x1a00, v0
	v_cmp_gt_u32_e64 s[10:11], s44, v54
                                        ; implicit-def: $vgpr53
	s_and_saveexec_b64 s[12:13], s[10:11]
	s_cbranch_execz .LBB450_141
; %bb.140:
	v_lshlrev_b32_e32 v53, 1, v54
	global_load_ushort v53, v53, s[40:41]
	s_waitcnt vmcnt(0)
	v_cvt_f32_u32_e32 v53, v53
.LBB450_141:
	s_or_b64 exec, exec, s[12:13]
	v_or_b32_e32 v55, 0x1a80, v0
	v_cmp_gt_u32_e64 s[12:13], s44, v55
                                        ; implicit-def: $vgpr54
	s_and_saveexec_b64 s[14:15], s[12:13]
	s_cbranch_execz .LBB450_143
; %bb.142:
	v_lshlrev_b32_e32 v54, 1, v55
	global_load_ushort v54, v54, s[40:41]
	s_waitcnt vmcnt(0)
	v_cvt_f32_u32_e32 v54, v54
.LBB450_143:
	s_or_b64 exec, exec, s[14:15]
	v_or_b32_e32 v56, 0x1b00, v0
	v_cmp_gt_u32_e64 s[14:15], s44, v56
                                        ; implicit-def: $vgpr55
	s_and_saveexec_b64 s[16:17], s[14:15]
	s_cbranch_execz .LBB450_145
; %bb.144:
	v_lshlrev_b32_e32 v55, 1, v56
	global_load_ushort v55, v55, s[40:41]
	s_waitcnt vmcnt(0)
	v_cvt_f32_u32_e32 v55, v55
.LBB450_145:
	s_or_b64 exec, exec, s[16:17]
	v_or_b32_e32 v57, 0x1b80, v0
	v_cmp_gt_u32_e64 s[16:17], s44, v57
                                        ; implicit-def: $vgpr56
	s_and_saveexec_b64 s[18:19], s[16:17]
	s_cbranch_execz .LBB450_147
; %bb.146:
	v_lshlrev_b32_e32 v56, 1, v57
	global_load_ushort v56, v56, s[40:41]
	s_waitcnt vmcnt(0)
	v_cvt_f32_u32_e32 v56, v56
.LBB450_147:
	s_or_b64 exec, exec, s[18:19]
	v_or_b32_e32 v58, 0x1c00, v0
	v_cmp_gt_u32_e64 s[18:19], s44, v58
                                        ; implicit-def: $vgpr57
	s_and_saveexec_b64 s[20:21], s[18:19]
	s_cbranch_execz .LBB450_149
; %bb.148:
	v_lshlrev_b32_e32 v57, 1, v58
	global_load_ushort v57, v57, s[40:41]
	s_waitcnt vmcnt(0)
	v_cvt_f32_u32_e32 v57, v57
.LBB450_149:
	s_or_b64 exec, exec, s[20:21]
	v_or_b32_e32 v59, 0x1c80, v0
	v_cmp_gt_u32_e64 s[20:21], s44, v59
                                        ; implicit-def: $vgpr58
	s_and_saveexec_b64 s[22:23], s[20:21]
	s_cbranch_execz .LBB450_151
; %bb.150:
	v_lshlrev_b32_e32 v58, 1, v59
	global_load_ushort v58, v58, s[40:41]
	s_waitcnt vmcnt(0)
	v_cvt_f32_u32_e32 v58, v58
.LBB450_151:
	s_or_b64 exec, exec, s[22:23]
	v_or_b32_e32 v60, 0x1d00, v0
	v_cmp_gt_u32_e64 s[22:23], s44, v60
                                        ; implicit-def: $vgpr59
	s_and_saveexec_b64 s[24:25], s[22:23]
	s_cbranch_execz .LBB450_153
; %bb.152:
	v_lshlrev_b32_e32 v59, 1, v60
	global_load_ushort v59, v59, s[40:41]
	s_waitcnt vmcnt(0)
	v_cvt_f32_u32_e32 v59, v59
.LBB450_153:
	s_or_b64 exec, exec, s[24:25]
	v_or_b32_e32 v61, 0x1d80, v0
	v_cmp_gt_u32_e64 s[24:25], s44, v61
                                        ; implicit-def: $vgpr60
	s_and_saveexec_b64 s[26:27], s[24:25]
	s_cbranch_execz .LBB450_155
; %bb.154:
	v_lshlrev_b32_e32 v60, 1, v61
	global_load_ushort v60, v60, s[40:41]
	s_waitcnt vmcnt(0)
	v_cvt_f32_u32_e32 v60, v60
.LBB450_155:
	s_or_b64 exec, exec, s[26:27]
	v_or_b32_e32 v62, 0x1e00, v0
	v_cmp_gt_u32_e64 s[26:27], s44, v62
                                        ; implicit-def: $vgpr61
	s_and_saveexec_b64 s[28:29], s[26:27]
	s_cbranch_execz .LBB450_157
; %bb.156:
	v_lshlrev_b32_e32 v61, 1, v62
	global_load_ushort v61, v61, s[40:41]
	s_waitcnt vmcnt(0)
	v_cvt_f32_u32_e32 v61, v61
.LBB450_157:
	s_or_b64 exec, exec, s[28:29]
	v_or_b32_e32 v63, 0x1e80, v0
	v_cmp_gt_u32_e64 s[28:29], s44, v63
                                        ; implicit-def: $vgpr62
	s_and_saveexec_b64 s[30:31], s[28:29]
	s_cbranch_execz .LBB450_159
; %bb.158:
	v_lshlrev_b32_e32 v62, 1, v63
	global_load_ushort v62, v62, s[40:41]
	s_waitcnt vmcnt(0)
	v_cvt_f32_u32_e32 v62, v62
.LBB450_159:
	s_or_b64 exec, exec, s[30:31]
	v_or_b32_e32 v64, 0x1f00, v0
	v_cmp_gt_u32_e64 s[30:31], s44, v64
                                        ; implicit-def: $vgpr63
	s_and_saveexec_b64 vcc, s[30:31]
	s_cbranch_execz .LBB450_161
; %bb.160:
	v_lshlrev_b32_e32 v63, 1, v64
	global_load_ushort v63, v63, s[40:41]
	s_waitcnt vmcnt(0)
	v_cvt_f32_u32_e32 v63, v63
.LBB450_161:
	s_or_b64 exec, exec, vcc
	v_or_b32_e32 v65, 0x1f80, v0
	v_cmp_gt_u32_e32 vcc, s44, v65
                                        ; implicit-def: $vgpr64
	s_and_saveexec_b64 s[42:43], vcc
	s_cbranch_execz .LBB450_163
; %bb.162:
	v_lshlrev_b32_e32 v64, 1, v65
	global_load_ushort v64, v64, s[40:41]
	s_waitcnt vmcnt(0)
	v_cvt_f32_u32_e32 v64, v64
.LBB450_163:
	s_or_b64 exec, exec, s[42:43]
	v_readlane_b32 s40, v66, 0
	v_add_f32_e32 v2, v1, v2
	v_readlane_b32 s41, v66, 1
	s_nop 1
	v_cndmask_b32_e64 v1, v1, v2, s[40:41]
	v_readlane_b32 s40, v66, 2
	v_add_f32_e32 v2, v1, v3
	v_readlane_b32 s41, v66, 3
	s_nop 1
	v_cndmask_b32_e64 v1, v1, v2, s[40:41]
	v_readlane_b32 s40, v66, 4
	v_add_f32_e32 v2, v1, v4
	v_readlane_b32 s41, v66, 5
	s_nop 1
	v_cndmask_b32_e64 v1, v1, v2, s[40:41]
	v_readlane_b32 s40, v66, 6
	v_add_f32_e32 v2, v1, v5
	v_readlane_b32 s41, v66, 7
	v_and_b32_e32 v5, 64, v0
	s_nop 0
	v_cndmask_b32_e64 v1, v1, v2, s[40:41]
	v_readlane_b32 s40, v66, 8
	v_add_f32_e32 v2, v1, v6
	v_readlane_b32 s41, v66, 9
	s_nop 1
	v_cndmask_b32_e64 v1, v1, v2, s[40:41]
	v_readlane_b32 s40, v66, 10
	v_add_f32_e32 v2, v1, v7
	v_readlane_b32 s41, v66, 11
	;; [unrolled: 5-line block ×18, first 2 shown]
	s_nop 1
	v_cndmask_b32_e64 v1, v1, v2, s[40:41]
	v_add_f32_e32 v2, v1, v24
	v_cndmask_b32_e64 v1, v1, v2, s[48:49]
	v_add_f32_e32 v2, v1, v25
	v_cndmask_b32_e64 v1, v1, v2, s[50:51]
	v_add_f32_e32 v2, v1, v26
	v_cndmask_b32_e64 v1, v1, v2, s[52:53]
	v_add_f32_e32 v2, v1, v27
	v_cndmask_b32_e64 v1, v1, v2, s[54:55]
	v_add_f32_e32 v2, v1, v28
	v_cndmask_b32_e64 v1, v1, v2, s[56:57]
	v_add_f32_e32 v2, v1, v29
	v_cndmask_b32_e64 v1, v1, v2, s[58:59]
	v_add_f32_e32 v2, v1, v30
	v_cndmask_b32_e64 v1, v1, v2, s[60:61]
	v_add_f32_e32 v2, v1, v31
	v_cndmask_b32_e64 v1, v1, v2, s[62:63]
	v_add_f32_e32 v2, v1, v32
	v_cndmask_b32_e64 v1, v1, v2, s[64:65]
	v_add_f32_e32 v2, v1, v33
	v_cndmask_b32_e64 v1, v1, v2, s[66:67]
	v_add_f32_e32 v2, v1, v34
	v_cndmask_b32_e64 v1, v1, v2, s[34:35]
	v_add_f32_e32 v2, v1, v35
	v_cndmask_b32_e64 v1, v1, v2, s[36:37]
	v_add_f32_e32 v2, v1, v36
	v_cndmask_b32_e64 v1, v1, v2, s[72:73]
	v_add_f32_e32 v2, v1, v37
	v_cndmask_b32_e64 v1, v1, v2, s[74:75]
	v_add_f32_e32 v2, v1, v38
	v_cndmask_b32_e64 v1, v1, v2, s[76:77]
	v_add_f32_e32 v2, v1, v39
	v_cndmask_b32_e64 v1, v1, v2, s[78:79]
	v_add_f32_e32 v2, v1, v40
	v_cndmask_b32_e64 v1, v1, v2, s[80:81]
	v_add_f32_e32 v2, v1, v41
	v_cndmask_b32_e64 v1, v1, v2, s[82:83]
	v_add_f32_e32 v2, v1, v42
	v_cndmask_b32_e64 v1, v1, v2, s[84:85]
	v_add_f32_e32 v2, v1, v43
	v_cndmask_b32_e64 v1, v1, v2, s[86:87]
	v_add_f32_e32 v2, v1, v44
	v_cndmask_b32_e64 v1, v1, v2, s[88:89]
	v_add_f32_e32 v2, v1, v45
	v_cndmask_b32_e64 v1, v1, v2, s[90:91]
	v_add_f32_e32 v2, v1, v46
	v_cndmask_b32_e64 v1, v1, v2, s[92:93]
	v_add_f32_e32 v2, v1, v47
	v_cndmask_b32_e64 v1, v1, v2, s[94:95]
	v_add_f32_e32 v2, v1, v48
	v_cndmask_b32_e64 v1, v1, v2, s[96:97]
	v_add_f32_e32 v2, v1, v49
	v_cndmask_b32_e64 v1, v1, v2, s[98:99]
	v_add_f32_e32 v2, v1, v50
	v_cndmask_b32_e64 v1, v1, v2, s[4:5]
	v_add_f32_e32 v2, v1, v51
	v_cndmask_b32_e64 v1, v1, v2, s[6:7]
	v_add_f32_e32 v2, v1, v52
	v_cndmask_b32_e64 v1, v1, v2, s[8:9]
	v_add_f32_e32 v2, v1, v53
	v_cndmask_b32_e64 v1, v1, v2, s[10:11]
	v_add_f32_e32 v2, v1, v54
	v_cndmask_b32_e64 v1, v1, v2, s[12:13]
	v_add_f32_e32 v2, v1, v55
	v_cndmask_b32_e64 v1, v1, v2, s[14:15]
	v_add_f32_e32 v2, v1, v56
	v_cndmask_b32_e64 v1, v1, v2, s[16:17]
	v_add_f32_e32 v2, v1, v57
	v_cndmask_b32_e64 v1, v1, v2, s[18:19]
	v_add_f32_e32 v2, v1, v58
	v_cndmask_b32_e64 v1, v1, v2, s[20:21]
	v_add_f32_e32 v2, v1, v59
	v_cndmask_b32_e64 v1, v1, v2, s[22:23]
	v_add_f32_e32 v2, v1, v60
	v_cndmask_b32_e64 v1, v1, v2, s[24:25]
	v_add_f32_e32 v2, v1, v61
	v_cndmask_b32_e64 v1, v1, v2, s[26:27]
	v_add_f32_e32 v2, v1, v62
	v_cndmask_b32_e64 v1, v1, v2, s[28:29]
	v_add_f32_e32 v2, v1, v63
	v_cndmask_b32_e64 v1, v1, v2, s[30:31]
	v_add_f32_e32 v2, v1, v64
	v_cndmask_b32_e32 v1, v1, v2, vcc
	v_mbcnt_lo_u32_b32 v2, -1, 0
	v_mbcnt_hi_u32_b32 v2, -1, v2
	v_and_b32_e32 v4, 63, v2
	v_cmp_ne_u32_e32 vcc, 63, v4
	s_min_u32 s6, s44, 0x80
	v_sub_u32_e64 v5, s6, v5 clamp
	v_addc_co_u32_e32 v3, vcc, 0, v2, vcc
	v_lshlrev_b32_e32 v3, 2, v3
	ds_bpermute_b32 v3, v3, v1
	v_add_u32_e32 v6, 1, v4
	v_cmp_gt_u32_e64 s[4:5], 62, v4
	v_cmp_lt_u32_e32 vcc, v6, v5
	v_add_u32_e32 v7, 2, v4
	s_waitcnt lgkmcnt(0)
	v_add_f32_e32 v3, v1, v3
	v_cndmask_b32_e64 v6, 0, 2, s[4:5]
	v_cndmask_b32_e32 v3, v1, v3, vcc
	v_add_lshl_u32 v6, v6, v2, 2
	ds_bpermute_b32 v6, v6, v3
	v_cmp_lt_u32_e64 s[4:5], v7, v5
	v_add_u32_e32 v7, 4, v4
	s_waitcnt lgkmcnt(0)
	v_add_f32_e32 v6, v3, v6
	v_cndmask_b32_e64 v3, v3, v6, s[4:5]
	v_cmp_gt_u32_e64 s[4:5], 60, v4
	s_nop 1
	v_cndmask_b32_e64 v6, 0, 4, s[4:5]
	v_add_lshl_u32 v6, v6, v2, 2
	ds_bpermute_b32 v6, v6, v3
	v_cmp_lt_u32_e64 s[4:5], v7, v5
	v_add_u32_e32 v7, 8, v4
	s_waitcnt lgkmcnt(0)
	v_add_f32_e32 v6, v3, v6
	v_cndmask_b32_e64 v3, v3, v6, s[4:5]
	v_cmp_gt_u32_e64 s[4:5], 56, v4
	s_nop 1
	v_cndmask_b32_e64 v6, 0, 8, s[4:5]
	v_add_lshl_u32 v6, v6, v2, 2
	ds_bpermute_b32 v6, v6, v3
	v_cmp_lt_u32_e64 s[4:5], v7, v5
	v_add_u32_e32 v7, 16, v4
	s_waitcnt lgkmcnt(0)
	v_add_f32_e32 v6, v3, v6
	v_cndmask_b32_e64 v3, v3, v6, s[4:5]
	v_cmp_gt_u32_e64 s[4:5], 48, v4
	v_add_u32_e32 v4, 32, v4
	s_nop 0
	v_cndmask_b32_e64 v6, 0, 16, s[4:5]
	v_add_lshl_u32 v6, v6, v2, 2
	ds_bpermute_b32 v6, v6, v3
	v_cmp_lt_u32_e64 s[4:5], v7, v5
	s_waitcnt lgkmcnt(0)
	v_add_f32_e32 v6, v3, v6
	v_cndmask_b32_e64 v6, v3, v6, s[4:5]
	v_lshlrev_b32_e32 v3, 2, v2
	v_or_b32_e32 v7, 0x80, v3
	ds_bpermute_b32 v7, v7, v6
	v_cmp_lt_u32_e64 s[4:5], v4, v5
	s_waitcnt lgkmcnt(0)
	v_add_f32_e32 v7, v6, v7
	v_cndmask_b32_e64 v4, v6, v7, s[4:5]
	v_cndmask_b32_e32 v1, v1, v4, vcc
	v_cmp_eq_u32_e32 vcc, 0, v2
	s_and_saveexec_b64 s[4:5], vcc
; %bb.164:
	v_lshrrev_b32_e32 v4, 4, v0
	v_and_b32_e32 v4, 4, v4
	ds_write_b32 v4, v1 offset:56
; %bb.165:
	s_or_b64 exec, exec, s[4:5]
	v_cmp_gt_u32_e32 vcc, 2, v0
	s_waitcnt lgkmcnt(0)
	s_barrier
	s_and_saveexec_b64 s[4:5], vcc
	s_cbranch_execz .LBB450_167
; %bb.166:
	ds_read_b32 v1, v3 offset:56
	v_or_b32_e32 v3, 4, v3
	s_add_i32 s6, s6, 63
	v_and_b32_e32 v2, 1, v2
	s_lshr_b32 s6, s6, 6
	s_waitcnt lgkmcnt(0)
	ds_bpermute_b32 v3, v3, v1
	v_add_u32_e32 v2, 1, v2
	v_cmp_gt_u32_e32 vcc, s6, v2
	s_waitcnt lgkmcnt(0)
	v_add_f32_e32 v3, v1, v3
	v_cndmask_b32_e32 v1, v1, v3, vcc
.LBB450_167:
	s_or_b64 exec, exec, s[4:5]
	v_cmp_eq_u32_e64 s[4:5], 0, v0
	s_and_b64 vcc, exec, s[38:39]
	s_cbranch_vccnz .LBB450_24
	s_branch .LBB450_11
.LBB450_168:
	s_mov_b64 s[6:7], -1
                                        ; implicit-def: $vgpr1
.LBB450_169:
	s_and_b64 vcc, exec, s[6:7]
	s_cbranch_vccz .LBB450_207
; %bb.170:
	s_sub_i32 s38, s70, s4
	v_mov_b32_e32 v2, 0
	v_cmp_gt_u32_e32 vcc, s38, v0
	v_mov_b32_e32 v3, v2
	v_mov_b32_e32 v4, v2
	;; [unrolled: 1-line block ×15, first 2 shown]
	s_and_saveexec_b64 s[4:5], vcc
	s_cbranch_execz .LBB450_172
; %bb.171:
	v_lshlrev_b32_e32 v1, 1, v0
	global_load_ushort v1, v1, s[34:35]
	v_mov_b32_e32 v5, v2
	v_mov_b32_e32 v6, v2
	;; [unrolled: 1-line block ×15, first 2 shown]
	s_waitcnt vmcnt(0)
	v_cvt_f32_u32_e32 v4, v1
	v_mov_b64_e32 v[2:3], v[4:5]
	v_mov_b64_e32 v[4:5], v[6:7]
	;; [unrolled: 1-line block ×8, first 2 shown]
.LBB450_172:
	s_or_b64 exec, exec, s[4:5]
	v_or_b32_e32 v1, 0x80, v0
	v_cmp_gt_u32_e32 vcc, s38, v1
	s_and_saveexec_b64 s[4:5], vcc
	s_cbranch_execz .LBB450_174
; %bb.173:
	v_lshlrev_b32_e32 v1, 1, v0
	global_load_ushort v1, v1, s[34:35] offset:256
	s_waitcnt vmcnt(0)
	v_cvt_f32_u32_e32 v3, v1
.LBB450_174:
	s_or_b64 exec, exec, s[4:5]
	v_or_b32_e32 v1, 0x100, v0
	v_cmp_gt_u32_e64 s[4:5], s38, v1
	s_and_saveexec_b64 s[6:7], s[4:5]
	s_cbranch_execz .LBB450_176
; %bb.175:
	v_lshlrev_b32_e32 v1, 1, v0
	global_load_ushort v1, v1, s[34:35] offset:512
	s_waitcnt vmcnt(0)
	v_cvt_f32_u32_e32 v4, v1
.LBB450_176:
	s_or_b64 exec, exec, s[6:7]
	v_or_b32_e32 v1, 0x180, v0
	v_cmp_gt_u32_e64 s[6:7], s38, v1
	s_and_saveexec_b64 s[8:9], s[6:7]
	;; [unrolled: 11-line block ×14, first 2 shown]
	s_cbranch_execz .LBB450_202
; %bb.201:
	v_lshlrev_b32_e32 v1, 1, v0
	global_load_ushort v1, v1, s[34:35] offset:3840
	s_waitcnt vmcnt(0)
	v_cvt_f32_u32_e32 v17, v1
.LBB450_202:
	s_or_b64 exec, exec, s[36:37]
	v_add_f32_e32 v1, v2, v3
	v_cndmask_b32_e32 v1, v2, v1, vcc
	v_add_f32_e32 v2, v4, v1
	v_cndmask_b32_e64 v1, v1, v2, s[4:5]
	v_add_f32_e32 v2, v5, v1
	v_cndmask_b32_e64 v1, v1, v2, s[6:7]
	v_add_f32_e32 v2, v6, v1
	v_cndmask_b32_e64 v1, v1, v2, s[8:9]
	v_add_f32_e32 v2, v7, v1
	v_cndmask_b32_e64 v1, v1, v2, s[10:11]
	v_add_f32_e32 v2, v8, v1
	v_cndmask_b32_e64 v1, v1, v2, s[12:13]
	v_add_f32_e32 v2, v9, v1
	v_cndmask_b32_e64 v1, v1, v2, s[14:15]
	v_add_f32_e32 v2, v10, v1
	v_cndmask_b32_e64 v1, v1, v2, s[16:17]
	v_add_f32_e32 v2, v11, v1
	v_cndmask_b32_e64 v1, v1, v2, s[18:19]
	v_add_f32_e32 v2, v12, v1
	v_cndmask_b32_e64 v1, v1, v2, s[20:21]
	v_add_f32_e32 v2, v13, v1
	v_cndmask_b32_e64 v1, v1, v2, s[22:23]
	v_add_f32_e32 v2, v14, v1
	v_cndmask_b32_e64 v1, v1, v2, s[24:25]
	v_add_f32_e32 v2, v15, v1
	v_cndmask_b32_e64 v1, v1, v2, s[26:27]
	v_add_f32_e32 v2, v16, v1
	v_cndmask_b32_e64 v1, v1, v2, s[28:29]
	v_add_f32_e32 v2, v17, v1
	v_cndmask_b32_e64 v1, v1, v2, s[30:31]
	v_mbcnt_lo_u32_b32 v2, -1, 0
	v_mbcnt_hi_u32_b32 v2, -1, v2
	v_and_b32_e32 v4, 63, v2
	v_cmp_ne_u32_e32 vcc, 63, v4
	s_min_u32 s6, s38, 0x80
	v_and_b32_e32 v5, 64, v0
	v_addc_co_u32_e32 v3, vcc, 0, v2, vcc
	v_lshlrev_b32_e32 v3, 2, v3
	ds_bpermute_b32 v3, v3, v1
	v_sub_u32_e64 v5, s6, v5 clamp
	v_add_u32_e32 v6, 1, v4
	v_cmp_gt_u32_e64 s[4:5], 62, v4
	v_cmp_lt_u32_e32 vcc, v6, v5
	s_waitcnt lgkmcnt(0)
	v_add_f32_e32 v3, v1, v3
	v_cndmask_b32_e64 v6, 0, 2, s[4:5]
	v_cndmask_b32_e32 v3, v1, v3, vcc
	v_add_lshl_u32 v6, v6, v2, 2
	ds_bpermute_b32 v6, v6, v3
	v_add_u32_e32 v7, 2, v4
	v_cmp_lt_u32_e64 s[4:5], v7, v5
	v_add_u32_e32 v7, 4, v4
	s_waitcnt lgkmcnt(0)
	v_add_f32_e32 v6, v3, v6
	v_cndmask_b32_e64 v3, v3, v6, s[4:5]
	v_cmp_gt_u32_e64 s[4:5], 60, v4
	s_nop 1
	v_cndmask_b32_e64 v6, 0, 4, s[4:5]
	v_add_lshl_u32 v6, v6, v2, 2
	ds_bpermute_b32 v6, v6, v3
	v_cmp_lt_u32_e64 s[4:5], v7, v5
	v_add_u32_e32 v7, 8, v4
	s_waitcnt lgkmcnt(0)
	v_add_f32_e32 v6, v3, v6
	v_cndmask_b32_e64 v3, v3, v6, s[4:5]
	v_cmp_gt_u32_e64 s[4:5], 56, v4
	s_nop 1
	v_cndmask_b32_e64 v6, 0, 8, s[4:5]
	v_add_lshl_u32 v6, v6, v2, 2
	ds_bpermute_b32 v6, v6, v3
	v_cmp_lt_u32_e64 s[4:5], v7, v5
	v_add_u32_e32 v7, 16, v4
	s_waitcnt lgkmcnt(0)
	v_add_f32_e32 v6, v3, v6
	v_cndmask_b32_e64 v3, v3, v6, s[4:5]
	v_cmp_gt_u32_e64 s[4:5], 48, v4
	v_add_u32_e32 v4, 32, v4
	s_nop 0
	v_cndmask_b32_e64 v6, 0, 16, s[4:5]
	v_add_lshl_u32 v6, v6, v2, 2
	ds_bpermute_b32 v6, v6, v3
	v_cmp_lt_u32_e64 s[4:5], v7, v5
	s_waitcnt lgkmcnt(0)
	v_add_f32_e32 v6, v3, v6
	v_cndmask_b32_e64 v6, v3, v6, s[4:5]
	v_lshlrev_b32_e32 v3, 2, v2
	v_or_b32_e32 v7, 0x80, v3
	ds_bpermute_b32 v7, v7, v6
	v_cmp_lt_u32_e64 s[4:5], v4, v5
	s_waitcnt lgkmcnt(0)
	v_add_f32_e32 v7, v6, v7
	v_cndmask_b32_e64 v4, v6, v7, s[4:5]
	v_cndmask_b32_e32 v1, v1, v4, vcc
	v_cmp_eq_u32_e32 vcc, 0, v2
	s_and_saveexec_b64 s[4:5], vcc
; %bb.203:
	v_lshrrev_b32_e32 v4, 4, v0
	v_and_b32_e32 v4, 4, v4
	ds_write_b32 v4, v1 offset:56
; %bb.204:
	s_or_b64 exec, exec, s[4:5]
	v_cmp_gt_u32_e32 vcc, 2, v0
	s_waitcnt lgkmcnt(0)
	s_barrier
	s_and_saveexec_b64 s[4:5], vcc
	s_cbranch_execz .LBB450_206
; %bb.205:
	ds_read_b32 v1, v3 offset:56
	v_or_b32_e32 v3, 4, v3
	s_add_i32 s6, s6, 63
	v_and_b32_e32 v2, 1, v2
	s_lshr_b32 s6, s6, 6
	s_waitcnt lgkmcnt(0)
	ds_bpermute_b32 v3, v3, v1
	v_add_u32_e32 v2, 1, v2
	v_cmp_gt_u32_e32 vcc, s6, v2
	s_waitcnt lgkmcnt(0)
	v_add_f32_e32 v3, v1, v3
	v_cndmask_b32_e32 v1, v1, v3, vcc
.LBB450_206:
	s_or_b64 exec, exec, s[4:5]
.LBB450_207:
	v_cmp_eq_u32_e64 s[4:5], 0, v0
	s_branch .LBB450_288
.LBB450_208:
	s_cmp_eq_u32 s33, 8
	s_cbranch_scc0 .LBB450_215
; %bb.209:
	s_mov_b32 s3, 0
	s_lshl_b32 s4, s2, 10
	s_mov_b32 s5, s3
	s_lshr_b64 s[6:7], s[70:71], 10
	s_lshl_b64 s[8:9], s[4:5], 1
	s_add_u32 s16, s68, s8
	s_addc_u32 s17, s69, s9
	s_cmp_lg_u64 s[6:7], s[2:3]
	s_cbranch_scc0 .LBB450_309
; %bb.210:
	v_lshlrev_b32_e32 v1, 1, v0
	global_load_ushort v4, v1, s[16:17]
	global_load_ushort v5, v1, s[16:17] offset:256
	global_load_ushort v6, v1, s[16:17] offset:512
	;; [unrolled: 1-line block ×7, first 2 shown]
	v_mbcnt_lo_u32_b32 v1, -1, 0
	v_mbcnt_hi_u32_b32 v2, -1, v1
	v_lshlrev_b32_e32 v3, 2, v2
	v_cmp_eq_u32_e32 vcc, 0, v2
	s_waitcnt vmcnt(7)
	v_cvt_f32_u32_e32 v1, v4
	s_waitcnt vmcnt(6)
	v_cvt_f32_u32_e32 v4, v5
	;; [unrolled: 2-line block ×6, first 2 shown]
	v_add_f32_e32 v1, v1, v4
	s_waitcnt vmcnt(1)
	v_cvt_f32_u32_e32 v9, v10
	v_add_f32_e32 v1, v1, v5
	s_waitcnt vmcnt(0)
	v_cvt_f32_u32_e32 v10, v11
	v_add_f32_e32 v1, v1, v6
	v_add_f32_e32 v1, v1, v7
	;; [unrolled: 1-line block ×5, first 2 shown]
	v_or_b32_e32 v4, 0xfc, v3
	s_nop 0
	v_add_f32_dpp v1, v1, v1 quad_perm:[1,0,3,2] row_mask:0xf bank_mask:0xf bound_ctrl:1
	s_nop 1
	v_add_f32_dpp v1, v1, v1 quad_perm:[2,3,0,1] row_mask:0xf bank_mask:0xf bound_ctrl:1
	s_nop 1
	v_add_f32_dpp v1, v1, v1 row_ror:4 row_mask:0xf bank_mask:0xf bound_ctrl:1
	s_nop 1
	v_add_f32_dpp v1, v1, v1 row_ror:8 row_mask:0xf bank_mask:0xf bound_ctrl:1
	s_nop 1
	v_add_f32_dpp v1, v1, v1 row_bcast:15 row_mask:0xf bank_mask:0xf bound_ctrl:1
	s_nop 1
	v_add_f32_dpp v1, v1, v1 row_bcast:31 row_mask:0xf bank_mask:0xf bound_ctrl:1
	ds_bpermute_b32 v1, v4, v1
	s_and_saveexec_b64 s[6:7], vcc
	s_cbranch_execz .LBB450_212
; %bb.211:
	v_lshrrev_b32_e32 v4, 4, v0
	v_and_b32_e32 v4, 4, v4
	s_waitcnt lgkmcnt(0)
	ds_write_b32 v4, v1 offset:48
.LBB450_212:
	s_or_b64 exec, exec, s[6:7]
	v_cmp_gt_u32_e32 vcc, 64, v0
	s_waitcnt lgkmcnt(0)
	s_barrier
	s_and_saveexec_b64 s[6:7], vcc
	s_cbranch_execz .LBB450_214
; %bb.213:
	v_and_b32_e32 v1, 1, v2
	v_lshlrev_b32_e32 v1, 2, v1
	ds_read_b32 v1, v1 offset:48
	v_or_b32_e32 v2, 4, v3
	s_waitcnt lgkmcnt(0)
	ds_bpermute_b32 v2, v2, v1
	s_waitcnt lgkmcnt(0)
	v_add_f32_e32 v1, v1, v2
.LBB450_214:
	s_or_b64 exec, exec, s[6:7]
	s_mov_b64 s[6:7], 0
	s_branch .LBB450_310
.LBB450_215:
                                        ; implicit-def: $vgpr1
	s_branch .LBB450_371
.LBB450_216:
	s_mov_b64 s[6:7], -1
                                        ; implicit-def: $vgpr1
.LBB450_217:
	s_and_b64 vcc, exec, s[6:7]
	s_cbranch_vccz .LBB450_287
; %bb.218:
	s_sub_i32 s74, s70, s4
	v_mov_b32_e32 v2, 0
	v_cmp_gt_u32_e32 vcc, s74, v0
	v_mov_b32_e32 v3, v2
	v_mov_b32_e32 v4, v2
	;; [unrolled: 1-line block ×31, first 2 shown]
	s_and_saveexec_b64 s[4:5], vcc
	s_cbranch_execz .LBB450_220
; %bb.219:
	v_lshlrev_b32_e32 v1, 1, v0
	global_load_ushort v1, v1, s[66:67]
	v_mov_b32_e32 v5, v2
	v_mov_b32_e32 v6, v2
	;; [unrolled: 1-line block ×31, first 2 shown]
	s_waitcnt vmcnt(0)
	v_cvt_f32_u32_e32 v4, v1
	v_mov_b64_e32 v[2:3], v[4:5]
	v_mov_b64_e32 v[4:5], v[6:7]
	;; [unrolled: 1-line block ×16, first 2 shown]
.LBB450_220:
	s_or_b64 exec, exec, s[4:5]
	v_or_b32_e32 v1, 0x80, v0
	v_cmp_gt_u32_e32 vcc, s74, v1
	s_and_saveexec_b64 s[4:5], vcc
	s_cbranch_execz .LBB450_222
; %bb.221:
	v_lshlrev_b32_e32 v1, 1, v0
	global_load_ushort v1, v1, s[66:67] offset:256
	s_waitcnt vmcnt(0)
	v_cvt_f32_u32_e32 v3, v1
.LBB450_222:
	s_or_b64 exec, exec, s[4:5]
	v_or_b32_e32 v1, 0x100, v0
	v_cmp_gt_u32_e64 s[4:5], s74, v1
	s_and_saveexec_b64 s[6:7], s[4:5]
	s_cbranch_execz .LBB450_224
; %bb.223:
	v_lshlrev_b32_e32 v1, 1, v0
	global_load_ushort v1, v1, s[66:67] offset:512
	s_waitcnt vmcnt(0)
	v_cvt_f32_u32_e32 v4, v1
.LBB450_224:
	s_or_b64 exec, exec, s[6:7]
	v_or_b32_e32 v1, 0x180, v0
	v_cmp_gt_u32_e64 s[6:7], s74, v1
	s_and_saveexec_b64 s[8:9], s[6:7]
	;; [unrolled: 11-line block ×15, first 2 shown]
	s_cbranch_execz .LBB450_252
; %bb.251:
	v_lshlrev_b32_e32 v1, 1, v1
	global_load_ushort v1, v1, s[66:67]
	s_waitcnt vmcnt(0)
	v_cvt_f32_u32_e32 v18, v1
.LBB450_252:
	s_or_b64 exec, exec, s[36:37]
	v_or_b32_e32 v1, 0x880, v0
	v_cmp_gt_u32_e64 s[36:37], s74, v1
	s_and_saveexec_b64 s[38:39], s[36:37]
	s_cbranch_execz .LBB450_254
; %bb.253:
	v_lshlrev_b32_e32 v1, 1, v1
	global_load_ushort v1, v1, s[66:67]
	s_waitcnt vmcnt(0)
	v_cvt_f32_u32_e32 v19, v1
.LBB450_254:
	s_or_b64 exec, exec, s[38:39]
	v_or_b32_e32 v1, 0x900, v0
	v_cmp_gt_u32_e64 s[38:39], s74, v1
	s_and_saveexec_b64 s[40:41], s[38:39]
	;; [unrolled: 11-line block ×15, first 2 shown]
	s_cbranch_execz .LBB450_282
; %bb.281:
	v_lshlrev_b32_e32 v1, 1, v1
	global_load_ushort v1, v1, s[66:67]
	s_waitcnt vmcnt(0)
	v_cvt_f32_u32_e32 v33, v1
.LBB450_282:
	s_or_b64 exec, exec, s[72:73]
	v_add_f32_e32 v1, v2, v3
	v_cndmask_b32_e32 v1, v2, v1, vcc
	v_add_f32_e32 v2, v4, v1
	v_cndmask_b32_e64 v1, v1, v2, s[4:5]
	v_add_f32_e32 v2, v5, v1
	v_cndmask_b32_e64 v1, v1, v2, s[6:7]
	;; [unrolled: 2-line block ×30, first 2 shown]
	v_mbcnt_lo_u32_b32 v2, -1, 0
	v_mbcnt_hi_u32_b32 v2, -1, v2
	v_and_b32_e32 v4, 63, v2
	v_cmp_ne_u32_e32 vcc, 63, v4
	s_min_u32 s6, s74, 0x80
	v_and_b32_e32 v5, 64, v0
	v_addc_co_u32_e32 v3, vcc, 0, v2, vcc
	v_lshlrev_b32_e32 v3, 2, v3
	ds_bpermute_b32 v3, v3, v1
	v_sub_u32_e64 v5, s6, v5 clamp
	v_add_u32_e32 v6, 1, v4
	v_cmp_gt_u32_e64 s[4:5], 62, v4
	v_cmp_lt_u32_e32 vcc, v6, v5
	s_waitcnt lgkmcnt(0)
	v_add_f32_e32 v3, v1, v3
	v_cndmask_b32_e64 v6, 0, 2, s[4:5]
	v_cndmask_b32_e32 v3, v1, v3, vcc
	v_add_lshl_u32 v6, v6, v2, 2
	ds_bpermute_b32 v6, v6, v3
	v_add_u32_e32 v7, 2, v4
	v_cmp_lt_u32_e64 s[4:5], v7, v5
	v_add_u32_e32 v7, 4, v4
	s_waitcnt lgkmcnt(0)
	v_add_f32_e32 v6, v3, v6
	v_cndmask_b32_e64 v3, v3, v6, s[4:5]
	v_cmp_gt_u32_e64 s[4:5], 60, v4
	s_nop 1
	v_cndmask_b32_e64 v6, 0, 4, s[4:5]
	v_add_lshl_u32 v6, v6, v2, 2
	ds_bpermute_b32 v6, v6, v3
	v_cmp_lt_u32_e64 s[4:5], v7, v5
	v_add_u32_e32 v7, 8, v4
	s_waitcnt lgkmcnt(0)
	v_add_f32_e32 v6, v3, v6
	v_cndmask_b32_e64 v3, v3, v6, s[4:5]
	v_cmp_gt_u32_e64 s[4:5], 56, v4
	s_nop 1
	v_cndmask_b32_e64 v6, 0, 8, s[4:5]
	v_add_lshl_u32 v6, v6, v2, 2
	ds_bpermute_b32 v6, v6, v3
	v_cmp_lt_u32_e64 s[4:5], v7, v5
	v_add_u32_e32 v7, 16, v4
	s_waitcnt lgkmcnt(0)
	v_add_f32_e32 v6, v3, v6
	v_cndmask_b32_e64 v3, v3, v6, s[4:5]
	v_cmp_gt_u32_e64 s[4:5], 48, v4
	v_add_u32_e32 v4, 32, v4
	s_nop 0
	v_cndmask_b32_e64 v6, 0, 16, s[4:5]
	v_add_lshl_u32 v6, v6, v2, 2
	ds_bpermute_b32 v6, v6, v3
	v_cmp_lt_u32_e64 s[4:5], v7, v5
	s_waitcnt lgkmcnt(0)
	v_add_f32_e32 v6, v3, v6
	v_cndmask_b32_e64 v6, v3, v6, s[4:5]
	v_lshlrev_b32_e32 v3, 2, v2
	v_or_b32_e32 v7, 0x80, v3
	ds_bpermute_b32 v7, v7, v6
	v_cmp_lt_u32_e64 s[4:5], v4, v5
	s_waitcnt lgkmcnt(0)
	v_add_f32_e32 v7, v6, v7
	v_cndmask_b32_e64 v4, v6, v7, s[4:5]
	v_cndmask_b32_e32 v1, v1, v4, vcc
	v_cmp_eq_u32_e32 vcc, 0, v2
	s_and_saveexec_b64 s[4:5], vcc
; %bb.283:
	v_lshrrev_b32_e32 v4, 4, v0
	v_and_b32_e32 v4, 4, v4
	ds_write_b32 v4, v1 offset:56
; %bb.284:
	s_or_b64 exec, exec, s[4:5]
	v_cmp_gt_u32_e32 vcc, 2, v0
	s_waitcnt lgkmcnt(0)
	s_barrier
	s_and_saveexec_b64 s[4:5], vcc
	s_cbranch_execz .LBB450_286
; %bb.285:
	ds_read_b32 v1, v3 offset:56
	v_or_b32_e32 v3, 4, v3
	s_add_i32 s6, s6, 63
	v_and_b32_e32 v2, 1, v2
	s_lshr_b32 s6, s6, 6
	s_waitcnt lgkmcnt(0)
	ds_bpermute_b32 v3, v3, v1
	v_add_u32_e32 v2, 1, v2
	v_cmp_gt_u32_e32 vcc, s6, v2
	s_waitcnt lgkmcnt(0)
	v_add_f32_e32 v3, v1, v3
	v_cndmask_b32_e32 v1, v1, v3, vcc
.LBB450_286:
	s_or_b64 exec, exec, s[4:5]
.LBB450_287:
	v_cmp_eq_u32_e64 s[4:5], 0, v0
.LBB450_288:
	s_branch .LBB450_371
.LBB450_289:
	s_cmp_gt_i32 s33, 1
	s_cbranch_scc0 .LBB450_298
; %bb.290:
	s_cmp_gt_i32 s33, 3
	s_cbranch_scc0 .LBB450_299
; %bb.291:
	s_cmp_eq_u32 s33, 4
	s_cbranch_scc0 .LBB450_307
; %bb.292:
	s_mov_b32 s3, 0
	s_lshl_b32 s4, s2, 9
	s_mov_b32 s5, s3
	s_lshr_b64 s[6:7], s[70:71], 9
	s_lshl_b64 s[8:9], s[4:5], 1
	s_add_u32 s8, s68, s8
	s_addc_u32 s9, s69, s9
	s_cmp_lg_u64 s[6:7], s[2:3]
	s_cbranch_scc0 .LBB450_333
; %bb.293:
	v_lshlrev_b32_e32 v1, 1, v0
	global_load_ushort v3, v1, s[8:9]
	global_load_ushort v4, v1, s[8:9] offset:256
	global_load_ushort v5, v1, s[8:9] offset:512
	;; [unrolled: 1-line block ×3, first 2 shown]
	v_mbcnt_lo_u32_b32 v1, -1, 0
	v_mbcnt_hi_u32_b32 v2, -1, v1
	v_cmp_eq_u32_e32 vcc, 0, v2
	s_waitcnt vmcnt(3)
	v_cvt_f32_u32_e32 v1, v3
	s_waitcnt vmcnt(2)
	v_cvt_f32_u32_e32 v4, v4
	;; [unrolled: 2-line block ×4, first 2 shown]
	v_lshlrev_b32_e32 v3, 2, v2
	v_add_f32_e32 v1, v1, v4
	v_add_f32_e32 v1, v1, v5
	;; [unrolled: 1-line block ×3, first 2 shown]
	v_or_b32_e32 v4, 0xfc, v3
	s_nop 0
	v_add_f32_dpp v1, v1, v1 quad_perm:[1,0,3,2] row_mask:0xf bank_mask:0xf bound_ctrl:1
	s_nop 1
	v_add_f32_dpp v1, v1, v1 quad_perm:[2,3,0,1] row_mask:0xf bank_mask:0xf bound_ctrl:1
	s_nop 1
	v_add_f32_dpp v1, v1, v1 row_ror:4 row_mask:0xf bank_mask:0xf bound_ctrl:1
	s_nop 1
	v_add_f32_dpp v1, v1, v1 row_ror:8 row_mask:0xf bank_mask:0xf bound_ctrl:1
	s_nop 1
	v_add_f32_dpp v1, v1, v1 row_bcast:15 row_mask:0xf bank_mask:0xf bound_ctrl:1
	s_nop 1
	v_add_f32_dpp v1, v1, v1 row_bcast:31 row_mask:0xf bank_mask:0xf bound_ctrl:1
	ds_bpermute_b32 v1, v4, v1
	s_and_saveexec_b64 s[6:7], vcc
	s_cbranch_execz .LBB450_295
; %bb.294:
	v_lshrrev_b32_e32 v4, 4, v0
	v_and_b32_e32 v4, 4, v4
	s_waitcnt lgkmcnt(0)
	ds_write_b32 v4, v1 offset:32
.LBB450_295:
	s_or_b64 exec, exec, s[6:7]
	v_cmp_gt_u32_e32 vcc, 64, v0
	s_waitcnt lgkmcnt(0)
	s_barrier
	s_and_saveexec_b64 s[6:7], vcc
	s_cbranch_execz .LBB450_297
; %bb.296:
	v_and_b32_e32 v1, 1, v2
	v_lshlrev_b32_e32 v1, 2, v1
	ds_read_b32 v1, v1 offset:32
	v_or_b32_e32 v2, 4, v3
	s_waitcnt lgkmcnt(0)
	ds_bpermute_b32 v2, v2, v1
	s_waitcnt lgkmcnt(0)
	v_add_f32_e32 v1, v1, v2
.LBB450_297:
	s_or_b64 exec, exec, s[6:7]
	s_mov_b64 s[6:7], 0
	s_branch .LBB450_334
.LBB450_298:
                                        ; implicit-def: $vgpr1
	s_cbranch_execnz .LBB450_362
	s_branch .LBB450_371
.LBB450_299:
                                        ; implicit-def: $vgpr1
	s_cbranch_execz .LBB450_349
; %bb.300:
	s_cmp_eq_u32 s33, 2
	s_cbranch_scc0 .LBB450_308
; %bb.301:
	s_mov_b32 s3, 0
	s_lshl_b32 s6, s2, 8
	s_mov_b32 s7, s3
	s_lshr_b64 s[8:9], s[70:71], 8
	s_lshl_b64 s[4:5], s[6:7], 1
	s_add_u32 s4, s68, s4
	s_addc_u32 s5, s69, s5
	s_cmp_lg_u64 s[8:9], s[2:3]
	s_cbranch_scc0 .LBB450_350
; %bb.302:
	v_lshlrev_b32_e32 v1, 1, v0
	global_load_ushort v2, v1, s[4:5]
	global_load_ushort v3, v1, s[4:5] offset:256
	s_waitcnt vmcnt(1)
	v_cvt_f32_u32_e32 v1, v2
	s_waitcnt vmcnt(0)
	v_cvt_f32_u32_e32 v4, v3
	v_mbcnt_lo_u32_b32 v2, -1, 0
	v_mbcnt_hi_u32_b32 v2, -1, v2
	v_lshlrev_b32_e32 v3, 2, v2
	v_add_f32_e32 v1, v1, v4
	v_or_b32_e32 v4, 0xfc, v3
	v_cmp_eq_u32_e32 vcc, 0, v2
	v_add_f32_dpp v1, v1, v1 quad_perm:[1,0,3,2] row_mask:0xf bank_mask:0xf bound_ctrl:1
	s_nop 1
	v_add_f32_dpp v1, v1, v1 quad_perm:[2,3,0,1] row_mask:0xf bank_mask:0xf bound_ctrl:1
	s_nop 1
	v_add_f32_dpp v1, v1, v1 row_ror:4 row_mask:0xf bank_mask:0xf bound_ctrl:1
	s_nop 1
	v_add_f32_dpp v1, v1, v1 row_ror:8 row_mask:0xf bank_mask:0xf bound_ctrl:1
	s_nop 1
	v_add_f32_dpp v1, v1, v1 row_bcast:15 row_mask:0xf bank_mask:0xf bound_ctrl:1
	s_nop 1
	v_add_f32_dpp v1, v1, v1 row_bcast:31 row_mask:0xf bank_mask:0xf bound_ctrl:1
	ds_bpermute_b32 v1, v4, v1
	s_and_saveexec_b64 s[8:9], vcc
	s_cbranch_execz .LBB450_304
; %bb.303:
	v_lshrrev_b32_e32 v4, 4, v0
	v_and_b32_e32 v4, 4, v4
	s_waitcnt lgkmcnt(0)
	ds_write_b32 v4, v1 offset:16
.LBB450_304:
	s_or_b64 exec, exec, s[8:9]
	v_cmp_gt_u32_e32 vcc, 64, v0
	s_waitcnt lgkmcnt(0)
	s_barrier
	s_and_saveexec_b64 s[8:9], vcc
	s_cbranch_execz .LBB450_306
; %bb.305:
	v_and_b32_e32 v1, 1, v2
	v_lshlrev_b32_e32 v1, 2, v1
	ds_read_b32 v1, v1 offset:16
	v_or_b32_e32 v2, 4, v3
	s_waitcnt lgkmcnt(0)
	ds_bpermute_b32 v2, v2, v1
	s_waitcnt lgkmcnt(0)
	v_add_f32_e32 v1, v1, v2
.LBB450_306:
	s_or_b64 exec, exec, s[8:9]
	s_mov_b64 s[8:9], 0
	s_branch .LBB450_351
.LBB450_307:
                                        ; implicit-def: $vgpr1
	s_branch .LBB450_349
.LBB450_308:
                                        ; implicit-def: $vgpr1
	s_branch .LBB450_371
.LBB450_309:
	s_mov_b64 s[6:7], -1
                                        ; implicit-def: $vgpr1
.LBB450_310:
	s_and_b64 vcc, exec, s[6:7]
	s_cbranch_vccz .LBB450_332
; %bb.311:
	s_sub_i32 s20, s70, s4
	v_mov_b32_e32 v2, 0
	v_cmp_gt_u32_e32 vcc, s20, v0
	v_mov_b32_e32 v3, v2
	v_mov_b32_e32 v4, v2
	;; [unrolled: 1-line block ×7, first 2 shown]
	s_and_saveexec_b64 s[4:5], vcc
	s_cbranch_execz .LBB450_313
; %bb.312:
	v_lshlrev_b32_e32 v1, 1, v0
	global_load_ushort v1, v1, s[16:17]
	v_mov_b32_e32 v5, v2
	v_mov_b32_e32 v6, v2
	;; [unrolled: 1-line block ×7, first 2 shown]
	s_waitcnt vmcnt(0)
	v_cvt_f32_u32_e32 v4, v1
	v_mov_b64_e32 v[2:3], v[4:5]
	v_mov_b64_e32 v[4:5], v[6:7]
	;; [unrolled: 1-line block ×4, first 2 shown]
.LBB450_313:
	s_or_b64 exec, exec, s[4:5]
	v_or_b32_e32 v1, 0x80, v0
	v_cmp_gt_u32_e32 vcc, s20, v1
	s_and_saveexec_b64 s[4:5], vcc
	s_cbranch_execz .LBB450_315
; %bb.314:
	v_lshlrev_b32_e32 v1, 1, v0
	global_load_ushort v1, v1, s[16:17] offset:256
	s_waitcnt vmcnt(0)
	v_cvt_f32_u32_e32 v3, v1
.LBB450_315:
	s_or_b64 exec, exec, s[4:5]
	v_or_b32_e32 v1, 0x100, v0
	v_cmp_gt_u32_e64 s[4:5], s20, v1
	s_and_saveexec_b64 s[6:7], s[4:5]
	s_cbranch_execz .LBB450_317
; %bb.316:
	v_lshlrev_b32_e32 v1, 1, v0
	global_load_ushort v1, v1, s[16:17] offset:512
	s_waitcnt vmcnt(0)
	v_cvt_f32_u32_e32 v4, v1
.LBB450_317:
	s_or_b64 exec, exec, s[6:7]
	v_or_b32_e32 v1, 0x180, v0
	v_cmp_gt_u32_e64 s[6:7], s20, v1
	s_and_saveexec_b64 s[8:9], s[6:7]
	;; [unrolled: 11-line block ×6, first 2 shown]
	s_cbranch_execz .LBB450_327
; %bb.326:
	v_lshlrev_b32_e32 v1, 1, v0
	global_load_ushort v1, v1, s[16:17] offset:1792
	s_waitcnt vmcnt(0)
	v_cvt_f32_u32_e32 v9, v1
.LBB450_327:
	s_or_b64 exec, exec, s[18:19]
	v_add_f32_e32 v1, v2, v3
	v_cndmask_b32_e32 v1, v2, v1, vcc
	v_add_f32_e32 v2, v4, v1
	v_cndmask_b32_e64 v1, v1, v2, s[4:5]
	v_add_f32_e32 v2, v5, v1
	v_cndmask_b32_e64 v1, v1, v2, s[6:7]
	;; [unrolled: 2-line block ×6, first 2 shown]
	v_mbcnt_lo_u32_b32 v2, -1, 0
	v_mbcnt_hi_u32_b32 v2, -1, v2
	v_and_b32_e32 v4, 63, v2
	v_cmp_ne_u32_e32 vcc, 63, v4
	s_min_u32 s6, s20, 0x80
	v_and_b32_e32 v5, 64, v0
	v_addc_co_u32_e32 v3, vcc, 0, v2, vcc
	v_lshlrev_b32_e32 v3, 2, v3
	ds_bpermute_b32 v3, v3, v1
	v_sub_u32_e64 v5, s6, v5 clamp
	v_add_u32_e32 v6, 1, v4
	v_cmp_gt_u32_e64 s[4:5], 62, v4
	v_cmp_lt_u32_e32 vcc, v6, v5
	s_waitcnt lgkmcnt(0)
	v_add_f32_e32 v3, v1, v3
	v_cndmask_b32_e64 v6, 0, 2, s[4:5]
	v_cndmask_b32_e32 v3, v1, v3, vcc
	v_add_lshl_u32 v6, v6, v2, 2
	ds_bpermute_b32 v6, v6, v3
	v_add_u32_e32 v7, 2, v4
	v_cmp_lt_u32_e64 s[4:5], v7, v5
	v_add_u32_e32 v7, 4, v4
	s_waitcnt lgkmcnt(0)
	v_add_f32_e32 v6, v3, v6
	v_cndmask_b32_e64 v3, v3, v6, s[4:5]
	v_cmp_gt_u32_e64 s[4:5], 60, v4
	s_nop 1
	v_cndmask_b32_e64 v6, 0, 4, s[4:5]
	v_add_lshl_u32 v6, v6, v2, 2
	ds_bpermute_b32 v6, v6, v3
	v_cmp_lt_u32_e64 s[4:5], v7, v5
	v_add_u32_e32 v7, 8, v4
	s_waitcnt lgkmcnt(0)
	v_add_f32_e32 v6, v3, v6
	v_cndmask_b32_e64 v3, v3, v6, s[4:5]
	v_cmp_gt_u32_e64 s[4:5], 56, v4
	s_nop 1
	v_cndmask_b32_e64 v6, 0, 8, s[4:5]
	v_add_lshl_u32 v6, v6, v2, 2
	ds_bpermute_b32 v6, v6, v3
	v_cmp_lt_u32_e64 s[4:5], v7, v5
	v_add_u32_e32 v7, 16, v4
	s_waitcnt lgkmcnt(0)
	v_add_f32_e32 v6, v3, v6
	v_cndmask_b32_e64 v3, v3, v6, s[4:5]
	v_cmp_gt_u32_e64 s[4:5], 48, v4
	v_add_u32_e32 v4, 32, v4
	s_nop 0
	v_cndmask_b32_e64 v6, 0, 16, s[4:5]
	v_add_lshl_u32 v6, v6, v2, 2
	ds_bpermute_b32 v6, v6, v3
	v_cmp_lt_u32_e64 s[4:5], v7, v5
	s_waitcnt lgkmcnt(0)
	v_add_f32_e32 v6, v3, v6
	v_cndmask_b32_e64 v6, v3, v6, s[4:5]
	v_lshlrev_b32_e32 v3, 2, v2
	v_or_b32_e32 v7, 0x80, v3
	ds_bpermute_b32 v7, v7, v6
	v_cmp_lt_u32_e64 s[4:5], v4, v5
	s_waitcnt lgkmcnt(0)
	v_add_f32_e32 v7, v6, v7
	v_cndmask_b32_e64 v4, v6, v7, s[4:5]
	v_cndmask_b32_e32 v1, v1, v4, vcc
	v_cmp_eq_u32_e32 vcc, 0, v2
	s_and_saveexec_b64 s[4:5], vcc
; %bb.328:
	v_lshrrev_b32_e32 v4, 4, v0
	v_and_b32_e32 v4, 4, v4
	ds_write_b32 v4, v1 offset:56
; %bb.329:
	s_or_b64 exec, exec, s[4:5]
	v_cmp_gt_u32_e32 vcc, 2, v0
	s_waitcnt lgkmcnt(0)
	s_barrier
	s_and_saveexec_b64 s[4:5], vcc
	s_cbranch_execz .LBB450_331
; %bb.330:
	ds_read_b32 v1, v3 offset:56
	v_or_b32_e32 v3, 4, v3
	s_add_i32 s6, s6, 63
	v_and_b32_e32 v2, 1, v2
	s_lshr_b32 s6, s6, 6
	s_waitcnt lgkmcnt(0)
	ds_bpermute_b32 v3, v3, v1
	v_add_u32_e32 v2, 1, v2
	v_cmp_gt_u32_e32 vcc, s6, v2
	s_waitcnt lgkmcnt(0)
	v_add_f32_e32 v3, v1, v3
	v_cndmask_b32_e32 v1, v1, v3, vcc
.LBB450_331:
	s_or_b64 exec, exec, s[4:5]
.LBB450_332:
	v_cmp_eq_u32_e64 s[4:5], 0, v0
	s_branch .LBB450_371
.LBB450_333:
	s_mov_b64 s[6:7], -1
                                        ; implicit-def: $vgpr1
.LBB450_334:
	s_and_b64 vcc, exec, s[6:7]
	s_cbranch_vccz .LBB450_348
; %bb.335:
	s_sub_i32 s12, s70, s4
	v_mov_b32_e32 v2, 0
	v_cmp_gt_u32_e32 vcc, s12, v0
	v_mov_b32_e32 v3, v2
	v_mov_b32_e32 v4, v2
	;; [unrolled: 1-line block ×3, first 2 shown]
	s_and_saveexec_b64 s[4:5], vcc
	s_cbranch_execz .LBB450_337
; %bb.336:
	v_lshlrev_b32_e32 v1, 1, v0
	global_load_ushort v1, v1, s[8:9]
	v_mov_b32_e32 v5, v2
	v_mov_b32_e32 v6, v2
	;; [unrolled: 1-line block ×3, first 2 shown]
	s_waitcnt vmcnt(0)
	v_cvt_f32_u32_e32 v4, v1
	v_mov_b64_e32 v[2:3], v[4:5]
	v_mov_b64_e32 v[4:5], v[6:7]
.LBB450_337:
	s_or_b64 exec, exec, s[4:5]
	v_or_b32_e32 v1, 0x80, v0
	v_cmp_gt_u32_e32 vcc, s12, v1
	s_and_saveexec_b64 s[4:5], vcc
	s_cbranch_execz .LBB450_339
; %bb.338:
	v_lshlrev_b32_e32 v1, 1, v0
	global_load_ushort v1, v1, s[8:9] offset:256
	s_waitcnt vmcnt(0)
	v_cvt_f32_u32_e32 v3, v1
.LBB450_339:
	s_or_b64 exec, exec, s[4:5]
	v_or_b32_e32 v1, 0x100, v0
	v_cmp_gt_u32_e64 s[4:5], s12, v1
	s_and_saveexec_b64 s[6:7], s[4:5]
	s_cbranch_execz .LBB450_341
; %bb.340:
	v_lshlrev_b32_e32 v1, 1, v0
	global_load_ushort v1, v1, s[8:9] offset:512
	s_waitcnt vmcnt(0)
	v_cvt_f32_u32_e32 v4, v1
.LBB450_341:
	s_or_b64 exec, exec, s[6:7]
	v_or_b32_e32 v1, 0x180, v0
	v_cmp_gt_u32_e64 s[6:7], s12, v1
	s_and_saveexec_b64 s[10:11], s[6:7]
	s_cbranch_execz .LBB450_343
; %bb.342:
	v_lshlrev_b32_e32 v1, 1, v0
	global_load_ushort v1, v1, s[8:9] offset:768
	s_waitcnt vmcnt(0)
	v_cvt_f32_u32_e32 v5, v1
.LBB450_343:
	s_or_b64 exec, exec, s[10:11]
	v_add_f32_e32 v1, v2, v3
	v_cndmask_b32_e32 v1, v2, v1, vcc
	v_add_f32_e32 v2, v4, v1
	v_cndmask_b32_e64 v1, v1, v2, s[4:5]
	v_add_f32_e32 v2, v5, v1
	v_cndmask_b32_e64 v1, v1, v2, s[6:7]
	v_mbcnt_lo_u32_b32 v2, -1, 0
	v_mbcnt_hi_u32_b32 v2, -1, v2
	v_and_b32_e32 v4, 63, v2
	v_cmp_ne_u32_e32 vcc, 63, v4
	s_min_u32 s6, s12, 0x80
	v_and_b32_e32 v5, 64, v0
	v_addc_co_u32_e32 v3, vcc, 0, v2, vcc
	v_lshlrev_b32_e32 v3, 2, v3
	ds_bpermute_b32 v3, v3, v1
	v_sub_u32_e64 v5, s6, v5 clamp
	v_add_u32_e32 v6, 1, v4
	v_cmp_gt_u32_e64 s[4:5], 62, v4
	v_cmp_lt_u32_e32 vcc, v6, v5
	s_waitcnt lgkmcnt(0)
	v_add_f32_e32 v3, v1, v3
	v_cndmask_b32_e64 v6, 0, 2, s[4:5]
	v_cndmask_b32_e32 v3, v1, v3, vcc
	v_add_lshl_u32 v6, v6, v2, 2
	ds_bpermute_b32 v6, v6, v3
	v_add_u32_e32 v7, 2, v4
	v_cmp_lt_u32_e64 s[4:5], v7, v5
	v_add_u32_e32 v7, 4, v4
	s_waitcnt lgkmcnt(0)
	v_add_f32_e32 v6, v3, v6
	v_cndmask_b32_e64 v3, v3, v6, s[4:5]
	v_cmp_gt_u32_e64 s[4:5], 60, v4
	s_nop 1
	v_cndmask_b32_e64 v6, 0, 4, s[4:5]
	v_add_lshl_u32 v6, v6, v2, 2
	ds_bpermute_b32 v6, v6, v3
	v_cmp_lt_u32_e64 s[4:5], v7, v5
	v_add_u32_e32 v7, 8, v4
	s_waitcnt lgkmcnt(0)
	v_add_f32_e32 v6, v3, v6
	v_cndmask_b32_e64 v3, v3, v6, s[4:5]
	v_cmp_gt_u32_e64 s[4:5], 56, v4
	s_nop 1
	v_cndmask_b32_e64 v6, 0, 8, s[4:5]
	v_add_lshl_u32 v6, v6, v2, 2
	ds_bpermute_b32 v6, v6, v3
	v_cmp_lt_u32_e64 s[4:5], v7, v5
	v_add_u32_e32 v7, 16, v4
	s_waitcnt lgkmcnt(0)
	v_add_f32_e32 v6, v3, v6
	v_cndmask_b32_e64 v3, v3, v6, s[4:5]
	v_cmp_gt_u32_e64 s[4:5], 48, v4
	v_add_u32_e32 v4, 32, v4
	s_nop 0
	v_cndmask_b32_e64 v6, 0, 16, s[4:5]
	v_add_lshl_u32 v6, v6, v2, 2
	ds_bpermute_b32 v6, v6, v3
	v_cmp_lt_u32_e64 s[4:5], v7, v5
	s_waitcnt lgkmcnt(0)
	v_add_f32_e32 v6, v3, v6
	v_cndmask_b32_e64 v6, v3, v6, s[4:5]
	v_lshlrev_b32_e32 v3, 2, v2
	v_or_b32_e32 v7, 0x80, v3
	ds_bpermute_b32 v7, v7, v6
	v_cmp_lt_u32_e64 s[4:5], v4, v5
	s_waitcnt lgkmcnt(0)
	v_add_f32_e32 v7, v6, v7
	v_cndmask_b32_e64 v4, v6, v7, s[4:5]
	v_cndmask_b32_e32 v1, v1, v4, vcc
	v_cmp_eq_u32_e32 vcc, 0, v2
	s_and_saveexec_b64 s[4:5], vcc
; %bb.344:
	v_lshrrev_b32_e32 v4, 4, v0
	v_and_b32_e32 v4, 4, v4
	ds_write_b32 v4, v1 offset:56
; %bb.345:
	s_or_b64 exec, exec, s[4:5]
	v_cmp_gt_u32_e32 vcc, 2, v0
	s_waitcnt lgkmcnt(0)
	s_barrier
	s_and_saveexec_b64 s[4:5], vcc
	s_cbranch_execz .LBB450_347
; %bb.346:
	ds_read_b32 v1, v3 offset:56
	v_or_b32_e32 v3, 4, v3
	s_add_i32 s6, s6, 63
	v_and_b32_e32 v2, 1, v2
	s_lshr_b32 s6, s6, 6
	s_waitcnt lgkmcnt(0)
	ds_bpermute_b32 v3, v3, v1
	v_add_u32_e32 v2, 1, v2
	v_cmp_gt_u32_e32 vcc, s6, v2
	s_waitcnt lgkmcnt(0)
	v_add_f32_e32 v3, v1, v3
	v_cndmask_b32_e32 v1, v1, v3, vcc
.LBB450_347:
	s_or_b64 exec, exec, s[4:5]
.LBB450_348:
	v_cmp_eq_u32_e64 s[4:5], 0, v0
.LBB450_349:
	s_branch .LBB450_371
.LBB450_350:
	s_mov_b64 s[8:9], -1
                                        ; implicit-def: $vgpr1
.LBB450_351:
	s_and_b64 vcc, exec, s[8:9]
	s_cbranch_vccz .LBB450_361
; %bb.352:
	s_sub_i32 s8, s70, s6
	v_mov_b32_e32 v2, 0
	v_cmp_gt_u32_e32 vcc, s8, v0
	v_mov_b32_e32 v3, v2
	s_and_saveexec_b64 s[6:7], vcc
	s_cbranch_execz .LBB450_354
; %bb.353:
	v_lshlrev_b32_e32 v1, 1, v0
	global_load_ushort v1, v1, s[4:5]
	v_mov_b32_e32 v5, v2
	s_waitcnt vmcnt(0)
	v_cvt_f32_u32_e32 v4, v1
	v_mov_b64_e32 v[2:3], v[4:5]
.LBB450_354:
	s_or_b64 exec, exec, s[6:7]
	v_or_b32_e32 v1, 0x80, v0
	v_cmp_gt_u32_e32 vcc, s8, v1
	s_and_saveexec_b64 s[6:7], vcc
	s_cbranch_execz .LBB450_356
; %bb.355:
	v_lshlrev_b32_e32 v1, 1, v0
	global_load_ushort v1, v1, s[4:5] offset:256
	s_waitcnt vmcnt(0)
	v_cvt_f32_u32_e32 v3, v1
.LBB450_356:
	s_or_b64 exec, exec, s[6:7]
	v_add_f32_e32 v1, v3, v2
	v_cndmask_b32_e32 v1, v2, v1, vcc
	v_mbcnt_lo_u32_b32 v2, -1, 0
	v_mbcnt_hi_u32_b32 v2, -1, v2
	v_and_b32_e32 v4, 63, v2
	v_cmp_ne_u32_e32 vcc, 63, v4
	s_min_u32 s6, s8, 0x80
	v_and_b32_e32 v5, 64, v0
	v_addc_co_u32_e32 v3, vcc, 0, v2, vcc
	v_lshlrev_b32_e32 v3, 2, v3
	ds_bpermute_b32 v3, v3, v1
	v_sub_u32_e64 v5, s6, v5 clamp
	v_add_u32_e32 v6, 1, v4
	v_cmp_gt_u32_e64 s[4:5], 62, v4
	v_cmp_lt_u32_e32 vcc, v6, v5
	s_waitcnt lgkmcnt(0)
	v_add_f32_e32 v3, v1, v3
	v_cndmask_b32_e64 v6, 0, 2, s[4:5]
	v_cndmask_b32_e32 v3, v1, v3, vcc
	v_add_lshl_u32 v6, v6, v2, 2
	ds_bpermute_b32 v6, v6, v3
	v_add_u32_e32 v7, 2, v4
	v_cmp_lt_u32_e64 s[4:5], v7, v5
	v_add_u32_e32 v7, 4, v4
	s_waitcnt lgkmcnt(0)
	v_add_f32_e32 v6, v3, v6
	v_cndmask_b32_e64 v3, v3, v6, s[4:5]
	v_cmp_gt_u32_e64 s[4:5], 60, v4
	s_nop 1
	v_cndmask_b32_e64 v6, 0, 4, s[4:5]
	v_add_lshl_u32 v6, v6, v2, 2
	ds_bpermute_b32 v6, v6, v3
	v_cmp_lt_u32_e64 s[4:5], v7, v5
	v_add_u32_e32 v7, 8, v4
	s_waitcnt lgkmcnt(0)
	v_add_f32_e32 v6, v3, v6
	v_cndmask_b32_e64 v3, v3, v6, s[4:5]
	v_cmp_gt_u32_e64 s[4:5], 56, v4
	s_nop 1
	v_cndmask_b32_e64 v6, 0, 8, s[4:5]
	v_add_lshl_u32 v6, v6, v2, 2
	ds_bpermute_b32 v6, v6, v3
	v_cmp_lt_u32_e64 s[4:5], v7, v5
	v_add_u32_e32 v7, 16, v4
	s_waitcnt lgkmcnt(0)
	v_add_f32_e32 v6, v3, v6
	v_cndmask_b32_e64 v3, v3, v6, s[4:5]
	v_cmp_gt_u32_e64 s[4:5], 48, v4
	v_add_u32_e32 v4, 32, v4
	s_nop 0
	v_cndmask_b32_e64 v6, 0, 16, s[4:5]
	v_add_lshl_u32 v6, v6, v2, 2
	ds_bpermute_b32 v6, v6, v3
	v_cmp_lt_u32_e64 s[4:5], v7, v5
	s_waitcnt lgkmcnt(0)
	v_add_f32_e32 v6, v3, v6
	v_cndmask_b32_e64 v6, v3, v6, s[4:5]
	v_lshlrev_b32_e32 v3, 2, v2
	v_or_b32_e32 v7, 0x80, v3
	ds_bpermute_b32 v7, v7, v6
	v_cmp_lt_u32_e64 s[4:5], v4, v5
	s_waitcnt lgkmcnt(0)
	v_add_f32_e32 v7, v6, v7
	v_cndmask_b32_e64 v4, v6, v7, s[4:5]
	v_cndmask_b32_e32 v1, v1, v4, vcc
	v_cmp_eq_u32_e32 vcc, 0, v2
	s_and_saveexec_b64 s[4:5], vcc
; %bb.357:
	v_lshrrev_b32_e32 v4, 4, v0
	v_and_b32_e32 v4, 4, v4
	ds_write_b32 v4, v1 offset:56
; %bb.358:
	s_or_b64 exec, exec, s[4:5]
	v_cmp_gt_u32_e32 vcc, 2, v0
	s_waitcnt lgkmcnt(0)
	s_barrier
	s_and_saveexec_b64 s[4:5], vcc
	s_cbranch_execz .LBB450_360
; %bb.359:
	ds_read_b32 v1, v3 offset:56
	v_or_b32_e32 v3, 4, v3
	s_add_i32 s6, s6, 63
	v_and_b32_e32 v2, 1, v2
	s_lshr_b32 s6, s6, 6
	s_waitcnt lgkmcnt(0)
	ds_bpermute_b32 v3, v3, v1
	v_add_u32_e32 v2, 1, v2
	v_cmp_gt_u32_e32 vcc, s6, v2
	s_waitcnt lgkmcnt(0)
	v_add_f32_e32 v3, v1, v3
	v_cndmask_b32_e32 v1, v1, v3, vcc
.LBB450_360:
	s_or_b64 exec, exec, s[4:5]
.LBB450_361:
	v_cmp_eq_u32_e64 s[4:5], 0, v0
	s_branch .LBB450_371
.LBB450_362:
	s_cmp_eq_u32 s33, 1
	s_cbranch_scc0 .LBB450_370
; %bb.363:
	s_mov_b32 s5, 0
	s_lshl_b32 s4, s2, 7
	s_mov_b32 s3, s5
	s_lshr_b64 s[6:7], s[70:71], 7
	s_cmp_lg_u64 s[6:7], s[2:3]
	v_mbcnt_lo_u32_b32 v2, -1, 0
	s_cbranch_scc0 .LBB450_374
; %bb.364:
	s_lshl_b64 s[6:7], s[4:5], 1
	s_add_u32 s6, s68, s6
	s_addc_u32 s7, s69, s7
	v_lshlrev_b32_e32 v1, 1, v0
	global_load_ushort v1, v1, s[6:7]
	v_mbcnt_hi_u32_b32 v3, -1, v2
	v_lshlrev_b32_e32 v4, 2, v3
	v_or_b32_e32 v5, 0xfc, v4
	v_cmp_eq_u32_e32 vcc, 0, v3
	s_waitcnt vmcnt(0)
	v_cvt_f32_u32_e32 v1, v1
	s_nop 1
	v_add_f32_dpp v1, v1, v1 quad_perm:[1,0,3,2] row_mask:0xf bank_mask:0xf bound_ctrl:1
	s_nop 1
	v_add_f32_dpp v1, v1, v1 quad_perm:[2,3,0,1] row_mask:0xf bank_mask:0xf bound_ctrl:1
	s_nop 1
	v_add_f32_dpp v1, v1, v1 row_ror:4 row_mask:0xf bank_mask:0xf bound_ctrl:1
	s_nop 1
	v_add_f32_dpp v1, v1, v1 row_ror:8 row_mask:0xf bank_mask:0xf bound_ctrl:1
	s_nop 1
	v_add_f32_dpp v1, v1, v1 row_bcast:15 row_mask:0xf bank_mask:0xf bound_ctrl:1
	s_nop 1
	v_add_f32_dpp v1, v1, v1 row_bcast:31 row_mask:0xf bank_mask:0xf bound_ctrl:1
	ds_bpermute_b32 v1, v5, v1
	s_and_saveexec_b64 s[6:7], vcc
	s_cbranch_execz .LBB450_366
; %bb.365:
	v_lshrrev_b32_e32 v5, 4, v0
	v_and_b32_e32 v5, 4, v5
	s_waitcnt lgkmcnt(0)
	ds_write_b32 v5, v1 offset:8
.LBB450_366:
	s_or_b64 exec, exec, s[6:7]
	v_cmp_gt_u32_e32 vcc, 64, v0
	s_waitcnt lgkmcnt(0)
	s_barrier
	s_and_saveexec_b64 s[6:7], vcc
	s_cbranch_execz .LBB450_368
; %bb.367:
	v_and_b32_e32 v1, 1, v3
	v_lshlrev_b32_e32 v1, 2, v1
	ds_read_b32 v1, v1 offset:8
	v_or_b32_e32 v3, 4, v4
	s_waitcnt lgkmcnt(0)
	ds_bpermute_b32 v3, v3, v1
	s_waitcnt lgkmcnt(0)
	v_add_f32_e32 v1, v1, v3
.LBB450_368:
	s_or_b64 exec, exec, s[6:7]
.LBB450_369:
	v_cmp_eq_u32_e64 s[4:5], 0, v0
	s_and_saveexec_b64 s[6:7], s[4:5]
	s_cbranch_execnz .LBB450_372
	s_branch .LBB450_373
.LBB450_370:
                                        ; implicit-def: $vgpr1
                                        ; implicit-def: $sgpr2_sgpr3
.LBB450_371:
	s_and_saveexec_b64 s[6:7], s[4:5]
	s_cbranch_execz .LBB450_373
.LBB450_372:
	s_load_dwordx2 s[4:5], s[0:1], 0x18
	s_load_dword s6, s[0:1], 0x20
	s_lshl_b64 s[0:1], s[2:3], 2
	v_mov_b32_e32 v0, 0
	s_waitcnt lgkmcnt(0)
	s_add_u32 s0, s4, s0
	s_addc_u32 s1, s5, s1
	s_cmp_eq_u64 s[70:71], 0
	v_add_f32_e32 v1, s6, v1
	v_mov_b32_e32 v2, s6
	s_cselect_b64 vcc, -1, 0
	v_cndmask_b32_e32 v1, v1, v2, vcc
	global_store_dword v0, v1, s[0:1]
.LBB450_373:
	s_endpgm
.LBB450_374:
                                        ; implicit-def: $vgpr1
	s_cbranch_execz .LBB450_369
; %bb.375:
	s_sub_i32 s8, s70, s4
	v_cmp_gt_u32_e32 vcc, s8, v0
                                        ; implicit-def: $vgpr1
	s_and_saveexec_b64 s[6:7], vcc
	s_cbranch_execz .LBB450_377
; %bb.376:
	s_lshl_b64 s[4:5], s[4:5], 1
	s_add_u32 s4, s68, s4
	s_addc_u32 s5, s69, s5
	v_lshlrev_b32_e32 v1, 1, v0
	global_load_ushort v1, v1, s[4:5]
	s_waitcnt vmcnt(0)
	v_cvt_f32_u32_e32 v1, v1
.LBB450_377:
	s_or_b64 exec, exec, s[6:7]
	v_mbcnt_hi_u32_b32 v2, -1, v2
	v_and_b32_e32 v4, 63, v2
	v_cmp_ne_u32_e32 vcc, 63, v4
	s_min_u32 s6, s8, 0x80
	v_and_b32_e32 v5, 64, v0
	v_addc_co_u32_e32 v3, vcc, 0, v2, vcc
	v_lshlrev_b32_e32 v3, 2, v3
	ds_bpermute_b32 v3, v3, v1
	v_sub_u32_e64 v5, s6, v5 clamp
	v_add_u32_e32 v6, 1, v4
	v_cmp_gt_u32_e64 s[4:5], 62, v4
	v_cmp_lt_u32_e32 vcc, v6, v5
	s_waitcnt lgkmcnt(0)
	v_add_f32_e32 v3, v1, v3
	v_cndmask_b32_e64 v6, 0, 2, s[4:5]
	v_cndmask_b32_e32 v3, v1, v3, vcc
	v_add_lshl_u32 v6, v6, v2, 2
	ds_bpermute_b32 v6, v6, v3
	v_add_u32_e32 v7, 2, v4
	v_cmp_lt_u32_e64 s[4:5], v7, v5
	v_add_u32_e32 v7, 4, v4
	s_waitcnt lgkmcnt(0)
	v_add_f32_e32 v6, v3, v6
	v_cndmask_b32_e64 v3, v3, v6, s[4:5]
	v_cmp_gt_u32_e64 s[4:5], 60, v4
	s_nop 1
	v_cndmask_b32_e64 v6, 0, 4, s[4:5]
	v_add_lshl_u32 v6, v6, v2, 2
	ds_bpermute_b32 v6, v6, v3
	v_cmp_lt_u32_e64 s[4:5], v7, v5
	v_add_u32_e32 v7, 8, v4
	s_waitcnt lgkmcnt(0)
	v_add_f32_e32 v6, v3, v6
	v_cndmask_b32_e64 v3, v3, v6, s[4:5]
	v_cmp_gt_u32_e64 s[4:5], 56, v4
	s_nop 1
	v_cndmask_b32_e64 v6, 0, 8, s[4:5]
	v_add_lshl_u32 v6, v6, v2, 2
	ds_bpermute_b32 v6, v6, v3
	v_cmp_lt_u32_e64 s[4:5], v7, v5
	v_add_u32_e32 v7, 16, v4
	s_waitcnt lgkmcnt(0)
	v_add_f32_e32 v6, v3, v6
	v_cndmask_b32_e64 v3, v3, v6, s[4:5]
	v_cmp_gt_u32_e64 s[4:5], 48, v4
	v_add_u32_e32 v4, 32, v4
	s_nop 0
	v_cndmask_b32_e64 v6, 0, 16, s[4:5]
	v_add_lshl_u32 v6, v6, v2, 2
	ds_bpermute_b32 v6, v6, v3
	v_cmp_lt_u32_e64 s[4:5], v7, v5
	s_waitcnt lgkmcnt(0)
	v_add_f32_e32 v6, v3, v6
	v_cndmask_b32_e64 v6, v3, v6, s[4:5]
	v_lshlrev_b32_e32 v3, 2, v2
	v_or_b32_e32 v7, 0x80, v3
	ds_bpermute_b32 v7, v7, v6
	v_cmp_lt_u32_e64 s[4:5], v4, v5
	s_waitcnt lgkmcnt(0)
	v_add_f32_e32 v7, v6, v7
	v_cndmask_b32_e64 v4, v6, v7, s[4:5]
	v_cndmask_b32_e32 v1, v1, v4, vcc
	v_cmp_eq_u32_e32 vcc, 0, v2
	s_and_saveexec_b64 s[4:5], vcc
; %bb.378:
	v_lshrrev_b32_e32 v4, 4, v0
	v_and_b32_e32 v4, 4, v4
	ds_write_b32 v4, v1 offset:56
; %bb.379:
	s_or_b64 exec, exec, s[4:5]
	v_cmp_gt_u32_e32 vcc, 2, v0
	s_waitcnt lgkmcnt(0)
	s_barrier
	s_and_saveexec_b64 s[4:5], vcc
	s_cbranch_execz .LBB450_381
; %bb.380:
	ds_read_b32 v1, v3 offset:56
	v_or_b32_e32 v3, 4, v3
	s_add_i32 s6, s6, 63
	v_and_b32_e32 v2, 1, v2
	s_lshr_b32 s6, s6, 6
	s_waitcnt lgkmcnt(0)
	ds_bpermute_b32 v3, v3, v1
	v_add_u32_e32 v2, 1, v2
	v_cmp_gt_u32_e32 vcc, s6, v2
	s_waitcnt lgkmcnt(0)
	v_add_f32_e32 v3, v1, v3
	v_cndmask_b32_e32 v1, v1, v3, vcc
.LBB450_381:
	s_or_b64 exec, exec, s[4:5]
	v_cmp_eq_u32_e64 s[4:5], 0, v0
	s_and_saveexec_b64 s[6:7], s[4:5]
	s_cbranch_execnz .LBB450_372
	s_branch .LBB450_373
	.section	.rodata,"a",@progbits
	.p2align	6, 0x0
	.amdhsa_kernel _ZN7rocprim17ROCPRIM_400000_NS6detail17trampoline_kernelINS0_14default_configENS1_22reduce_config_selectorItEEZNS1_11reduce_implILb1ES3_N6thrust23THRUST_200600_302600_NS6detail15normal_iteratorINS8_10device_ptrItEEEEPffNS8_4plusIfEEEE10hipError_tPvRmT1_T2_T3_mT4_P12ihipStream_tbEUlT_E1_NS1_11comp_targetILNS1_3genE0ELNS1_11target_archE4294967295ELNS1_3gpuE0ELNS1_3repE0EEENS1_30default_config_static_selectorELNS0_4arch9wavefront6targetE1EEEvSK_
		.amdhsa_group_segment_fixed_size 64
		.amdhsa_private_segment_fixed_size 0
		.amdhsa_kernarg_size 40
		.amdhsa_user_sgpr_count 2
		.amdhsa_user_sgpr_dispatch_ptr 0
		.amdhsa_user_sgpr_queue_ptr 0
		.amdhsa_user_sgpr_kernarg_segment_ptr 1
		.amdhsa_user_sgpr_dispatch_id 0
		.amdhsa_user_sgpr_kernarg_preload_length 0
		.amdhsa_user_sgpr_kernarg_preload_offset 0
		.amdhsa_user_sgpr_private_segment_size 0
		.amdhsa_uses_dynamic_stack 0
		.amdhsa_enable_private_segment 0
		.amdhsa_system_sgpr_workgroup_id_x 1
		.amdhsa_system_sgpr_workgroup_id_y 0
		.amdhsa_system_sgpr_workgroup_id_z 0
		.amdhsa_system_sgpr_workgroup_info 0
		.amdhsa_system_vgpr_workitem_id 0
		.amdhsa_next_free_vgpr 67
		.amdhsa_next_free_sgpr 100
		.amdhsa_accum_offset 68
		.amdhsa_reserve_vcc 1
		.amdhsa_float_round_mode_32 0
		.amdhsa_float_round_mode_16_64 0
		.amdhsa_float_denorm_mode_32 3
		.amdhsa_float_denorm_mode_16_64 3
		.amdhsa_dx10_clamp 1
		.amdhsa_ieee_mode 1
		.amdhsa_fp16_overflow 0
		.amdhsa_tg_split 0
		.amdhsa_exception_fp_ieee_invalid_op 0
		.amdhsa_exception_fp_denorm_src 0
		.amdhsa_exception_fp_ieee_div_zero 0
		.amdhsa_exception_fp_ieee_overflow 0
		.amdhsa_exception_fp_ieee_underflow 0
		.amdhsa_exception_fp_ieee_inexact 0
		.amdhsa_exception_int_div_zero 0
	.end_amdhsa_kernel
	.section	.text._ZN7rocprim17ROCPRIM_400000_NS6detail17trampoline_kernelINS0_14default_configENS1_22reduce_config_selectorItEEZNS1_11reduce_implILb1ES3_N6thrust23THRUST_200600_302600_NS6detail15normal_iteratorINS8_10device_ptrItEEEEPffNS8_4plusIfEEEE10hipError_tPvRmT1_T2_T3_mT4_P12ihipStream_tbEUlT_E1_NS1_11comp_targetILNS1_3genE0ELNS1_11target_archE4294967295ELNS1_3gpuE0ELNS1_3repE0EEENS1_30default_config_static_selectorELNS0_4arch9wavefront6targetE1EEEvSK_,"axG",@progbits,_ZN7rocprim17ROCPRIM_400000_NS6detail17trampoline_kernelINS0_14default_configENS1_22reduce_config_selectorItEEZNS1_11reduce_implILb1ES3_N6thrust23THRUST_200600_302600_NS6detail15normal_iteratorINS8_10device_ptrItEEEEPffNS8_4plusIfEEEE10hipError_tPvRmT1_T2_T3_mT4_P12ihipStream_tbEUlT_E1_NS1_11comp_targetILNS1_3genE0ELNS1_11target_archE4294967295ELNS1_3gpuE0ELNS1_3repE0EEENS1_30default_config_static_selectorELNS0_4arch9wavefront6targetE1EEEvSK_,comdat
.Lfunc_end450:
	.size	_ZN7rocprim17ROCPRIM_400000_NS6detail17trampoline_kernelINS0_14default_configENS1_22reduce_config_selectorItEEZNS1_11reduce_implILb1ES3_N6thrust23THRUST_200600_302600_NS6detail15normal_iteratorINS8_10device_ptrItEEEEPffNS8_4plusIfEEEE10hipError_tPvRmT1_T2_T3_mT4_P12ihipStream_tbEUlT_E1_NS1_11comp_targetILNS1_3genE0ELNS1_11target_archE4294967295ELNS1_3gpuE0ELNS1_3repE0EEENS1_30default_config_static_selectorELNS0_4arch9wavefront6targetE1EEEvSK_, .Lfunc_end450-_ZN7rocprim17ROCPRIM_400000_NS6detail17trampoline_kernelINS0_14default_configENS1_22reduce_config_selectorItEEZNS1_11reduce_implILb1ES3_N6thrust23THRUST_200600_302600_NS6detail15normal_iteratorINS8_10device_ptrItEEEEPffNS8_4plusIfEEEE10hipError_tPvRmT1_T2_T3_mT4_P12ihipStream_tbEUlT_E1_NS1_11comp_targetILNS1_3genE0ELNS1_11target_archE4294967295ELNS1_3gpuE0ELNS1_3repE0EEENS1_30default_config_static_selectorELNS0_4arch9wavefront6targetE1EEEvSK_
                                        ; -- End function
	.set _ZN7rocprim17ROCPRIM_400000_NS6detail17trampoline_kernelINS0_14default_configENS1_22reduce_config_selectorItEEZNS1_11reduce_implILb1ES3_N6thrust23THRUST_200600_302600_NS6detail15normal_iteratorINS8_10device_ptrItEEEEPffNS8_4plusIfEEEE10hipError_tPvRmT1_T2_T3_mT4_P12ihipStream_tbEUlT_E1_NS1_11comp_targetILNS1_3genE0ELNS1_11target_archE4294967295ELNS1_3gpuE0ELNS1_3repE0EEENS1_30default_config_static_selectorELNS0_4arch9wavefront6targetE1EEEvSK_.num_vgpr, 67
	.set _ZN7rocprim17ROCPRIM_400000_NS6detail17trampoline_kernelINS0_14default_configENS1_22reduce_config_selectorItEEZNS1_11reduce_implILb1ES3_N6thrust23THRUST_200600_302600_NS6detail15normal_iteratorINS8_10device_ptrItEEEEPffNS8_4plusIfEEEE10hipError_tPvRmT1_T2_T3_mT4_P12ihipStream_tbEUlT_E1_NS1_11comp_targetILNS1_3genE0ELNS1_11target_archE4294967295ELNS1_3gpuE0ELNS1_3repE0EEENS1_30default_config_static_selectorELNS0_4arch9wavefront6targetE1EEEvSK_.num_agpr, 0
	.set _ZN7rocprim17ROCPRIM_400000_NS6detail17trampoline_kernelINS0_14default_configENS1_22reduce_config_selectorItEEZNS1_11reduce_implILb1ES3_N6thrust23THRUST_200600_302600_NS6detail15normal_iteratorINS8_10device_ptrItEEEEPffNS8_4plusIfEEEE10hipError_tPvRmT1_T2_T3_mT4_P12ihipStream_tbEUlT_E1_NS1_11comp_targetILNS1_3genE0ELNS1_11target_archE4294967295ELNS1_3gpuE0ELNS1_3repE0EEENS1_30default_config_static_selectorELNS0_4arch9wavefront6targetE1EEEvSK_.numbered_sgpr, 100
	.set _ZN7rocprim17ROCPRIM_400000_NS6detail17trampoline_kernelINS0_14default_configENS1_22reduce_config_selectorItEEZNS1_11reduce_implILb1ES3_N6thrust23THRUST_200600_302600_NS6detail15normal_iteratorINS8_10device_ptrItEEEEPffNS8_4plusIfEEEE10hipError_tPvRmT1_T2_T3_mT4_P12ihipStream_tbEUlT_E1_NS1_11comp_targetILNS1_3genE0ELNS1_11target_archE4294967295ELNS1_3gpuE0ELNS1_3repE0EEENS1_30default_config_static_selectorELNS0_4arch9wavefront6targetE1EEEvSK_.num_named_barrier, 0
	.set _ZN7rocprim17ROCPRIM_400000_NS6detail17trampoline_kernelINS0_14default_configENS1_22reduce_config_selectorItEEZNS1_11reduce_implILb1ES3_N6thrust23THRUST_200600_302600_NS6detail15normal_iteratorINS8_10device_ptrItEEEEPffNS8_4plusIfEEEE10hipError_tPvRmT1_T2_T3_mT4_P12ihipStream_tbEUlT_E1_NS1_11comp_targetILNS1_3genE0ELNS1_11target_archE4294967295ELNS1_3gpuE0ELNS1_3repE0EEENS1_30default_config_static_selectorELNS0_4arch9wavefront6targetE1EEEvSK_.private_seg_size, 0
	.set _ZN7rocprim17ROCPRIM_400000_NS6detail17trampoline_kernelINS0_14default_configENS1_22reduce_config_selectorItEEZNS1_11reduce_implILb1ES3_N6thrust23THRUST_200600_302600_NS6detail15normal_iteratorINS8_10device_ptrItEEEEPffNS8_4plusIfEEEE10hipError_tPvRmT1_T2_T3_mT4_P12ihipStream_tbEUlT_E1_NS1_11comp_targetILNS1_3genE0ELNS1_11target_archE4294967295ELNS1_3gpuE0ELNS1_3repE0EEENS1_30default_config_static_selectorELNS0_4arch9wavefront6targetE1EEEvSK_.uses_vcc, 1
	.set _ZN7rocprim17ROCPRIM_400000_NS6detail17trampoline_kernelINS0_14default_configENS1_22reduce_config_selectorItEEZNS1_11reduce_implILb1ES3_N6thrust23THRUST_200600_302600_NS6detail15normal_iteratorINS8_10device_ptrItEEEEPffNS8_4plusIfEEEE10hipError_tPvRmT1_T2_T3_mT4_P12ihipStream_tbEUlT_E1_NS1_11comp_targetILNS1_3genE0ELNS1_11target_archE4294967295ELNS1_3gpuE0ELNS1_3repE0EEENS1_30default_config_static_selectorELNS0_4arch9wavefront6targetE1EEEvSK_.uses_flat_scratch, 0
	.set _ZN7rocprim17ROCPRIM_400000_NS6detail17trampoline_kernelINS0_14default_configENS1_22reduce_config_selectorItEEZNS1_11reduce_implILb1ES3_N6thrust23THRUST_200600_302600_NS6detail15normal_iteratorINS8_10device_ptrItEEEEPffNS8_4plusIfEEEE10hipError_tPvRmT1_T2_T3_mT4_P12ihipStream_tbEUlT_E1_NS1_11comp_targetILNS1_3genE0ELNS1_11target_archE4294967295ELNS1_3gpuE0ELNS1_3repE0EEENS1_30default_config_static_selectorELNS0_4arch9wavefront6targetE1EEEvSK_.has_dyn_sized_stack, 0
	.set _ZN7rocprim17ROCPRIM_400000_NS6detail17trampoline_kernelINS0_14default_configENS1_22reduce_config_selectorItEEZNS1_11reduce_implILb1ES3_N6thrust23THRUST_200600_302600_NS6detail15normal_iteratorINS8_10device_ptrItEEEEPffNS8_4plusIfEEEE10hipError_tPvRmT1_T2_T3_mT4_P12ihipStream_tbEUlT_E1_NS1_11comp_targetILNS1_3genE0ELNS1_11target_archE4294967295ELNS1_3gpuE0ELNS1_3repE0EEENS1_30default_config_static_selectorELNS0_4arch9wavefront6targetE1EEEvSK_.has_recursion, 0
	.set _ZN7rocprim17ROCPRIM_400000_NS6detail17trampoline_kernelINS0_14default_configENS1_22reduce_config_selectorItEEZNS1_11reduce_implILb1ES3_N6thrust23THRUST_200600_302600_NS6detail15normal_iteratorINS8_10device_ptrItEEEEPffNS8_4plusIfEEEE10hipError_tPvRmT1_T2_T3_mT4_P12ihipStream_tbEUlT_E1_NS1_11comp_targetILNS1_3genE0ELNS1_11target_archE4294967295ELNS1_3gpuE0ELNS1_3repE0EEENS1_30default_config_static_selectorELNS0_4arch9wavefront6targetE1EEEvSK_.has_indirect_call, 0
	.section	.AMDGPU.csdata,"",@progbits
; Kernel info:
; codeLenInByte = 17476
; TotalNumSgprs: 106
; NumVgprs: 67
; NumAgprs: 0
; TotalNumVgprs: 67
; ScratchSize: 0
; MemoryBound: 0
; FloatMode: 240
; IeeeMode: 1
; LDSByteSize: 64 bytes/workgroup (compile time only)
; SGPRBlocks: 13
; VGPRBlocks: 8
; NumSGPRsForWavesPerEU: 106
; NumVGPRsForWavesPerEU: 67
; AccumOffset: 68
; Occupancy: 7
; WaveLimiterHint : 1
; COMPUTE_PGM_RSRC2:SCRATCH_EN: 0
; COMPUTE_PGM_RSRC2:USER_SGPR: 2
; COMPUTE_PGM_RSRC2:TRAP_HANDLER: 0
; COMPUTE_PGM_RSRC2:TGID_X_EN: 1
; COMPUTE_PGM_RSRC2:TGID_Y_EN: 0
; COMPUTE_PGM_RSRC2:TGID_Z_EN: 0
; COMPUTE_PGM_RSRC2:TIDIG_COMP_CNT: 0
; COMPUTE_PGM_RSRC3_GFX90A:ACCUM_OFFSET: 16
; COMPUTE_PGM_RSRC3_GFX90A:TG_SPLIT: 0
	.section	.text._ZN7rocprim17ROCPRIM_400000_NS6detail17trampoline_kernelINS0_14default_configENS1_22reduce_config_selectorItEEZNS1_11reduce_implILb1ES3_N6thrust23THRUST_200600_302600_NS6detail15normal_iteratorINS8_10device_ptrItEEEEPffNS8_4plusIfEEEE10hipError_tPvRmT1_T2_T3_mT4_P12ihipStream_tbEUlT_E1_NS1_11comp_targetILNS1_3genE5ELNS1_11target_archE942ELNS1_3gpuE9ELNS1_3repE0EEENS1_30default_config_static_selectorELNS0_4arch9wavefront6targetE1EEEvSK_,"axG",@progbits,_ZN7rocprim17ROCPRIM_400000_NS6detail17trampoline_kernelINS0_14default_configENS1_22reduce_config_selectorItEEZNS1_11reduce_implILb1ES3_N6thrust23THRUST_200600_302600_NS6detail15normal_iteratorINS8_10device_ptrItEEEEPffNS8_4plusIfEEEE10hipError_tPvRmT1_T2_T3_mT4_P12ihipStream_tbEUlT_E1_NS1_11comp_targetILNS1_3genE5ELNS1_11target_archE942ELNS1_3gpuE9ELNS1_3repE0EEENS1_30default_config_static_selectorELNS0_4arch9wavefront6targetE1EEEvSK_,comdat
	.protected	_ZN7rocprim17ROCPRIM_400000_NS6detail17trampoline_kernelINS0_14default_configENS1_22reduce_config_selectorItEEZNS1_11reduce_implILb1ES3_N6thrust23THRUST_200600_302600_NS6detail15normal_iteratorINS8_10device_ptrItEEEEPffNS8_4plusIfEEEE10hipError_tPvRmT1_T2_T3_mT4_P12ihipStream_tbEUlT_E1_NS1_11comp_targetILNS1_3genE5ELNS1_11target_archE942ELNS1_3gpuE9ELNS1_3repE0EEENS1_30default_config_static_selectorELNS0_4arch9wavefront6targetE1EEEvSK_ ; -- Begin function _ZN7rocprim17ROCPRIM_400000_NS6detail17trampoline_kernelINS0_14default_configENS1_22reduce_config_selectorItEEZNS1_11reduce_implILb1ES3_N6thrust23THRUST_200600_302600_NS6detail15normal_iteratorINS8_10device_ptrItEEEEPffNS8_4plusIfEEEE10hipError_tPvRmT1_T2_T3_mT4_P12ihipStream_tbEUlT_E1_NS1_11comp_targetILNS1_3genE5ELNS1_11target_archE942ELNS1_3gpuE9ELNS1_3repE0EEENS1_30default_config_static_selectorELNS0_4arch9wavefront6targetE1EEEvSK_
	.globl	_ZN7rocprim17ROCPRIM_400000_NS6detail17trampoline_kernelINS0_14default_configENS1_22reduce_config_selectorItEEZNS1_11reduce_implILb1ES3_N6thrust23THRUST_200600_302600_NS6detail15normal_iteratorINS8_10device_ptrItEEEEPffNS8_4plusIfEEEE10hipError_tPvRmT1_T2_T3_mT4_P12ihipStream_tbEUlT_E1_NS1_11comp_targetILNS1_3genE5ELNS1_11target_archE942ELNS1_3gpuE9ELNS1_3repE0EEENS1_30default_config_static_selectorELNS0_4arch9wavefront6targetE1EEEvSK_
	.p2align	8
	.type	_ZN7rocprim17ROCPRIM_400000_NS6detail17trampoline_kernelINS0_14default_configENS1_22reduce_config_selectorItEEZNS1_11reduce_implILb1ES3_N6thrust23THRUST_200600_302600_NS6detail15normal_iteratorINS8_10device_ptrItEEEEPffNS8_4plusIfEEEE10hipError_tPvRmT1_T2_T3_mT4_P12ihipStream_tbEUlT_E1_NS1_11comp_targetILNS1_3genE5ELNS1_11target_archE942ELNS1_3gpuE9ELNS1_3repE0EEENS1_30default_config_static_selectorELNS0_4arch9wavefront6targetE1EEEvSK_,@function
_ZN7rocprim17ROCPRIM_400000_NS6detail17trampoline_kernelINS0_14default_configENS1_22reduce_config_selectorItEEZNS1_11reduce_implILb1ES3_N6thrust23THRUST_200600_302600_NS6detail15normal_iteratorINS8_10device_ptrItEEEEPffNS8_4plusIfEEEE10hipError_tPvRmT1_T2_T3_mT4_P12ihipStream_tbEUlT_E1_NS1_11comp_targetILNS1_3genE5ELNS1_11target_archE942ELNS1_3gpuE9ELNS1_3repE0EEENS1_30default_config_static_selectorELNS0_4arch9wavefront6targetE1EEEvSK_: ; @_ZN7rocprim17ROCPRIM_400000_NS6detail17trampoline_kernelINS0_14default_configENS1_22reduce_config_selectorItEEZNS1_11reduce_implILb1ES3_N6thrust23THRUST_200600_302600_NS6detail15normal_iteratorINS8_10device_ptrItEEEEPffNS8_4plusIfEEEE10hipError_tPvRmT1_T2_T3_mT4_P12ihipStream_tbEUlT_E1_NS1_11comp_targetILNS1_3genE5ELNS1_11target_archE942ELNS1_3gpuE9ELNS1_3repE0EEENS1_30default_config_static_selectorELNS0_4arch9wavefront6targetE1EEEvSK_
; %bb.0:
	.section	.rodata,"a",@progbits
	.p2align	6, 0x0
	.amdhsa_kernel _ZN7rocprim17ROCPRIM_400000_NS6detail17trampoline_kernelINS0_14default_configENS1_22reduce_config_selectorItEEZNS1_11reduce_implILb1ES3_N6thrust23THRUST_200600_302600_NS6detail15normal_iteratorINS8_10device_ptrItEEEEPffNS8_4plusIfEEEE10hipError_tPvRmT1_T2_T3_mT4_P12ihipStream_tbEUlT_E1_NS1_11comp_targetILNS1_3genE5ELNS1_11target_archE942ELNS1_3gpuE9ELNS1_3repE0EEENS1_30default_config_static_selectorELNS0_4arch9wavefront6targetE1EEEvSK_
		.amdhsa_group_segment_fixed_size 0
		.amdhsa_private_segment_fixed_size 0
		.amdhsa_kernarg_size 40
		.amdhsa_user_sgpr_count 2
		.amdhsa_user_sgpr_dispatch_ptr 0
		.amdhsa_user_sgpr_queue_ptr 0
		.amdhsa_user_sgpr_kernarg_segment_ptr 1
		.amdhsa_user_sgpr_dispatch_id 0
		.amdhsa_user_sgpr_kernarg_preload_length 0
		.amdhsa_user_sgpr_kernarg_preload_offset 0
		.amdhsa_user_sgpr_private_segment_size 0
		.amdhsa_uses_dynamic_stack 0
		.amdhsa_enable_private_segment 0
		.amdhsa_system_sgpr_workgroup_id_x 1
		.amdhsa_system_sgpr_workgroup_id_y 0
		.amdhsa_system_sgpr_workgroup_id_z 0
		.amdhsa_system_sgpr_workgroup_info 0
		.amdhsa_system_vgpr_workitem_id 0
		.amdhsa_next_free_vgpr 1
		.amdhsa_next_free_sgpr 0
		.amdhsa_accum_offset 4
		.amdhsa_reserve_vcc 0
		.amdhsa_float_round_mode_32 0
		.amdhsa_float_round_mode_16_64 0
		.amdhsa_float_denorm_mode_32 3
		.amdhsa_float_denorm_mode_16_64 3
		.amdhsa_dx10_clamp 1
		.amdhsa_ieee_mode 1
		.amdhsa_fp16_overflow 0
		.amdhsa_tg_split 0
		.amdhsa_exception_fp_ieee_invalid_op 0
		.amdhsa_exception_fp_denorm_src 0
		.amdhsa_exception_fp_ieee_div_zero 0
		.amdhsa_exception_fp_ieee_overflow 0
		.amdhsa_exception_fp_ieee_underflow 0
		.amdhsa_exception_fp_ieee_inexact 0
		.amdhsa_exception_int_div_zero 0
	.end_amdhsa_kernel
	.section	.text._ZN7rocprim17ROCPRIM_400000_NS6detail17trampoline_kernelINS0_14default_configENS1_22reduce_config_selectorItEEZNS1_11reduce_implILb1ES3_N6thrust23THRUST_200600_302600_NS6detail15normal_iteratorINS8_10device_ptrItEEEEPffNS8_4plusIfEEEE10hipError_tPvRmT1_T2_T3_mT4_P12ihipStream_tbEUlT_E1_NS1_11comp_targetILNS1_3genE5ELNS1_11target_archE942ELNS1_3gpuE9ELNS1_3repE0EEENS1_30default_config_static_selectorELNS0_4arch9wavefront6targetE1EEEvSK_,"axG",@progbits,_ZN7rocprim17ROCPRIM_400000_NS6detail17trampoline_kernelINS0_14default_configENS1_22reduce_config_selectorItEEZNS1_11reduce_implILb1ES3_N6thrust23THRUST_200600_302600_NS6detail15normal_iteratorINS8_10device_ptrItEEEEPffNS8_4plusIfEEEE10hipError_tPvRmT1_T2_T3_mT4_P12ihipStream_tbEUlT_E1_NS1_11comp_targetILNS1_3genE5ELNS1_11target_archE942ELNS1_3gpuE9ELNS1_3repE0EEENS1_30default_config_static_selectorELNS0_4arch9wavefront6targetE1EEEvSK_,comdat
.Lfunc_end451:
	.size	_ZN7rocprim17ROCPRIM_400000_NS6detail17trampoline_kernelINS0_14default_configENS1_22reduce_config_selectorItEEZNS1_11reduce_implILb1ES3_N6thrust23THRUST_200600_302600_NS6detail15normal_iteratorINS8_10device_ptrItEEEEPffNS8_4plusIfEEEE10hipError_tPvRmT1_T2_T3_mT4_P12ihipStream_tbEUlT_E1_NS1_11comp_targetILNS1_3genE5ELNS1_11target_archE942ELNS1_3gpuE9ELNS1_3repE0EEENS1_30default_config_static_selectorELNS0_4arch9wavefront6targetE1EEEvSK_, .Lfunc_end451-_ZN7rocprim17ROCPRIM_400000_NS6detail17trampoline_kernelINS0_14default_configENS1_22reduce_config_selectorItEEZNS1_11reduce_implILb1ES3_N6thrust23THRUST_200600_302600_NS6detail15normal_iteratorINS8_10device_ptrItEEEEPffNS8_4plusIfEEEE10hipError_tPvRmT1_T2_T3_mT4_P12ihipStream_tbEUlT_E1_NS1_11comp_targetILNS1_3genE5ELNS1_11target_archE942ELNS1_3gpuE9ELNS1_3repE0EEENS1_30default_config_static_selectorELNS0_4arch9wavefront6targetE1EEEvSK_
                                        ; -- End function
	.set _ZN7rocprim17ROCPRIM_400000_NS6detail17trampoline_kernelINS0_14default_configENS1_22reduce_config_selectorItEEZNS1_11reduce_implILb1ES3_N6thrust23THRUST_200600_302600_NS6detail15normal_iteratorINS8_10device_ptrItEEEEPffNS8_4plusIfEEEE10hipError_tPvRmT1_T2_T3_mT4_P12ihipStream_tbEUlT_E1_NS1_11comp_targetILNS1_3genE5ELNS1_11target_archE942ELNS1_3gpuE9ELNS1_3repE0EEENS1_30default_config_static_selectorELNS0_4arch9wavefront6targetE1EEEvSK_.num_vgpr, 0
	.set _ZN7rocprim17ROCPRIM_400000_NS6detail17trampoline_kernelINS0_14default_configENS1_22reduce_config_selectorItEEZNS1_11reduce_implILb1ES3_N6thrust23THRUST_200600_302600_NS6detail15normal_iteratorINS8_10device_ptrItEEEEPffNS8_4plusIfEEEE10hipError_tPvRmT1_T2_T3_mT4_P12ihipStream_tbEUlT_E1_NS1_11comp_targetILNS1_3genE5ELNS1_11target_archE942ELNS1_3gpuE9ELNS1_3repE0EEENS1_30default_config_static_selectorELNS0_4arch9wavefront6targetE1EEEvSK_.num_agpr, 0
	.set _ZN7rocprim17ROCPRIM_400000_NS6detail17trampoline_kernelINS0_14default_configENS1_22reduce_config_selectorItEEZNS1_11reduce_implILb1ES3_N6thrust23THRUST_200600_302600_NS6detail15normal_iteratorINS8_10device_ptrItEEEEPffNS8_4plusIfEEEE10hipError_tPvRmT1_T2_T3_mT4_P12ihipStream_tbEUlT_E1_NS1_11comp_targetILNS1_3genE5ELNS1_11target_archE942ELNS1_3gpuE9ELNS1_3repE0EEENS1_30default_config_static_selectorELNS0_4arch9wavefront6targetE1EEEvSK_.numbered_sgpr, 0
	.set _ZN7rocprim17ROCPRIM_400000_NS6detail17trampoline_kernelINS0_14default_configENS1_22reduce_config_selectorItEEZNS1_11reduce_implILb1ES3_N6thrust23THRUST_200600_302600_NS6detail15normal_iteratorINS8_10device_ptrItEEEEPffNS8_4plusIfEEEE10hipError_tPvRmT1_T2_T3_mT4_P12ihipStream_tbEUlT_E1_NS1_11comp_targetILNS1_3genE5ELNS1_11target_archE942ELNS1_3gpuE9ELNS1_3repE0EEENS1_30default_config_static_selectorELNS0_4arch9wavefront6targetE1EEEvSK_.num_named_barrier, 0
	.set _ZN7rocprim17ROCPRIM_400000_NS6detail17trampoline_kernelINS0_14default_configENS1_22reduce_config_selectorItEEZNS1_11reduce_implILb1ES3_N6thrust23THRUST_200600_302600_NS6detail15normal_iteratorINS8_10device_ptrItEEEEPffNS8_4plusIfEEEE10hipError_tPvRmT1_T2_T3_mT4_P12ihipStream_tbEUlT_E1_NS1_11comp_targetILNS1_3genE5ELNS1_11target_archE942ELNS1_3gpuE9ELNS1_3repE0EEENS1_30default_config_static_selectorELNS0_4arch9wavefront6targetE1EEEvSK_.private_seg_size, 0
	.set _ZN7rocprim17ROCPRIM_400000_NS6detail17trampoline_kernelINS0_14default_configENS1_22reduce_config_selectorItEEZNS1_11reduce_implILb1ES3_N6thrust23THRUST_200600_302600_NS6detail15normal_iteratorINS8_10device_ptrItEEEEPffNS8_4plusIfEEEE10hipError_tPvRmT1_T2_T3_mT4_P12ihipStream_tbEUlT_E1_NS1_11comp_targetILNS1_3genE5ELNS1_11target_archE942ELNS1_3gpuE9ELNS1_3repE0EEENS1_30default_config_static_selectorELNS0_4arch9wavefront6targetE1EEEvSK_.uses_vcc, 0
	.set _ZN7rocprim17ROCPRIM_400000_NS6detail17trampoline_kernelINS0_14default_configENS1_22reduce_config_selectorItEEZNS1_11reduce_implILb1ES3_N6thrust23THRUST_200600_302600_NS6detail15normal_iteratorINS8_10device_ptrItEEEEPffNS8_4plusIfEEEE10hipError_tPvRmT1_T2_T3_mT4_P12ihipStream_tbEUlT_E1_NS1_11comp_targetILNS1_3genE5ELNS1_11target_archE942ELNS1_3gpuE9ELNS1_3repE0EEENS1_30default_config_static_selectorELNS0_4arch9wavefront6targetE1EEEvSK_.uses_flat_scratch, 0
	.set _ZN7rocprim17ROCPRIM_400000_NS6detail17trampoline_kernelINS0_14default_configENS1_22reduce_config_selectorItEEZNS1_11reduce_implILb1ES3_N6thrust23THRUST_200600_302600_NS6detail15normal_iteratorINS8_10device_ptrItEEEEPffNS8_4plusIfEEEE10hipError_tPvRmT1_T2_T3_mT4_P12ihipStream_tbEUlT_E1_NS1_11comp_targetILNS1_3genE5ELNS1_11target_archE942ELNS1_3gpuE9ELNS1_3repE0EEENS1_30default_config_static_selectorELNS0_4arch9wavefront6targetE1EEEvSK_.has_dyn_sized_stack, 0
	.set _ZN7rocprim17ROCPRIM_400000_NS6detail17trampoline_kernelINS0_14default_configENS1_22reduce_config_selectorItEEZNS1_11reduce_implILb1ES3_N6thrust23THRUST_200600_302600_NS6detail15normal_iteratorINS8_10device_ptrItEEEEPffNS8_4plusIfEEEE10hipError_tPvRmT1_T2_T3_mT4_P12ihipStream_tbEUlT_E1_NS1_11comp_targetILNS1_3genE5ELNS1_11target_archE942ELNS1_3gpuE9ELNS1_3repE0EEENS1_30default_config_static_selectorELNS0_4arch9wavefront6targetE1EEEvSK_.has_recursion, 0
	.set _ZN7rocprim17ROCPRIM_400000_NS6detail17trampoline_kernelINS0_14default_configENS1_22reduce_config_selectorItEEZNS1_11reduce_implILb1ES3_N6thrust23THRUST_200600_302600_NS6detail15normal_iteratorINS8_10device_ptrItEEEEPffNS8_4plusIfEEEE10hipError_tPvRmT1_T2_T3_mT4_P12ihipStream_tbEUlT_E1_NS1_11comp_targetILNS1_3genE5ELNS1_11target_archE942ELNS1_3gpuE9ELNS1_3repE0EEENS1_30default_config_static_selectorELNS0_4arch9wavefront6targetE1EEEvSK_.has_indirect_call, 0
	.section	.AMDGPU.csdata,"",@progbits
; Kernel info:
; codeLenInByte = 0
; TotalNumSgprs: 6
; NumVgprs: 0
; NumAgprs: 0
; TotalNumVgprs: 0
; ScratchSize: 0
; MemoryBound: 0
; FloatMode: 240
; IeeeMode: 1
; LDSByteSize: 0 bytes/workgroup (compile time only)
; SGPRBlocks: 0
; VGPRBlocks: 0
; NumSGPRsForWavesPerEU: 6
; NumVGPRsForWavesPerEU: 1
; AccumOffset: 4
; Occupancy: 8
; WaveLimiterHint : 0
; COMPUTE_PGM_RSRC2:SCRATCH_EN: 0
; COMPUTE_PGM_RSRC2:USER_SGPR: 2
; COMPUTE_PGM_RSRC2:TRAP_HANDLER: 0
; COMPUTE_PGM_RSRC2:TGID_X_EN: 1
; COMPUTE_PGM_RSRC2:TGID_Y_EN: 0
; COMPUTE_PGM_RSRC2:TGID_Z_EN: 0
; COMPUTE_PGM_RSRC2:TIDIG_COMP_CNT: 0
; COMPUTE_PGM_RSRC3_GFX90A:ACCUM_OFFSET: 0
; COMPUTE_PGM_RSRC3_GFX90A:TG_SPLIT: 0
	.section	.text._ZN7rocprim17ROCPRIM_400000_NS6detail17trampoline_kernelINS0_14default_configENS1_22reduce_config_selectorItEEZNS1_11reduce_implILb1ES3_N6thrust23THRUST_200600_302600_NS6detail15normal_iteratorINS8_10device_ptrItEEEEPffNS8_4plusIfEEEE10hipError_tPvRmT1_T2_T3_mT4_P12ihipStream_tbEUlT_E1_NS1_11comp_targetILNS1_3genE4ELNS1_11target_archE910ELNS1_3gpuE8ELNS1_3repE0EEENS1_30default_config_static_selectorELNS0_4arch9wavefront6targetE1EEEvSK_,"axG",@progbits,_ZN7rocprim17ROCPRIM_400000_NS6detail17trampoline_kernelINS0_14default_configENS1_22reduce_config_selectorItEEZNS1_11reduce_implILb1ES3_N6thrust23THRUST_200600_302600_NS6detail15normal_iteratorINS8_10device_ptrItEEEEPffNS8_4plusIfEEEE10hipError_tPvRmT1_T2_T3_mT4_P12ihipStream_tbEUlT_E1_NS1_11comp_targetILNS1_3genE4ELNS1_11target_archE910ELNS1_3gpuE8ELNS1_3repE0EEENS1_30default_config_static_selectorELNS0_4arch9wavefront6targetE1EEEvSK_,comdat
	.protected	_ZN7rocprim17ROCPRIM_400000_NS6detail17trampoline_kernelINS0_14default_configENS1_22reduce_config_selectorItEEZNS1_11reduce_implILb1ES3_N6thrust23THRUST_200600_302600_NS6detail15normal_iteratorINS8_10device_ptrItEEEEPffNS8_4plusIfEEEE10hipError_tPvRmT1_T2_T3_mT4_P12ihipStream_tbEUlT_E1_NS1_11comp_targetILNS1_3genE4ELNS1_11target_archE910ELNS1_3gpuE8ELNS1_3repE0EEENS1_30default_config_static_selectorELNS0_4arch9wavefront6targetE1EEEvSK_ ; -- Begin function _ZN7rocprim17ROCPRIM_400000_NS6detail17trampoline_kernelINS0_14default_configENS1_22reduce_config_selectorItEEZNS1_11reduce_implILb1ES3_N6thrust23THRUST_200600_302600_NS6detail15normal_iteratorINS8_10device_ptrItEEEEPffNS8_4plusIfEEEE10hipError_tPvRmT1_T2_T3_mT4_P12ihipStream_tbEUlT_E1_NS1_11comp_targetILNS1_3genE4ELNS1_11target_archE910ELNS1_3gpuE8ELNS1_3repE0EEENS1_30default_config_static_selectorELNS0_4arch9wavefront6targetE1EEEvSK_
	.globl	_ZN7rocprim17ROCPRIM_400000_NS6detail17trampoline_kernelINS0_14default_configENS1_22reduce_config_selectorItEEZNS1_11reduce_implILb1ES3_N6thrust23THRUST_200600_302600_NS6detail15normal_iteratorINS8_10device_ptrItEEEEPffNS8_4plusIfEEEE10hipError_tPvRmT1_T2_T3_mT4_P12ihipStream_tbEUlT_E1_NS1_11comp_targetILNS1_3genE4ELNS1_11target_archE910ELNS1_3gpuE8ELNS1_3repE0EEENS1_30default_config_static_selectorELNS0_4arch9wavefront6targetE1EEEvSK_
	.p2align	8
	.type	_ZN7rocprim17ROCPRIM_400000_NS6detail17trampoline_kernelINS0_14default_configENS1_22reduce_config_selectorItEEZNS1_11reduce_implILb1ES3_N6thrust23THRUST_200600_302600_NS6detail15normal_iteratorINS8_10device_ptrItEEEEPffNS8_4plusIfEEEE10hipError_tPvRmT1_T2_T3_mT4_P12ihipStream_tbEUlT_E1_NS1_11comp_targetILNS1_3genE4ELNS1_11target_archE910ELNS1_3gpuE8ELNS1_3repE0EEENS1_30default_config_static_selectorELNS0_4arch9wavefront6targetE1EEEvSK_,@function
_ZN7rocprim17ROCPRIM_400000_NS6detail17trampoline_kernelINS0_14default_configENS1_22reduce_config_selectorItEEZNS1_11reduce_implILb1ES3_N6thrust23THRUST_200600_302600_NS6detail15normal_iteratorINS8_10device_ptrItEEEEPffNS8_4plusIfEEEE10hipError_tPvRmT1_T2_T3_mT4_P12ihipStream_tbEUlT_E1_NS1_11comp_targetILNS1_3genE4ELNS1_11target_archE910ELNS1_3gpuE8ELNS1_3repE0EEENS1_30default_config_static_selectorELNS0_4arch9wavefront6targetE1EEEvSK_: ; @_ZN7rocprim17ROCPRIM_400000_NS6detail17trampoline_kernelINS0_14default_configENS1_22reduce_config_selectorItEEZNS1_11reduce_implILb1ES3_N6thrust23THRUST_200600_302600_NS6detail15normal_iteratorINS8_10device_ptrItEEEEPffNS8_4plusIfEEEE10hipError_tPvRmT1_T2_T3_mT4_P12ihipStream_tbEUlT_E1_NS1_11comp_targetILNS1_3genE4ELNS1_11target_archE910ELNS1_3gpuE8ELNS1_3repE0EEENS1_30default_config_static_selectorELNS0_4arch9wavefront6targetE1EEEvSK_
; %bb.0:
	.section	.rodata,"a",@progbits
	.p2align	6, 0x0
	.amdhsa_kernel _ZN7rocprim17ROCPRIM_400000_NS6detail17trampoline_kernelINS0_14default_configENS1_22reduce_config_selectorItEEZNS1_11reduce_implILb1ES3_N6thrust23THRUST_200600_302600_NS6detail15normal_iteratorINS8_10device_ptrItEEEEPffNS8_4plusIfEEEE10hipError_tPvRmT1_T2_T3_mT4_P12ihipStream_tbEUlT_E1_NS1_11comp_targetILNS1_3genE4ELNS1_11target_archE910ELNS1_3gpuE8ELNS1_3repE0EEENS1_30default_config_static_selectorELNS0_4arch9wavefront6targetE1EEEvSK_
		.amdhsa_group_segment_fixed_size 0
		.amdhsa_private_segment_fixed_size 0
		.amdhsa_kernarg_size 40
		.amdhsa_user_sgpr_count 2
		.amdhsa_user_sgpr_dispatch_ptr 0
		.amdhsa_user_sgpr_queue_ptr 0
		.amdhsa_user_sgpr_kernarg_segment_ptr 1
		.amdhsa_user_sgpr_dispatch_id 0
		.amdhsa_user_sgpr_kernarg_preload_length 0
		.amdhsa_user_sgpr_kernarg_preload_offset 0
		.amdhsa_user_sgpr_private_segment_size 0
		.amdhsa_uses_dynamic_stack 0
		.amdhsa_enable_private_segment 0
		.amdhsa_system_sgpr_workgroup_id_x 1
		.amdhsa_system_sgpr_workgroup_id_y 0
		.amdhsa_system_sgpr_workgroup_id_z 0
		.amdhsa_system_sgpr_workgroup_info 0
		.amdhsa_system_vgpr_workitem_id 0
		.amdhsa_next_free_vgpr 1
		.amdhsa_next_free_sgpr 0
		.amdhsa_accum_offset 4
		.amdhsa_reserve_vcc 0
		.amdhsa_float_round_mode_32 0
		.amdhsa_float_round_mode_16_64 0
		.amdhsa_float_denorm_mode_32 3
		.amdhsa_float_denorm_mode_16_64 3
		.amdhsa_dx10_clamp 1
		.amdhsa_ieee_mode 1
		.amdhsa_fp16_overflow 0
		.amdhsa_tg_split 0
		.amdhsa_exception_fp_ieee_invalid_op 0
		.amdhsa_exception_fp_denorm_src 0
		.amdhsa_exception_fp_ieee_div_zero 0
		.amdhsa_exception_fp_ieee_overflow 0
		.amdhsa_exception_fp_ieee_underflow 0
		.amdhsa_exception_fp_ieee_inexact 0
		.amdhsa_exception_int_div_zero 0
	.end_amdhsa_kernel
	.section	.text._ZN7rocprim17ROCPRIM_400000_NS6detail17trampoline_kernelINS0_14default_configENS1_22reduce_config_selectorItEEZNS1_11reduce_implILb1ES3_N6thrust23THRUST_200600_302600_NS6detail15normal_iteratorINS8_10device_ptrItEEEEPffNS8_4plusIfEEEE10hipError_tPvRmT1_T2_T3_mT4_P12ihipStream_tbEUlT_E1_NS1_11comp_targetILNS1_3genE4ELNS1_11target_archE910ELNS1_3gpuE8ELNS1_3repE0EEENS1_30default_config_static_selectorELNS0_4arch9wavefront6targetE1EEEvSK_,"axG",@progbits,_ZN7rocprim17ROCPRIM_400000_NS6detail17trampoline_kernelINS0_14default_configENS1_22reduce_config_selectorItEEZNS1_11reduce_implILb1ES3_N6thrust23THRUST_200600_302600_NS6detail15normal_iteratorINS8_10device_ptrItEEEEPffNS8_4plusIfEEEE10hipError_tPvRmT1_T2_T3_mT4_P12ihipStream_tbEUlT_E1_NS1_11comp_targetILNS1_3genE4ELNS1_11target_archE910ELNS1_3gpuE8ELNS1_3repE0EEENS1_30default_config_static_selectorELNS0_4arch9wavefront6targetE1EEEvSK_,comdat
.Lfunc_end452:
	.size	_ZN7rocprim17ROCPRIM_400000_NS6detail17trampoline_kernelINS0_14default_configENS1_22reduce_config_selectorItEEZNS1_11reduce_implILb1ES3_N6thrust23THRUST_200600_302600_NS6detail15normal_iteratorINS8_10device_ptrItEEEEPffNS8_4plusIfEEEE10hipError_tPvRmT1_T2_T3_mT4_P12ihipStream_tbEUlT_E1_NS1_11comp_targetILNS1_3genE4ELNS1_11target_archE910ELNS1_3gpuE8ELNS1_3repE0EEENS1_30default_config_static_selectorELNS0_4arch9wavefront6targetE1EEEvSK_, .Lfunc_end452-_ZN7rocprim17ROCPRIM_400000_NS6detail17trampoline_kernelINS0_14default_configENS1_22reduce_config_selectorItEEZNS1_11reduce_implILb1ES3_N6thrust23THRUST_200600_302600_NS6detail15normal_iteratorINS8_10device_ptrItEEEEPffNS8_4plusIfEEEE10hipError_tPvRmT1_T2_T3_mT4_P12ihipStream_tbEUlT_E1_NS1_11comp_targetILNS1_3genE4ELNS1_11target_archE910ELNS1_3gpuE8ELNS1_3repE0EEENS1_30default_config_static_selectorELNS0_4arch9wavefront6targetE1EEEvSK_
                                        ; -- End function
	.set _ZN7rocprim17ROCPRIM_400000_NS6detail17trampoline_kernelINS0_14default_configENS1_22reduce_config_selectorItEEZNS1_11reduce_implILb1ES3_N6thrust23THRUST_200600_302600_NS6detail15normal_iteratorINS8_10device_ptrItEEEEPffNS8_4plusIfEEEE10hipError_tPvRmT1_T2_T3_mT4_P12ihipStream_tbEUlT_E1_NS1_11comp_targetILNS1_3genE4ELNS1_11target_archE910ELNS1_3gpuE8ELNS1_3repE0EEENS1_30default_config_static_selectorELNS0_4arch9wavefront6targetE1EEEvSK_.num_vgpr, 0
	.set _ZN7rocprim17ROCPRIM_400000_NS6detail17trampoline_kernelINS0_14default_configENS1_22reduce_config_selectorItEEZNS1_11reduce_implILb1ES3_N6thrust23THRUST_200600_302600_NS6detail15normal_iteratorINS8_10device_ptrItEEEEPffNS8_4plusIfEEEE10hipError_tPvRmT1_T2_T3_mT4_P12ihipStream_tbEUlT_E1_NS1_11comp_targetILNS1_3genE4ELNS1_11target_archE910ELNS1_3gpuE8ELNS1_3repE0EEENS1_30default_config_static_selectorELNS0_4arch9wavefront6targetE1EEEvSK_.num_agpr, 0
	.set _ZN7rocprim17ROCPRIM_400000_NS6detail17trampoline_kernelINS0_14default_configENS1_22reduce_config_selectorItEEZNS1_11reduce_implILb1ES3_N6thrust23THRUST_200600_302600_NS6detail15normal_iteratorINS8_10device_ptrItEEEEPffNS8_4plusIfEEEE10hipError_tPvRmT1_T2_T3_mT4_P12ihipStream_tbEUlT_E1_NS1_11comp_targetILNS1_3genE4ELNS1_11target_archE910ELNS1_3gpuE8ELNS1_3repE0EEENS1_30default_config_static_selectorELNS0_4arch9wavefront6targetE1EEEvSK_.numbered_sgpr, 0
	.set _ZN7rocprim17ROCPRIM_400000_NS6detail17trampoline_kernelINS0_14default_configENS1_22reduce_config_selectorItEEZNS1_11reduce_implILb1ES3_N6thrust23THRUST_200600_302600_NS6detail15normal_iteratorINS8_10device_ptrItEEEEPffNS8_4plusIfEEEE10hipError_tPvRmT1_T2_T3_mT4_P12ihipStream_tbEUlT_E1_NS1_11comp_targetILNS1_3genE4ELNS1_11target_archE910ELNS1_3gpuE8ELNS1_3repE0EEENS1_30default_config_static_selectorELNS0_4arch9wavefront6targetE1EEEvSK_.num_named_barrier, 0
	.set _ZN7rocprim17ROCPRIM_400000_NS6detail17trampoline_kernelINS0_14default_configENS1_22reduce_config_selectorItEEZNS1_11reduce_implILb1ES3_N6thrust23THRUST_200600_302600_NS6detail15normal_iteratorINS8_10device_ptrItEEEEPffNS8_4plusIfEEEE10hipError_tPvRmT1_T2_T3_mT4_P12ihipStream_tbEUlT_E1_NS1_11comp_targetILNS1_3genE4ELNS1_11target_archE910ELNS1_3gpuE8ELNS1_3repE0EEENS1_30default_config_static_selectorELNS0_4arch9wavefront6targetE1EEEvSK_.private_seg_size, 0
	.set _ZN7rocprim17ROCPRIM_400000_NS6detail17trampoline_kernelINS0_14default_configENS1_22reduce_config_selectorItEEZNS1_11reduce_implILb1ES3_N6thrust23THRUST_200600_302600_NS6detail15normal_iteratorINS8_10device_ptrItEEEEPffNS8_4plusIfEEEE10hipError_tPvRmT1_T2_T3_mT4_P12ihipStream_tbEUlT_E1_NS1_11comp_targetILNS1_3genE4ELNS1_11target_archE910ELNS1_3gpuE8ELNS1_3repE0EEENS1_30default_config_static_selectorELNS0_4arch9wavefront6targetE1EEEvSK_.uses_vcc, 0
	.set _ZN7rocprim17ROCPRIM_400000_NS6detail17trampoline_kernelINS0_14default_configENS1_22reduce_config_selectorItEEZNS1_11reduce_implILb1ES3_N6thrust23THRUST_200600_302600_NS6detail15normal_iteratorINS8_10device_ptrItEEEEPffNS8_4plusIfEEEE10hipError_tPvRmT1_T2_T3_mT4_P12ihipStream_tbEUlT_E1_NS1_11comp_targetILNS1_3genE4ELNS1_11target_archE910ELNS1_3gpuE8ELNS1_3repE0EEENS1_30default_config_static_selectorELNS0_4arch9wavefront6targetE1EEEvSK_.uses_flat_scratch, 0
	.set _ZN7rocprim17ROCPRIM_400000_NS6detail17trampoline_kernelINS0_14default_configENS1_22reduce_config_selectorItEEZNS1_11reduce_implILb1ES3_N6thrust23THRUST_200600_302600_NS6detail15normal_iteratorINS8_10device_ptrItEEEEPffNS8_4plusIfEEEE10hipError_tPvRmT1_T2_T3_mT4_P12ihipStream_tbEUlT_E1_NS1_11comp_targetILNS1_3genE4ELNS1_11target_archE910ELNS1_3gpuE8ELNS1_3repE0EEENS1_30default_config_static_selectorELNS0_4arch9wavefront6targetE1EEEvSK_.has_dyn_sized_stack, 0
	.set _ZN7rocprim17ROCPRIM_400000_NS6detail17trampoline_kernelINS0_14default_configENS1_22reduce_config_selectorItEEZNS1_11reduce_implILb1ES3_N6thrust23THRUST_200600_302600_NS6detail15normal_iteratorINS8_10device_ptrItEEEEPffNS8_4plusIfEEEE10hipError_tPvRmT1_T2_T3_mT4_P12ihipStream_tbEUlT_E1_NS1_11comp_targetILNS1_3genE4ELNS1_11target_archE910ELNS1_3gpuE8ELNS1_3repE0EEENS1_30default_config_static_selectorELNS0_4arch9wavefront6targetE1EEEvSK_.has_recursion, 0
	.set _ZN7rocprim17ROCPRIM_400000_NS6detail17trampoline_kernelINS0_14default_configENS1_22reduce_config_selectorItEEZNS1_11reduce_implILb1ES3_N6thrust23THRUST_200600_302600_NS6detail15normal_iteratorINS8_10device_ptrItEEEEPffNS8_4plusIfEEEE10hipError_tPvRmT1_T2_T3_mT4_P12ihipStream_tbEUlT_E1_NS1_11comp_targetILNS1_3genE4ELNS1_11target_archE910ELNS1_3gpuE8ELNS1_3repE0EEENS1_30default_config_static_selectorELNS0_4arch9wavefront6targetE1EEEvSK_.has_indirect_call, 0
	.section	.AMDGPU.csdata,"",@progbits
; Kernel info:
; codeLenInByte = 0
; TotalNumSgprs: 6
; NumVgprs: 0
; NumAgprs: 0
; TotalNumVgprs: 0
; ScratchSize: 0
; MemoryBound: 0
; FloatMode: 240
; IeeeMode: 1
; LDSByteSize: 0 bytes/workgroup (compile time only)
; SGPRBlocks: 0
; VGPRBlocks: 0
; NumSGPRsForWavesPerEU: 6
; NumVGPRsForWavesPerEU: 1
; AccumOffset: 4
; Occupancy: 8
; WaveLimiterHint : 0
; COMPUTE_PGM_RSRC2:SCRATCH_EN: 0
; COMPUTE_PGM_RSRC2:USER_SGPR: 2
; COMPUTE_PGM_RSRC2:TRAP_HANDLER: 0
; COMPUTE_PGM_RSRC2:TGID_X_EN: 1
; COMPUTE_PGM_RSRC2:TGID_Y_EN: 0
; COMPUTE_PGM_RSRC2:TGID_Z_EN: 0
; COMPUTE_PGM_RSRC2:TIDIG_COMP_CNT: 0
; COMPUTE_PGM_RSRC3_GFX90A:ACCUM_OFFSET: 0
; COMPUTE_PGM_RSRC3_GFX90A:TG_SPLIT: 0
	.section	.text._ZN7rocprim17ROCPRIM_400000_NS6detail17trampoline_kernelINS0_14default_configENS1_22reduce_config_selectorItEEZNS1_11reduce_implILb1ES3_N6thrust23THRUST_200600_302600_NS6detail15normal_iteratorINS8_10device_ptrItEEEEPffNS8_4plusIfEEEE10hipError_tPvRmT1_T2_T3_mT4_P12ihipStream_tbEUlT_E1_NS1_11comp_targetILNS1_3genE3ELNS1_11target_archE908ELNS1_3gpuE7ELNS1_3repE0EEENS1_30default_config_static_selectorELNS0_4arch9wavefront6targetE1EEEvSK_,"axG",@progbits,_ZN7rocprim17ROCPRIM_400000_NS6detail17trampoline_kernelINS0_14default_configENS1_22reduce_config_selectorItEEZNS1_11reduce_implILb1ES3_N6thrust23THRUST_200600_302600_NS6detail15normal_iteratorINS8_10device_ptrItEEEEPffNS8_4plusIfEEEE10hipError_tPvRmT1_T2_T3_mT4_P12ihipStream_tbEUlT_E1_NS1_11comp_targetILNS1_3genE3ELNS1_11target_archE908ELNS1_3gpuE7ELNS1_3repE0EEENS1_30default_config_static_selectorELNS0_4arch9wavefront6targetE1EEEvSK_,comdat
	.protected	_ZN7rocprim17ROCPRIM_400000_NS6detail17trampoline_kernelINS0_14default_configENS1_22reduce_config_selectorItEEZNS1_11reduce_implILb1ES3_N6thrust23THRUST_200600_302600_NS6detail15normal_iteratorINS8_10device_ptrItEEEEPffNS8_4plusIfEEEE10hipError_tPvRmT1_T2_T3_mT4_P12ihipStream_tbEUlT_E1_NS1_11comp_targetILNS1_3genE3ELNS1_11target_archE908ELNS1_3gpuE7ELNS1_3repE0EEENS1_30default_config_static_selectorELNS0_4arch9wavefront6targetE1EEEvSK_ ; -- Begin function _ZN7rocprim17ROCPRIM_400000_NS6detail17trampoline_kernelINS0_14default_configENS1_22reduce_config_selectorItEEZNS1_11reduce_implILb1ES3_N6thrust23THRUST_200600_302600_NS6detail15normal_iteratorINS8_10device_ptrItEEEEPffNS8_4plusIfEEEE10hipError_tPvRmT1_T2_T3_mT4_P12ihipStream_tbEUlT_E1_NS1_11comp_targetILNS1_3genE3ELNS1_11target_archE908ELNS1_3gpuE7ELNS1_3repE0EEENS1_30default_config_static_selectorELNS0_4arch9wavefront6targetE1EEEvSK_
	.globl	_ZN7rocprim17ROCPRIM_400000_NS6detail17trampoline_kernelINS0_14default_configENS1_22reduce_config_selectorItEEZNS1_11reduce_implILb1ES3_N6thrust23THRUST_200600_302600_NS6detail15normal_iteratorINS8_10device_ptrItEEEEPffNS8_4plusIfEEEE10hipError_tPvRmT1_T2_T3_mT4_P12ihipStream_tbEUlT_E1_NS1_11comp_targetILNS1_3genE3ELNS1_11target_archE908ELNS1_3gpuE7ELNS1_3repE0EEENS1_30default_config_static_selectorELNS0_4arch9wavefront6targetE1EEEvSK_
	.p2align	8
	.type	_ZN7rocprim17ROCPRIM_400000_NS6detail17trampoline_kernelINS0_14default_configENS1_22reduce_config_selectorItEEZNS1_11reduce_implILb1ES3_N6thrust23THRUST_200600_302600_NS6detail15normal_iteratorINS8_10device_ptrItEEEEPffNS8_4plusIfEEEE10hipError_tPvRmT1_T2_T3_mT4_P12ihipStream_tbEUlT_E1_NS1_11comp_targetILNS1_3genE3ELNS1_11target_archE908ELNS1_3gpuE7ELNS1_3repE0EEENS1_30default_config_static_selectorELNS0_4arch9wavefront6targetE1EEEvSK_,@function
_ZN7rocprim17ROCPRIM_400000_NS6detail17trampoline_kernelINS0_14default_configENS1_22reduce_config_selectorItEEZNS1_11reduce_implILb1ES3_N6thrust23THRUST_200600_302600_NS6detail15normal_iteratorINS8_10device_ptrItEEEEPffNS8_4plusIfEEEE10hipError_tPvRmT1_T2_T3_mT4_P12ihipStream_tbEUlT_E1_NS1_11comp_targetILNS1_3genE3ELNS1_11target_archE908ELNS1_3gpuE7ELNS1_3repE0EEENS1_30default_config_static_selectorELNS0_4arch9wavefront6targetE1EEEvSK_: ; @_ZN7rocprim17ROCPRIM_400000_NS6detail17trampoline_kernelINS0_14default_configENS1_22reduce_config_selectorItEEZNS1_11reduce_implILb1ES3_N6thrust23THRUST_200600_302600_NS6detail15normal_iteratorINS8_10device_ptrItEEEEPffNS8_4plusIfEEEE10hipError_tPvRmT1_T2_T3_mT4_P12ihipStream_tbEUlT_E1_NS1_11comp_targetILNS1_3genE3ELNS1_11target_archE908ELNS1_3gpuE7ELNS1_3repE0EEENS1_30default_config_static_selectorELNS0_4arch9wavefront6targetE1EEEvSK_
; %bb.0:
	.section	.rodata,"a",@progbits
	.p2align	6, 0x0
	.amdhsa_kernel _ZN7rocprim17ROCPRIM_400000_NS6detail17trampoline_kernelINS0_14default_configENS1_22reduce_config_selectorItEEZNS1_11reduce_implILb1ES3_N6thrust23THRUST_200600_302600_NS6detail15normal_iteratorINS8_10device_ptrItEEEEPffNS8_4plusIfEEEE10hipError_tPvRmT1_T2_T3_mT4_P12ihipStream_tbEUlT_E1_NS1_11comp_targetILNS1_3genE3ELNS1_11target_archE908ELNS1_3gpuE7ELNS1_3repE0EEENS1_30default_config_static_selectorELNS0_4arch9wavefront6targetE1EEEvSK_
		.amdhsa_group_segment_fixed_size 0
		.amdhsa_private_segment_fixed_size 0
		.amdhsa_kernarg_size 40
		.amdhsa_user_sgpr_count 2
		.amdhsa_user_sgpr_dispatch_ptr 0
		.amdhsa_user_sgpr_queue_ptr 0
		.amdhsa_user_sgpr_kernarg_segment_ptr 1
		.amdhsa_user_sgpr_dispatch_id 0
		.amdhsa_user_sgpr_kernarg_preload_length 0
		.amdhsa_user_sgpr_kernarg_preload_offset 0
		.amdhsa_user_sgpr_private_segment_size 0
		.amdhsa_uses_dynamic_stack 0
		.amdhsa_enable_private_segment 0
		.amdhsa_system_sgpr_workgroup_id_x 1
		.amdhsa_system_sgpr_workgroup_id_y 0
		.amdhsa_system_sgpr_workgroup_id_z 0
		.amdhsa_system_sgpr_workgroup_info 0
		.amdhsa_system_vgpr_workitem_id 0
		.amdhsa_next_free_vgpr 1
		.amdhsa_next_free_sgpr 0
		.amdhsa_accum_offset 4
		.amdhsa_reserve_vcc 0
		.amdhsa_float_round_mode_32 0
		.amdhsa_float_round_mode_16_64 0
		.amdhsa_float_denorm_mode_32 3
		.amdhsa_float_denorm_mode_16_64 3
		.amdhsa_dx10_clamp 1
		.amdhsa_ieee_mode 1
		.amdhsa_fp16_overflow 0
		.amdhsa_tg_split 0
		.amdhsa_exception_fp_ieee_invalid_op 0
		.amdhsa_exception_fp_denorm_src 0
		.amdhsa_exception_fp_ieee_div_zero 0
		.amdhsa_exception_fp_ieee_overflow 0
		.amdhsa_exception_fp_ieee_underflow 0
		.amdhsa_exception_fp_ieee_inexact 0
		.amdhsa_exception_int_div_zero 0
	.end_amdhsa_kernel
	.section	.text._ZN7rocprim17ROCPRIM_400000_NS6detail17trampoline_kernelINS0_14default_configENS1_22reduce_config_selectorItEEZNS1_11reduce_implILb1ES3_N6thrust23THRUST_200600_302600_NS6detail15normal_iteratorINS8_10device_ptrItEEEEPffNS8_4plusIfEEEE10hipError_tPvRmT1_T2_T3_mT4_P12ihipStream_tbEUlT_E1_NS1_11comp_targetILNS1_3genE3ELNS1_11target_archE908ELNS1_3gpuE7ELNS1_3repE0EEENS1_30default_config_static_selectorELNS0_4arch9wavefront6targetE1EEEvSK_,"axG",@progbits,_ZN7rocprim17ROCPRIM_400000_NS6detail17trampoline_kernelINS0_14default_configENS1_22reduce_config_selectorItEEZNS1_11reduce_implILb1ES3_N6thrust23THRUST_200600_302600_NS6detail15normal_iteratorINS8_10device_ptrItEEEEPffNS8_4plusIfEEEE10hipError_tPvRmT1_T2_T3_mT4_P12ihipStream_tbEUlT_E1_NS1_11comp_targetILNS1_3genE3ELNS1_11target_archE908ELNS1_3gpuE7ELNS1_3repE0EEENS1_30default_config_static_selectorELNS0_4arch9wavefront6targetE1EEEvSK_,comdat
.Lfunc_end453:
	.size	_ZN7rocprim17ROCPRIM_400000_NS6detail17trampoline_kernelINS0_14default_configENS1_22reduce_config_selectorItEEZNS1_11reduce_implILb1ES3_N6thrust23THRUST_200600_302600_NS6detail15normal_iteratorINS8_10device_ptrItEEEEPffNS8_4plusIfEEEE10hipError_tPvRmT1_T2_T3_mT4_P12ihipStream_tbEUlT_E1_NS1_11comp_targetILNS1_3genE3ELNS1_11target_archE908ELNS1_3gpuE7ELNS1_3repE0EEENS1_30default_config_static_selectorELNS0_4arch9wavefront6targetE1EEEvSK_, .Lfunc_end453-_ZN7rocprim17ROCPRIM_400000_NS6detail17trampoline_kernelINS0_14default_configENS1_22reduce_config_selectorItEEZNS1_11reduce_implILb1ES3_N6thrust23THRUST_200600_302600_NS6detail15normal_iteratorINS8_10device_ptrItEEEEPffNS8_4plusIfEEEE10hipError_tPvRmT1_T2_T3_mT4_P12ihipStream_tbEUlT_E1_NS1_11comp_targetILNS1_3genE3ELNS1_11target_archE908ELNS1_3gpuE7ELNS1_3repE0EEENS1_30default_config_static_selectorELNS0_4arch9wavefront6targetE1EEEvSK_
                                        ; -- End function
	.set _ZN7rocprim17ROCPRIM_400000_NS6detail17trampoline_kernelINS0_14default_configENS1_22reduce_config_selectorItEEZNS1_11reduce_implILb1ES3_N6thrust23THRUST_200600_302600_NS6detail15normal_iteratorINS8_10device_ptrItEEEEPffNS8_4plusIfEEEE10hipError_tPvRmT1_T2_T3_mT4_P12ihipStream_tbEUlT_E1_NS1_11comp_targetILNS1_3genE3ELNS1_11target_archE908ELNS1_3gpuE7ELNS1_3repE0EEENS1_30default_config_static_selectorELNS0_4arch9wavefront6targetE1EEEvSK_.num_vgpr, 0
	.set _ZN7rocprim17ROCPRIM_400000_NS6detail17trampoline_kernelINS0_14default_configENS1_22reduce_config_selectorItEEZNS1_11reduce_implILb1ES3_N6thrust23THRUST_200600_302600_NS6detail15normal_iteratorINS8_10device_ptrItEEEEPffNS8_4plusIfEEEE10hipError_tPvRmT1_T2_T3_mT4_P12ihipStream_tbEUlT_E1_NS1_11comp_targetILNS1_3genE3ELNS1_11target_archE908ELNS1_3gpuE7ELNS1_3repE0EEENS1_30default_config_static_selectorELNS0_4arch9wavefront6targetE1EEEvSK_.num_agpr, 0
	.set _ZN7rocprim17ROCPRIM_400000_NS6detail17trampoline_kernelINS0_14default_configENS1_22reduce_config_selectorItEEZNS1_11reduce_implILb1ES3_N6thrust23THRUST_200600_302600_NS6detail15normal_iteratorINS8_10device_ptrItEEEEPffNS8_4plusIfEEEE10hipError_tPvRmT1_T2_T3_mT4_P12ihipStream_tbEUlT_E1_NS1_11comp_targetILNS1_3genE3ELNS1_11target_archE908ELNS1_3gpuE7ELNS1_3repE0EEENS1_30default_config_static_selectorELNS0_4arch9wavefront6targetE1EEEvSK_.numbered_sgpr, 0
	.set _ZN7rocprim17ROCPRIM_400000_NS6detail17trampoline_kernelINS0_14default_configENS1_22reduce_config_selectorItEEZNS1_11reduce_implILb1ES3_N6thrust23THRUST_200600_302600_NS6detail15normal_iteratorINS8_10device_ptrItEEEEPffNS8_4plusIfEEEE10hipError_tPvRmT1_T2_T3_mT4_P12ihipStream_tbEUlT_E1_NS1_11comp_targetILNS1_3genE3ELNS1_11target_archE908ELNS1_3gpuE7ELNS1_3repE0EEENS1_30default_config_static_selectorELNS0_4arch9wavefront6targetE1EEEvSK_.num_named_barrier, 0
	.set _ZN7rocprim17ROCPRIM_400000_NS6detail17trampoline_kernelINS0_14default_configENS1_22reduce_config_selectorItEEZNS1_11reduce_implILb1ES3_N6thrust23THRUST_200600_302600_NS6detail15normal_iteratorINS8_10device_ptrItEEEEPffNS8_4plusIfEEEE10hipError_tPvRmT1_T2_T3_mT4_P12ihipStream_tbEUlT_E1_NS1_11comp_targetILNS1_3genE3ELNS1_11target_archE908ELNS1_3gpuE7ELNS1_3repE0EEENS1_30default_config_static_selectorELNS0_4arch9wavefront6targetE1EEEvSK_.private_seg_size, 0
	.set _ZN7rocprim17ROCPRIM_400000_NS6detail17trampoline_kernelINS0_14default_configENS1_22reduce_config_selectorItEEZNS1_11reduce_implILb1ES3_N6thrust23THRUST_200600_302600_NS6detail15normal_iteratorINS8_10device_ptrItEEEEPffNS8_4plusIfEEEE10hipError_tPvRmT1_T2_T3_mT4_P12ihipStream_tbEUlT_E1_NS1_11comp_targetILNS1_3genE3ELNS1_11target_archE908ELNS1_3gpuE7ELNS1_3repE0EEENS1_30default_config_static_selectorELNS0_4arch9wavefront6targetE1EEEvSK_.uses_vcc, 0
	.set _ZN7rocprim17ROCPRIM_400000_NS6detail17trampoline_kernelINS0_14default_configENS1_22reduce_config_selectorItEEZNS1_11reduce_implILb1ES3_N6thrust23THRUST_200600_302600_NS6detail15normal_iteratorINS8_10device_ptrItEEEEPffNS8_4plusIfEEEE10hipError_tPvRmT1_T2_T3_mT4_P12ihipStream_tbEUlT_E1_NS1_11comp_targetILNS1_3genE3ELNS1_11target_archE908ELNS1_3gpuE7ELNS1_3repE0EEENS1_30default_config_static_selectorELNS0_4arch9wavefront6targetE1EEEvSK_.uses_flat_scratch, 0
	.set _ZN7rocprim17ROCPRIM_400000_NS6detail17trampoline_kernelINS0_14default_configENS1_22reduce_config_selectorItEEZNS1_11reduce_implILb1ES3_N6thrust23THRUST_200600_302600_NS6detail15normal_iteratorINS8_10device_ptrItEEEEPffNS8_4plusIfEEEE10hipError_tPvRmT1_T2_T3_mT4_P12ihipStream_tbEUlT_E1_NS1_11comp_targetILNS1_3genE3ELNS1_11target_archE908ELNS1_3gpuE7ELNS1_3repE0EEENS1_30default_config_static_selectorELNS0_4arch9wavefront6targetE1EEEvSK_.has_dyn_sized_stack, 0
	.set _ZN7rocprim17ROCPRIM_400000_NS6detail17trampoline_kernelINS0_14default_configENS1_22reduce_config_selectorItEEZNS1_11reduce_implILb1ES3_N6thrust23THRUST_200600_302600_NS6detail15normal_iteratorINS8_10device_ptrItEEEEPffNS8_4plusIfEEEE10hipError_tPvRmT1_T2_T3_mT4_P12ihipStream_tbEUlT_E1_NS1_11comp_targetILNS1_3genE3ELNS1_11target_archE908ELNS1_3gpuE7ELNS1_3repE0EEENS1_30default_config_static_selectorELNS0_4arch9wavefront6targetE1EEEvSK_.has_recursion, 0
	.set _ZN7rocprim17ROCPRIM_400000_NS6detail17trampoline_kernelINS0_14default_configENS1_22reduce_config_selectorItEEZNS1_11reduce_implILb1ES3_N6thrust23THRUST_200600_302600_NS6detail15normal_iteratorINS8_10device_ptrItEEEEPffNS8_4plusIfEEEE10hipError_tPvRmT1_T2_T3_mT4_P12ihipStream_tbEUlT_E1_NS1_11comp_targetILNS1_3genE3ELNS1_11target_archE908ELNS1_3gpuE7ELNS1_3repE0EEENS1_30default_config_static_selectorELNS0_4arch9wavefront6targetE1EEEvSK_.has_indirect_call, 0
	.section	.AMDGPU.csdata,"",@progbits
; Kernel info:
; codeLenInByte = 0
; TotalNumSgprs: 6
; NumVgprs: 0
; NumAgprs: 0
; TotalNumVgprs: 0
; ScratchSize: 0
; MemoryBound: 0
; FloatMode: 240
; IeeeMode: 1
; LDSByteSize: 0 bytes/workgroup (compile time only)
; SGPRBlocks: 0
; VGPRBlocks: 0
; NumSGPRsForWavesPerEU: 6
; NumVGPRsForWavesPerEU: 1
; AccumOffset: 4
; Occupancy: 8
; WaveLimiterHint : 0
; COMPUTE_PGM_RSRC2:SCRATCH_EN: 0
; COMPUTE_PGM_RSRC2:USER_SGPR: 2
; COMPUTE_PGM_RSRC2:TRAP_HANDLER: 0
; COMPUTE_PGM_RSRC2:TGID_X_EN: 1
; COMPUTE_PGM_RSRC2:TGID_Y_EN: 0
; COMPUTE_PGM_RSRC2:TGID_Z_EN: 0
; COMPUTE_PGM_RSRC2:TIDIG_COMP_CNT: 0
; COMPUTE_PGM_RSRC3_GFX90A:ACCUM_OFFSET: 0
; COMPUTE_PGM_RSRC3_GFX90A:TG_SPLIT: 0
	.section	.text._ZN7rocprim17ROCPRIM_400000_NS6detail17trampoline_kernelINS0_14default_configENS1_22reduce_config_selectorItEEZNS1_11reduce_implILb1ES3_N6thrust23THRUST_200600_302600_NS6detail15normal_iteratorINS8_10device_ptrItEEEEPffNS8_4plusIfEEEE10hipError_tPvRmT1_T2_T3_mT4_P12ihipStream_tbEUlT_E1_NS1_11comp_targetILNS1_3genE2ELNS1_11target_archE906ELNS1_3gpuE6ELNS1_3repE0EEENS1_30default_config_static_selectorELNS0_4arch9wavefront6targetE1EEEvSK_,"axG",@progbits,_ZN7rocprim17ROCPRIM_400000_NS6detail17trampoline_kernelINS0_14default_configENS1_22reduce_config_selectorItEEZNS1_11reduce_implILb1ES3_N6thrust23THRUST_200600_302600_NS6detail15normal_iteratorINS8_10device_ptrItEEEEPffNS8_4plusIfEEEE10hipError_tPvRmT1_T2_T3_mT4_P12ihipStream_tbEUlT_E1_NS1_11comp_targetILNS1_3genE2ELNS1_11target_archE906ELNS1_3gpuE6ELNS1_3repE0EEENS1_30default_config_static_selectorELNS0_4arch9wavefront6targetE1EEEvSK_,comdat
	.protected	_ZN7rocprim17ROCPRIM_400000_NS6detail17trampoline_kernelINS0_14default_configENS1_22reduce_config_selectorItEEZNS1_11reduce_implILb1ES3_N6thrust23THRUST_200600_302600_NS6detail15normal_iteratorINS8_10device_ptrItEEEEPffNS8_4plusIfEEEE10hipError_tPvRmT1_T2_T3_mT4_P12ihipStream_tbEUlT_E1_NS1_11comp_targetILNS1_3genE2ELNS1_11target_archE906ELNS1_3gpuE6ELNS1_3repE0EEENS1_30default_config_static_selectorELNS0_4arch9wavefront6targetE1EEEvSK_ ; -- Begin function _ZN7rocprim17ROCPRIM_400000_NS6detail17trampoline_kernelINS0_14default_configENS1_22reduce_config_selectorItEEZNS1_11reduce_implILb1ES3_N6thrust23THRUST_200600_302600_NS6detail15normal_iteratorINS8_10device_ptrItEEEEPffNS8_4plusIfEEEE10hipError_tPvRmT1_T2_T3_mT4_P12ihipStream_tbEUlT_E1_NS1_11comp_targetILNS1_3genE2ELNS1_11target_archE906ELNS1_3gpuE6ELNS1_3repE0EEENS1_30default_config_static_selectorELNS0_4arch9wavefront6targetE1EEEvSK_
	.globl	_ZN7rocprim17ROCPRIM_400000_NS6detail17trampoline_kernelINS0_14default_configENS1_22reduce_config_selectorItEEZNS1_11reduce_implILb1ES3_N6thrust23THRUST_200600_302600_NS6detail15normal_iteratorINS8_10device_ptrItEEEEPffNS8_4plusIfEEEE10hipError_tPvRmT1_T2_T3_mT4_P12ihipStream_tbEUlT_E1_NS1_11comp_targetILNS1_3genE2ELNS1_11target_archE906ELNS1_3gpuE6ELNS1_3repE0EEENS1_30default_config_static_selectorELNS0_4arch9wavefront6targetE1EEEvSK_
	.p2align	8
	.type	_ZN7rocprim17ROCPRIM_400000_NS6detail17trampoline_kernelINS0_14default_configENS1_22reduce_config_selectorItEEZNS1_11reduce_implILb1ES3_N6thrust23THRUST_200600_302600_NS6detail15normal_iteratorINS8_10device_ptrItEEEEPffNS8_4plusIfEEEE10hipError_tPvRmT1_T2_T3_mT4_P12ihipStream_tbEUlT_E1_NS1_11comp_targetILNS1_3genE2ELNS1_11target_archE906ELNS1_3gpuE6ELNS1_3repE0EEENS1_30default_config_static_selectorELNS0_4arch9wavefront6targetE1EEEvSK_,@function
_ZN7rocprim17ROCPRIM_400000_NS6detail17trampoline_kernelINS0_14default_configENS1_22reduce_config_selectorItEEZNS1_11reduce_implILb1ES3_N6thrust23THRUST_200600_302600_NS6detail15normal_iteratorINS8_10device_ptrItEEEEPffNS8_4plusIfEEEE10hipError_tPvRmT1_T2_T3_mT4_P12ihipStream_tbEUlT_E1_NS1_11comp_targetILNS1_3genE2ELNS1_11target_archE906ELNS1_3gpuE6ELNS1_3repE0EEENS1_30default_config_static_selectorELNS0_4arch9wavefront6targetE1EEEvSK_: ; @_ZN7rocprim17ROCPRIM_400000_NS6detail17trampoline_kernelINS0_14default_configENS1_22reduce_config_selectorItEEZNS1_11reduce_implILb1ES3_N6thrust23THRUST_200600_302600_NS6detail15normal_iteratorINS8_10device_ptrItEEEEPffNS8_4plusIfEEEE10hipError_tPvRmT1_T2_T3_mT4_P12ihipStream_tbEUlT_E1_NS1_11comp_targetILNS1_3genE2ELNS1_11target_archE906ELNS1_3gpuE6ELNS1_3repE0EEENS1_30default_config_static_selectorELNS0_4arch9wavefront6targetE1EEEvSK_
; %bb.0:
	.section	.rodata,"a",@progbits
	.p2align	6, 0x0
	.amdhsa_kernel _ZN7rocprim17ROCPRIM_400000_NS6detail17trampoline_kernelINS0_14default_configENS1_22reduce_config_selectorItEEZNS1_11reduce_implILb1ES3_N6thrust23THRUST_200600_302600_NS6detail15normal_iteratorINS8_10device_ptrItEEEEPffNS8_4plusIfEEEE10hipError_tPvRmT1_T2_T3_mT4_P12ihipStream_tbEUlT_E1_NS1_11comp_targetILNS1_3genE2ELNS1_11target_archE906ELNS1_3gpuE6ELNS1_3repE0EEENS1_30default_config_static_selectorELNS0_4arch9wavefront6targetE1EEEvSK_
		.amdhsa_group_segment_fixed_size 0
		.amdhsa_private_segment_fixed_size 0
		.amdhsa_kernarg_size 40
		.amdhsa_user_sgpr_count 2
		.amdhsa_user_sgpr_dispatch_ptr 0
		.amdhsa_user_sgpr_queue_ptr 0
		.amdhsa_user_sgpr_kernarg_segment_ptr 1
		.amdhsa_user_sgpr_dispatch_id 0
		.amdhsa_user_sgpr_kernarg_preload_length 0
		.amdhsa_user_sgpr_kernarg_preload_offset 0
		.amdhsa_user_sgpr_private_segment_size 0
		.amdhsa_uses_dynamic_stack 0
		.amdhsa_enable_private_segment 0
		.amdhsa_system_sgpr_workgroup_id_x 1
		.amdhsa_system_sgpr_workgroup_id_y 0
		.amdhsa_system_sgpr_workgroup_id_z 0
		.amdhsa_system_sgpr_workgroup_info 0
		.amdhsa_system_vgpr_workitem_id 0
		.amdhsa_next_free_vgpr 1
		.amdhsa_next_free_sgpr 0
		.amdhsa_accum_offset 4
		.amdhsa_reserve_vcc 0
		.amdhsa_float_round_mode_32 0
		.amdhsa_float_round_mode_16_64 0
		.amdhsa_float_denorm_mode_32 3
		.amdhsa_float_denorm_mode_16_64 3
		.amdhsa_dx10_clamp 1
		.amdhsa_ieee_mode 1
		.amdhsa_fp16_overflow 0
		.amdhsa_tg_split 0
		.amdhsa_exception_fp_ieee_invalid_op 0
		.amdhsa_exception_fp_denorm_src 0
		.amdhsa_exception_fp_ieee_div_zero 0
		.amdhsa_exception_fp_ieee_overflow 0
		.amdhsa_exception_fp_ieee_underflow 0
		.amdhsa_exception_fp_ieee_inexact 0
		.amdhsa_exception_int_div_zero 0
	.end_amdhsa_kernel
	.section	.text._ZN7rocprim17ROCPRIM_400000_NS6detail17trampoline_kernelINS0_14default_configENS1_22reduce_config_selectorItEEZNS1_11reduce_implILb1ES3_N6thrust23THRUST_200600_302600_NS6detail15normal_iteratorINS8_10device_ptrItEEEEPffNS8_4plusIfEEEE10hipError_tPvRmT1_T2_T3_mT4_P12ihipStream_tbEUlT_E1_NS1_11comp_targetILNS1_3genE2ELNS1_11target_archE906ELNS1_3gpuE6ELNS1_3repE0EEENS1_30default_config_static_selectorELNS0_4arch9wavefront6targetE1EEEvSK_,"axG",@progbits,_ZN7rocprim17ROCPRIM_400000_NS6detail17trampoline_kernelINS0_14default_configENS1_22reduce_config_selectorItEEZNS1_11reduce_implILb1ES3_N6thrust23THRUST_200600_302600_NS6detail15normal_iteratorINS8_10device_ptrItEEEEPffNS8_4plusIfEEEE10hipError_tPvRmT1_T2_T3_mT4_P12ihipStream_tbEUlT_E1_NS1_11comp_targetILNS1_3genE2ELNS1_11target_archE906ELNS1_3gpuE6ELNS1_3repE0EEENS1_30default_config_static_selectorELNS0_4arch9wavefront6targetE1EEEvSK_,comdat
.Lfunc_end454:
	.size	_ZN7rocprim17ROCPRIM_400000_NS6detail17trampoline_kernelINS0_14default_configENS1_22reduce_config_selectorItEEZNS1_11reduce_implILb1ES3_N6thrust23THRUST_200600_302600_NS6detail15normal_iteratorINS8_10device_ptrItEEEEPffNS8_4plusIfEEEE10hipError_tPvRmT1_T2_T3_mT4_P12ihipStream_tbEUlT_E1_NS1_11comp_targetILNS1_3genE2ELNS1_11target_archE906ELNS1_3gpuE6ELNS1_3repE0EEENS1_30default_config_static_selectorELNS0_4arch9wavefront6targetE1EEEvSK_, .Lfunc_end454-_ZN7rocprim17ROCPRIM_400000_NS6detail17trampoline_kernelINS0_14default_configENS1_22reduce_config_selectorItEEZNS1_11reduce_implILb1ES3_N6thrust23THRUST_200600_302600_NS6detail15normal_iteratorINS8_10device_ptrItEEEEPffNS8_4plusIfEEEE10hipError_tPvRmT1_T2_T3_mT4_P12ihipStream_tbEUlT_E1_NS1_11comp_targetILNS1_3genE2ELNS1_11target_archE906ELNS1_3gpuE6ELNS1_3repE0EEENS1_30default_config_static_selectorELNS0_4arch9wavefront6targetE1EEEvSK_
                                        ; -- End function
	.set _ZN7rocprim17ROCPRIM_400000_NS6detail17trampoline_kernelINS0_14default_configENS1_22reduce_config_selectorItEEZNS1_11reduce_implILb1ES3_N6thrust23THRUST_200600_302600_NS6detail15normal_iteratorINS8_10device_ptrItEEEEPffNS8_4plusIfEEEE10hipError_tPvRmT1_T2_T3_mT4_P12ihipStream_tbEUlT_E1_NS1_11comp_targetILNS1_3genE2ELNS1_11target_archE906ELNS1_3gpuE6ELNS1_3repE0EEENS1_30default_config_static_selectorELNS0_4arch9wavefront6targetE1EEEvSK_.num_vgpr, 0
	.set _ZN7rocprim17ROCPRIM_400000_NS6detail17trampoline_kernelINS0_14default_configENS1_22reduce_config_selectorItEEZNS1_11reduce_implILb1ES3_N6thrust23THRUST_200600_302600_NS6detail15normal_iteratorINS8_10device_ptrItEEEEPffNS8_4plusIfEEEE10hipError_tPvRmT1_T2_T3_mT4_P12ihipStream_tbEUlT_E1_NS1_11comp_targetILNS1_3genE2ELNS1_11target_archE906ELNS1_3gpuE6ELNS1_3repE0EEENS1_30default_config_static_selectorELNS0_4arch9wavefront6targetE1EEEvSK_.num_agpr, 0
	.set _ZN7rocprim17ROCPRIM_400000_NS6detail17trampoline_kernelINS0_14default_configENS1_22reduce_config_selectorItEEZNS1_11reduce_implILb1ES3_N6thrust23THRUST_200600_302600_NS6detail15normal_iteratorINS8_10device_ptrItEEEEPffNS8_4plusIfEEEE10hipError_tPvRmT1_T2_T3_mT4_P12ihipStream_tbEUlT_E1_NS1_11comp_targetILNS1_3genE2ELNS1_11target_archE906ELNS1_3gpuE6ELNS1_3repE0EEENS1_30default_config_static_selectorELNS0_4arch9wavefront6targetE1EEEvSK_.numbered_sgpr, 0
	.set _ZN7rocprim17ROCPRIM_400000_NS6detail17trampoline_kernelINS0_14default_configENS1_22reduce_config_selectorItEEZNS1_11reduce_implILb1ES3_N6thrust23THRUST_200600_302600_NS6detail15normal_iteratorINS8_10device_ptrItEEEEPffNS8_4plusIfEEEE10hipError_tPvRmT1_T2_T3_mT4_P12ihipStream_tbEUlT_E1_NS1_11comp_targetILNS1_3genE2ELNS1_11target_archE906ELNS1_3gpuE6ELNS1_3repE0EEENS1_30default_config_static_selectorELNS0_4arch9wavefront6targetE1EEEvSK_.num_named_barrier, 0
	.set _ZN7rocprim17ROCPRIM_400000_NS6detail17trampoline_kernelINS0_14default_configENS1_22reduce_config_selectorItEEZNS1_11reduce_implILb1ES3_N6thrust23THRUST_200600_302600_NS6detail15normal_iteratorINS8_10device_ptrItEEEEPffNS8_4plusIfEEEE10hipError_tPvRmT1_T2_T3_mT4_P12ihipStream_tbEUlT_E1_NS1_11comp_targetILNS1_3genE2ELNS1_11target_archE906ELNS1_3gpuE6ELNS1_3repE0EEENS1_30default_config_static_selectorELNS0_4arch9wavefront6targetE1EEEvSK_.private_seg_size, 0
	.set _ZN7rocprim17ROCPRIM_400000_NS6detail17trampoline_kernelINS0_14default_configENS1_22reduce_config_selectorItEEZNS1_11reduce_implILb1ES3_N6thrust23THRUST_200600_302600_NS6detail15normal_iteratorINS8_10device_ptrItEEEEPffNS8_4plusIfEEEE10hipError_tPvRmT1_T2_T3_mT4_P12ihipStream_tbEUlT_E1_NS1_11comp_targetILNS1_3genE2ELNS1_11target_archE906ELNS1_3gpuE6ELNS1_3repE0EEENS1_30default_config_static_selectorELNS0_4arch9wavefront6targetE1EEEvSK_.uses_vcc, 0
	.set _ZN7rocprim17ROCPRIM_400000_NS6detail17trampoline_kernelINS0_14default_configENS1_22reduce_config_selectorItEEZNS1_11reduce_implILb1ES3_N6thrust23THRUST_200600_302600_NS6detail15normal_iteratorINS8_10device_ptrItEEEEPffNS8_4plusIfEEEE10hipError_tPvRmT1_T2_T3_mT4_P12ihipStream_tbEUlT_E1_NS1_11comp_targetILNS1_3genE2ELNS1_11target_archE906ELNS1_3gpuE6ELNS1_3repE0EEENS1_30default_config_static_selectorELNS0_4arch9wavefront6targetE1EEEvSK_.uses_flat_scratch, 0
	.set _ZN7rocprim17ROCPRIM_400000_NS6detail17trampoline_kernelINS0_14default_configENS1_22reduce_config_selectorItEEZNS1_11reduce_implILb1ES3_N6thrust23THRUST_200600_302600_NS6detail15normal_iteratorINS8_10device_ptrItEEEEPffNS8_4plusIfEEEE10hipError_tPvRmT1_T2_T3_mT4_P12ihipStream_tbEUlT_E1_NS1_11comp_targetILNS1_3genE2ELNS1_11target_archE906ELNS1_3gpuE6ELNS1_3repE0EEENS1_30default_config_static_selectorELNS0_4arch9wavefront6targetE1EEEvSK_.has_dyn_sized_stack, 0
	.set _ZN7rocprim17ROCPRIM_400000_NS6detail17trampoline_kernelINS0_14default_configENS1_22reduce_config_selectorItEEZNS1_11reduce_implILb1ES3_N6thrust23THRUST_200600_302600_NS6detail15normal_iteratorINS8_10device_ptrItEEEEPffNS8_4plusIfEEEE10hipError_tPvRmT1_T2_T3_mT4_P12ihipStream_tbEUlT_E1_NS1_11comp_targetILNS1_3genE2ELNS1_11target_archE906ELNS1_3gpuE6ELNS1_3repE0EEENS1_30default_config_static_selectorELNS0_4arch9wavefront6targetE1EEEvSK_.has_recursion, 0
	.set _ZN7rocprim17ROCPRIM_400000_NS6detail17trampoline_kernelINS0_14default_configENS1_22reduce_config_selectorItEEZNS1_11reduce_implILb1ES3_N6thrust23THRUST_200600_302600_NS6detail15normal_iteratorINS8_10device_ptrItEEEEPffNS8_4plusIfEEEE10hipError_tPvRmT1_T2_T3_mT4_P12ihipStream_tbEUlT_E1_NS1_11comp_targetILNS1_3genE2ELNS1_11target_archE906ELNS1_3gpuE6ELNS1_3repE0EEENS1_30default_config_static_selectorELNS0_4arch9wavefront6targetE1EEEvSK_.has_indirect_call, 0
	.section	.AMDGPU.csdata,"",@progbits
; Kernel info:
; codeLenInByte = 0
; TotalNumSgprs: 6
; NumVgprs: 0
; NumAgprs: 0
; TotalNumVgprs: 0
; ScratchSize: 0
; MemoryBound: 0
; FloatMode: 240
; IeeeMode: 1
; LDSByteSize: 0 bytes/workgroup (compile time only)
; SGPRBlocks: 0
; VGPRBlocks: 0
; NumSGPRsForWavesPerEU: 6
; NumVGPRsForWavesPerEU: 1
; AccumOffset: 4
; Occupancy: 8
; WaveLimiterHint : 0
; COMPUTE_PGM_RSRC2:SCRATCH_EN: 0
; COMPUTE_PGM_RSRC2:USER_SGPR: 2
; COMPUTE_PGM_RSRC2:TRAP_HANDLER: 0
; COMPUTE_PGM_RSRC2:TGID_X_EN: 1
; COMPUTE_PGM_RSRC2:TGID_Y_EN: 0
; COMPUTE_PGM_RSRC2:TGID_Z_EN: 0
; COMPUTE_PGM_RSRC2:TIDIG_COMP_CNT: 0
; COMPUTE_PGM_RSRC3_GFX90A:ACCUM_OFFSET: 0
; COMPUTE_PGM_RSRC3_GFX90A:TG_SPLIT: 0
	.section	.text._ZN7rocprim17ROCPRIM_400000_NS6detail17trampoline_kernelINS0_14default_configENS1_22reduce_config_selectorItEEZNS1_11reduce_implILb1ES3_N6thrust23THRUST_200600_302600_NS6detail15normal_iteratorINS8_10device_ptrItEEEEPffNS8_4plusIfEEEE10hipError_tPvRmT1_T2_T3_mT4_P12ihipStream_tbEUlT_E1_NS1_11comp_targetILNS1_3genE10ELNS1_11target_archE1201ELNS1_3gpuE5ELNS1_3repE0EEENS1_30default_config_static_selectorELNS0_4arch9wavefront6targetE1EEEvSK_,"axG",@progbits,_ZN7rocprim17ROCPRIM_400000_NS6detail17trampoline_kernelINS0_14default_configENS1_22reduce_config_selectorItEEZNS1_11reduce_implILb1ES3_N6thrust23THRUST_200600_302600_NS6detail15normal_iteratorINS8_10device_ptrItEEEEPffNS8_4plusIfEEEE10hipError_tPvRmT1_T2_T3_mT4_P12ihipStream_tbEUlT_E1_NS1_11comp_targetILNS1_3genE10ELNS1_11target_archE1201ELNS1_3gpuE5ELNS1_3repE0EEENS1_30default_config_static_selectorELNS0_4arch9wavefront6targetE1EEEvSK_,comdat
	.protected	_ZN7rocprim17ROCPRIM_400000_NS6detail17trampoline_kernelINS0_14default_configENS1_22reduce_config_selectorItEEZNS1_11reduce_implILb1ES3_N6thrust23THRUST_200600_302600_NS6detail15normal_iteratorINS8_10device_ptrItEEEEPffNS8_4plusIfEEEE10hipError_tPvRmT1_T2_T3_mT4_P12ihipStream_tbEUlT_E1_NS1_11comp_targetILNS1_3genE10ELNS1_11target_archE1201ELNS1_3gpuE5ELNS1_3repE0EEENS1_30default_config_static_selectorELNS0_4arch9wavefront6targetE1EEEvSK_ ; -- Begin function _ZN7rocprim17ROCPRIM_400000_NS6detail17trampoline_kernelINS0_14default_configENS1_22reduce_config_selectorItEEZNS1_11reduce_implILb1ES3_N6thrust23THRUST_200600_302600_NS6detail15normal_iteratorINS8_10device_ptrItEEEEPffNS8_4plusIfEEEE10hipError_tPvRmT1_T2_T3_mT4_P12ihipStream_tbEUlT_E1_NS1_11comp_targetILNS1_3genE10ELNS1_11target_archE1201ELNS1_3gpuE5ELNS1_3repE0EEENS1_30default_config_static_selectorELNS0_4arch9wavefront6targetE1EEEvSK_
	.globl	_ZN7rocprim17ROCPRIM_400000_NS6detail17trampoline_kernelINS0_14default_configENS1_22reduce_config_selectorItEEZNS1_11reduce_implILb1ES3_N6thrust23THRUST_200600_302600_NS6detail15normal_iteratorINS8_10device_ptrItEEEEPffNS8_4plusIfEEEE10hipError_tPvRmT1_T2_T3_mT4_P12ihipStream_tbEUlT_E1_NS1_11comp_targetILNS1_3genE10ELNS1_11target_archE1201ELNS1_3gpuE5ELNS1_3repE0EEENS1_30default_config_static_selectorELNS0_4arch9wavefront6targetE1EEEvSK_
	.p2align	8
	.type	_ZN7rocprim17ROCPRIM_400000_NS6detail17trampoline_kernelINS0_14default_configENS1_22reduce_config_selectorItEEZNS1_11reduce_implILb1ES3_N6thrust23THRUST_200600_302600_NS6detail15normal_iteratorINS8_10device_ptrItEEEEPffNS8_4plusIfEEEE10hipError_tPvRmT1_T2_T3_mT4_P12ihipStream_tbEUlT_E1_NS1_11comp_targetILNS1_3genE10ELNS1_11target_archE1201ELNS1_3gpuE5ELNS1_3repE0EEENS1_30default_config_static_selectorELNS0_4arch9wavefront6targetE1EEEvSK_,@function
_ZN7rocprim17ROCPRIM_400000_NS6detail17trampoline_kernelINS0_14default_configENS1_22reduce_config_selectorItEEZNS1_11reduce_implILb1ES3_N6thrust23THRUST_200600_302600_NS6detail15normal_iteratorINS8_10device_ptrItEEEEPffNS8_4plusIfEEEE10hipError_tPvRmT1_T2_T3_mT4_P12ihipStream_tbEUlT_E1_NS1_11comp_targetILNS1_3genE10ELNS1_11target_archE1201ELNS1_3gpuE5ELNS1_3repE0EEENS1_30default_config_static_selectorELNS0_4arch9wavefront6targetE1EEEvSK_: ; @_ZN7rocprim17ROCPRIM_400000_NS6detail17trampoline_kernelINS0_14default_configENS1_22reduce_config_selectorItEEZNS1_11reduce_implILb1ES3_N6thrust23THRUST_200600_302600_NS6detail15normal_iteratorINS8_10device_ptrItEEEEPffNS8_4plusIfEEEE10hipError_tPvRmT1_T2_T3_mT4_P12ihipStream_tbEUlT_E1_NS1_11comp_targetILNS1_3genE10ELNS1_11target_archE1201ELNS1_3gpuE5ELNS1_3repE0EEENS1_30default_config_static_selectorELNS0_4arch9wavefront6targetE1EEEvSK_
; %bb.0:
	.section	.rodata,"a",@progbits
	.p2align	6, 0x0
	.amdhsa_kernel _ZN7rocprim17ROCPRIM_400000_NS6detail17trampoline_kernelINS0_14default_configENS1_22reduce_config_selectorItEEZNS1_11reduce_implILb1ES3_N6thrust23THRUST_200600_302600_NS6detail15normal_iteratorINS8_10device_ptrItEEEEPffNS8_4plusIfEEEE10hipError_tPvRmT1_T2_T3_mT4_P12ihipStream_tbEUlT_E1_NS1_11comp_targetILNS1_3genE10ELNS1_11target_archE1201ELNS1_3gpuE5ELNS1_3repE0EEENS1_30default_config_static_selectorELNS0_4arch9wavefront6targetE1EEEvSK_
		.amdhsa_group_segment_fixed_size 0
		.amdhsa_private_segment_fixed_size 0
		.amdhsa_kernarg_size 40
		.amdhsa_user_sgpr_count 2
		.amdhsa_user_sgpr_dispatch_ptr 0
		.amdhsa_user_sgpr_queue_ptr 0
		.amdhsa_user_sgpr_kernarg_segment_ptr 1
		.amdhsa_user_sgpr_dispatch_id 0
		.amdhsa_user_sgpr_kernarg_preload_length 0
		.amdhsa_user_sgpr_kernarg_preload_offset 0
		.amdhsa_user_sgpr_private_segment_size 0
		.amdhsa_uses_dynamic_stack 0
		.amdhsa_enable_private_segment 0
		.amdhsa_system_sgpr_workgroup_id_x 1
		.amdhsa_system_sgpr_workgroup_id_y 0
		.amdhsa_system_sgpr_workgroup_id_z 0
		.amdhsa_system_sgpr_workgroup_info 0
		.amdhsa_system_vgpr_workitem_id 0
		.amdhsa_next_free_vgpr 1
		.amdhsa_next_free_sgpr 0
		.amdhsa_accum_offset 4
		.amdhsa_reserve_vcc 0
		.amdhsa_float_round_mode_32 0
		.amdhsa_float_round_mode_16_64 0
		.amdhsa_float_denorm_mode_32 3
		.amdhsa_float_denorm_mode_16_64 3
		.amdhsa_dx10_clamp 1
		.amdhsa_ieee_mode 1
		.amdhsa_fp16_overflow 0
		.amdhsa_tg_split 0
		.amdhsa_exception_fp_ieee_invalid_op 0
		.amdhsa_exception_fp_denorm_src 0
		.amdhsa_exception_fp_ieee_div_zero 0
		.amdhsa_exception_fp_ieee_overflow 0
		.amdhsa_exception_fp_ieee_underflow 0
		.amdhsa_exception_fp_ieee_inexact 0
		.amdhsa_exception_int_div_zero 0
	.end_amdhsa_kernel
	.section	.text._ZN7rocprim17ROCPRIM_400000_NS6detail17trampoline_kernelINS0_14default_configENS1_22reduce_config_selectorItEEZNS1_11reduce_implILb1ES3_N6thrust23THRUST_200600_302600_NS6detail15normal_iteratorINS8_10device_ptrItEEEEPffNS8_4plusIfEEEE10hipError_tPvRmT1_T2_T3_mT4_P12ihipStream_tbEUlT_E1_NS1_11comp_targetILNS1_3genE10ELNS1_11target_archE1201ELNS1_3gpuE5ELNS1_3repE0EEENS1_30default_config_static_selectorELNS0_4arch9wavefront6targetE1EEEvSK_,"axG",@progbits,_ZN7rocprim17ROCPRIM_400000_NS6detail17trampoline_kernelINS0_14default_configENS1_22reduce_config_selectorItEEZNS1_11reduce_implILb1ES3_N6thrust23THRUST_200600_302600_NS6detail15normal_iteratorINS8_10device_ptrItEEEEPffNS8_4plusIfEEEE10hipError_tPvRmT1_T2_T3_mT4_P12ihipStream_tbEUlT_E1_NS1_11comp_targetILNS1_3genE10ELNS1_11target_archE1201ELNS1_3gpuE5ELNS1_3repE0EEENS1_30default_config_static_selectorELNS0_4arch9wavefront6targetE1EEEvSK_,comdat
.Lfunc_end455:
	.size	_ZN7rocprim17ROCPRIM_400000_NS6detail17trampoline_kernelINS0_14default_configENS1_22reduce_config_selectorItEEZNS1_11reduce_implILb1ES3_N6thrust23THRUST_200600_302600_NS6detail15normal_iteratorINS8_10device_ptrItEEEEPffNS8_4plusIfEEEE10hipError_tPvRmT1_T2_T3_mT4_P12ihipStream_tbEUlT_E1_NS1_11comp_targetILNS1_3genE10ELNS1_11target_archE1201ELNS1_3gpuE5ELNS1_3repE0EEENS1_30default_config_static_selectorELNS0_4arch9wavefront6targetE1EEEvSK_, .Lfunc_end455-_ZN7rocprim17ROCPRIM_400000_NS6detail17trampoline_kernelINS0_14default_configENS1_22reduce_config_selectorItEEZNS1_11reduce_implILb1ES3_N6thrust23THRUST_200600_302600_NS6detail15normal_iteratorINS8_10device_ptrItEEEEPffNS8_4plusIfEEEE10hipError_tPvRmT1_T2_T3_mT4_P12ihipStream_tbEUlT_E1_NS1_11comp_targetILNS1_3genE10ELNS1_11target_archE1201ELNS1_3gpuE5ELNS1_3repE0EEENS1_30default_config_static_selectorELNS0_4arch9wavefront6targetE1EEEvSK_
                                        ; -- End function
	.set _ZN7rocprim17ROCPRIM_400000_NS6detail17trampoline_kernelINS0_14default_configENS1_22reduce_config_selectorItEEZNS1_11reduce_implILb1ES3_N6thrust23THRUST_200600_302600_NS6detail15normal_iteratorINS8_10device_ptrItEEEEPffNS8_4plusIfEEEE10hipError_tPvRmT1_T2_T3_mT4_P12ihipStream_tbEUlT_E1_NS1_11comp_targetILNS1_3genE10ELNS1_11target_archE1201ELNS1_3gpuE5ELNS1_3repE0EEENS1_30default_config_static_selectorELNS0_4arch9wavefront6targetE1EEEvSK_.num_vgpr, 0
	.set _ZN7rocprim17ROCPRIM_400000_NS6detail17trampoline_kernelINS0_14default_configENS1_22reduce_config_selectorItEEZNS1_11reduce_implILb1ES3_N6thrust23THRUST_200600_302600_NS6detail15normal_iteratorINS8_10device_ptrItEEEEPffNS8_4plusIfEEEE10hipError_tPvRmT1_T2_T3_mT4_P12ihipStream_tbEUlT_E1_NS1_11comp_targetILNS1_3genE10ELNS1_11target_archE1201ELNS1_3gpuE5ELNS1_3repE0EEENS1_30default_config_static_selectorELNS0_4arch9wavefront6targetE1EEEvSK_.num_agpr, 0
	.set _ZN7rocprim17ROCPRIM_400000_NS6detail17trampoline_kernelINS0_14default_configENS1_22reduce_config_selectorItEEZNS1_11reduce_implILb1ES3_N6thrust23THRUST_200600_302600_NS6detail15normal_iteratorINS8_10device_ptrItEEEEPffNS8_4plusIfEEEE10hipError_tPvRmT1_T2_T3_mT4_P12ihipStream_tbEUlT_E1_NS1_11comp_targetILNS1_3genE10ELNS1_11target_archE1201ELNS1_3gpuE5ELNS1_3repE0EEENS1_30default_config_static_selectorELNS0_4arch9wavefront6targetE1EEEvSK_.numbered_sgpr, 0
	.set _ZN7rocprim17ROCPRIM_400000_NS6detail17trampoline_kernelINS0_14default_configENS1_22reduce_config_selectorItEEZNS1_11reduce_implILb1ES3_N6thrust23THRUST_200600_302600_NS6detail15normal_iteratorINS8_10device_ptrItEEEEPffNS8_4plusIfEEEE10hipError_tPvRmT1_T2_T3_mT4_P12ihipStream_tbEUlT_E1_NS1_11comp_targetILNS1_3genE10ELNS1_11target_archE1201ELNS1_3gpuE5ELNS1_3repE0EEENS1_30default_config_static_selectorELNS0_4arch9wavefront6targetE1EEEvSK_.num_named_barrier, 0
	.set _ZN7rocprim17ROCPRIM_400000_NS6detail17trampoline_kernelINS0_14default_configENS1_22reduce_config_selectorItEEZNS1_11reduce_implILb1ES3_N6thrust23THRUST_200600_302600_NS6detail15normal_iteratorINS8_10device_ptrItEEEEPffNS8_4plusIfEEEE10hipError_tPvRmT1_T2_T3_mT4_P12ihipStream_tbEUlT_E1_NS1_11comp_targetILNS1_3genE10ELNS1_11target_archE1201ELNS1_3gpuE5ELNS1_3repE0EEENS1_30default_config_static_selectorELNS0_4arch9wavefront6targetE1EEEvSK_.private_seg_size, 0
	.set _ZN7rocprim17ROCPRIM_400000_NS6detail17trampoline_kernelINS0_14default_configENS1_22reduce_config_selectorItEEZNS1_11reduce_implILb1ES3_N6thrust23THRUST_200600_302600_NS6detail15normal_iteratorINS8_10device_ptrItEEEEPffNS8_4plusIfEEEE10hipError_tPvRmT1_T2_T3_mT4_P12ihipStream_tbEUlT_E1_NS1_11comp_targetILNS1_3genE10ELNS1_11target_archE1201ELNS1_3gpuE5ELNS1_3repE0EEENS1_30default_config_static_selectorELNS0_4arch9wavefront6targetE1EEEvSK_.uses_vcc, 0
	.set _ZN7rocprim17ROCPRIM_400000_NS6detail17trampoline_kernelINS0_14default_configENS1_22reduce_config_selectorItEEZNS1_11reduce_implILb1ES3_N6thrust23THRUST_200600_302600_NS6detail15normal_iteratorINS8_10device_ptrItEEEEPffNS8_4plusIfEEEE10hipError_tPvRmT1_T2_T3_mT4_P12ihipStream_tbEUlT_E1_NS1_11comp_targetILNS1_3genE10ELNS1_11target_archE1201ELNS1_3gpuE5ELNS1_3repE0EEENS1_30default_config_static_selectorELNS0_4arch9wavefront6targetE1EEEvSK_.uses_flat_scratch, 0
	.set _ZN7rocprim17ROCPRIM_400000_NS6detail17trampoline_kernelINS0_14default_configENS1_22reduce_config_selectorItEEZNS1_11reduce_implILb1ES3_N6thrust23THRUST_200600_302600_NS6detail15normal_iteratorINS8_10device_ptrItEEEEPffNS8_4plusIfEEEE10hipError_tPvRmT1_T2_T3_mT4_P12ihipStream_tbEUlT_E1_NS1_11comp_targetILNS1_3genE10ELNS1_11target_archE1201ELNS1_3gpuE5ELNS1_3repE0EEENS1_30default_config_static_selectorELNS0_4arch9wavefront6targetE1EEEvSK_.has_dyn_sized_stack, 0
	.set _ZN7rocprim17ROCPRIM_400000_NS6detail17trampoline_kernelINS0_14default_configENS1_22reduce_config_selectorItEEZNS1_11reduce_implILb1ES3_N6thrust23THRUST_200600_302600_NS6detail15normal_iteratorINS8_10device_ptrItEEEEPffNS8_4plusIfEEEE10hipError_tPvRmT1_T2_T3_mT4_P12ihipStream_tbEUlT_E1_NS1_11comp_targetILNS1_3genE10ELNS1_11target_archE1201ELNS1_3gpuE5ELNS1_3repE0EEENS1_30default_config_static_selectorELNS0_4arch9wavefront6targetE1EEEvSK_.has_recursion, 0
	.set _ZN7rocprim17ROCPRIM_400000_NS6detail17trampoline_kernelINS0_14default_configENS1_22reduce_config_selectorItEEZNS1_11reduce_implILb1ES3_N6thrust23THRUST_200600_302600_NS6detail15normal_iteratorINS8_10device_ptrItEEEEPffNS8_4plusIfEEEE10hipError_tPvRmT1_T2_T3_mT4_P12ihipStream_tbEUlT_E1_NS1_11comp_targetILNS1_3genE10ELNS1_11target_archE1201ELNS1_3gpuE5ELNS1_3repE0EEENS1_30default_config_static_selectorELNS0_4arch9wavefront6targetE1EEEvSK_.has_indirect_call, 0
	.section	.AMDGPU.csdata,"",@progbits
; Kernel info:
; codeLenInByte = 0
; TotalNumSgprs: 6
; NumVgprs: 0
; NumAgprs: 0
; TotalNumVgprs: 0
; ScratchSize: 0
; MemoryBound: 0
; FloatMode: 240
; IeeeMode: 1
; LDSByteSize: 0 bytes/workgroup (compile time only)
; SGPRBlocks: 0
; VGPRBlocks: 0
; NumSGPRsForWavesPerEU: 6
; NumVGPRsForWavesPerEU: 1
; AccumOffset: 4
; Occupancy: 8
; WaveLimiterHint : 0
; COMPUTE_PGM_RSRC2:SCRATCH_EN: 0
; COMPUTE_PGM_RSRC2:USER_SGPR: 2
; COMPUTE_PGM_RSRC2:TRAP_HANDLER: 0
; COMPUTE_PGM_RSRC2:TGID_X_EN: 1
; COMPUTE_PGM_RSRC2:TGID_Y_EN: 0
; COMPUTE_PGM_RSRC2:TGID_Z_EN: 0
; COMPUTE_PGM_RSRC2:TIDIG_COMP_CNT: 0
; COMPUTE_PGM_RSRC3_GFX90A:ACCUM_OFFSET: 0
; COMPUTE_PGM_RSRC3_GFX90A:TG_SPLIT: 0
	.section	.text._ZN7rocprim17ROCPRIM_400000_NS6detail17trampoline_kernelINS0_14default_configENS1_22reduce_config_selectorItEEZNS1_11reduce_implILb1ES3_N6thrust23THRUST_200600_302600_NS6detail15normal_iteratorINS8_10device_ptrItEEEEPffNS8_4plusIfEEEE10hipError_tPvRmT1_T2_T3_mT4_P12ihipStream_tbEUlT_E1_NS1_11comp_targetILNS1_3genE10ELNS1_11target_archE1200ELNS1_3gpuE4ELNS1_3repE0EEENS1_30default_config_static_selectorELNS0_4arch9wavefront6targetE1EEEvSK_,"axG",@progbits,_ZN7rocprim17ROCPRIM_400000_NS6detail17trampoline_kernelINS0_14default_configENS1_22reduce_config_selectorItEEZNS1_11reduce_implILb1ES3_N6thrust23THRUST_200600_302600_NS6detail15normal_iteratorINS8_10device_ptrItEEEEPffNS8_4plusIfEEEE10hipError_tPvRmT1_T2_T3_mT4_P12ihipStream_tbEUlT_E1_NS1_11comp_targetILNS1_3genE10ELNS1_11target_archE1200ELNS1_3gpuE4ELNS1_3repE0EEENS1_30default_config_static_selectorELNS0_4arch9wavefront6targetE1EEEvSK_,comdat
	.protected	_ZN7rocprim17ROCPRIM_400000_NS6detail17trampoline_kernelINS0_14default_configENS1_22reduce_config_selectorItEEZNS1_11reduce_implILb1ES3_N6thrust23THRUST_200600_302600_NS6detail15normal_iteratorINS8_10device_ptrItEEEEPffNS8_4plusIfEEEE10hipError_tPvRmT1_T2_T3_mT4_P12ihipStream_tbEUlT_E1_NS1_11comp_targetILNS1_3genE10ELNS1_11target_archE1200ELNS1_3gpuE4ELNS1_3repE0EEENS1_30default_config_static_selectorELNS0_4arch9wavefront6targetE1EEEvSK_ ; -- Begin function _ZN7rocprim17ROCPRIM_400000_NS6detail17trampoline_kernelINS0_14default_configENS1_22reduce_config_selectorItEEZNS1_11reduce_implILb1ES3_N6thrust23THRUST_200600_302600_NS6detail15normal_iteratorINS8_10device_ptrItEEEEPffNS8_4plusIfEEEE10hipError_tPvRmT1_T2_T3_mT4_P12ihipStream_tbEUlT_E1_NS1_11comp_targetILNS1_3genE10ELNS1_11target_archE1200ELNS1_3gpuE4ELNS1_3repE0EEENS1_30default_config_static_selectorELNS0_4arch9wavefront6targetE1EEEvSK_
	.globl	_ZN7rocprim17ROCPRIM_400000_NS6detail17trampoline_kernelINS0_14default_configENS1_22reduce_config_selectorItEEZNS1_11reduce_implILb1ES3_N6thrust23THRUST_200600_302600_NS6detail15normal_iteratorINS8_10device_ptrItEEEEPffNS8_4plusIfEEEE10hipError_tPvRmT1_T2_T3_mT4_P12ihipStream_tbEUlT_E1_NS1_11comp_targetILNS1_3genE10ELNS1_11target_archE1200ELNS1_3gpuE4ELNS1_3repE0EEENS1_30default_config_static_selectorELNS0_4arch9wavefront6targetE1EEEvSK_
	.p2align	8
	.type	_ZN7rocprim17ROCPRIM_400000_NS6detail17trampoline_kernelINS0_14default_configENS1_22reduce_config_selectorItEEZNS1_11reduce_implILb1ES3_N6thrust23THRUST_200600_302600_NS6detail15normal_iteratorINS8_10device_ptrItEEEEPffNS8_4plusIfEEEE10hipError_tPvRmT1_T2_T3_mT4_P12ihipStream_tbEUlT_E1_NS1_11comp_targetILNS1_3genE10ELNS1_11target_archE1200ELNS1_3gpuE4ELNS1_3repE0EEENS1_30default_config_static_selectorELNS0_4arch9wavefront6targetE1EEEvSK_,@function
_ZN7rocprim17ROCPRIM_400000_NS6detail17trampoline_kernelINS0_14default_configENS1_22reduce_config_selectorItEEZNS1_11reduce_implILb1ES3_N6thrust23THRUST_200600_302600_NS6detail15normal_iteratorINS8_10device_ptrItEEEEPffNS8_4plusIfEEEE10hipError_tPvRmT1_T2_T3_mT4_P12ihipStream_tbEUlT_E1_NS1_11comp_targetILNS1_3genE10ELNS1_11target_archE1200ELNS1_3gpuE4ELNS1_3repE0EEENS1_30default_config_static_selectorELNS0_4arch9wavefront6targetE1EEEvSK_: ; @_ZN7rocprim17ROCPRIM_400000_NS6detail17trampoline_kernelINS0_14default_configENS1_22reduce_config_selectorItEEZNS1_11reduce_implILb1ES3_N6thrust23THRUST_200600_302600_NS6detail15normal_iteratorINS8_10device_ptrItEEEEPffNS8_4plusIfEEEE10hipError_tPvRmT1_T2_T3_mT4_P12ihipStream_tbEUlT_E1_NS1_11comp_targetILNS1_3genE10ELNS1_11target_archE1200ELNS1_3gpuE4ELNS1_3repE0EEENS1_30default_config_static_selectorELNS0_4arch9wavefront6targetE1EEEvSK_
; %bb.0:
	.section	.rodata,"a",@progbits
	.p2align	6, 0x0
	.amdhsa_kernel _ZN7rocprim17ROCPRIM_400000_NS6detail17trampoline_kernelINS0_14default_configENS1_22reduce_config_selectorItEEZNS1_11reduce_implILb1ES3_N6thrust23THRUST_200600_302600_NS6detail15normal_iteratorINS8_10device_ptrItEEEEPffNS8_4plusIfEEEE10hipError_tPvRmT1_T2_T3_mT4_P12ihipStream_tbEUlT_E1_NS1_11comp_targetILNS1_3genE10ELNS1_11target_archE1200ELNS1_3gpuE4ELNS1_3repE0EEENS1_30default_config_static_selectorELNS0_4arch9wavefront6targetE1EEEvSK_
		.amdhsa_group_segment_fixed_size 0
		.amdhsa_private_segment_fixed_size 0
		.amdhsa_kernarg_size 40
		.amdhsa_user_sgpr_count 2
		.amdhsa_user_sgpr_dispatch_ptr 0
		.amdhsa_user_sgpr_queue_ptr 0
		.amdhsa_user_sgpr_kernarg_segment_ptr 1
		.amdhsa_user_sgpr_dispatch_id 0
		.amdhsa_user_sgpr_kernarg_preload_length 0
		.amdhsa_user_sgpr_kernarg_preload_offset 0
		.amdhsa_user_sgpr_private_segment_size 0
		.amdhsa_uses_dynamic_stack 0
		.amdhsa_enable_private_segment 0
		.amdhsa_system_sgpr_workgroup_id_x 1
		.amdhsa_system_sgpr_workgroup_id_y 0
		.amdhsa_system_sgpr_workgroup_id_z 0
		.amdhsa_system_sgpr_workgroup_info 0
		.amdhsa_system_vgpr_workitem_id 0
		.amdhsa_next_free_vgpr 1
		.amdhsa_next_free_sgpr 0
		.amdhsa_accum_offset 4
		.amdhsa_reserve_vcc 0
		.amdhsa_float_round_mode_32 0
		.amdhsa_float_round_mode_16_64 0
		.amdhsa_float_denorm_mode_32 3
		.amdhsa_float_denorm_mode_16_64 3
		.amdhsa_dx10_clamp 1
		.amdhsa_ieee_mode 1
		.amdhsa_fp16_overflow 0
		.amdhsa_tg_split 0
		.amdhsa_exception_fp_ieee_invalid_op 0
		.amdhsa_exception_fp_denorm_src 0
		.amdhsa_exception_fp_ieee_div_zero 0
		.amdhsa_exception_fp_ieee_overflow 0
		.amdhsa_exception_fp_ieee_underflow 0
		.amdhsa_exception_fp_ieee_inexact 0
		.amdhsa_exception_int_div_zero 0
	.end_amdhsa_kernel
	.section	.text._ZN7rocprim17ROCPRIM_400000_NS6detail17trampoline_kernelINS0_14default_configENS1_22reduce_config_selectorItEEZNS1_11reduce_implILb1ES3_N6thrust23THRUST_200600_302600_NS6detail15normal_iteratorINS8_10device_ptrItEEEEPffNS8_4plusIfEEEE10hipError_tPvRmT1_T2_T3_mT4_P12ihipStream_tbEUlT_E1_NS1_11comp_targetILNS1_3genE10ELNS1_11target_archE1200ELNS1_3gpuE4ELNS1_3repE0EEENS1_30default_config_static_selectorELNS0_4arch9wavefront6targetE1EEEvSK_,"axG",@progbits,_ZN7rocprim17ROCPRIM_400000_NS6detail17trampoline_kernelINS0_14default_configENS1_22reduce_config_selectorItEEZNS1_11reduce_implILb1ES3_N6thrust23THRUST_200600_302600_NS6detail15normal_iteratorINS8_10device_ptrItEEEEPffNS8_4plusIfEEEE10hipError_tPvRmT1_T2_T3_mT4_P12ihipStream_tbEUlT_E1_NS1_11comp_targetILNS1_3genE10ELNS1_11target_archE1200ELNS1_3gpuE4ELNS1_3repE0EEENS1_30default_config_static_selectorELNS0_4arch9wavefront6targetE1EEEvSK_,comdat
.Lfunc_end456:
	.size	_ZN7rocprim17ROCPRIM_400000_NS6detail17trampoline_kernelINS0_14default_configENS1_22reduce_config_selectorItEEZNS1_11reduce_implILb1ES3_N6thrust23THRUST_200600_302600_NS6detail15normal_iteratorINS8_10device_ptrItEEEEPffNS8_4plusIfEEEE10hipError_tPvRmT1_T2_T3_mT4_P12ihipStream_tbEUlT_E1_NS1_11comp_targetILNS1_3genE10ELNS1_11target_archE1200ELNS1_3gpuE4ELNS1_3repE0EEENS1_30default_config_static_selectorELNS0_4arch9wavefront6targetE1EEEvSK_, .Lfunc_end456-_ZN7rocprim17ROCPRIM_400000_NS6detail17trampoline_kernelINS0_14default_configENS1_22reduce_config_selectorItEEZNS1_11reduce_implILb1ES3_N6thrust23THRUST_200600_302600_NS6detail15normal_iteratorINS8_10device_ptrItEEEEPffNS8_4plusIfEEEE10hipError_tPvRmT1_T2_T3_mT4_P12ihipStream_tbEUlT_E1_NS1_11comp_targetILNS1_3genE10ELNS1_11target_archE1200ELNS1_3gpuE4ELNS1_3repE0EEENS1_30default_config_static_selectorELNS0_4arch9wavefront6targetE1EEEvSK_
                                        ; -- End function
	.set _ZN7rocprim17ROCPRIM_400000_NS6detail17trampoline_kernelINS0_14default_configENS1_22reduce_config_selectorItEEZNS1_11reduce_implILb1ES3_N6thrust23THRUST_200600_302600_NS6detail15normal_iteratorINS8_10device_ptrItEEEEPffNS8_4plusIfEEEE10hipError_tPvRmT1_T2_T3_mT4_P12ihipStream_tbEUlT_E1_NS1_11comp_targetILNS1_3genE10ELNS1_11target_archE1200ELNS1_3gpuE4ELNS1_3repE0EEENS1_30default_config_static_selectorELNS0_4arch9wavefront6targetE1EEEvSK_.num_vgpr, 0
	.set _ZN7rocprim17ROCPRIM_400000_NS6detail17trampoline_kernelINS0_14default_configENS1_22reduce_config_selectorItEEZNS1_11reduce_implILb1ES3_N6thrust23THRUST_200600_302600_NS6detail15normal_iteratorINS8_10device_ptrItEEEEPffNS8_4plusIfEEEE10hipError_tPvRmT1_T2_T3_mT4_P12ihipStream_tbEUlT_E1_NS1_11comp_targetILNS1_3genE10ELNS1_11target_archE1200ELNS1_3gpuE4ELNS1_3repE0EEENS1_30default_config_static_selectorELNS0_4arch9wavefront6targetE1EEEvSK_.num_agpr, 0
	.set _ZN7rocprim17ROCPRIM_400000_NS6detail17trampoline_kernelINS0_14default_configENS1_22reduce_config_selectorItEEZNS1_11reduce_implILb1ES3_N6thrust23THRUST_200600_302600_NS6detail15normal_iteratorINS8_10device_ptrItEEEEPffNS8_4plusIfEEEE10hipError_tPvRmT1_T2_T3_mT4_P12ihipStream_tbEUlT_E1_NS1_11comp_targetILNS1_3genE10ELNS1_11target_archE1200ELNS1_3gpuE4ELNS1_3repE0EEENS1_30default_config_static_selectorELNS0_4arch9wavefront6targetE1EEEvSK_.numbered_sgpr, 0
	.set _ZN7rocprim17ROCPRIM_400000_NS6detail17trampoline_kernelINS0_14default_configENS1_22reduce_config_selectorItEEZNS1_11reduce_implILb1ES3_N6thrust23THRUST_200600_302600_NS6detail15normal_iteratorINS8_10device_ptrItEEEEPffNS8_4plusIfEEEE10hipError_tPvRmT1_T2_T3_mT4_P12ihipStream_tbEUlT_E1_NS1_11comp_targetILNS1_3genE10ELNS1_11target_archE1200ELNS1_3gpuE4ELNS1_3repE0EEENS1_30default_config_static_selectorELNS0_4arch9wavefront6targetE1EEEvSK_.num_named_barrier, 0
	.set _ZN7rocprim17ROCPRIM_400000_NS6detail17trampoline_kernelINS0_14default_configENS1_22reduce_config_selectorItEEZNS1_11reduce_implILb1ES3_N6thrust23THRUST_200600_302600_NS6detail15normal_iteratorINS8_10device_ptrItEEEEPffNS8_4plusIfEEEE10hipError_tPvRmT1_T2_T3_mT4_P12ihipStream_tbEUlT_E1_NS1_11comp_targetILNS1_3genE10ELNS1_11target_archE1200ELNS1_3gpuE4ELNS1_3repE0EEENS1_30default_config_static_selectorELNS0_4arch9wavefront6targetE1EEEvSK_.private_seg_size, 0
	.set _ZN7rocprim17ROCPRIM_400000_NS6detail17trampoline_kernelINS0_14default_configENS1_22reduce_config_selectorItEEZNS1_11reduce_implILb1ES3_N6thrust23THRUST_200600_302600_NS6detail15normal_iteratorINS8_10device_ptrItEEEEPffNS8_4plusIfEEEE10hipError_tPvRmT1_T2_T3_mT4_P12ihipStream_tbEUlT_E1_NS1_11comp_targetILNS1_3genE10ELNS1_11target_archE1200ELNS1_3gpuE4ELNS1_3repE0EEENS1_30default_config_static_selectorELNS0_4arch9wavefront6targetE1EEEvSK_.uses_vcc, 0
	.set _ZN7rocprim17ROCPRIM_400000_NS6detail17trampoline_kernelINS0_14default_configENS1_22reduce_config_selectorItEEZNS1_11reduce_implILb1ES3_N6thrust23THRUST_200600_302600_NS6detail15normal_iteratorINS8_10device_ptrItEEEEPffNS8_4plusIfEEEE10hipError_tPvRmT1_T2_T3_mT4_P12ihipStream_tbEUlT_E1_NS1_11comp_targetILNS1_3genE10ELNS1_11target_archE1200ELNS1_3gpuE4ELNS1_3repE0EEENS1_30default_config_static_selectorELNS0_4arch9wavefront6targetE1EEEvSK_.uses_flat_scratch, 0
	.set _ZN7rocprim17ROCPRIM_400000_NS6detail17trampoline_kernelINS0_14default_configENS1_22reduce_config_selectorItEEZNS1_11reduce_implILb1ES3_N6thrust23THRUST_200600_302600_NS6detail15normal_iteratorINS8_10device_ptrItEEEEPffNS8_4plusIfEEEE10hipError_tPvRmT1_T2_T3_mT4_P12ihipStream_tbEUlT_E1_NS1_11comp_targetILNS1_3genE10ELNS1_11target_archE1200ELNS1_3gpuE4ELNS1_3repE0EEENS1_30default_config_static_selectorELNS0_4arch9wavefront6targetE1EEEvSK_.has_dyn_sized_stack, 0
	.set _ZN7rocprim17ROCPRIM_400000_NS6detail17trampoline_kernelINS0_14default_configENS1_22reduce_config_selectorItEEZNS1_11reduce_implILb1ES3_N6thrust23THRUST_200600_302600_NS6detail15normal_iteratorINS8_10device_ptrItEEEEPffNS8_4plusIfEEEE10hipError_tPvRmT1_T2_T3_mT4_P12ihipStream_tbEUlT_E1_NS1_11comp_targetILNS1_3genE10ELNS1_11target_archE1200ELNS1_3gpuE4ELNS1_3repE0EEENS1_30default_config_static_selectorELNS0_4arch9wavefront6targetE1EEEvSK_.has_recursion, 0
	.set _ZN7rocprim17ROCPRIM_400000_NS6detail17trampoline_kernelINS0_14default_configENS1_22reduce_config_selectorItEEZNS1_11reduce_implILb1ES3_N6thrust23THRUST_200600_302600_NS6detail15normal_iteratorINS8_10device_ptrItEEEEPffNS8_4plusIfEEEE10hipError_tPvRmT1_T2_T3_mT4_P12ihipStream_tbEUlT_E1_NS1_11comp_targetILNS1_3genE10ELNS1_11target_archE1200ELNS1_3gpuE4ELNS1_3repE0EEENS1_30default_config_static_selectorELNS0_4arch9wavefront6targetE1EEEvSK_.has_indirect_call, 0
	.section	.AMDGPU.csdata,"",@progbits
; Kernel info:
; codeLenInByte = 0
; TotalNumSgprs: 6
; NumVgprs: 0
; NumAgprs: 0
; TotalNumVgprs: 0
; ScratchSize: 0
; MemoryBound: 0
; FloatMode: 240
; IeeeMode: 1
; LDSByteSize: 0 bytes/workgroup (compile time only)
; SGPRBlocks: 0
; VGPRBlocks: 0
; NumSGPRsForWavesPerEU: 6
; NumVGPRsForWavesPerEU: 1
; AccumOffset: 4
; Occupancy: 8
; WaveLimiterHint : 0
; COMPUTE_PGM_RSRC2:SCRATCH_EN: 0
; COMPUTE_PGM_RSRC2:USER_SGPR: 2
; COMPUTE_PGM_RSRC2:TRAP_HANDLER: 0
; COMPUTE_PGM_RSRC2:TGID_X_EN: 1
; COMPUTE_PGM_RSRC2:TGID_Y_EN: 0
; COMPUTE_PGM_RSRC2:TGID_Z_EN: 0
; COMPUTE_PGM_RSRC2:TIDIG_COMP_CNT: 0
; COMPUTE_PGM_RSRC3_GFX90A:ACCUM_OFFSET: 0
; COMPUTE_PGM_RSRC3_GFX90A:TG_SPLIT: 0
	.section	.text._ZN7rocprim17ROCPRIM_400000_NS6detail17trampoline_kernelINS0_14default_configENS1_22reduce_config_selectorItEEZNS1_11reduce_implILb1ES3_N6thrust23THRUST_200600_302600_NS6detail15normal_iteratorINS8_10device_ptrItEEEEPffNS8_4plusIfEEEE10hipError_tPvRmT1_T2_T3_mT4_P12ihipStream_tbEUlT_E1_NS1_11comp_targetILNS1_3genE9ELNS1_11target_archE1100ELNS1_3gpuE3ELNS1_3repE0EEENS1_30default_config_static_selectorELNS0_4arch9wavefront6targetE1EEEvSK_,"axG",@progbits,_ZN7rocprim17ROCPRIM_400000_NS6detail17trampoline_kernelINS0_14default_configENS1_22reduce_config_selectorItEEZNS1_11reduce_implILb1ES3_N6thrust23THRUST_200600_302600_NS6detail15normal_iteratorINS8_10device_ptrItEEEEPffNS8_4plusIfEEEE10hipError_tPvRmT1_T2_T3_mT4_P12ihipStream_tbEUlT_E1_NS1_11comp_targetILNS1_3genE9ELNS1_11target_archE1100ELNS1_3gpuE3ELNS1_3repE0EEENS1_30default_config_static_selectorELNS0_4arch9wavefront6targetE1EEEvSK_,comdat
	.protected	_ZN7rocprim17ROCPRIM_400000_NS6detail17trampoline_kernelINS0_14default_configENS1_22reduce_config_selectorItEEZNS1_11reduce_implILb1ES3_N6thrust23THRUST_200600_302600_NS6detail15normal_iteratorINS8_10device_ptrItEEEEPffNS8_4plusIfEEEE10hipError_tPvRmT1_T2_T3_mT4_P12ihipStream_tbEUlT_E1_NS1_11comp_targetILNS1_3genE9ELNS1_11target_archE1100ELNS1_3gpuE3ELNS1_3repE0EEENS1_30default_config_static_selectorELNS0_4arch9wavefront6targetE1EEEvSK_ ; -- Begin function _ZN7rocprim17ROCPRIM_400000_NS6detail17trampoline_kernelINS0_14default_configENS1_22reduce_config_selectorItEEZNS1_11reduce_implILb1ES3_N6thrust23THRUST_200600_302600_NS6detail15normal_iteratorINS8_10device_ptrItEEEEPffNS8_4plusIfEEEE10hipError_tPvRmT1_T2_T3_mT4_P12ihipStream_tbEUlT_E1_NS1_11comp_targetILNS1_3genE9ELNS1_11target_archE1100ELNS1_3gpuE3ELNS1_3repE0EEENS1_30default_config_static_selectorELNS0_4arch9wavefront6targetE1EEEvSK_
	.globl	_ZN7rocprim17ROCPRIM_400000_NS6detail17trampoline_kernelINS0_14default_configENS1_22reduce_config_selectorItEEZNS1_11reduce_implILb1ES3_N6thrust23THRUST_200600_302600_NS6detail15normal_iteratorINS8_10device_ptrItEEEEPffNS8_4plusIfEEEE10hipError_tPvRmT1_T2_T3_mT4_P12ihipStream_tbEUlT_E1_NS1_11comp_targetILNS1_3genE9ELNS1_11target_archE1100ELNS1_3gpuE3ELNS1_3repE0EEENS1_30default_config_static_selectorELNS0_4arch9wavefront6targetE1EEEvSK_
	.p2align	8
	.type	_ZN7rocprim17ROCPRIM_400000_NS6detail17trampoline_kernelINS0_14default_configENS1_22reduce_config_selectorItEEZNS1_11reduce_implILb1ES3_N6thrust23THRUST_200600_302600_NS6detail15normal_iteratorINS8_10device_ptrItEEEEPffNS8_4plusIfEEEE10hipError_tPvRmT1_T2_T3_mT4_P12ihipStream_tbEUlT_E1_NS1_11comp_targetILNS1_3genE9ELNS1_11target_archE1100ELNS1_3gpuE3ELNS1_3repE0EEENS1_30default_config_static_selectorELNS0_4arch9wavefront6targetE1EEEvSK_,@function
_ZN7rocprim17ROCPRIM_400000_NS6detail17trampoline_kernelINS0_14default_configENS1_22reduce_config_selectorItEEZNS1_11reduce_implILb1ES3_N6thrust23THRUST_200600_302600_NS6detail15normal_iteratorINS8_10device_ptrItEEEEPffNS8_4plusIfEEEE10hipError_tPvRmT1_T2_T3_mT4_P12ihipStream_tbEUlT_E1_NS1_11comp_targetILNS1_3genE9ELNS1_11target_archE1100ELNS1_3gpuE3ELNS1_3repE0EEENS1_30default_config_static_selectorELNS0_4arch9wavefront6targetE1EEEvSK_: ; @_ZN7rocprim17ROCPRIM_400000_NS6detail17trampoline_kernelINS0_14default_configENS1_22reduce_config_selectorItEEZNS1_11reduce_implILb1ES3_N6thrust23THRUST_200600_302600_NS6detail15normal_iteratorINS8_10device_ptrItEEEEPffNS8_4plusIfEEEE10hipError_tPvRmT1_T2_T3_mT4_P12ihipStream_tbEUlT_E1_NS1_11comp_targetILNS1_3genE9ELNS1_11target_archE1100ELNS1_3gpuE3ELNS1_3repE0EEENS1_30default_config_static_selectorELNS0_4arch9wavefront6targetE1EEEvSK_
; %bb.0:
	.section	.rodata,"a",@progbits
	.p2align	6, 0x0
	.amdhsa_kernel _ZN7rocprim17ROCPRIM_400000_NS6detail17trampoline_kernelINS0_14default_configENS1_22reduce_config_selectorItEEZNS1_11reduce_implILb1ES3_N6thrust23THRUST_200600_302600_NS6detail15normal_iteratorINS8_10device_ptrItEEEEPffNS8_4plusIfEEEE10hipError_tPvRmT1_T2_T3_mT4_P12ihipStream_tbEUlT_E1_NS1_11comp_targetILNS1_3genE9ELNS1_11target_archE1100ELNS1_3gpuE3ELNS1_3repE0EEENS1_30default_config_static_selectorELNS0_4arch9wavefront6targetE1EEEvSK_
		.amdhsa_group_segment_fixed_size 0
		.amdhsa_private_segment_fixed_size 0
		.amdhsa_kernarg_size 40
		.amdhsa_user_sgpr_count 2
		.amdhsa_user_sgpr_dispatch_ptr 0
		.amdhsa_user_sgpr_queue_ptr 0
		.amdhsa_user_sgpr_kernarg_segment_ptr 1
		.amdhsa_user_sgpr_dispatch_id 0
		.amdhsa_user_sgpr_kernarg_preload_length 0
		.amdhsa_user_sgpr_kernarg_preload_offset 0
		.amdhsa_user_sgpr_private_segment_size 0
		.amdhsa_uses_dynamic_stack 0
		.amdhsa_enable_private_segment 0
		.amdhsa_system_sgpr_workgroup_id_x 1
		.amdhsa_system_sgpr_workgroup_id_y 0
		.amdhsa_system_sgpr_workgroup_id_z 0
		.amdhsa_system_sgpr_workgroup_info 0
		.amdhsa_system_vgpr_workitem_id 0
		.amdhsa_next_free_vgpr 1
		.amdhsa_next_free_sgpr 0
		.amdhsa_accum_offset 4
		.amdhsa_reserve_vcc 0
		.amdhsa_float_round_mode_32 0
		.amdhsa_float_round_mode_16_64 0
		.amdhsa_float_denorm_mode_32 3
		.amdhsa_float_denorm_mode_16_64 3
		.amdhsa_dx10_clamp 1
		.amdhsa_ieee_mode 1
		.amdhsa_fp16_overflow 0
		.amdhsa_tg_split 0
		.amdhsa_exception_fp_ieee_invalid_op 0
		.amdhsa_exception_fp_denorm_src 0
		.amdhsa_exception_fp_ieee_div_zero 0
		.amdhsa_exception_fp_ieee_overflow 0
		.amdhsa_exception_fp_ieee_underflow 0
		.amdhsa_exception_fp_ieee_inexact 0
		.amdhsa_exception_int_div_zero 0
	.end_amdhsa_kernel
	.section	.text._ZN7rocprim17ROCPRIM_400000_NS6detail17trampoline_kernelINS0_14default_configENS1_22reduce_config_selectorItEEZNS1_11reduce_implILb1ES3_N6thrust23THRUST_200600_302600_NS6detail15normal_iteratorINS8_10device_ptrItEEEEPffNS8_4plusIfEEEE10hipError_tPvRmT1_T2_T3_mT4_P12ihipStream_tbEUlT_E1_NS1_11comp_targetILNS1_3genE9ELNS1_11target_archE1100ELNS1_3gpuE3ELNS1_3repE0EEENS1_30default_config_static_selectorELNS0_4arch9wavefront6targetE1EEEvSK_,"axG",@progbits,_ZN7rocprim17ROCPRIM_400000_NS6detail17trampoline_kernelINS0_14default_configENS1_22reduce_config_selectorItEEZNS1_11reduce_implILb1ES3_N6thrust23THRUST_200600_302600_NS6detail15normal_iteratorINS8_10device_ptrItEEEEPffNS8_4plusIfEEEE10hipError_tPvRmT1_T2_T3_mT4_P12ihipStream_tbEUlT_E1_NS1_11comp_targetILNS1_3genE9ELNS1_11target_archE1100ELNS1_3gpuE3ELNS1_3repE0EEENS1_30default_config_static_selectorELNS0_4arch9wavefront6targetE1EEEvSK_,comdat
.Lfunc_end457:
	.size	_ZN7rocprim17ROCPRIM_400000_NS6detail17trampoline_kernelINS0_14default_configENS1_22reduce_config_selectorItEEZNS1_11reduce_implILb1ES3_N6thrust23THRUST_200600_302600_NS6detail15normal_iteratorINS8_10device_ptrItEEEEPffNS8_4plusIfEEEE10hipError_tPvRmT1_T2_T3_mT4_P12ihipStream_tbEUlT_E1_NS1_11comp_targetILNS1_3genE9ELNS1_11target_archE1100ELNS1_3gpuE3ELNS1_3repE0EEENS1_30default_config_static_selectorELNS0_4arch9wavefront6targetE1EEEvSK_, .Lfunc_end457-_ZN7rocprim17ROCPRIM_400000_NS6detail17trampoline_kernelINS0_14default_configENS1_22reduce_config_selectorItEEZNS1_11reduce_implILb1ES3_N6thrust23THRUST_200600_302600_NS6detail15normal_iteratorINS8_10device_ptrItEEEEPffNS8_4plusIfEEEE10hipError_tPvRmT1_T2_T3_mT4_P12ihipStream_tbEUlT_E1_NS1_11comp_targetILNS1_3genE9ELNS1_11target_archE1100ELNS1_3gpuE3ELNS1_3repE0EEENS1_30default_config_static_selectorELNS0_4arch9wavefront6targetE1EEEvSK_
                                        ; -- End function
	.set _ZN7rocprim17ROCPRIM_400000_NS6detail17trampoline_kernelINS0_14default_configENS1_22reduce_config_selectorItEEZNS1_11reduce_implILb1ES3_N6thrust23THRUST_200600_302600_NS6detail15normal_iteratorINS8_10device_ptrItEEEEPffNS8_4plusIfEEEE10hipError_tPvRmT1_T2_T3_mT4_P12ihipStream_tbEUlT_E1_NS1_11comp_targetILNS1_3genE9ELNS1_11target_archE1100ELNS1_3gpuE3ELNS1_3repE0EEENS1_30default_config_static_selectorELNS0_4arch9wavefront6targetE1EEEvSK_.num_vgpr, 0
	.set _ZN7rocprim17ROCPRIM_400000_NS6detail17trampoline_kernelINS0_14default_configENS1_22reduce_config_selectorItEEZNS1_11reduce_implILb1ES3_N6thrust23THRUST_200600_302600_NS6detail15normal_iteratorINS8_10device_ptrItEEEEPffNS8_4plusIfEEEE10hipError_tPvRmT1_T2_T3_mT4_P12ihipStream_tbEUlT_E1_NS1_11comp_targetILNS1_3genE9ELNS1_11target_archE1100ELNS1_3gpuE3ELNS1_3repE0EEENS1_30default_config_static_selectorELNS0_4arch9wavefront6targetE1EEEvSK_.num_agpr, 0
	.set _ZN7rocprim17ROCPRIM_400000_NS6detail17trampoline_kernelINS0_14default_configENS1_22reduce_config_selectorItEEZNS1_11reduce_implILb1ES3_N6thrust23THRUST_200600_302600_NS6detail15normal_iteratorINS8_10device_ptrItEEEEPffNS8_4plusIfEEEE10hipError_tPvRmT1_T2_T3_mT4_P12ihipStream_tbEUlT_E1_NS1_11comp_targetILNS1_3genE9ELNS1_11target_archE1100ELNS1_3gpuE3ELNS1_3repE0EEENS1_30default_config_static_selectorELNS0_4arch9wavefront6targetE1EEEvSK_.numbered_sgpr, 0
	.set _ZN7rocprim17ROCPRIM_400000_NS6detail17trampoline_kernelINS0_14default_configENS1_22reduce_config_selectorItEEZNS1_11reduce_implILb1ES3_N6thrust23THRUST_200600_302600_NS6detail15normal_iteratorINS8_10device_ptrItEEEEPffNS8_4plusIfEEEE10hipError_tPvRmT1_T2_T3_mT4_P12ihipStream_tbEUlT_E1_NS1_11comp_targetILNS1_3genE9ELNS1_11target_archE1100ELNS1_3gpuE3ELNS1_3repE0EEENS1_30default_config_static_selectorELNS0_4arch9wavefront6targetE1EEEvSK_.num_named_barrier, 0
	.set _ZN7rocprim17ROCPRIM_400000_NS6detail17trampoline_kernelINS0_14default_configENS1_22reduce_config_selectorItEEZNS1_11reduce_implILb1ES3_N6thrust23THRUST_200600_302600_NS6detail15normal_iteratorINS8_10device_ptrItEEEEPffNS8_4plusIfEEEE10hipError_tPvRmT1_T2_T3_mT4_P12ihipStream_tbEUlT_E1_NS1_11comp_targetILNS1_3genE9ELNS1_11target_archE1100ELNS1_3gpuE3ELNS1_3repE0EEENS1_30default_config_static_selectorELNS0_4arch9wavefront6targetE1EEEvSK_.private_seg_size, 0
	.set _ZN7rocprim17ROCPRIM_400000_NS6detail17trampoline_kernelINS0_14default_configENS1_22reduce_config_selectorItEEZNS1_11reduce_implILb1ES3_N6thrust23THRUST_200600_302600_NS6detail15normal_iteratorINS8_10device_ptrItEEEEPffNS8_4plusIfEEEE10hipError_tPvRmT1_T2_T3_mT4_P12ihipStream_tbEUlT_E1_NS1_11comp_targetILNS1_3genE9ELNS1_11target_archE1100ELNS1_3gpuE3ELNS1_3repE0EEENS1_30default_config_static_selectorELNS0_4arch9wavefront6targetE1EEEvSK_.uses_vcc, 0
	.set _ZN7rocprim17ROCPRIM_400000_NS6detail17trampoline_kernelINS0_14default_configENS1_22reduce_config_selectorItEEZNS1_11reduce_implILb1ES3_N6thrust23THRUST_200600_302600_NS6detail15normal_iteratorINS8_10device_ptrItEEEEPffNS8_4plusIfEEEE10hipError_tPvRmT1_T2_T3_mT4_P12ihipStream_tbEUlT_E1_NS1_11comp_targetILNS1_3genE9ELNS1_11target_archE1100ELNS1_3gpuE3ELNS1_3repE0EEENS1_30default_config_static_selectorELNS0_4arch9wavefront6targetE1EEEvSK_.uses_flat_scratch, 0
	.set _ZN7rocprim17ROCPRIM_400000_NS6detail17trampoline_kernelINS0_14default_configENS1_22reduce_config_selectorItEEZNS1_11reduce_implILb1ES3_N6thrust23THRUST_200600_302600_NS6detail15normal_iteratorINS8_10device_ptrItEEEEPffNS8_4plusIfEEEE10hipError_tPvRmT1_T2_T3_mT4_P12ihipStream_tbEUlT_E1_NS1_11comp_targetILNS1_3genE9ELNS1_11target_archE1100ELNS1_3gpuE3ELNS1_3repE0EEENS1_30default_config_static_selectorELNS0_4arch9wavefront6targetE1EEEvSK_.has_dyn_sized_stack, 0
	.set _ZN7rocprim17ROCPRIM_400000_NS6detail17trampoline_kernelINS0_14default_configENS1_22reduce_config_selectorItEEZNS1_11reduce_implILb1ES3_N6thrust23THRUST_200600_302600_NS6detail15normal_iteratorINS8_10device_ptrItEEEEPffNS8_4plusIfEEEE10hipError_tPvRmT1_T2_T3_mT4_P12ihipStream_tbEUlT_E1_NS1_11comp_targetILNS1_3genE9ELNS1_11target_archE1100ELNS1_3gpuE3ELNS1_3repE0EEENS1_30default_config_static_selectorELNS0_4arch9wavefront6targetE1EEEvSK_.has_recursion, 0
	.set _ZN7rocprim17ROCPRIM_400000_NS6detail17trampoline_kernelINS0_14default_configENS1_22reduce_config_selectorItEEZNS1_11reduce_implILb1ES3_N6thrust23THRUST_200600_302600_NS6detail15normal_iteratorINS8_10device_ptrItEEEEPffNS8_4plusIfEEEE10hipError_tPvRmT1_T2_T3_mT4_P12ihipStream_tbEUlT_E1_NS1_11comp_targetILNS1_3genE9ELNS1_11target_archE1100ELNS1_3gpuE3ELNS1_3repE0EEENS1_30default_config_static_selectorELNS0_4arch9wavefront6targetE1EEEvSK_.has_indirect_call, 0
	.section	.AMDGPU.csdata,"",@progbits
; Kernel info:
; codeLenInByte = 0
; TotalNumSgprs: 6
; NumVgprs: 0
; NumAgprs: 0
; TotalNumVgprs: 0
; ScratchSize: 0
; MemoryBound: 0
; FloatMode: 240
; IeeeMode: 1
; LDSByteSize: 0 bytes/workgroup (compile time only)
; SGPRBlocks: 0
; VGPRBlocks: 0
; NumSGPRsForWavesPerEU: 6
; NumVGPRsForWavesPerEU: 1
; AccumOffset: 4
; Occupancy: 8
; WaveLimiterHint : 0
; COMPUTE_PGM_RSRC2:SCRATCH_EN: 0
; COMPUTE_PGM_RSRC2:USER_SGPR: 2
; COMPUTE_PGM_RSRC2:TRAP_HANDLER: 0
; COMPUTE_PGM_RSRC2:TGID_X_EN: 1
; COMPUTE_PGM_RSRC2:TGID_Y_EN: 0
; COMPUTE_PGM_RSRC2:TGID_Z_EN: 0
; COMPUTE_PGM_RSRC2:TIDIG_COMP_CNT: 0
; COMPUTE_PGM_RSRC3_GFX90A:ACCUM_OFFSET: 0
; COMPUTE_PGM_RSRC3_GFX90A:TG_SPLIT: 0
	.section	.text._ZN7rocprim17ROCPRIM_400000_NS6detail17trampoline_kernelINS0_14default_configENS1_22reduce_config_selectorItEEZNS1_11reduce_implILb1ES3_N6thrust23THRUST_200600_302600_NS6detail15normal_iteratorINS8_10device_ptrItEEEEPffNS8_4plusIfEEEE10hipError_tPvRmT1_T2_T3_mT4_P12ihipStream_tbEUlT_E1_NS1_11comp_targetILNS1_3genE8ELNS1_11target_archE1030ELNS1_3gpuE2ELNS1_3repE0EEENS1_30default_config_static_selectorELNS0_4arch9wavefront6targetE1EEEvSK_,"axG",@progbits,_ZN7rocprim17ROCPRIM_400000_NS6detail17trampoline_kernelINS0_14default_configENS1_22reduce_config_selectorItEEZNS1_11reduce_implILb1ES3_N6thrust23THRUST_200600_302600_NS6detail15normal_iteratorINS8_10device_ptrItEEEEPffNS8_4plusIfEEEE10hipError_tPvRmT1_T2_T3_mT4_P12ihipStream_tbEUlT_E1_NS1_11comp_targetILNS1_3genE8ELNS1_11target_archE1030ELNS1_3gpuE2ELNS1_3repE0EEENS1_30default_config_static_selectorELNS0_4arch9wavefront6targetE1EEEvSK_,comdat
	.protected	_ZN7rocprim17ROCPRIM_400000_NS6detail17trampoline_kernelINS0_14default_configENS1_22reduce_config_selectorItEEZNS1_11reduce_implILb1ES3_N6thrust23THRUST_200600_302600_NS6detail15normal_iteratorINS8_10device_ptrItEEEEPffNS8_4plusIfEEEE10hipError_tPvRmT1_T2_T3_mT4_P12ihipStream_tbEUlT_E1_NS1_11comp_targetILNS1_3genE8ELNS1_11target_archE1030ELNS1_3gpuE2ELNS1_3repE0EEENS1_30default_config_static_selectorELNS0_4arch9wavefront6targetE1EEEvSK_ ; -- Begin function _ZN7rocprim17ROCPRIM_400000_NS6detail17trampoline_kernelINS0_14default_configENS1_22reduce_config_selectorItEEZNS1_11reduce_implILb1ES3_N6thrust23THRUST_200600_302600_NS6detail15normal_iteratorINS8_10device_ptrItEEEEPffNS8_4plusIfEEEE10hipError_tPvRmT1_T2_T3_mT4_P12ihipStream_tbEUlT_E1_NS1_11comp_targetILNS1_3genE8ELNS1_11target_archE1030ELNS1_3gpuE2ELNS1_3repE0EEENS1_30default_config_static_selectorELNS0_4arch9wavefront6targetE1EEEvSK_
	.globl	_ZN7rocprim17ROCPRIM_400000_NS6detail17trampoline_kernelINS0_14default_configENS1_22reduce_config_selectorItEEZNS1_11reduce_implILb1ES3_N6thrust23THRUST_200600_302600_NS6detail15normal_iteratorINS8_10device_ptrItEEEEPffNS8_4plusIfEEEE10hipError_tPvRmT1_T2_T3_mT4_P12ihipStream_tbEUlT_E1_NS1_11comp_targetILNS1_3genE8ELNS1_11target_archE1030ELNS1_3gpuE2ELNS1_3repE0EEENS1_30default_config_static_selectorELNS0_4arch9wavefront6targetE1EEEvSK_
	.p2align	8
	.type	_ZN7rocprim17ROCPRIM_400000_NS6detail17trampoline_kernelINS0_14default_configENS1_22reduce_config_selectorItEEZNS1_11reduce_implILb1ES3_N6thrust23THRUST_200600_302600_NS6detail15normal_iteratorINS8_10device_ptrItEEEEPffNS8_4plusIfEEEE10hipError_tPvRmT1_T2_T3_mT4_P12ihipStream_tbEUlT_E1_NS1_11comp_targetILNS1_3genE8ELNS1_11target_archE1030ELNS1_3gpuE2ELNS1_3repE0EEENS1_30default_config_static_selectorELNS0_4arch9wavefront6targetE1EEEvSK_,@function
_ZN7rocprim17ROCPRIM_400000_NS6detail17trampoline_kernelINS0_14default_configENS1_22reduce_config_selectorItEEZNS1_11reduce_implILb1ES3_N6thrust23THRUST_200600_302600_NS6detail15normal_iteratorINS8_10device_ptrItEEEEPffNS8_4plusIfEEEE10hipError_tPvRmT1_T2_T3_mT4_P12ihipStream_tbEUlT_E1_NS1_11comp_targetILNS1_3genE8ELNS1_11target_archE1030ELNS1_3gpuE2ELNS1_3repE0EEENS1_30default_config_static_selectorELNS0_4arch9wavefront6targetE1EEEvSK_: ; @_ZN7rocprim17ROCPRIM_400000_NS6detail17trampoline_kernelINS0_14default_configENS1_22reduce_config_selectorItEEZNS1_11reduce_implILb1ES3_N6thrust23THRUST_200600_302600_NS6detail15normal_iteratorINS8_10device_ptrItEEEEPffNS8_4plusIfEEEE10hipError_tPvRmT1_T2_T3_mT4_P12ihipStream_tbEUlT_E1_NS1_11comp_targetILNS1_3genE8ELNS1_11target_archE1030ELNS1_3gpuE2ELNS1_3repE0EEENS1_30default_config_static_selectorELNS0_4arch9wavefront6targetE1EEEvSK_
; %bb.0:
	.section	.rodata,"a",@progbits
	.p2align	6, 0x0
	.amdhsa_kernel _ZN7rocprim17ROCPRIM_400000_NS6detail17trampoline_kernelINS0_14default_configENS1_22reduce_config_selectorItEEZNS1_11reduce_implILb1ES3_N6thrust23THRUST_200600_302600_NS6detail15normal_iteratorINS8_10device_ptrItEEEEPffNS8_4plusIfEEEE10hipError_tPvRmT1_T2_T3_mT4_P12ihipStream_tbEUlT_E1_NS1_11comp_targetILNS1_3genE8ELNS1_11target_archE1030ELNS1_3gpuE2ELNS1_3repE0EEENS1_30default_config_static_selectorELNS0_4arch9wavefront6targetE1EEEvSK_
		.amdhsa_group_segment_fixed_size 0
		.amdhsa_private_segment_fixed_size 0
		.amdhsa_kernarg_size 40
		.amdhsa_user_sgpr_count 2
		.amdhsa_user_sgpr_dispatch_ptr 0
		.amdhsa_user_sgpr_queue_ptr 0
		.amdhsa_user_sgpr_kernarg_segment_ptr 1
		.amdhsa_user_sgpr_dispatch_id 0
		.amdhsa_user_sgpr_kernarg_preload_length 0
		.amdhsa_user_sgpr_kernarg_preload_offset 0
		.amdhsa_user_sgpr_private_segment_size 0
		.amdhsa_uses_dynamic_stack 0
		.amdhsa_enable_private_segment 0
		.amdhsa_system_sgpr_workgroup_id_x 1
		.amdhsa_system_sgpr_workgroup_id_y 0
		.amdhsa_system_sgpr_workgroup_id_z 0
		.amdhsa_system_sgpr_workgroup_info 0
		.amdhsa_system_vgpr_workitem_id 0
		.amdhsa_next_free_vgpr 1
		.amdhsa_next_free_sgpr 0
		.amdhsa_accum_offset 4
		.amdhsa_reserve_vcc 0
		.amdhsa_float_round_mode_32 0
		.amdhsa_float_round_mode_16_64 0
		.amdhsa_float_denorm_mode_32 3
		.amdhsa_float_denorm_mode_16_64 3
		.amdhsa_dx10_clamp 1
		.amdhsa_ieee_mode 1
		.amdhsa_fp16_overflow 0
		.amdhsa_tg_split 0
		.amdhsa_exception_fp_ieee_invalid_op 0
		.amdhsa_exception_fp_denorm_src 0
		.amdhsa_exception_fp_ieee_div_zero 0
		.amdhsa_exception_fp_ieee_overflow 0
		.amdhsa_exception_fp_ieee_underflow 0
		.amdhsa_exception_fp_ieee_inexact 0
		.amdhsa_exception_int_div_zero 0
	.end_amdhsa_kernel
	.section	.text._ZN7rocprim17ROCPRIM_400000_NS6detail17trampoline_kernelINS0_14default_configENS1_22reduce_config_selectorItEEZNS1_11reduce_implILb1ES3_N6thrust23THRUST_200600_302600_NS6detail15normal_iteratorINS8_10device_ptrItEEEEPffNS8_4plusIfEEEE10hipError_tPvRmT1_T2_T3_mT4_P12ihipStream_tbEUlT_E1_NS1_11comp_targetILNS1_3genE8ELNS1_11target_archE1030ELNS1_3gpuE2ELNS1_3repE0EEENS1_30default_config_static_selectorELNS0_4arch9wavefront6targetE1EEEvSK_,"axG",@progbits,_ZN7rocprim17ROCPRIM_400000_NS6detail17trampoline_kernelINS0_14default_configENS1_22reduce_config_selectorItEEZNS1_11reduce_implILb1ES3_N6thrust23THRUST_200600_302600_NS6detail15normal_iteratorINS8_10device_ptrItEEEEPffNS8_4plusIfEEEE10hipError_tPvRmT1_T2_T3_mT4_P12ihipStream_tbEUlT_E1_NS1_11comp_targetILNS1_3genE8ELNS1_11target_archE1030ELNS1_3gpuE2ELNS1_3repE0EEENS1_30default_config_static_selectorELNS0_4arch9wavefront6targetE1EEEvSK_,comdat
.Lfunc_end458:
	.size	_ZN7rocprim17ROCPRIM_400000_NS6detail17trampoline_kernelINS0_14default_configENS1_22reduce_config_selectorItEEZNS1_11reduce_implILb1ES3_N6thrust23THRUST_200600_302600_NS6detail15normal_iteratorINS8_10device_ptrItEEEEPffNS8_4plusIfEEEE10hipError_tPvRmT1_T2_T3_mT4_P12ihipStream_tbEUlT_E1_NS1_11comp_targetILNS1_3genE8ELNS1_11target_archE1030ELNS1_3gpuE2ELNS1_3repE0EEENS1_30default_config_static_selectorELNS0_4arch9wavefront6targetE1EEEvSK_, .Lfunc_end458-_ZN7rocprim17ROCPRIM_400000_NS6detail17trampoline_kernelINS0_14default_configENS1_22reduce_config_selectorItEEZNS1_11reduce_implILb1ES3_N6thrust23THRUST_200600_302600_NS6detail15normal_iteratorINS8_10device_ptrItEEEEPffNS8_4plusIfEEEE10hipError_tPvRmT1_T2_T3_mT4_P12ihipStream_tbEUlT_E1_NS1_11comp_targetILNS1_3genE8ELNS1_11target_archE1030ELNS1_3gpuE2ELNS1_3repE0EEENS1_30default_config_static_selectorELNS0_4arch9wavefront6targetE1EEEvSK_
                                        ; -- End function
	.set _ZN7rocprim17ROCPRIM_400000_NS6detail17trampoline_kernelINS0_14default_configENS1_22reduce_config_selectorItEEZNS1_11reduce_implILb1ES3_N6thrust23THRUST_200600_302600_NS6detail15normal_iteratorINS8_10device_ptrItEEEEPffNS8_4plusIfEEEE10hipError_tPvRmT1_T2_T3_mT4_P12ihipStream_tbEUlT_E1_NS1_11comp_targetILNS1_3genE8ELNS1_11target_archE1030ELNS1_3gpuE2ELNS1_3repE0EEENS1_30default_config_static_selectorELNS0_4arch9wavefront6targetE1EEEvSK_.num_vgpr, 0
	.set _ZN7rocprim17ROCPRIM_400000_NS6detail17trampoline_kernelINS0_14default_configENS1_22reduce_config_selectorItEEZNS1_11reduce_implILb1ES3_N6thrust23THRUST_200600_302600_NS6detail15normal_iteratorINS8_10device_ptrItEEEEPffNS8_4plusIfEEEE10hipError_tPvRmT1_T2_T3_mT4_P12ihipStream_tbEUlT_E1_NS1_11comp_targetILNS1_3genE8ELNS1_11target_archE1030ELNS1_3gpuE2ELNS1_3repE0EEENS1_30default_config_static_selectorELNS0_4arch9wavefront6targetE1EEEvSK_.num_agpr, 0
	.set _ZN7rocprim17ROCPRIM_400000_NS6detail17trampoline_kernelINS0_14default_configENS1_22reduce_config_selectorItEEZNS1_11reduce_implILb1ES3_N6thrust23THRUST_200600_302600_NS6detail15normal_iteratorINS8_10device_ptrItEEEEPffNS8_4plusIfEEEE10hipError_tPvRmT1_T2_T3_mT4_P12ihipStream_tbEUlT_E1_NS1_11comp_targetILNS1_3genE8ELNS1_11target_archE1030ELNS1_3gpuE2ELNS1_3repE0EEENS1_30default_config_static_selectorELNS0_4arch9wavefront6targetE1EEEvSK_.numbered_sgpr, 0
	.set _ZN7rocprim17ROCPRIM_400000_NS6detail17trampoline_kernelINS0_14default_configENS1_22reduce_config_selectorItEEZNS1_11reduce_implILb1ES3_N6thrust23THRUST_200600_302600_NS6detail15normal_iteratorINS8_10device_ptrItEEEEPffNS8_4plusIfEEEE10hipError_tPvRmT1_T2_T3_mT4_P12ihipStream_tbEUlT_E1_NS1_11comp_targetILNS1_3genE8ELNS1_11target_archE1030ELNS1_3gpuE2ELNS1_3repE0EEENS1_30default_config_static_selectorELNS0_4arch9wavefront6targetE1EEEvSK_.num_named_barrier, 0
	.set _ZN7rocprim17ROCPRIM_400000_NS6detail17trampoline_kernelINS0_14default_configENS1_22reduce_config_selectorItEEZNS1_11reduce_implILb1ES3_N6thrust23THRUST_200600_302600_NS6detail15normal_iteratorINS8_10device_ptrItEEEEPffNS8_4plusIfEEEE10hipError_tPvRmT1_T2_T3_mT4_P12ihipStream_tbEUlT_E1_NS1_11comp_targetILNS1_3genE8ELNS1_11target_archE1030ELNS1_3gpuE2ELNS1_3repE0EEENS1_30default_config_static_selectorELNS0_4arch9wavefront6targetE1EEEvSK_.private_seg_size, 0
	.set _ZN7rocprim17ROCPRIM_400000_NS6detail17trampoline_kernelINS0_14default_configENS1_22reduce_config_selectorItEEZNS1_11reduce_implILb1ES3_N6thrust23THRUST_200600_302600_NS6detail15normal_iteratorINS8_10device_ptrItEEEEPffNS8_4plusIfEEEE10hipError_tPvRmT1_T2_T3_mT4_P12ihipStream_tbEUlT_E1_NS1_11comp_targetILNS1_3genE8ELNS1_11target_archE1030ELNS1_3gpuE2ELNS1_3repE0EEENS1_30default_config_static_selectorELNS0_4arch9wavefront6targetE1EEEvSK_.uses_vcc, 0
	.set _ZN7rocprim17ROCPRIM_400000_NS6detail17trampoline_kernelINS0_14default_configENS1_22reduce_config_selectorItEEZNS1_11reduce_implILb1ES3_N6thrust23THRUST_200600_302600_NS6detail15normal_iteratorINS8_10device_ptrItEEEEPffNS8_4plusIfEEEE10hipError_tPvRmT1_T2_T3_mT4_P12ihipStream_tbEUlT_E1_NS1_11comp_targetILNS1_3genE8ELNS1_11target_archE1030ELNS1_3gpuE2ELNS1_3repE0EEENS1_30default_config_static_selectorELNS0_4arch9wavefront6targetE1EEEvSK_.uses_flat_scratch, 0
	.set _ZN7rocprim17ROCPRIM_400000_NS6detail17trampoline_kernelINS0_14default_configENS1_22reduce_config_selectorItEEZNS1_11reduce_implILb1ES3_N6thrust23THRUST_200600_302600_NS6detail15normal_iteratorINS8_10device_ptrItEEEEPffNS8_4plusIfEEEE10hipError_tPvRmT1_T2_T3_mT4_P12ihipStream_tbEUlT_E1_NS1_11comp_targetILNS1_3genE8ELNS1_11target_archE1030ELNS1_3gpuE2ELNS1_3repE0EEENS1_30default_config_static_selectorELNS0_4arch9wavefront6targetE1EEEvSK_.has_dyn_sized_stack, 0
	.set _ZN7rocprim17ROCPRIM_400000_NS6detail17trampoline_kernelINS0_14default_configENS1_22reduce_config_selectorItEEZNS1_11reduce_implILb1ES3_N6thrust23THRUST_200600_302600_NS6detail15normal_iteratorINS8_10device_ptrItEEEEPffNS8_4plusIfEEEE10hipError_tPvRmT1_T2_T3_mT4_P12ihipStream_tbEUlT_E1_NS1_11comp_targetILNS1_3genE8ELNS1_11target_archE1030ELNS1_3gpuE2ELNS1_3repE0EEENS1_30default_config_static_selectorELNS0_4arch9wavefront6targetE1EEEvSK_.has_recursion, 0
	.set _ZN7rocprim17ROCPRIM_400000_NS6detail17trampoline_kernelINS0_14default_configENS1_22reduce_config_selectorItEEZNS1_11reduce_implILb1ES3_N6thrust23THRUST_200600_302600_NS6detail15normal_iteratorINS8_10device_ptrItEEEEPffNS8_4plusIfEEEE10hipError_tPvRmT1_T2_T3_mT4_P12ihipStream_tbEUlT_E1_NS1_11comp_targetILNS1_3genE8ELNS1_11target_archE1030ELNS1_3gpuE2ELNS1_3repE0EEENS1_30default_config_static_selectorELNS0_4arch9wavefront6targetE1EEEvSK_.has_indirect_call, 0
	.section	.AMDGPU.csdata,"",@progbits
; Kernel info:
; codeLenInByte = 0
; TotalNumSgprs: 6
; NumVgprs: 0
; NumAgprs: 0
; TotalNumVgprs: 0
; ScratchSize: 0
; MemoryBound: 0
; FloatMode: 240
; IeeeMode: 1
; LDSByteSize: 0 bytes/workgroup (compile time only)
; SGPRBlocks: 0
; VGPRBlocks: 0
; NumSGPRsForWavesPerEU: 6
; NumVGPRsForWavesPerEU: 1
; AccumOffset: 4
; Occupancy: 8
; WaveLimiterHint : 0
; COMPUTE_PGM_RSRC2:SCRATCH_EN: 0
; COMPUTE_PGM_RSRC2:USER_SGPR: 2
; COMPUTE_PGM_RSRC2:TRAP_HANDLER: 0
; COMPUTE_PGM_RSRC2:TGID_X_EN: 1
; COMPUTE_PGM_RSRC2:TGID_Y_EN: 0
; COMPUTE_PGM_RSRC2:TGID_Z_EN: 0
; COMPUTE_PGM_RSRC2:TIDIG_COMP_CNT: 0
; COMPUTE_PGM_RSRC3_GFX90A:ACCUM_OFFSET: 0
; COMPUTE_PGM_RSRC3_GFX90A:TG_SPLIT: 0
	.section	.text._ZN7rocprim17ROCPRIM_400000_NS6detail17trampoline_kernelINS0_14default_configENS1_22reduce_config_selectorIxEEZNS1_11reduce_implILb1ES3_N6thrust23THRUST_200600_302600_NS6detail15normal_iteratorINS8_10device_ptrIxEEEEPiiNS8_4plusIiEEEE10hipError_tPvRmT1_T2_T3_mT4_P12ihipStream_tbEUlT_E0_NS1_11comp_targetILNS1_3genE0ELNS1_11target_archE4294967295ELNS1_3gpuE0ELNS1_3repE0EEENS1_30default_config_static_selectorELNS0_4arch9wavefront6targetE1EEEvSK_,"axG",@progbits,_ZN7rocprim17ROCPRIM_400000_NS6detail17trampoline_kernelINS0_14default_configENS1_22reduce_config_selectorIxEEZNS1_11reduce_implILb1ES3_N6thrust23THRUST_200600_302600_NS6detail15normal_iteratorINS8_10device_ptrIxEEEEPiiNS8_4plusIiEEEE10hipError_tPvRmT1_T2_T3_mT4_P12ihipStream_tbEUlT_E0_NS1_11comp_targetILNS1_3genE0ELNS1_11target_archE4294967295ELNS1_3gpuE0ELNS1_3repE0EEENS1_30default_config_static_selectorELNS0_4arch9wavefront6targetE1EEEvSK_,comdat
	.protected	_ZN7rocprim17ROCPRIM_400000_NS6detail17trampoline_kernelINS0_14default_configENS1_22reduce_config_selectorIxEEZNS1_11reduce_implILb1ES3_N6thrust23THRUST_200600_302600_NS6detail15normal_iteratorINS8_10device_ptrIxEEEEPiiNS8_4plusIiEEEE10hipError_tPvRmT1_T2_T3_mT4_P12ihipStream_tbEUlT_E0_NS1_11comp_targetILNS1_3genE0ELNS1_11target_archE4294967295ELNS1_3gpuE0ELNS1_3repE0EEENS1_30default_config_static_selectorELNS0_4arch9wavefront6targetE1EEEvSK_ ; -- Begin function _ZN7rocprim17ROCPRIM_400000_NS6detail17trampoline_kernelINS0_14default_configENS1_22reduce_config_selectorIxEEZNS1_11reduce_implILb1ES3_N6thrust23THRUST_200600_302600_NS6detail15normal_iteratorINS8_10device_ptrIxEEEEPiiNS8_4plusIiEEEE10hipError_tPvRmT1_T2_T3_mT4_P12ihipStream_tbEUlT_E0_NS1_11comp_targetILNS1_3genE0ELNS1_11target_archE4294967295ELNS1_3gpuE0ELNS1_3repE0EEENS1_30default_config_static_selectorELNS0_4arch9wavefront6targetE1EEEvSK_
	.globl	_ZN7rocprim17ROCPRIM_400000_NS6detail17trampoline_kernelINS0_14default_configENS1_22reduce_config_selectorIxEEZNS1_11reduce_implILb1ES3_N6thrust23THRUST_200600_302600_NS6detail15normal_iteratorINS8_10device_ptrIxEEEEPiiNS8_4plusIiEEEE10hipError_tPvRmT1_T2_T3_mT4_P12ihipStream_tbEUlT_E0_NS1_11comp_targetILNS1_3genE0ELNS1_11target_archE4294967295ELNS1_3gpuE0ELNS1_3repE0EEENS1_30default_config_static_selectorELNS0_4arch9wavefront6targetE1EEEvSK_
	.p2align	8
	.type	_ZN7rocprim17ROCPRIM_400000_NS6detail17trampoline_kernelINS0_14default_configENS1_22reduce_config_selectorIxEEZNS1_11reduce_implILb1ES3_N6thrust23THRUST_200600_302600_NS6detail15normal_iteratorINS8_10device_ptrIxEEEEPiiNS8_4plusIiEEEE10hipError_tPvRmT1_T2_T3_mT4_P12ihipStream_tbEUlT_E0_NS1_11comp_targetILNS1_3genE0ELNS1_11target_archE4294967295ELNS1_3gpuE0ELNS1_3repE0EEENS1_30default_config_static_selectorELNS0_4arch9wavefront6targetE1EEEvSK_,@function
_ZN7rocprim17ROCPRIM_400000_NS6detail17trampoline_kernelINS0_14default_configENS1_22reduce_config_selectorIxEEZNS1_11reduce_implILb1ES3_N6thrust23THRUST_200600_302600_NS6detail15normal_iteratorINS8_10device_ptrIxEEEEPiiNS8_4plusIiEEEE10hipError_tPvRmT1_T2_T3_mT4_P12ihipStream_tbEUlT_E0_NS1_11comp_targetILNS1_3genE0ELNS1_11target_archE4294967295ELNS1_3gpuE0ELNS1_3repE0EEENS1_30default_config_static_selectorELNS0_4arch9wavefront6targetE1EEEvSK_: ; @_ZN7rocprim17ROCPRIM_400000_NS6detail17trampoline_kernelINS0_14default_configENS1_22reduce_config_selectorIxEEZNS1_11reduce_implILb1ES3_N6thrust23THRUST_200600_302600_NS6detail15normal_iteratorINS8_10device_ptrIxEEEEPiiNS8_4plusIiEEEE10hipError_tPvRmT1_T2_T3_mT4_P12ihipStream_tbEUlT_E0_NS1_11comp_targetILNS1_3genE0ELNS1_11target_archE4294967295ELNS1_3gpuE0ELNS1_3repE0EEENS1_30default_config_static_selectorELNS0_4arch9wavefront6targetE1EEEvSK_
; %bb.0:
	s_load_dwordx8 s[36:43], s[0:1], 0x0
	s_load_dwordx4 s[44:47], s[0:1], 0x20
	v_lshlrev_b32_e32 v18, 3, v0
	v_mbcnt_lo_u32_b32 v1, -1, 0
	s_waitcnt lgkmcnt(0)
	s_lshl_b64 s[4:5], s[38:39], 3
	s_add_u32 s10, s36, s4
	s_addc_u32 s11, s37, s5
	s_lshl_b32 s4, s2, 12
	s_mov_b32 s5, 0
	s_lshr_b64 s[6:7], s[40:41], 12
	s_lshl_b64 s[8:9], s[4:5], 3
	s_add_u32 s30, s10, s8
	s_mov_b32 s3, s5
	s_addc_u32 s31, s11, s9
	s_cmp_lg_u64 s[6:7], s[2:3]
	s_cbranch_scc0 .LBB459_6
; %bb.1:
	v_mov_b32_e32 v19, 0
	v_lshl_add_u64 v[2:3], s[30:31], 0, v[18:19]
	v_add_co_u32_e32 v4, vcc, 0x1000, v2
	s_nop 1
	v_addc_co_u32_e32 v5, vcc, 0, v3, vcc
	v_add_co_u32_e32 v6, vcc, 0x2000, v2
	s_nop 1
	v_addc_co_u32_e32 v7, vcc, 0, v3, vcc
	;; [unrolled: 3-line block ×3, first 2 shown]
	flat_load_dword v10, v[2:3]
	flat_load_dword v11, v[2:3] offset:2048
	flat_load_dword v12, v[4:5]
	flat_load_dword v13, v[4:5] offset:2048
	;; [unrolled: 2-line block ×4, first 2 shown]
	v_add_co_u32_e32 v4, vcc, 0x4000, v2
	s_nop 1
	v_addc_co_u32_e32 v5, vcc, 0, v3, vcc
	v_add_co_u32_e32 v6, vcc, 0x5000, v2
	s_nop 1
	v_addc_co_u32_e32 v7, vcc, 0, v3, vcc
	;; [unrolled: 3-line block ×4, first 2 shown]
	flat_load_dword v19, v[4:5]
	flat_load_dword v20, v[4:5] offset:2048
	flat_load_dword v21, v[6:7]
	flat_load_dword v22, v[6:7] offset:2048
	;; [unrolled: 2-line block ×4, first 2 shown]
	v_mbcnt_hi_u32_b32 v3, -1, v1
	v_lshlrev_b32_e32 v4, 2, v3
	v_or_b32_e32 v5, 0xfc, v4
	v_cmp_eq_u32_e32 vcc, 0, v3
	s_waitcnt vmcnt(0) lgkmcnt(0)
	v_add_u32_e32 v2, v11, v10
	v_add3_u32 v2, v2, v12, v13
	v_add3_u32 v2, v2, v14, v15
	;; [unrolled: 1-line block ×7, first 2 shown]
	s_nop 1
	v_add_u32_dpp v2, v2, v2 quad_perm:[1,0,3,2] row_mask:0xf bank_mask:0xf bound_ctrl:1
	s_nop 1
	v_add_u32_dpp v2, v2, v2 quad_perm:[2,3,0,1] row_mask:0xf bank_mask:0xf bound_ctrl:1
	s_nop 1
	v_add_u32_dpp v2, v2, v2 row_ror:4 row_mask:0xf bank_mask:0xf bound_ctrl:1
	s_nop 1
	v_add_u32_dpp v2, v2, v2 row_ror:8 row_mask:0xf bank_mask:0xf bound_ctrl:1
	s_nop 1
	v_add_u32_dpp v2, v2, v2 row_bcast:15 row_mask:0xf bank_mask:0xf bound_ctrl:1
	s_nop 1
	v_add_u32_dpp v2, v2, v2 row_bcast:31 row_mask:0xf bank_mask:0xf bound_ctrl:1
	ds_bpermute_b32 v2, v5, v2
	s_and_saveexec_b64 s[6:7], vcc
	s_cbranch_execz .LBB459_3
; %bb.2:
	v_lshrrev_b32_e32 v5, 4, v0
	v_and_b32_e32 v5, 12, v5
	s_waitcnt lgkmcnt(0)
	ds_write_b32 v5, v2
.LBB459_3:
	s_or_b64 exec, exec, s[6:7]
	v_cmp_gt_u32_e32 vcc, 64, v0
	s_waitcnt lgkmcnt(0)
	s_barrier
	s_and_saveexec_b64 s[6:7], vcc
	s_cbranch_execz .LBB459_5
; %bb.4:
	v_and_b32_e32 v2, 3, v3
	v_lshlrev_b32_e32 v5, 2, v2
	ds_read_b32 v5, v5
	v_cmp_ne_u32_e32 vcc, 3, v2
	s_nop 1
	v_addc_co_u32_e32 v2, vcc, 0, v3, vcc
	v_lshlrev_b32_e32 v2, 2, v2
	s_waitcnt lgkmcnt(0)
	ds_bpermute_b32 v2, v2, v5
	v_or_b32_e32 v3, 8, v4
	s_waitcnt lgkmcnt(0)
	v_add_u32_e32 v2, v2, v5
	ds_bpermute_b32 v3, v3, v2
	s_waitcnt lgkmcnt(0)
	v_add_u32_e32 v2, v3, v2
.LBB459_5:
	s_or_b64 exec, exec, s[6:7]
	s_load_dword s33, s[0:1], 0x30
	s_branch .LBB459_44
.LBB459_6:
                                        ; implicit-def: $vgpr2
	s_load_dword s33, s[0:1], 0x30
	s_cbranch_execz .LBB459_44
; %bb.7:
	s_sub_i32 s36, s40, s4
	v_mov_b32_e32 v2, 0
	v_cmp_gt_u32_e32 vcc, s36, v0
	v_mov_b32_e32 v3, v2
	v_mov_b32_e32 v4, v2
	;; [unrolled: 1-line block ×15, first 2 shown]
	s_and_saveexec_b64 s[0:1], vcc
	s_cbranch_execz .LBB459_9
; %bb.8:
	v_mov_b32_e32 v19, v2
	v_lshl_add_u64 v[4:5], s[30:31], 0, v[18:19]
	flat_load_dword v20, v[4:5]
	v_mov_b32_e32 v21, v2
	v_mov_b32_e32 v22, v2
	;; [unrolled: 1-line block ×15, first 2 shown]
	s_waitcnt vmcnt(0) lgkmcnt(0)
	v_mov_b64_e32 v[2:3], v[20:21]
	v_mov_b64_e32 v[4:5], v[22:23]
	;; [unrolled: 1-line block ×8, first 2 shown]
.LBB459_9:
	s_or_b64 exec, exec, s[0:1]
	v_or_b32_e32 v19, 0x100, v0
	v_cmp_gt_u32_e32 vcc, s36, v19
	s_and_saveexec_b64 s[0:1], vcc
	s_cbranch_execz .LBB459_11
; %bb.10:
	v_mov_b32_e32 v19, 0
	v_lshl_add_u64 v[18:19], s[30:31], 0, v[18:19]
	flat_load_dword v3, v[18:19] offset:2048
.LBB459_11:
	s_or_b64 exec, exec, s[0:1]
	v_or_b32_e32 v18, 0x200, v0
	v_cmp_gt_u32_e64 s[0:1], s36, v18
	s_and_saveexec_b64 s[4:5], s[0:1]
	s_cbranch_execz .LBB459_13
; %bb.12:
	v_lshlrev_b32_e32 v18, 3, v18
	v_mov_b32_e32 v19, 0
	v_lshl_add_u64 v[18:19], s[30:31], 0, v[18:19]
	flat_load_dword v4, v[18:19]
.LBB459_13:
	s_or_b64 exec, exec, s[4:5]
	v_or_b32_e32 v18, 0x300, v0
	v_cmp_gt_u32_e64 s[4:5], s36, v18
	s_and_saveexec_b64 s[6:7], s[4:5]
	s_cbranch_execz .LBB459_15
; %bb.14:
	v_lshlrev_b32_e32 v18, 3, v18
	v_mov_b32_e32 v19, 0
	v_lshl_add_u64 v[18:19], s[30:31], 0, v[18:19]
	flat_load_dword v5, v[18:19]
.LBB459_15:
	;; [unrolled: 11-line block ×14, first 2 shown]
	s_or_b64 exec, exec, s[34:35]
	s_waitcnt vmcnt(0) lgkmcnt(0)
	v_cndmask_b32_e32 v3, 0, v3, vcc
	v_add_u32_e32 v2, v3, v2
	v_cndmask_b32_e64 v3, 0, v4, s[0:1]
	v_cndmask_b32_e64 v4, 0, v5, s[4:5]
	v_add3_u32 v2, v2, v3, v4
	v_cndmask_b32_e64 v3, 0, v6, s[6:7]
	v_cndmask_b32_e64 v4, 0, v7, s[8:9]
	v_add3_u32 v2, v2, v3, v4
	;; [unrolled: 3-line block ×6, first 2 shown]
	v_cndmask_b32_e64 v3, 0, v16, s[26:27]
	v_cndmask_b32_e64 v4, 0, v17, s[28:29]
	v_mbcnt_hi_u32_b32 v1, -1, v1
	v_add3_u32 v2, v2, v3, v4
	v_and_b32_e32 v4, 63, v1
	v_cmp_ne_u32_e32 vcc, 63, v4
	s_min_u32 s4, s36, 0x100
	v_and_b32_e32 v5, 0xc0, v0
	v_addc_co_u32_e32 v3, vcc, 0, v1, vcc
	v_lshlrev_b32_e32 v3, 2, v3
	ds_bpermute_b32 v3, v3, v2
	v_sub_u32_e64 v5, s4, v5 clamp
	v_add_u32_e32 v6, 1, v4
	v_cmp_lt_u32_e32 vcc, v6, v5
	v_add_u32_e32 v6, 2, v4
	s_waitcnt lgkmcnt(0)
	v_cndmask_b32_e32 v3, 0, v3, vcc
	v_cmp_gt_u32_e32 vcc, 62, v4
	v_add_u32_e32 v2, v2, v3
	s_nop 0
	v_cndmask_b32_e64 v3, 0, 2, vcc
	v_add_lshl_u32 v3, v3, v1, 2
	ds_bpermute_b32 v3, v3, v2
	v_cmp_lt_u32_e32 vcc, v6, v5
	v_add_u32_e32 v6, 4, v4
	s_waitcnt lgkmcnt(0)
	v_cndmask_b32_e32 v3, 0, v3, vcc
	v_cmp_gt_u32_e32 vcc, 60, v4
	v_add_u32_e32 v2, v2, v3
	s_nop 0
	v_cndmask_b32_e64 v3, 0, 4, vcc
	v_add_lshl_u32 v3, v3, v1, 2
	ds_bpermute_b32 v3, v3, v2
	;; [unrolled: 10-line block ×3, first 2 shown]
	v_cmp_lt_u32_e32 vcc, v6, v5
	v_add_u32_e32 v6, 16, v4
	s_waitcnt lgkmcnt(0)
	v_cndmask_b32_e32 v3, 0, v3, vcc
	v_cmp_gt_u32_e32 vcc, 48, v4
	v_add_u32_e32 v2, v2, v3
	v_add_u32_e32 v4, 32, v4
	v_cndmask_b32_e64 v3, 0, 16, vcc
	v_add_lshl_u32 v3, v3, v1, 2
	ds_bpermute_b32 v3, v3, v2
	v_cmp_lt_u32_e32 vcc, v6, v5
	s_waitcnt lgkmcnt(0)
	s_nop 0
	v_cndmask_b32_e32 v3, 0, v3, vcc
	v_add_u32_e32 v2, v2, v3
	v_lshlrev_b32_e32 v3, 2, v1
	v_or_b32_e32 v6, 0x80, v3
	ds_bpermute_b32 v6, v6, v2
	v_cmp_lt_u32_e32 vcc, v4, v5
	s_waitcnt lgkmcnt(0)
	s_nop 0
	v_cndmask_b32_e32 v4, 0, v6, vcc
	v_add_u32_e32 v2, v2, v4
	v_cmp_eq_u32_e32 vcc, 0, v1
	s_and_saveexec_b64 s[0:1], vcc
; %bb.40:
	v_lshrrev_b32_e32 v4, 4, v0
	v_and_b32_e32 v4, 12, v4
	ds_write_b32 v4, v2 offset:16
; %bb.41:
	s_or_b64 exec, exec, s[0:1]
	v_cmp_gt_u32_e32 vcc, 4, v0
	s_waitcnt lgkmcnt(0)
	s_barrier
	s_and_saveexec_b64 s[0:1], vcc
	s_cbranch_execz .LBB459_43
; %bb.42:
	ds_read_b32 v2, v3 offset:16
	v_and_b32_e32 v4, 3, v1
	v_cmp_ne_u32_e32 vcc, 3, v4
	s_add_i32 s4, s4, 63
	s_lshr_b32 s4, s4, 6
	v_addc_co_u32_e32 v1, vcc, 0, v1, vcc
	v_lshlrev_b32_e32 v1, 2, v1
	s_waitcnt lgkmcnt(0)
	ds_bpermute_b32 v1, v1, v2
	v_add_u32_e32 v5, 1, v4
	v_cmp_gt_u32_e32 vcc, s4, v5
	s_waitcnt lgkmcnt(0)
	s_nop 0
	v_cndmask_b32_e32 v1, 0, v1, vcc
	v_add_u32_e32 v1, v1, v2
	v_or_b32_e32 v2, 8, v3
	ds_bpermute_b32 v2, v2, v1
	v_add_u32_e32 v3, 2, v4
	v_cmp_gt_u32_e32 vcc, s4, v3
	s_waitcnt lgkmcnt(0)
	s_nop 0
	v_cndmask_b32_e32 v2, 0, v2, vcc
	v_add_u32_e32 v2, v1, v2
.LBB459_43:
	s_or_b64 exec, exec, s[0:1]
.LBB459_44:
	v_cmp_eq_u32_e32 vcc, 0, v0
	s_and_saveexec_b64 s[0:1], vcc
	s_cbranch_execnz .LBB459_46
; %bb.45:
	s_endpgm
.LBB459_46:
	s_mul_i32 s0, s46, s45
	s_mul_hi_u32 s1, s46, s44
	s_add_i32 s0, s1, s0
	s_mul_i32 s1, s47, s44
	s_add_i32 s1, s0, s1
	s_mul_i32 s0, s46, s44
	s_lshl_b64 s[0:1], s[0:1], 2
	s_add_u32 s4, s42, s0
	s_addc_u32 s5, s43, s1
	s_cmp_eq_u64 s[40:41], 0
	s_cselect_b64 vcc, -1, 0
	s_lshl_b64 s[0:1], s[2:3], 2
	s_waitcnt lgkmcnt(0)
	v_mov_b32_e32 v0, s33
	s_add_u32 s0, s4, s0
	v_cndmask_b32_e32 v0, v2, v0, vcc
	s_addc_u32 s1, s5, s1
	v_mov_b32_e32 v1, 0
	global_store_dword v1, v0, s[0:1]
	s_endpgm
	.section	.rodata,"a",@progbits
	.p2align	6, 0x0
	.amdhsa_kernel _ZN7rocprim17ROCPRIM_400000_NS6detail17trampoline_kernelINS0_14default_configENS1_22reduce_config_selectorIxEEZNS1_11reduce_implILb1ES3_N6thrust23THRUST_200600_302600_NS6detail15normal_iteratorINS8_10device_ptrIxEEEEPiiNS8_4plusIiEEEE10hipError_tPvRmT1_T2_T3_mT4_P12ihipStream_tbEUlT_E0_NS1_11comp_targetILNS1_3genE0ELNS1_11target_archE4294967295ELNS1_3gpuE0ELNS1_3repE0EEENS1_30default_config_static_selectorELNS0_4arch9wavefront6targetE1EEEvSK_
		.amdhsa_group_segment_fixed_size 32
		.amdhsa_private_segment_fixed_size 0
		.amdhsa_kernarg_size 56
		.amdhsa_user_sgpr_count 2
		.amdhsa_user_sgpr_dispatch_ptr 0
		.amdhsa_user_sgpr_queue_ptr 0
		.amdhsa_user_sgpr_kernarg_segment_ptr 1
		.amdhsa_user_sgpr_dispatch_id 0
		.amdhsa_user_sgpr_kernarg_preload_length 0
		.amdhsa_user_sgpr_kernarg_preload_offset 0
		.amdhsa_user_sgpr_private_segment_size 0
		.amdhsa_uses_dynamic_stack 0
		.amdhsa_enable_private_segment 0
		.amdhsa_system_sgpr_workgroup_id_x 1
		.amdhsa_system_sgpr_workgroup_id_y 0
		.amdhsa_system_sgpr_workgroup_id_z 0
		.amdhsa_system_sgpr_workgroup_info 0
		.amdhsa_system_vgpr_workitem_id 0
		.amdhsa_next_free_vgpr 36
		.amdhsa_next_free_sgpr 48
		.amdhsa_accum_offset 36
		.amdhsa_reserve_vcc 1
		.amdhsa_float_round_mode_32 0
		.amdhsa_float_round_mode_16_64 0
		.amdhsa_float_denorm_mode_32 3
		.amdhsa_float_denorm_mode_16_64 3
		.amdhsa_dx10_clamp 1
		.amdhsa_ieee_mode 1
		.amdhsa_fp16_overflow 0
		.amdhsa_tg_split 0
		.amdhsa_exception_fp_ieee_invalid_op 0
		.amdhsa_exception_fp_denorm_src 0
		.amdhsa_exception_fp_ieee_div_zero 0
		.amdhsa_exception_fp_ieee_overflow 0
		.amdhsa_exception_fp_ieee_underflow 0
		.amdhsa_exception_fp_ieee_inexact 0
		.amdhsa_exception_int_div_zero 0
	.end_amdhsa_kernel
	.section	.text._ZN7rocprim17ROCPRIM_400000_NS6detail17trampoline_kernelINS0_14default_configENS1_22reduce_config_selectorIxEEZNS1_11reduce_implILb1ES3_N6thrust23THRUST_200600_302600_NS6detail15normal_iteratorINS8_10device_ptrIxEEEEPiiNS8_4plusIiEEEE10hipError_tPvRmT1_T2_T3_mT4_P12ihipStream_tbEUlT_E0_NS1_11comp_targetILNS1_3genE0ELNS1_11target_archE4294967295ELNS1_3gpuE0ELNS1_3repE0EEENS1_30default_config_static_selectorELNS0_4arch9wavefront6targetE1EEEvSK_,"axG",@progbits,_ZN7rocprim17ROCPRIM_400000_NS6detail17trampoline_kernelINS0_14default_configENS1_22reduce_config_selectorIxEEZNS1_11reduce_implILb1ES3_N6thrust23THRUST_200600_302600_NS6detail15normal_iteratorINS8_10device_ptrIxEEEEPiiNS8_4plusIiEEEE10hipError_tPvRmT1_T2_T3_mT4_P12ihipStream_tbEUlT_E0_NS1_11comp_targetILNS1_3genE0ELNS1_11target_archE4294967295ELNS1_3gpuE0ELNS1_3repE0EEENS1_30default_config_static_selectorELNS0_4arch9wavefront6targetE1EEEvSK_,comdat
.Lfunc_end459:
	.size	_ZN7rocprim17ROCPRIM_400000_NS6detail17trampoline_kernelINS0_14default_configENS1_22reduce_config_selectorIxEEZNS1_11reduce_implILb1ES3_N6thrust23THRUST_200600_302600_NS6detail15normal_iteratorINS8_10device_ptrIxEEEEPiiNS8_4plusIiEEEE10hipError_tPvRmT1_T2_T3_mT4_P12ihipStream_tbEUlT_E0_NS1_11comp_targetILNS1_3genE0ELNS1_11target_archE4294967295ELNS1_3gpuE0ELNS1_3repE0EEENS1_30default_config_static_selectorELNS0_4arch9wavefront6targetE1EEEvSK_, .Lfunc_end459-_ZN7rocprim17ROCPRIM_400000_NS6detail17trampoline_kernelINS0_14default_configENS1_22reduce_config_selectorIxEEZNS1_11reduce_implILb1ES3_N6thrust23THRUST_200600_302600_NS6detail15normal_iteratorINS8_10device_ptrIxEEEEPiiNS8_4plusIiEEEE10hipError_tPvRmT1_T2_T3_mT4_P12ihipStream_tbEUlT_E0_NS1_11comp_targetILNS1_3genE0ELNS1_11target_archE4294967295ELNS1_3gpuE0ELNS1_3repE0EEENS1_30default_config_static_selectorELNS0_4arch9wavefront6targetE1EEEvSK_
                                        ; -- End function
	.set _ZN7rocprim17ROCPRIM_400000_NS6detail17trampoline_kernelINS0_14default_configENS1_22reduce_config_selectorIxEEZNS1_11reduce_implILb1ES3_N6thrust23THRUST_200600_302600_NS6detail15normal_iteratorINS8_10device_ptrIxEEEEPiiNS8_4plusIiEEEE10hipError_tPvRmT1_T2_T3_mT4_P12ihipStream_tbEUlT_E0_NS1_11comp_targetILNS1_3genE0ELNS1_11target_archE4294967295ELNS1_3gpuE0ELNS1_3repE0EEENS1_30default_config_static_selectorELNS0_4arch9wavefront6targetE1EEEvSK_.num_vgpr, 36
	.set _ZN7rocprim17ROCPRIM_400000_NS6detail17trampoline_kernelINS0_14default_configENS1_22reduce_config_selectorIxEEZNS1_11reduce_implILb1ES3_N6thrust23THRUST_200600_302600_NS6detail15normal_iteratorINS8_10device_ptrIxEEEEPiiNS8_4plusIiEEEE10hipError_tPvRmT1_T2_T3_mT4_P12ihipStream_tbEUlT_E0_NS1_11comp_targetILNS1_3genE0ELNS1_11target_archE4294967295ELNS1_3gpuE0ELNS1_3repE0EEENS1_30default_config_static_selectorELNS0_4arch9wavefront6targetE1EEEvSK_.num_agpr, 0
	.set _ZN7rocprim17ROCPRIM_400000_NS6detail17trampoline_kernelINS0_14default_configENS1_22reduce_config_selectorIxEEZNS1_11reduce_implILb1ES3_N6thrust23THRUST_200600_302600_NS6detail15normal_iteratorINS8_10device_ptrIxEEEEPiiNS8_4plusIiEEEE10hipError_tPvRmT1_T2_T3_mT4_P12ihipStream_tbEUlT_E0_NS1_11comp_targetILNS1_3genE0ELNS1_11target_archE4294967295ELNS1_3gpuE0ELNS1_3repE0EEENS1_30default_config_static_selectorELNS0_4arch9wavefront6targetE1EEEvSK_.numbered_sgpr, 48
	.set _ZN7rocprim17ROCPRIM_400000_NS6detail17trampoline_kernelINS0_14default_configENS1_22reduce_config_selectorIxEEZNS1_11reduce_implILb1ES3_N6thrust23THRUST_200600_302600_NS6detail15normal_iteratorINS8_10device_ptrIxEEEEPiiNS8_4plusIiEEEE10hipError_tPvRmT1_T2_T3_mT4_P12ihipStream_tbEUlT_E0_NS1_11comp_targetILNS1_3genE0ELNS1_11target_archE4294967295ELNS1_3gpuE0ELNS1_3repE0EEENS1_30default_config_static_selectorELNS0_4arch9wavefront6targetE1EEEvSK_.num_named_barrier, 0
	.set _ZN7rocprim17ROCPRIM_400000_NS6detail17trampoline_kernelINS0_14default_configENS1_22reduce_config_selectorIxEEZNS1_11reduce_implILb1ES3_N6thrust23THRUST_200600_302600_NS6detail15normal_iteratorINS8_10device_ptrIxEEEEPiiNS8_4plusIiEEEE10hipError_tPvRmT1_T2_T3_mT4_P12ihipStream_tbEUlT_E0_NS1_11comp_targetILNS1_3genE0ELNS1_11target_archE4294967295ELNS1_3gpuE0ELNS1_3repE0EEENS1_30default_config_static_selectorELNS0_4arch9wavefront6targetE1EEEvSK_.private_seg_size, 0
	.set _ZN7rocprim17ROCPRIM_400000_NS6detail17trampoline_kernelINS0_14default_configENS1_22reduce_config_selectorIxEEZNS1_11reduce_implILb1ES3_N6thrust23THRUST_200600_302600_NS6detail15normal_iteratorINS8_10device_ptrIxEEEEPiiNS8_4plusIiEEEE10hipError_tPvRmT1_T2_T3_mT4_P12ihipStream_tbEUlT_E0_NS1_11comp_targetILNS1_3genE0ELNS1_11target_archE4294967295ELNS1_3gpuE0ELNS1_3repE0EEENS1_30default_config_static_selectorELNS0_4arch9wavefront6targetE1EEEvSK_.uses_vcc, 1
	.set _ZN7rocprim17ROCPRIM_400000_NS6detail17trampoline_kernelINS0_14default_configENS1_22reduce_config_selectorIxEEZNS1_11reduce_implILb1ES3_N6thrust23THRUST_200600_302600_NS6detail15normal_iteratorINS8_10device_ptrIxEEEEPiiNS8_4plusIiEEEE10hipError_tPvRmT1_T2_T3_mT4_P12ihipStream_tbEUlT_E0_NS1_11comp_targetILNS1_3genE0ELNS1_11target_archE4294967295ELNS1_3gpuE0ELNS1_3repE0EEENS1_30default_config_static_selectorELNS0_4arch9wavefront6targetE1EEEvSK_.uses_flat_scratch, 0
	.set _ZN7rocprim17ROCPRIM_400000_NS6detail17trampoline_kernelINS0_14default_configENS1_22reduce_config_selectorIxEEZNS1_11reduce_implILb1ES3_N6thrust23THRUST_200600_302600_NS6detail15normal_iteratorINS8_10device_ptrIxEEEEPiiNS8_4plusIiEEEE10hipError_tPvRmT1_T2_T3_mT4_P12ihipStream_tbEUlT_E0_NS1_11comp_targetILNS1_3genE0ELNS1_11target_archE4294967295ELNS1_3gpuE0ELNS1_3repE0EEENS1_30default_config_static_selectorELNS0_4arch9wavefront6targetE1EEEvSK_.has_dyn_sized_stack, 0
	.set _ZN7rocprim17ROCPRIM_400000_NS6detail17trampoline_kernelINS0_14default_configENS1_22reduce_config_selectorIxEEZNS1_11reduce_implILb1ES3_N6thrust23THRUST_200600_302600_NS6detail15normal_iteratorINS8_10device_ptrIxEEEEPiiNS8_4plusIiEEEE10hipError_tPvRmT1_T2_T3_mT4_P12ihipStream_tbEUlT_E0_NS1_11comp_targetILNS1_3genE0ELNS1_11target_archE4294967295ELNS1_3gpuE0ELNS1_3repE0EEENS1_30default_config_static_selectorELNS0_4arch9wavefront6targetE1EEEvSK_.has_recursion, 0
	.set _ZN7rocprim17ROCPRIM_400000_NS6detail17trampoline_kernelINS0_14default_configENS1_22reduce_config_selectorIxEEZNS1_11reduce_implILb1ES3_N6thrust23THRUST_200600_302600_NS6detail15normal_iteratorINS8_10device_ptrIxEEEEPiiNS8_4plusIiEEEE10hipError_tPvRmT1_T2_T3_mT4_P12ihipStream_tbEUlT_E0_NS1_11comp_targetILNS1_3genE0ELNS1_11target_archE4294967295ELNS1_3gpuE0ELNS1_3repE0EEENS1_30default_config_static_selectorELNS0_4arch9wavefront6targetE1EEEvSK_.has_indirect_call, 0
	.section	.AMDGPU.csdata,"",@progbits
; Kernel info:
; codeLenInByte = 2388
; TotalNumSgprs: 54
; NumVgprs: 36
; NumAgprs: 0
; TotalNumVgprs: 36
; ScratchSize: 0
; MemoryBound: 0
; FloatMode: 240
; IeeeMode: 1
; LDSByteSize: 32 bytes/workgroup (compile time only)
; SGPRBlocks: 6
; VGPRBlocks: 4
; NumSGPRsForWavesPerEU: 54
; NumVGPRsForWavesPerEU: 36
; AccumOffset: 36
; Occupancy: 8
; WaveLimiterHint : 1
; COMPUTE_PGM_RSRC2:SCRATCH_EN: 0
; COMPUTE_PGM_RSRC2:USER_SGPR: 2
; COMPUTE_PGM_RSRC2:TRAP_HANDLER: 0
; COMPUTE_PGM_RSRC2:TGID_X_EN: 1
; COMPUTE_PGM_RSRC2:TGID_Y_EN: 0
; COMPUTE_PGM_RSRC2:TGID_Z_EN: 0
; COMPUTE_PGM_RSRC2:TIDIG_COMP_CNT: 0
; COMPUTE_PGM_RSRC3_GFX90A:ACCUM_OFFSET: 8
; COMPUTE_PGM_RSRC3_GFX90A:TG_SPLIT: 0
	.section	.text._ZN7rocprim17ROCPRIM_400000_NS6detail17trampoline_kernelINS0_14default_configENS1_22reduce_config_selectorIxEEZNS1_11reduce_implILb1ES3_N6thrust23THRUST_200600_302600_NS6detail15normal_iteratorINS8_10device_ptrIxEEEEPiiNS8_4plusIiEEEE10hipError_tPvRmT1_T2_T3_mT4_P12ihipStream_tbEUlT_E0_NS1_11comp_targetILNS1_3genE5ELNS1_11target_archE942ELNS1_3gpuE9ELNS1_3repE0EEENS1_30default_config_static_selectorELNS0_4arch9wavefront6targetE1EEEvSK_,"axG",@progbits,_ZN7rocprim17ROCPRIM_400000_NS6detail17trampoline_kernelINS0_14default_configENS1_22reduce_config_selectorIxEEZNS1_11reduce_implILb1ES3_N6thrust23THRUST_200600_302600_NS6detail15normal_iteratorINS8_10device_ptrIxEEEEPiiNS8_4plusIiEEEE10hipError_tPvRmT1_T2_T3_mT4_P12ihipStream_tbEUlT_E0_NS1_11comp_targetILNS1_3genE5ELNS1_11target_archE942ELNS1_3gpuE9ELNS1_3repE0EEENS1_30default_config_static_selectorELNS0_4arch9wavefront6targetE1EEEvSK_,comdat
	.protected	_ZN7rocprim17ROCPRIM_400000_NS6detail17trampoline_kernelINS0_14default_configENS1_22reduce_config_selectorIxEEZNS1_11reduce_implILb1ES3_N6thrust23THRUST_200600_302600_NS6detail15normal_iteratorINS8_10device_ptrIxEEEEPiiNS8_4plusIiEEEE10hipError_tPvRmT1_T2_T3_mT4_P12ihipStream_tbEUlT_E0_NS1_11comp_targetILNS1_3genE5ELNS1_11target_archE942ELNS1_3gpuE9ELNS1_3repE0EEENS1_30default_config_static_selectorELNS0_4arch9wavefront6targetE1EEEvSK_ ; -- Begin function _ZN7rocprim17ROCPRIM_400000_NS6detail17trampoline_kernelINS0_14default_configENS1_22reduce_config_selectorIxEEZNS1_11reduce_implILb1ES3_N6thrust23THRUST_200600_302600_NS6detail15normal_iteratorINS8_10device_ptrIxEEEEPiiNS8_4plusIiEEEE10hipError_tPvRmT1_T2_T3_mT4_P12ihipStream_tbEUlT_E0_NS1_11comp_targetILNS1_3genE5ELNS1_11target_archE942ELNS1_3gpuE9ELNS1_3repE0EEENS1_30default_config_static_selectorELNS0_4arch9wavefront6targetE1EEEvSK_
	.globl	_ZN7rocprim17ROCPRIM_400000_NS6detail17trampoline_kernelINS0_14default_configENS1_22reduce_config_selectorIxEEZNS1_11reduce_implILb1ES3_N6thrust23THRUST_200600_302600_NS6detail15normal_iteratorINS8_10device_ptrIxEEEEPiiNS8_4plusIiEEEE10hipError_tPvRmT1_T2_T3_mT4_P12ihipStream_tbEUlT_E0_NS1_11comp_targetILNS1_3genE5ELNS1_11target_archE942ELNS1_3gpuE9ELNS1_3repE0EEENS1_30default_config_static_selectorELNS0_4arch9wavefront6targetE1EEEvSK_
	.p2align	8
	.type	_ZN7rocprim17ROCPRIM_400000_NS6detail17trampoline_kernelINS0_14default_configENS1_22reduce_config_selectorIxEEZNS1_11reduce_implILb1ES3_N6thrust23THRUST_200600_302600_NS6detail15normal_iteratorINS8_10device_ptrIxEEEEPiiNS8_4plusIiEEEE10hipError_tPvRmT1_T2_T3_mT4_P12ihipStream_tbEUlT_E0_NS1_11comp_targetILNS1_3genE5ELNS1_11target_archE942ELNS1_3gpuE9ELNS1_3repE0EEENS1_30default_config_static_selectorELNS0_4arch9wavefront6targetE1EEEvSK_,@function
_ZN7rocprim17ROCPRIM_400000_NS6detail17trampoline_kernelINS0_14default_configENS1_22reduce_config_selectorIxEEZNS1_11reduce_implILb1ES3_N6thrust23THRUST_200600_302600_NS6detail15normal_iteratorINS8_10device_ptrIxEEEEPiiNS8_4plusIiEEEE10hipError_tPvRmT1_T2_T3_mT4_P12ihipStream_tbEUlT_E0_NS1_11comp_targetILNS1_3genE5ELNS1_11target_archE942ELNS1_3gpuE9ELNS1_3repE0EEENS1_30default_config_static_selectorELNS0_4arch9wavefront6targetE1EEEvSK_: ; @_ZN7rocprim17ROCPRIM_400000_NS6detail17trampoline_kernelINS0_14default_configENS1_22reduce_config_selectorIxEEZNS1_11reduce_implILb1ES3_N6thrust23THRUST_200600_302600_NS6detail15normal_iteratorINS8_10device_ptrIxEEEEPiiNS8_4plusIiEEEE10hipError_tPvRmT1_T2_T3_mT4_P12ihipStream_tbEUlT_E0_NS1_11comp_targetILNS1_3genE5ELNS1_11target_archE942ELNS1_3gpuE9ELNS1_3repE0EEENS1_30default_config_static_selectorELNS0_4arch9wavefront6targetE1EEEvSK_
; %bb.0:
	.section	.rodata,"a",@progbits
	.p2align	6, 0x0
	.amdhsa_kernel _ZN7rocprim17ROCPRIM_400000_NS6detail17trampoline_kernelINS0_14default_configENS1_22reduce_config_selectorIxEEZNS1_11reduce_implILb1ES3_N6thrust23THRUST_200600_302600_NS6detail15normal_iteratorINS8_10device_ptrIxEEEEPiiNS8_4plusIiEEEE10hipError_tPvRmT1_T2_T3_mT4_P12ihipStream_tbEUlT_E0_NS1_11comp_targetILNS1_3genE5ELNS1_11target_archE942ELNS1_3gpuE9ELNS1_3repE0EEENS1_30default_config_static_selectorELNS0_4arch9wavefront6targetE1EEEvSK_
		.amdhsa_group_segment_fixed_size 0
		.amdhsa_private_segment_fixed_size 0
		.amdhsa_kernarg_size 56
		.amdhsa_user_sgpr_count 2
		.amdhsa_user_sgpr_dispatch_ptr 0
		.amdhsa_user_sgpr_queue_ptr 0
		.amdhsa_user_sgpr_kernarg_segment_ptr 1
		.amdhsa_user_sgpr_dispatch_id 0
		.amdhsa_user_sgpr_kernarg_preload_length 0
		.amdhsa_user_sgpr_kernarg_preload_offset 0
		.amdhsa_user_sgpr_private_segment_size 0
		.amdhsa_uses_dynamic_stack 0
		.amdhsa_enable_private_segment 0
		.amdhsa_system_sgpr_workgroup_id_x 1
		.amdhsa_system_sgpr_workgroup_id_y 0
		.amdhsa_system_sgpr_workgroup_id_z 0
		.amdhsa_system_sgpr_workgroup_info 0
		.amdhsa_system_vgpr_workitem_id 0
		.amdhsa_next_free_vgpr 1
		.amdhsa_next_free_sgpr 0
		.amdhsa_accum_offset 4
		.amdhsa_reserve_vcc 0
		.amdhsa_float_round_mode_32 0
		.amdhsa_float_round_mode_16_64 0
		.amdhsa_float_denorm_mode_32 3
		.amdhsa_float_denorm_mode_16_64 3
		.amdhsa_dx10_clamp 1
		.amdhsa_ieee_mode 1
		.amdhsa_fp16_overflow 0
		.amdhsa_tg_split 0
		.amdhsa_exception_fp_ieee_invalid_op 0
		.amdhsa_exception_fp_denorm_src 0
		.amdhsa_exception_fp_ieee_div_zero 0
		.amdhsa_exception_fp_ieee_overflow 0
		.amdhsa_exception_fp_ieee_underflow 0
		.amdhsa_exception_fp_ieee_inexact 0
		.amdhsa_exception_int_div_zero 0
	.end_amdhsa_kernel
	.section	.text._ZN7rocprim17ROCPRIM_400000_NS6detail17trampoline_kernelINS0_14default_configENS1_22reduce_config_selectorIxEEZNS1_11reduce_implILb1ES3_N6thrust23THRUST_200600_302600_NS6detail15normal_iteratorINS8_10device_ptrIxEEEEPiiNS8_4plusIiEEEE10hipError_tPvRmT1_T2_T3_mT4_P12ihipStream_tbEUlT_E0_NS1_11comp_targetILNS1_3genE5ELNS1_11target_archE942ELNS1_3gpuE9ELNS1_3repE0EEENS1_30default_config_static_selectorELNS0_4arch9wavefront6targetE1EEEvSK_,"axG",@progbits,_ZN7rocprim17ROCPRIM_400000_NS6detail17trampoline_kernelINS0_14default_configENS1_22reduce_config_selectorIxEEZNS1_11reduce_implILb1ES3_N6thrust23THRUST_200600_302600_NS6detail15normal_iteratorINS8_10device_ptrIxEEEEPiiNS8_4plusIiEEEE10hipError_tPvRmT1_T2_T3_mT4_P12ihipStream_tbEUlT_E0_NS1_11comp_targetILNS1_3genE5ELNS1_11target_archE942ELNS1_3gpuE9ELNS1_3repE0EEENS1_30default_config_static_selectorELNS0_4arch9wavefront6targetE1EEEvSK_,comdat
.Lfunc_end460:
	.size	_ZN7rocprim17ROCPRIM_400000_NS6detail17trampoline_kernelINS0_14default_configENS1_22reduce_config_selectorIxEEZNS1_11reduce_implILb1ES3_N6thrust23THRUST_200600_302600_NS6detail15normal_iteratorINS8_10device_ptrIxEEEEPiiNS8_4plusIiEEEE10hipError_tPvRmT1_T2_T3_mT4_P12ihipStream_tbEUlT_E0_NS1_11comp_targetILNS1_3genE5ELNS1_11target_archE942ELNS1_3gpuE9ELNS1_3repE0EEENS1_30default_config_static_selectorELNS0_4arch9wavefront6targetE1EEEvSK_, .Lfunc_end460-_ZN7rocprim17ROCPRIM_400000_NS6detail17trampoline_kernelINS0_14default_configENS1_22reduce_config_selectorIxEEZNS1_11reduce_implILb1ES3_N6thrust23THRUST_200600_302600_NS6detail15normal_iteratorINS8_10device_ptrIxEEEEPiiNS8_4plusIiEEEE10hipError_tPvRmT1_T2_T3_mT4_P12ihipStream_tbEUlT_E0_NS1_11comp_targetILNS1_3genE5ELNS1_11target_archE942ELNS1_3gpuE9ELNS1_3repE0EEENS1_30default_config_static_selectorELNS0_4arch9wavefront6targetE1EEEvSK_
                                        ; -- End function
	.set _ZN7rocprim17ROCPRIM_400000_NS6detail17trampoline_kernelINS0_14default_configENS1_22reduce_config_selectorIxEEZNS1_11reduce_implILb1ES3_N6thrust23THRUST_200600_302600_NS6detail15normal_iteratorINS8_10device_ptrIxEEEEPiiNS8_4plusIiEEEE10hipError_tPvRmT1_T2_T3_mT4_P12ihipStream_tbEUlT_E0_NS1_11comp_targetILNS1_3genE5ELNS1_11target_archE942ELNS1_3gpuE9ELNS1_3repE0EEENS1_30default_config_static_selectorELNS0_4arch9wavefront6targetE1EEEvSK_.num_vgpr, 0
	.set _ZN7rocprim17ROCPRIM_400000_NS6detail17trampoline_kernelINS0_14default_configENS1_22reduce_config_selectorIxEEZNS1_11reduce_implILb1ES3_N6thrust23THRUST_200600_302600_NS6detail15normal_iteratorINS8_10device_ptrIxEEEEPiiNS8_4plusIiEEEE10hipError_tPvRmT1_T2_T3_mT4_P12ihipStream_tbEUlT_E0_NS1_11comp_targetILNS1_3genE5ELNS1_11target_archE942ELNS1_3gpuE9ELNS1_3repE0EEENS1_30default_config_static_selectorELNS0_4arch9wavefront6targetE1EEEvSK_.num_agpr, 0
	.set _ZN7rocprim17ROCPRIM_400000_NS6detail17trampoline_kernelINS0_14default_configENS1_22reduce_config_selectorIxEEZNS1_11reduce_implILb1ES3_N6thrust23THRUST_200600_302600_NS6detail15normal_iteratorINS8_10device_ptrIxEEEEPiiNS8_4plusIiEEEE10hipError_tPvRmT1_T2_T3_mT4_P12ihipStream_tbEUlT_E0_NS1_11comp_targetILNS1_3genE5ELNS1_11target_archE942ELNS1_3gpuE9ELNS1_3repE0EEENS1_30default_config_static_selectorELNS0_4arch9wavefront6targetE1EEEvSK_.numbered_sgpr, 0
	.set _ZN7rocprim17ROCPRIM_400000_NS6detail17trampoline_kernelINS0_14default_configENS1_22reduce_config_selectorIxEEZNS1_11reduce_implILb1ES3_N6thrust23THRUST_200600_302600_NS6detail15normal_iteratorINS8_10device_ptrIxEEEEPiiNS8_4plusIiEEEE10hipError_tPvRmT1_T2_T3_mT4_P12ihipStream_tbEUlT_E0_NS1_11comp_targetILNS1_3genE5ELNS1_11target_archE942ELNS1_3gpuE9ELNS1_3repE0EEENS1_30default_config_static_selectorELNS0_4arch9wavefront6targetE1EEEvSK_.num_named_barrier, 0
	.set _ZN7rocprim17ROCPRIM_400000_NS6detail17trampoline_kernelINS0_14default_configENS1_22reduce_config_selectorIxEEZNS1_11reduce_implILb1ES3_N6thrust23THRUST_200600_302600_NS6detail15normal_iteratorINS8_10device_ptrIxEEEEPiiNS8_4plusIiEEEE10hipError_tPvRmT1_T2_T3_mT4_P12ihipStream_tbEUlT_E0_NS1_11comp_targetILNS1_3genE5ELNS1_11target_archE942ELNS1_3gpuE9ELNS1_3repE0EEENS1_30default_config_static_selectorELNS0_4arch9wavefront6targetE1EEEvSK_.private_seg_size, 0
	.set _ZN7rocprim17ROCPRIM_400000_NS6detail17trampoline_kernelINS0_14default_configENS1_22reduce_config_selectorIxEEZNS1_11reduce_implILb1ES3_N6thrust23THRUST_200600_302600_NS6detail15normal_iteratorINS8_10device_ptrIxEEEEPiiNS8_4plusIiEEEE10hipError_tPvRmT1_T2_T3_mT4_P12ihipStream_tbEUlT_E0_NS1_11comp_targetILNS1_3genE5ELNS1_11target_archE942ELNS1_3gpuE9ELNS1_3repE0EEENS1_30default_config_static_selectorELNS0_4arch9wavefront6targetE1EEEvSK_.uses_vcc, 0
	.set _ZN7rocprim17ROCPRIM_400000_NS6detail17trampoline_kernelINS0_14default_configENS1_22reduce_config_selectorIxEEZNS1_11reduce_implILb1ES3_N6thrust23THRUST_200600_302600_NS6detail15normal_iteratorINS8_10device_ptrIxEEEEPiiNS8_4plusIiEEEE10hipError_tPvRmT1_T2_T3_mT4_P12ihipStream_tbEUlT_E0_NS1_11comp_targetILNS1_3genE5ELNS1_11target_archE942ELNS1_3gpuE9ELNS1_3repE0EEENS1_30default_config_static_selectorELNS0_4arch9wavefront6targetE1EEEvSK_.uses_flat_scratch, 0
	.set _ZN7rocprim17ROCPRIM_400000_NS6detail17trampoline_kernelINS0_14default_configENS1_22reduce_config_selectorIxEEZNS1_11reduce_implILb1ES3_N6thrust23THRUST_200600_302600_NS6detail15normal_iteratorINS8_10device_ptrIxEEEEPiiNS8_4plusIiEEEE10hipError_tPvRmT1_T2_T3_mT4_P12ihipStream_tbEUlT_E0_NS1_11comp_targetILNS1_3genE5ELNS1_11target_archE942ELNS1_3gpuE9ELNS1_3repE0EEENS1_30default_config_static_selectorELNS0_4arch9wavefront6targetE1EEEvSK_.has_dyn_sized_stack, 0
	.set _ZN7rocprim17ROCPRIM_400000_NS6detail17trampoline_kernelINS0_14default_configENS1_22reduce_config_selectorIxEEZNS1_11reduce_implILb1ES3_N6thrust23THRUST_200600_302600_NS6detail15normal_iteratorINS8_10device_ptrIxEEEEPiiNS8_4plusIiEEEE10hipError_tPvRmT1_T2_T3_mT4_P12ihipStream_tbEUlT_E0_NS1_11comp_targetILNS1_3genE5ELNS1_11target_archE942ELNS1_3gpuE9ELNS1_3repE0EEENS1_30default_config_static_selectorELNS0_4arch9wavefront6targetE1EEEvSK_.has_recursion, 0
	.set _ZN7rocprim17ROCPRIM_400000_NS6detail17trampoline_kernelINS0_14default_configENS1_22reduce_config_selectorIxEEZNS1_11reduce_implILb1ES3_N6thrust23THRUST_200600_302600_NS6detail15normal_iteratorINS8_10device_ptrIxEEEEPiiNS8_4plusIiEEEE10hipError_tPvRmT1_T2_T3_mT4_P12ihipStream_tbEUlT_E0_NS1_11comp_targetILNS1_3genE5ELNS1_11target_archE942ELNS1_3gpuE9ELNS1_3repE0EEENS1_30default_config_static_selectorELNS0_4arch9wavefront6targetE1EEEvSK_.has_indirect_call, 0
	.section	.AMDGPU.csdata,"",@progbits
; Kernel info:
; codeLenInByte = 0
; TotalNumSgprs: 6
; NumVgprs: 0
; NumAgprs: 0
; TotalNumVgprs: 0
; ScratchSize: 0
; MemoryBound: 0
; FloatMode: 240
; IeeeMode: 1
; LDSByteSize: 0 bytes/workgroup (compile time only)
; SGPRBlocks: 0
; VGPRBlocks: 0
; NumSGPRsForWavesPerEU: 6
; NumVGPRsForWavesPerEU: 1
; AccumOffset: 4
; Occupancy: 8
; WaveLimiterHint : 0
; COMPUTE_PGM_RSRC2:SCRATCH_EN: 0
; COMPUTE_PGM_RSRC2:USER_SGPR: 2
; COMPUTE_PGM_RSRC2:TRAP_HANDLER: 0
; COMPUTE_PGM_RSRC2:TGID_X_EN: 1
; COMPUTE_PGM_RSRC2:TGID_Y_EN: 0
; COMPUTE_PGM_RSRC2:TGID_Z_EN: 0
; COMPUTE_PGM_RSRC2:TIDIG_COMP_CNT: 0
; COMPUTE_PGM_RSRC3_GFX90A:ACCUM_OFFSET: 0
; COMPUTE_PGM_RSRC3_GFX90A:TG_SPLIT: 0
	.section	.text._ZN7rocprim17ROCPRIM_400000_NS6detail17trampoline_kernelINS0_14default_configENS1_22reduce_config_selectorIxEEZNS1_11reduce_implILb1ES3_N6thrust23THRUST_200600_302600_NS6detail15normal_iteratorINS8_10device_ptrIxEEEEPiiNS8_4plusIiEEEE10hipError_tPvRmT1_T2_T3_mT4_P12ihipStream_tbEUlT_E0_NS1_11comp_targetILNS1_3genE4ELNS1_11target_archE910ELNS1_3gpuE8ELNS1_3repE0EEENS1_30default_config_static_selectorELNS0_4arch9wavefront6targetE1EEEvSK_,"axG",@progbits,_ZN7rocprim17ROCPRIM_400000_NS6detail17trampoline_kernelINS0_14default_configENS1_22reduce_config_selectorIxEEZNS1_11reduce_implILb1ES3_N6thrust23THRUST_200600_302600_NS6detail15normal_iteratorINS8_10device_ptrIxEEEEPiiNS8_4plusIiEEEE10hipError_tPvRmT1_T2_T3_mT4_P12ihipStream_tbEUlT_E0_NS1_11comp_targetILNS1_3genE4ELNS1_11target_archE910ELNS1_3gpuE8ELNS1_3repE0EEENS1_30default_config_static_selectorELNS0_4arch9wavefront6targetE1EEEvSK_,comdat
	.protected	_ZN7rocprim17ROCPRIM_400000_NS6detail17trampoline_kernelINS0_14default_configENS1_22reduce_config_selectorIxEEZNS1_11reduce_implILb1ES3_N6thrust23THRUST_200600_302600_NS6detail15normal_iteratorINS8_10device_ptrIxEEEEPiiNS8_4plusIiEEEE10hipError_tPvRmT1_T2_T3_mT4_P12ihipStream_tbEUlT_E0_NS1_11comp_targetILNS1_3genE4ELNS1_11target_archE910ELNS1_3gpuE8ELNS1_3repE0EEENS1_30default_config_static_selectorELNS0_4arch9wavefront6targetE1EEEvSK_ ; -- Begin function _ZN7rocprim17ROCPRIM_400000_NS6detail17trampoline_kernelINS0_14default_configENS1_22reduce_config_selectorIxEEZNS1_11reduce_implILb1ES3_N6thrust23THRUST_200600_302600_NS6detail15normal_iteratorINS8_10device_ptrIxEEEEPiiNS8_4plusIiEEEE10hipError_tPvRmT1_T2_T3_mT4_P12ihipStream_tbEUlT_E0_NS1_11comp_targetILNS1_3genE4ELNS1_11target_archE910ELNS1_3gpuE8ELNS1_3repE0EEENS1_30default_config_static_selectorELNS0_4arch9wavefront6targetE1EEEvSK_
	.globl	_ZN7rocprim17ROCPRIM_400000_NS6detail17trampoline_kernelINS0_14default_configENS1_22reduce_config_selectorIxEEZNS1_11reduce_implILb1ES3_N6thrust23THRUST_200600_302600_NS6detail15normal_iteratorINS8_10device_ptrIxEEEEPiiNS8_4plusIiEEEE10hipError_tPvRmT1_T2_T3_mT4_P12ihipStream_tbEUlT_E0_NS1_11comp_targetILNS1_3genE4ELNS1_11target_archE910ELNS1_3gpuE8ELNS1_3repE0EEENS1_30default_config_static_selectorELNS0_4arch9wavefront6targetE1EEEvSK_
	.p2align	8
	.type	_ZN7rocprim17ROCPRIM_400000_NS6detail17trampoline_kernelINS0_14default_configENS1_22reduce_config_selectorIxEEZNS1_11reduce_implILb1ES3_N6thrust23THRUST_200600_302600_NS6detail15normal_iteratorINS8_10device_ptrIxEEEEPiiNS8_4plusIiEEEE10hipError_tPvRmT1_T2_T3_mT4_P12ihipStream_tbEUlT_E0_NS1_11comp_targetILNS1_3genE4ELNS1_11target_archE910ELNS1_3gpuE8ELNS1_3repE0EEENS1_30default_config_static_selectorELNS0_4arch9wavefront6targetE1EEEvSK_,@function
_ZN7rocprim17ROCPRIM_400000_NS6detail17trampoline_kernelINS0_14default_configENS1_22reduce_config_selectorIxEEZNS1_11reduce_implILb1ES3_N6thrust23THRUST_200600_302600_NS6detail15normal_iteratorINS8_10device_ptrIxEEEEPiiNS8_4plusIiEEEE10hipError_tPvRmT1_T2_T3_mT4_P12ihipStream_tbEUlT_E0_NS1_11comp_targetILNS1_3genE4ELNS1_11target_archE910ELNS1_3gpuE8ELNS1_3repE0EEENS1_30default_config_static_selectorELNS0_4arch9wavefront6targetE1EEEvSK_: ; @_ZN7rocprim17ROCPRIM_400000_NS6detail17trampoline_kernelINS0_14default_configENS1_22reduce_config_selectorIxEEZNS1_11reduce_implILb1ES3_N6thrust23THRUST_200600_302600_NS6detail15normal_iteratorINS8_10device_ptrIxEEEEPiiNS8_4plusIiEEEE10hipError_tPvRmT1_T2_T3_mT4_P12ihipStream_tbEUlT_E0_NS1_11comp_targetILNS1_3genE4ELNS1_11target_archE910ELNS1_3gpuE8ELNS1_3repE0EEENS1_30default_config_static_selectorELNS0_4arch9wavefront6targetE1EEEvSK_
; %bb.0:
	.section	.rodata,"a",@progbits
	.p2align	6, 0x0
	.amdhsa_kernel _ZN7rocprim17ROCPRIM_400000_NS6detail17trampoline_kernelINS0_14default_configENS1_22reduce_config_selectorIxEEZNS1_11reduce_implILb1ES3_N6thrust23THRUST_200600_302600_NS6detail15normal_iteratorINS8_10device_ptrIxEEEEPiiNS8_4plusIiEEEE10hipError_tPvRmT1_T2_T3_mT4_P12ihipStream_tbEUlT_E0_NS1_11comp_targetILNS1_3genE4ELNS1_11target_archE910ELNS1_3gpuE8ELNS1_3repE0EEENS1_30default_config_static_selectorELNS0_4arch9wavefront6targetE1EEEvSK_
		.amdhsa_group_segment_fixed_size 0
		.amdhsa_private_segment_fixed_size 0
		.amdhsa_kernarg_size 56
		.amdhsa_user_sgpr_count 2
		.amdhsa_user_sgpr_dispatch_ptr 0
		.amdhsa_user_sgpr_queue_ptr 0
		.amdhsa_user_sgpr_kernarg_segment_ptr 1
		.amdhsa_user_sgpr_dispatch_id 0
		.amdhsa_user_sgpr_kernarg_preload_length 0
		.amdhsa_user_sgpr_kernarg_preload_offset 0
		.amdhsa_user_sgpr_private_segment_size 0
		.amdhsa_uses_dynamic_stack 0
		.amdhsa_enable_private_segment 0
		.amdhsa_system_sgpr_workgroup_id_x 1
		.amdhsa_system_sgpr_workgroup_id_y 0
		.amdhsa_system_sgpr_workgroup_id_z 0
		.amdhsa_system_sgpr_workgroup_info 0
		.amdhsa_system_vgpr_workitem_id 0
		.amdhsa_next_free_vgpr 1
		.amdhsa_next_free_sgpr 0
		.amdhsa_accum_offset 4
		.amdhsa_reserve_vcc 0
		.amdhsa_float_round_mode_32 0
		.amdhsa_float_round_mode_16_64 0
		.amdhsa_float_denorm_mode_32 3
		.amdhsa_float_denorm_mode_16_64 3
		.amdhsa_dx10_clamp 1
		.amdhsa_ieee_mode 1
		.amdhsa_fp16_overflow 0
		.amdhsa_tg_split 0
		.amdhsa_exception_fp_ieee_invalid_op 0
		.amdhsa_exception_fp_denorm_src 0
		.amdhsa_exception_fp_ieee_div_zero 0
		.amdhsa_exception_fp_ieee_overflow 0
		.amdhsa_exception_fp_ieee_underflow 0
		.amdhsa_exception_fp_ieee_inexact 0
		.amdhsa_exception_int_div_zero 0
	.end_amdhsa_kernel
	.section	.text._ZN7rocprim17ROCPRIM_400000_NS6detail17trampoline_kernelINS0_14default_configENS1_22reduce_config_selectorIxEEZNS1_11reduce_implILb1ES3_N6thrust23THRUST_200600_302600_NS6detail15normal_iteratorINS8_10device_ptrIxEEEEPiiNS8_4plusIiEEEE10hipError_tPvRmT1_T2_T3_mT4_P12ihipStream_tbEUlT_E0_NS1_11comp_targetILNS1_3genE4ELNS1_11target_archE910ELNS1_3gpuE8ELNS1_3repE0EEENS1_30default_config_static_selectorELNS0_4arch9wavefront6targetE1EEEvSK_,"axG",@progbits,_ZN7rocprim17ROCPRIM_400000_NS6detail17trampoline_kernelINS0_14default_configENS1_22reduce_config_selectorIxEEZNS1_11reduce_implILb1ES3_N6thrust23THRUST_200600_302600_NS6detail15normal_iteratorINS8_10device_ptrIxEEEEPiiNS8_4plusIiEEEE10hipError_tPvRmT1_T2_T3_mT4_P12ihipStream_tbEUlT_E0_NS1_11comp_targetILNS1_3genE4ELNS1_11target_archE910ELNS1_3gpuE8ELNS1_3repE0EEENS1_30default_config_static_selectorELNS0_4arch9wavefront6targetE1EEEvSK_,comdat
.Lfunc_end461:
	.size	_ZN7rocprim17ROCPRIM_400000_NS6detail17trampoline_kernelINS0_14default_configENS1_22reduce_config_selectorIxEEZNS1_11reduce_implILb1ES3_N6thrust23THRUST_200600_302600_NS6detail15normal_iteratorINS8_10device_ptrIxEEEEPiiNS8_4plusIiEEEE10hipError_tPvRmT1_T2_T3_mT4_P12ihipStream_tbEUlT_E0_NS1_11comp_targetILNS1_3genE4ELNS1_11target_archE910ELNS1_3gpuE8ELNS1_3repE0EEENS1_30default_config_static_selectorELNS0_4arch9wavefront6targetE1EEEvSK_, .Lfunc_end461-_ZN7rocprim17ROCPRIM_400000_NS6detail17trampoline_kernelINS0_14default_configENS1_22reduce_config_selectorIxEEZNS1_11reduce_implILb1ES3_N6thrust23THRUST_200600_302600_NS6detail15normal_iteratorINS8_10device_ptrIxEEEEPiiNS8_4plusIiEEEE10hipError_tPvRmT1_T2_T3_mT4_P12ihipStream_tbEUlT_E0_NS1_11comp_targetILNS1_3genE4ELNS1_11target_archE910ELNS1_3gpuE8ELNS1_3repE0EEENS1_30default_config_static_selectorELNS0_4arch9wavefront6targetE1EEEvSK_
                                        ; -- End function
	.set _ZN7rocprim17ROCPRIM_400000_NS6detail17trampoline_kernelINS0_14default_configENS1_22reduce_config_selectorIxEEZNS1_11reduce_implILb1ES3_N6thrust23THRUST_200600_302600_NS6detail15normal_iteratorINS8_10device_ptrIxEEEEPiiNS8_4plusIiEEEE10hipError_tPvRmT1_T2_T3_mT4_P12ihipStream_tbEUlT_E0_NS1_11comp_targetILNS1_3genE4ELNS1_11target_archE910ELNS1_3gpuE8ELNS1_3repE0EEENS1_30default_config_static_selectorELNS0_4arch9wavefront6targetE1EEEvSK_.num_vgpr, 0
	.set _ZN7rocprim17ROCPRIM_400000_NS6detail17trampoline_kernelINS0_14default_configENS1_22reduce_config_selectorIxEEZNS1_11reduce_implILb1ES3_N6thrust23THRUST_200600_302600_NS6detail15normal_iteratorINS8_10device_ptrIxEEEEPiiNS8_4plusIiEEEE10hipError_tPvRmT1_T2_T3_mT4_P12ihipStream_tbEUlT_E0_NS1_11comp_targetILNS1_3genE4ELNS1_11target_archE910ELNS1_3gpuE8ELNS1_3repE0EEENS1_30default_config_static_selectorELNS0_4arch9wavefront6targetE1EEEvSK_.num_agpr, 0
	.set _ZN7rocprim17ROCPRIM_400000_NS6detail17trampoline_kernelINS0_14default_configENS1_22reduce_config_selectorIxEEZNS1_11reduce_implILb1ES3_N6thrust23THRUST_200600_302600_NS6detail15normal_iteratorINS8_10device_ptrIxEEEEPiiNS8_4plusIiEEEE10hipError_tPvRmT1_T2_T3_mT4_P12ihipStream_tbEUlT_E0_NS1_11comp_targetILNS1_3genE4ELNS1_11target_archE910ELNS1_3gpuE8ELNS1_3repE0EEENS1_30default_config_static_selectorELNS0_4arch9wavefront6targetE1EEEvSK_.numbered_sgpr, 0
	.set _ZN7rocprim17ROCPRIM_400000_NS6detail17trampoline_kernelINS0_14default_configENS1_22reduce_config_selectorIxEEZNS1_11reduce_implILb1ES3_N6thrust23THRUST_200600_302600_NS6detail15normal_iteratorINS8_10device_ptrIxEEEEPiiNS8_4plusIiEEEE10hipError_tPvRmT1_T2_T3_mT4_P12ihipStream_tbEUlT_E0_NS1_11comp_targetILNS1_3genE4ELNS1_11target_archE910ELNS1_3gpuE8ELNS1_3repE0EEENS1_30default_config_static_selectorELNS0_4arch9wavefront6targetE1EEEvSK_.num_named_barrier, 0
	.set _ZN7rocprim17ROCPRIM_400000_NS6detail17trampoline_kernelINS0_14default_configENS1_22reduce_config_selectorIxEEZNS1_11reduce_implILb1ES3_N6thrust23THRUST_200600_302600_NS6detail15normal_iteratorINS8_10device_ptrIxEEEEPiiNS8_4plusIiEEEE10hipError_tPvRmT1_T2_T3_mT4_P12ihipStream_tbEUlT_E0_NS1_11comp_targetILNS1_3genE4ELNS1_11target_archE910ELNS1_3gpuE8ELNS1_3repE0EEENS1_30default_config_static_selectorELNS0_4arch9wavefront6targetE1EEEvSK_.private_seg_size, 0
	.set _ZN7rocprim17ROCPRIM_400000_NS6detail17trampoline_kernelINS0_14default_configENS1_22reduce_config_selectorIxEEZNS1_11reduce_implILb1ES3_N6thrust23THRUST_200600_302600_NS6detail15normal_iteratorINS8_10device_ptrIxEEEEPiiNS8_4plusIiEEEE10hipError_tPvRmT1_T2_T3_mT4_P12ihipStream_tbEUlT_E0_NS1_11comp_targetILNS1_3genE4ELNS1_11target_archE910ELNS1_3gpuE8ELNS1_3repE0EEENS1_30default_config_static_selectorELNS0_4arch9wavefront6targetE1EEEvSK_.uses_vcc, 0
	.set _ZN7rocprim17ROCPRIM_400000_NS6detail17trampoline_kernelINS0_14default_configENS1_22reduce_config_selectorIxEEZNS1_11reduce_implILb1ES3_N6thrust23THRUST_200600_302600_NS6detail15normal_iteratorINS8_10device_ptrIxEEEEPiiNS8_4plusIiEEEE10hipError_tPvRmT1_T2_T3_mT4_P12ihipStream_tbEUlT_E0_NS1_11comp_targetILNS1_3genE4ELNS1_11target_archE910ELNS1_3gpuE8ELNS1_3repE0EEENS1_30default_config_static_selectorELNS0_4arch9wavefront6targetE1EEEvSK_.uses_flat_scratch, 0
	.set _ZN7rocprim17ROCPRIM_400000_NS6detail17trampoline_kernelINS0_14default_configENS1_22reduce_config_selectorIxEEZNS1_11reduce_implILb1ES3_N6thrust23THRUST_200600_302600_NS6detail15normal_iteratorINS8_10device_ptrIxEEEEPiiNS8_4plusIiEEEE10hipError_tPvRmT1_T2_T3_mT4_P12ihipStream_tbEUlT_E0_NS1_11comp_targetILNS1_3genE4ELNS1_11target_archE910ELNS1_3gpuE8ELNS1_3repE0EEENS1_30default_config_static_selectorELNS0_4arch9wavefront6targetE1EEEvSK_.has_dyn_sized_stack, 0
	.set _ZN7rocprim17ROCPRIM_400000_NS6detail17trampoline_kernelINS0_14default_configENS1_22reduce_config_selectorIxEEZNS1_11reduce_implILb1ES3_N6thrust23THRUST_200600_302600_NS6detail15normal_iteratorINS8_10device_ptrIxEEEEPiiNS8_4plusIiEEEE10hipError_tPvRmT1_T2_T3_mT4_P12ihipStream_tbEUlT_E0_NS1_11comp_targetILNS1_3genE4ELNS1_11target_archE910ELNS1_3gpuE8ELNS1_3repE0EEENS1_30default_config_static_selectorELNS0_4arch9wavefront6targetE1EEEvSK_.has_recursion, 0
	.set _ZN7rocprim17ROCPRIM_400000_NS6detail17trampoline_kernelINS0_14default_configENS1_22reduce_config_selectorIxEEZNS1_11reduce_implILb1ES3_N6thrust23THRUST_200600_302600_NS6detail15normal_iteratorINS8_10device_ptrIxEEEEPiiNS8_4plusIiEEEE10hipError_tPvRmT1_T2_T3_mT4_P12ihipStream_tbEUlT_E0_NS1_11comp_targetILNS1_3genE4ELNS1_11target_archE910ELNS1_3gpuE8ELNS1_3repE0EEENS1_30default_config_static_selectorELNS0_4arch9wavefront6targetE1EEEvSK_.has_indirect_call, 0
	.section	.AMDGPU.csdata,"",@progbits
; Kernel info:
; codeLenInByte = 0
; TotalNumSgprs: 6
; NumVgprs: 0
; NumAgprs: 0
; TotalNumVgprs: 0
; ScratchSize: 0
; MemoryBound: 0
; FloatMode: 240
; IeeeMode: 1
; LDSByteSize: 0 bytes/workgroup (compile time only)
; SGPRBlocks: 0
; VGPRBlocks: 0
; NumSGPRsForWavesPerEU: 6
; NumVGPRsForWavesPerEU: 1
; AccumOffset: 4
; Occupancy: 8
; WaveLimiterHint : 0
; COMPUTE_PGM_RSRC2:SCRATCH_EN: 0
; COMPUTE_PGM_RSRC2:USER_SGPR: 2
; COMPUTE_PGM_RSRC2:TRAP_HANDLER: 0
; COMPUTE_PGM_RSRC2:TGID_X_EN: 1
; COMPUTE_PGM_RSRC2:TGID_Y_EN: 0
; COMPUTE_PGM_RSRC2:TGID_Z_EN: 0
; COMPUTE_PGM_RSRC2:TIDIG_COMP_CNT: 0
; COMPUTE_PGM_RSRC3_GFX90A:ACCUM_OFFSET: 0
; COMPUTE_PGM_RSRC3_GFX90A:TG_SPLIT: 0
	.section	.text._ZN7rocprim17ROCPRIM_400000_NS6detail17trampoline_kernelINS0_14default_configENS1_22reduce_config_selectorIxEEZNS1_11reduce_implILb1ES3_N6thrust23THRUST_200600_302600_NS6detail15normal_iteratorINS8_10device_ptrIxEEEEPiiNS8_4plusIiEEEE10hipError_tPvRmT1_T2_T3_mT4_P12ihipStream_tbEUlT_E0_NS1_11comp_targetILNS1_3genE3ELNS1_11target_archE908ELNS1_3gpuE7ELNS1_3repE0EEENS1_30default_config_static_selectorELNS0_4arch9wavefront6targetE1EEEvSK_,"axG",@progbits,_ZN7rocprim17ROCPRIM_400000_NS6detail17trampoline_kernelINS0_14default_configENS1_22reduce_config_selectorIxEEZNS1_11reduce_implILb1ES3_N6thrust23THRUST_200600_302600_NS6detail15normal_iteratorINS8_10device_ptrIxEEEEPiiNS8_4plusIiEEEE10hipError_tPvRmT1_T2_T3_mT4_P12ihipStream_tbEUlT_E0_NS1_11comp_targetILNS1_3genE3ELNS1_11target_archE908ELNS1_3gpuE7ELNS1_3repE0EEENS1_30default_config_static_selectorELNS0_4arch9wavefront6targetE1EEEvSK_,comdat
	.protected	_ZN7rocprim17ROCPRIM_400000_NS6detail17trampoline_kernelINS0_14default_configENS1_22reduce_config_selectorIxEEZNS1_11reduce_implILb1ES3_N6thrust23THRUST_200600_302600_NS6detail15normal_iteratorINS8_10device_ptrIxEEEEPiiNS8_4plusIiEEEE10hipError_tPvRmT1_T2_T3_mT4_P12ihipStream_tbEUlT_E0_NS1_11comp_targetILNS1_3genE3ELNS1_11target_archE908ELNS1_3gpuE7ELNS1_3repE0EEENS1_30default_config_static_selectorELNS0_4arch9wavefront6targetE1EEEvSK_ ; -- Begin function _ZN7rocprim17ROCPRIM_400000_NS6detail17trampoline_kernelINS0_14default_configENS1_22reduce_config_selectorIxEEZNS1_11reduce_implILb1ES3_N6thrust23THRUST_200600_302600_NS6detail15normal_iteratorINS8_10device_ptrIxEEEEPiiNS8_4plusIiEEEE10hipError_tPvRmT1_T2_T3_mT4_P12ihipStream_tbEUlT_E0_NS1_11comp_targetILNS1_3genE3ELNS1_11target_archE908ELNS1_3gpuE7ELNS1_3repE0EEENS1_30default_config_static_selectorELNS0_4arch9wavefront6targetE1EEEvSK_
	.globl	_ZN7rocprim17ROCPRIM_400000_NS6detail17trampoline_kernelINS0_14default_configENS1_22reduce_config_selectorIxEEZNS1_11reduce_implILb1ES3_N6thrust23THRUST_200600_302600_NS6detail15normal_iteratorINS8_10device_ptrIxEEEEPiiNS8_4plusIiEEEE10hipError_tPvRmT1_T2_T3_mT4_P12ihipStream_tbEUlT_E0_NS1_11comp_targetILNS1_3genE3ELNS1_11target_archE908ELNS1_3gpuE7ELNS1_3repE0EEENS1_30default_config_static_selectorELNS0_4arch9wavefront6targetE1EEEvSK_
	.p2align	8
	.type	_ZN7rocprim17ROCPRIM_400000_NS6detail17trampoline_kernelINS0_14default_configENS1_22reduce_config_selectorIxEEZNS1_11reduce_implILb1ES3_N6thrust23THRUST_200600_302600_NS6detail15normal_iteratorINS8_10device_ptrIxEEEEPiiNS8_4plusIiEEEE10hipError_tPvRmT1_T2_T3_mT4_P12ihipStream_tbEUlT_E0_NS1_11comp_targetILNS1_3genE3ELNS1_11target_archE908ELNS1_3gpuE7ELNS1_3repE0EEENS1_30default_config_static_selectorELNS0_4arch9wavefront6targetE1EEEvSK_,@function
_ZN7rocprim17ROCPRIM_400000_NS6detail17trampoline_kernelINS0_14default_configENS1_22reduce_config_selectorIxEEZNS1_11reduce_implILb1ES3_N6thrust23THRUST_200600_302600_NS6detail15normal_iteratorINS8_10device_ptrIxEEEEPiiNS8_4plusIiEEEE10hipError_tPvRmT1_T2_T3_mT4_P12ihipStream_tbEUlT_E0_NS1_11comp_targetILNS1_3genE3ELNS1_11target_archE908ELNS1_3gpuE7ELNS1_3repE0EEENS1_30default_config_static_selectorELNS0_4arch9wavefront6targetE1EEEvSK_: ; @_ZN7rocprim17ROCPRIM_400000_NS6detail17trampoline_kernelINS0_14default_configENS1_22reduce_config_selectorIxEEZNS1_11reduce_implILb1ES3_N6thrust23THRUST_200600_302600_NS6detail15normal_iteratorINS8_10device_ptrIxEEEEPiiNS8_4plusIiEEEE10hipError_tPvRmT1_T2_T3_mT4_P12ihipStream_tbEUlT_E0_NS1_11comp_targetILNS1_3genE3ELNS1_11target_archE908ELNS1_3gpuE7ELNS1_3repE0EEENS1_30default_config_static_selectorELNS0_4arch9wavefront6targetE1EEEvSK_
; %bb.0:
	.section	.rodata,"a",@progbits
	.p2align	6, 0x0
	.amdhsa_kernel _ZN7rocprim17ROCPRIM_400000_NS6detail17trampoline_kernelINS0_14default_configENS1_22reduce_config_selectorIxEEZNS1_11reduce_implILb1ES3_N6thrust23THRUST_200600_302600_NS6detail15normal_iteratorINS8_10device_ptrIxEEEEPiiNS8_4plusIiEEEE10hipError_tPvRmT1_T2_T3_mT4_P12ihipStream_tbEUlT_E0_NS1_11comp_targetILNS1_3genE3ELNS1_11target_archE908ELNS1_3gpuE7ELNS1_3repE0EEENS1_30default_config_static_selectorELNS0_4arch9wavefront6targetE1EEEvSK_
		.amdhsa_group_segment_fixed_size 0
		.amdhsa_private_segment_fixed_size 0
		.amdhsa_kernarg_size 56
		.amdhsa_user_sgpr_count 2
		.amdhsa_user_sgpr_dispatch_ptr 0
		.amdhsa_user_sgpr_queue_ptr 0
		.amdhsa_user_sgpr_kernarg_segment_ptr 1
		.amdhsa_user_sgpr_dispatch_id 0
		.amdhsa_user_sgpr_kernarg_preload_length 0
		.amdhsa_user_sgpr_kernarg_preload_offset 0
		.amdhsa_user_sgpr_private_segment_size 0
		.amdhsa_uses_dynamic_stack 0
		.amdhsa_enable_private_segment 0
		.amdhsa_system_sgpr_workgroup_id_x 1
		.amdhsa_system_sgpr_workgroup_id_y 0
		.amdhsa_system_sgpr_workgroup_id_z 0
		.amdhsa_system_sgpr_workgroup_info 0
		.amdhsa_system_vgpr_workitem_id 0
		.amdhsa_next_free_vgpr 1
		.amdhsa_next_free_sgpr 0
		.amdhsa_accum_offset 4
		.amdhsa_reserve_vcc 0
		.amdhsa_float_round_mode_32 0
		.amdhsa_float_round_mode_16_64 0
		.amdhsa_float_denorm_mode_32 3
		.amdhsa_float_denorm_mode_16_64 3
		.amdhsa_dx10_clamp 1
		.amdhsa_ieee_mode 1
		.amdhsa_fp16_overflow 0
		.amdhsa_tg_split 0
		.amdhsa_exception_fp_ieee_invalid_op 0
		.amdhsa_exception_fp_denorm_src 0
		.amdhsa_exception_fp_ieee_div_zero 0
		.amdhsa_exception_fp_ieee_overflow 0
		.amdhsa_exception_fp_ieee_underflow 0
		.amdhsa_exception_fp_ieee_inexact 0
		.amdhsa_exception_int_div_zero 0
	.end_amdhsa_kernel
	.section	.text._ZN7rocprim17ROCPRIM_400000_NS6detail17trampoline_kernelINS0_14default_configENS1_22reduce_config_selectorIxEEZNS1_11reduce_implILb1ES3_N6thrust23THRUST_200600_302600_NS6detail15normal_iteratorINS8_10device_ptrIxEEEEPiiNS8_4plusIiEEEE10hipError_tPvRmT1_T2_T3_mT4_P12ihipStream_tbEUlT_E0_NS1_11comp_targetILNS1_3genE3ELNS1_11target_archE908ELNS1_3gpuE7ELNS1_3repE0EEENS1_30default_config_static_selectorELNS0_4arch9wavefront6targetE1EEEvSK_,"axG",@progbits,_ZN7rocprim17ROCPRIM_400000_NS6detail17trampoline_kernelINS0_14default_configENS1_22reduce_config_selectorIxEEZNS1_11reduce_implILb1ES3_N6thrust23THRUST_200600_302600_NS6detail15normal_iteratorINS8_10device_ptrIxEEEEPiiNS8_4plusIiEEEE10hipError_tPvRmT1_T2_T3_mT4_P12ihipStream_tbEUlT_E0_NS1_11comp_targetILNS1_3genE3ELNS1_11target_archE908ELNS1_3gpuE7ELNS1_3repE0EEENS1_30default_config_static_selectorELNS0_4arch9wavefront6targetE1EEEvSK_,comdat
.Lfunc_end462:
	.size	_ZN7rocprim17ROCPRIM_400000_NS6detail17trampoline_kernelINS0_14default_configENS1_22reduce_config_selectorIxEEZNS1_11reduce_implILb1ES3_N6thrust23THRUST_200600_302600_NS6detail15normal_iteratorINS8_10device_ptrIxEEEEPiiNS8_4plusIiEEEE10hipError_tPvRmT1_T2_T3_mT4_P12ihipStream_tbEUlT_E0_NS1_11comp_targetILNS1_3genE3ELNS1_11target_archE908ELNS1_3gpuE7ELNS1_3repE0EEENS1_30default_config_static_selectorELNS0_4arch9wavefront6targetE1EEEvSK_, .Lfunc_end462-_ZN7rocprim17ROCPRIM_400000_NS6detail17trampoline_kernelINS0_14default_configENS1_22reduce_config_selectorIxEEZNS1_11reduce_implILb1ES3_N6thrust23THRUST_200600_302600_NS6detail15normal_iteratorINS8_10device_ptrIxEEEEPiiNS8_4plusIiEEEE10hipError_tPvRmT1_T2_T3_mT4_P12ihipStream_tbEUlT_E0_NS1_11comp_targetILNS1_3genE3ELNS1_11target_archE908ELNS1_3gpuE7ELNS1_3repE0EEENS1_30default_config_static_selectorELNS0_4arch9wavefront6targetE1EEEvSK_
                                        ; -- End function
	.set _ZN7rocprim17ROCPRIM_400000_NS6detail17trampoline_kernelINS0_14default_configENS1_22reduce_config_selectorIxEEZNS1_11reduce_implILb1ES3_N6thrust23THRUST_200600_302600_NS6detail15normal_iteratorINS8_10device_ptrIxEEEEPiiNS8_4plusIiEEEE10hipError_tPvRmT1_T2_T3_mT4_P12ihipStream_tbEUlT_E0_NS1_11comp_targetILNS1_3genE3ELNS1_11target_archE908ELNS1_3gpuE7ELNS1_3repE0EEENS1_30default_config_static_selectorELNS0_4arch9wavefront6targetE1EEEvSK_.num_vgpr, 0
	.set _ZN7rocprim17ROCPRIM_400000_NS6detail17trampoline_kernelINS0_14default_configENS1_22reduce_config_selectorIxEEZNS1_11reduce_implILb1ES3_N6thrust23THRUST_200600_302600_NS6detail15normal_iteratorINS8_10device_ptrIxEEEEPiiNS8_4plusIiEEEE10hipError_tPvRmT1_T2_T3_mT4_P12ihipStream_tbEUlT_E0_NS1_11comp_targetILNS1_3genE3ELNS1_11target_archE908ELNS1_3gpuE7ELNS1_3repE0EEENS1_30default_config_static_selectorELNS0_4arch9wavefront6targetE1EEEvSK_.num_agpr, 0
	.set _ZN7rocprim17ROCPRIM_400000_NS6detail17trampoline_kernelINS0_14default_configENS1_22reduce_config_selectorIxEEZNS1_11reduce_implILb1ES3_N6thrust23THRUST_200600_302600_NS6detail15normal_iteratorINS8_10device_ptrIxEEEEPiiNS8_4plusIiEEEE10hipError_tPvRmT1_T2_T3_mT4_P12ihipStream_tbEUlT_E0_NS1_11comp_targetILNS1_3genE3ELNS1_11target_archE908ELNS1_3gpuE7ELNS1_3repE0EEENS1_30default_config_static_selectorELNS0_4arch9wavefront6targetE1EEEvSK_.numbered_sgpr, 0
	.set _ZN7rocprim17ROCPRIM_400000_NS6detail17trampoline_kernelINS0_14default_configENS1_22reduce_config_selectorIxEEZNS1_11reduce_implILb1ES3_N6thrust23THRUST_200600_302600_NS6detail15normal_iteratorINS8_10device_ptrIxEEEEPiiNS8_4plusIiEEEE10hipError_tPvRmT1_T2_T3_mT4_P12ihipStream_tbEUlT_E0_NS1_11comp_targetILNS1_3genE3ELNS1_11target_archE908ELNS1_3gpuE7ELNS1_3repE0EEENS1_30default_config_static_selectorELNS0_4arch9wavefront6targetE1EEEvSK_.num_named_barrier, 0
	.set _ZN7rocprim17ROCPRIM_400000_NS6detail17trampoline_kernelINS0_14default_configENS1_22reduce_config_selectorIxEEZNS1_11reduce_implILb1ES3_N6thrust23THRUST_200600_302600_NS6detail15normal_iteratorINS8_10device_ptrIxEEEEPiiNS8_4plusIiEEEE10hipError_tPvRmT1_T2_T3_mT4_P12ihipStream_tbEUlT_E0_NS1_11comp_targetILNS1_3genE3ELNS1_11target_archE908ELNS1_3gpuE7ELNS1_3repE0EEENS1_30default_config_static_selectorELNS0_4arch9wavefront6targetE1EEEvSK_.private_seg_size, 0
	.set _ZN7rocprim17ROCPRIM_400000_NS6detail17trampoline_kernelINS0_14default_configENS1_22reduce_config_selectorIxEEZNS1_11reduce_implILb1ES3_N6thrust23THRUST_200600_302600_NS6detail15normal_iteratorINS8_10device_ptrIxEEEEPiiNS8_4plusIiEEEE10hipError_tPvRmT1_T2_T3_mT4_P12ihipStream_tbEUlT_E0_NS1_11comp_targetILNS1_3genE3ELNS1_11target_archE908ELNS1_3gpuE7ELNS1_3repE0EEENS1_30default_config_static_selectorELNS0_4arch9wavefront6targetE1EEEvSK_.uses_vcc, 0
	.set _ZN7rocprim17ROCPRIM_400000_NS6detail17trampoline_kernelINS0_14default_configENS1_22reduce_config_selectorIxEEZNS1_11reduce_implILb1ES3_N6thrust23THRUST_200600_302600_NS6detail15normal_iteratorINS8_10device_ptrIxEEEEPiiNS8_4plusIiEEEE10hipError_tPvRmT1_T2_T3_mT4_P12ihipStream_tbEUlT_E0_NS1_11comp_targetILNS1_3genE3ELNS1_11target_archE908ELNS1_3gpuE7ELNS1_3repE0EEENS1_30default_config_static_selectorELNS0_4arch9wavefront6targetE1EEEvSK_.uses_flat_scratch, 0
	.set _ZN7rocprim17ROCPRIM_400000_NS6detail17trampoline_kernelINS0_14default_configENS1_22reduce_config_selectorIxEEZNS1_11reduce_implILb1ES3_N6thrust23THRUST_200600_302600_NS6detail15normal_iteratorINS8_10device_ptrIxEEEEPiiNS8_4plusIiEEEE10hipError_tPvRmT1_T2_T3_mT4_P12ihipStream_tbEUlT_E0_NS1_11comp_targetILNS1_3genE3ELNS1_11target_archE908ELNS1_3gpuE7ELNS1_3repE0EEENS1_30default_config_static_selectorELNS0_4arch9wavefront6targetE1EEEvSK_.has_dyn_sized_stack, 0
	.set _ZN7rocprim17ROCPRIM_400000_NS6detail17trampoline_kernelINS0_14default_configENS1_22reduce_config_selectorIxEEZNS1_11reduce_implILb1ES3_N6thrust23THRUST_200600_302600_NS6detail15normal_iteratorINS8_10device_ptrIxEEEEPiiNS8_4plusIiEEEE10hipError_tPvRmT1_T2_T3_mT4_P12ihipStream_tbEUlT_E0_NS1_11comp_targetILNS1_3genE3ELNS1_11target_archE908ELNS1_3gpuE7ELNS1_3repE0EEENS1_30default_config_static_selectorELNS0_4arch9wavefront6targetE1EEEvSK_.has_recursion, 0
	.set _ZN7rocprim17ROCPRIM_400000_NS6detail17trampoline_kernelINS0_14default_configENS1_22reduce_config_selectorIxEEZNS1_11reduce_implILb1ES3_N6thrust23THRUST_200600_302600_NS6detail15normal_iteratorINS8_10device_ptrIxEEEEPiiNS8_4plusIiEEEE10hipError_tPvRmT1_T2_T3_mT4_P12ihipStream_tbEUlT_E0_NS1_11comp_targetILNS1_3genE3ELNS1_11target_archE908ELNS1_3gpuE7ELNS1_3repE0EEENS1_30default_config_static_selectorELNS0_4arch9wavefront6targetE1EEEvSK_.has_indirect_call, 0
	.section	.AMDGPU.csdata,"",@progbits
; Kernel info:
; codeLenInByte = 0
; TotalNumSgprs: 6
; NumVgprs: 0
; NumAgprs: 0
; TotalNumVgprs: 0
; ScratchSize: 0
; MemoryBound: 0
; FloatMode: 240
; IeeeMode: 1
; LDSByteSize: 0 bytes/workgroup (compile time only)
; SGPRBlocks: 0
; VGPRBlocks: 0
; NumSGPRsForWavesPerEU: 6
; NumVGPRsForWavesPerEU: 1
; AccumOffset: 4
; Occupancy: 8
; WaveLimiterHint : 0
; COMPUTE_PGM_RSRC2:SCRATCH_EN: 0
; COMPUTE_PGM_RSRC2:USER_SGPR: 2
; COMPUTE_PGM_RSRC2:TRAP_HANDLER: 0
; COMPUTE_PGM_RSRC2:TGID_X_EN: 1
; COMPUTE_PGM_RSRC2:TGID_Y_EN: 0
; COMPUTE_PGM_RSRC2:TGID_Z_EN: 0
; COMPUTE_PGM_RSRC2:TIDIG_COMP_CNT: 0
; COMPUTE_PGM_RSRC3_GFX90A:ACCUM_OFFSET: 0
; COMPUTE_PGM_RSRC3_GFX90A:TG_SPLIT: 0
	.section	.text._ZN7rocprim17ROCPRIM_400000_NS6detail17trampoline_kernelINS0_14default_configENS1_22reduce_config_selectorIxEEZNS1_11reduce_implILb1ES3_N6thrust23THRUST_200600_302600_NS6detail15normal_iteratorINS8_10device_ptrIxEEEEPiiNS8_4plusIiEEEE10hipError_tPvRmT1_T2_T3_mT4_P12ihipStream_tbEUlT_E0_NS1_11comp_targetILNS1_3genE2ELNS1_11target_archE906ELNS1_3gpuE6ELNS1_3repE0EEENS1_30default_config_static_selectorELNS0_4arch9wavefront6targetE1EEEvSK_,"axG",@progbits,_ZN7rocprim17ROCPRIM_400000_NS6detail17trampoline_kernelINS0_14default_configENS1_22reduce_config_selectorIxEEZNS1_11reduce_implILb1ES3_N6thrust23THRUST_200600_302600_NS6detail15normal_iteratorINS8_10device_ptrIxEEEEPiiNS8_4plusIiEEEE10hipError_tPvRmT1_T2_T3_mT4_P12ihipStream_tbEUlT_E0_NS1_11comp_targetILNS1_3genE2ELNS1_11target_archE906ELNS1_3gpuE6ELNS1_3repE0EEENS1_30default_config_static_selectorELNS0_4arch9wavefront6targetE1EEEvSK_,comdat
	.protected	_ZN7rocprim17ROCPRIM_400000_NS6detail17trampoline_kernelINS0_14default_configENS1_22reduce_config_selectorIxEEZNS1_11reduce_implILb1ES3_N6thrust23THRUST_200600_302600_NS6detail15normal_iteratorINS8_10device_ptrIxEEEEPiiNS8_4plusIiEEEE10hipError_tPvRmT1_T2_T3_mT4_P12ihipStream_tbEUlT_E0_NS1_11comp_targetILNS1_3genE2ELNS1_11target_archE906ELNS1_3gpuE6ELNS1_3repE0EEENS1_30default_config_static_selectorELNS0_4arch9wavefront6targetE1EEEvSK_ ; -- Begin function _ZN7rocprim17ROCPRIM_400000_NS6detail17trampoline_kernelINS0_14default_configENS1_22reduce_config_selectorIxEEZNS1_11reduce_implILb1ES3_N6thrust23THRUST_200600_302600_NS6detail15normal_iteratorINS8_10device_ptrIxEEEEPiiNS8_4plusIiEEEE10hipError_tPvRmT1_T2_T3_mT4_P12ihipStream_tbEUlT_E0_NS1_11comp_targetILNS1_3genE2ELNS1_11target_archE906ELNS1_3gpuE6ELNS1_3repE0EEENS1_30default_config_static_selectorELNS0_4arch9wavefront6targetE1EEEvSK_
	.globl	_ZN7rocprim17ROCPRIM_400000_NS6detail17trampoline_kernelINS0_14default_configENS1_22reduce_config_selectorIxEEZNS1_11reduce_implILb1ES3_N6thrust23THRUST_200600_302600_NS6detail15normal_iteratorINS8_10device_ptrIxEEEEPiiNS8_4plusIiEEEE10hipError_tPvRmT1_T2_T3_mT4_P12ihipStream_tbEUlT_E0_NS1_11comp_targetILNS1_3genE2ELNS1_11target_archE906ELNS1_3gpuE6ELNS1_3repE0EEENS1_30default_config_static_selectorELNS0_4arch9wavefront6targetE1EEEvSK_
	.p2align	8
	.type	_ZN7rocprim17ROCPRIM_400000_NS6detail17trampoline_kernelINS0_14default_configENS1_22reduce_config_selectorIxEEZNS1_11reduce_implILb1ES3_N6thrust23THRUST_200600_302600_NS6detail15normal_iteratorINS8_10device_ptrIxEEEEPiiNS8_4plusIiEEEE10hipError_tPvRmT1_T2_T3_mT4_P12ihipStream_tbEUlT_E0_NS1_11comp_targetILNS1_3genE2ELNS1_11target_archE906ELNS1_3gpuE6ELNS1_3repE0EEENS1_30default_config_static_selectorELNS0_4arch9wavefront6targetE1EEEvSK_,@function
_ZN7rocprim17ROCPRIM_400000_NS6detail17trampoline_kernelINS0_14default_configENS1_22reduce_config_selectorIxEEZNS1_11reduce_implILb1ES3_N6thrust23THRUST_200600_302600_NS6detail15normal_iteratorINS8_10device_ptrIxEEEEPiiNS8_4plusIiEEEE10hipError_tPvRmT1_T2_T3_mT4_P12ihipStream_tbEUlT_E0_NS1_11comp_targetILNS1_3genE2ELNS1_11target_archE906ELNS1_3gpuE6ELNS1_3repE0EEENS1_30default_config_static_selectorELNS0_4arch9wavefront6targetE1EEEvSK_: ; @_ZN7rocprim17ROCPRIM_400000_NS6detail17trampoline_kernelINS0_14default_configENS1_22reduce_config_selectorIxEEZNS1_11reduce_implILb1ES3_N6thrust23THRUST_200600_302600_NS6detail15normal_iteratorINS8_10device_ptrIxEEEEPiiNS8_4plusIiEEEE10hipError_tPvRmT1_T2_T3_mT4_P12ihipStream_tbEUlT_E0_NS1_11comp_targetILNS1_3genE2ELNS1_11target_archE906ELNS1_3gpuE6ELNS1_3repE0EEENS1_30default_config_static_selectorELNS0_4arch9wavefront6targetE1EEEvSK_
; %bb.0:
	.section	.rodata,"a",@progbits
	.p2align	6, 0x0
	.amdhsa_kernel _ZN7rocprim17ROCPRIM_400000_NS6detail17trampoline_kernelINS0_14default_configENS1_22reduce_config_selectorIxEEZNS1_11reduce_implILb1ES3_N6thrust23THRUST_200600_302600_NS6detail15normal_iteratorINS8_10device_ptrIxEEEEPiiNS8_4plusIiEEEE10hipError_tPvRmT1_T2_T3_mT4_P12ihipStream_tbEUlT_E0_NS1_11comp_targetILNS1_3genE2ELNS1_11target_archE906ELNS1_3gpuE6ELNS1_3repE0EEENS1_30default_config_static_selectorELNS0_4arch9wavefront6targetE1EEEvSK_
		.amdhsa_group_segment_fixed_size 0
		.amdhsa_private_segment_fixed_size 0
		.amdhsa_kernarg_size 56
		.amdhsa_user_sgpr_count 2
		.amdhsa_user_sgpr_dispatch_ptr 0
		.amdhsa_user_sgpr_queue_ptr 0
		.amdhsa_user_sgpr_kernarg_segment_ptr 1
		.amdhsa_user_sgpr_dispatch_id 0
		.amdhsa_user_sgpr_kernarg_preload_length 0
		.amdhsa_user_sgpr_kernarg_preload_offset 0
		.amdhsa_user_sgpr_private_segment_size 0
		.amdhsa_uses_dynamic_stack 0
		.amdhsa_enable_private_segment 0
		.amdhsa_system_sgpr_workgroup_id_x 1
		.amdhsa_system_sgpr_workgroup_id_y 0
		.amdhsa_system_sgpr_workgroup_id_z 0
		.amdhsa_system_sgpr_workgroup_info 0
		.amdhsa_system_vgpr_workitem_id 0
		.amdhsa_next_free_vgpr 1
		.amdhsa_next_free_sgpr 0
		.amdhsa_accum_offset 4
		.amdhsa_reserve_vcc 0
		.amdhsa_float_round_mode_32 0
		.amdhsa_float_round_mode_16_64 0
		.amdhsa_float_denorm_mode_32 3
		.amdhsa_float_denorm_mode_16_64 3
		.amdhsa_dx10_clamp 1
		.amdhsa_ieee_mode 1
		.amdhsa_fp16_overflow 0
		.amdhsa_tg_split 0
		.amdhsa_exception_fp_ieee_invalid_op 0
		.amdhsa_exception_fp_denorm_src 0
		.amdhsa_exception_fp_ieee_div_zero 0
		.amdhsa_exception_fp_ieee_overflow 0
		.amdhsa_exception_fp_ieee_underflow 0
		.amdhsa_exception_fp_ieee_inexact 0
		.amdhsa_exception_int_div_zero 0
	.end_amdhsa_kernel
	.section	.text._ZN7rocprim17ROCPRIM_400000_NS6detail17trampoline_kernelINS0_14default_configENS1_22reduce_config_selectorIxEEZNS1_11reduce_implILb1ES3_N6thrust23THRUST_200600_302600_NS6detail15normal_iteratorINS8_10device_ptrIxEEEEPiiNS8_4plusIiEEEE10hipError_tPvRmT1_T2_T3_mT4_P12ihipStream_tbEUlT_E0_NS1_11comp_targetILNS1_3genE2ELNS1_11target_archE906ELNS1_3gpuE6ELNS1_3repE0EEENS1_30default_config_static_selectorELNS0_4arch9wavefront6targetE1EEEvSK_,"axG",@progbits,_ZN7rocprim17ROCPRIM_400000_NS6detail17trampoline_kernelINS0_14default_configENS1_22reduce_config_selectorIxEEZNS1_11reduce_implILb1ES3_N6thrust23THRUST_200600_302600_NS6detail15normal_iteratorINS8_10device_ptrIxEEEEPiiNS8_4plusIiEEEE10hipError_tPvRmT1_T2_T3_mT4_P12ihipStream_tbEUlT_E0_NS1_11comp_targetILNS1_3genE2ELNS1_11target_archE906ELNS1_3gpuE6ELNS1_3repE0EEENS1_30default_config_static_selectorELNS0_4arch9wavefront6targetE1EEEvSK_,comdat
.Lfunc_end463:
	.size	_ZN7rocprim17ROCPRIM_400000_NS6detail17trampoline_kernelINS0_14default_configENS1_22reduce_config_selectorIxEEZNS1_11reduce_implILb1ES3_N6thrust23THRUST_200600_302600_NS6detail15normal_iteratorINS8_10device_ptrIxEEEEPiiNS8_4plusIiEEEE10hipError_tPvRmT1_T2_T3_mT4_P12ihipStream_tbEUlT_E0_NS1_11comp_targetILNS1_3genE2ELNS1_11target_archE906ELNS1_3gpuE6ELNS1_3repE0EEENS1_30default_config_static_selectorELNS0_4arch9wavefront6targetE1EEEvSK_, .Lfunc_end463-_ZN7rocprim17ROCPRIM_400000_NS6detail17trampoline_kernelINS0_14default_configENS1_22reduce_config_selectorIxEEZNS1_11reduce_implILb1ES3_N6thrust23THRUST_200600_302600_NS6detail15normal_iteratorINS8_10device_ptrIxEEEEPiiNS8_4plusIiEEEE10hipError_tPvRmT1_T2_T3_mT4_P12ihipStream_tbEUlT_E0_NS1_11comp_targetILNS1_3genE2ELNS1_11target_archE906ELNS1_3gpuE6ELNS1_3repE0EEENS1_30default_config_static_selectorELNS0_4arch9wavefront6targetE1EEEvSK_
                                        ; -- End function
	.set _ZN7rocprim17ROCPRIM_400000_NS6detail17trampoline_kernelINS0_14default_configENS1_22reduce_config_selectorIxEEZNS1_11reduce_implILb1ES3_N6thrust23THRUST_200600_302600_NS6detail15normal_iteratorINS8_10device_ptrIxEEEEPiiNS8_4plusIiEEEE10hipError_tPvRmT1_T2_T3_mT4_P12ihipStream_tbEUlT_E0_NS1_11comp_targetILNS1_3genE2ELNS1_11target_archE906ELNS1_3gpuE6ELNS1_3repE0EEENS1_30default_config_static_selectorELNS0_4arch9wavefront6targetE1EEEvSK_.num_vgpr, 0
	.set _ZN7rocprim17ROCPRIM_400000_NS6detail17trampoline_kernelINS0_14default_configENS1_22reduce_config_selectorIxEEZNS1_11reduce_implILb1ES3_N6thrust23THRUST_200600_302600_NS6detail15normal_iteratorINS8_10device_ptrIxEEEEPiiNS8_4plusIiEEEE10hipError_tPvRmT1_T2_T3_mT4_P12ihipStream_tbEUlT_E0_NS1_11comp_targetILNS1_3genE2ELNS1_11target_archE906ELNS1_3gpuE6ELNS1_3repE0EEENS1_30default_config_static_selectorELNS0_4arch9wavefront6targetE1EEEvSK_.num_agpr, 0
	.set _ZN7rocprim17ROCPRIM_400000_NS6detail17trampoline_kernelINS0_14default_configENS1_22reduce_config_selectorIxEEZNS1_11reduce_implILb1ES3_N6thrust23THRUST_200600_302600_NS6detail15normal_iteratorINS8_10device_ptrIxEEEEPiiNS8_4plusIiEEEE10hipError_tPvRmT1_T2_T3_mT4_P12ihipStream_tbEUlT_E0_NS1_11comp_targetILNS1_3genE2ELNS1_11target_archE906ELNS1_3gpuE6ELNS1_3repE0EEENS1_30default_config_static_selectorELNS0_4arch9wavefront6targetE1EEEvSK_.numbered_sgpr, 0
	.set _ZN7rocprim17ROCPRIM_400000_NS6detail17trampoline_kernelINS0_14default_configENS1_22reduce_config_selectorIxEEZNS1_11reduce_implILb1ES3_N6thrust23THRUST_200600_302600_NS6detail15normal_iteratorINS8_10device_ptrIxEEEEPiiNS8_4plusIiEEEE10hipError_tPvRmT1_T2_T3_mT4_P12ihipStream_tbEUlT_E0_NS1_11comp_targetILNS1_3genE2ELNS1_11target_archE906ELNS1_3gpuE6ELNS1_3repE0EEENS1_30default_config_static_selectorELNS0_4arch9wavefront6targetE1EEEvSK_.num_named_barrier, 0
	.set _ZN7rocprim17ROCPRIM_400000_NS6detail17trampoline_kernelINS0_14default_configENS1_22reduce_config_selectorIxEEZNS1_11reduce_implILb1ES3_N6thrust23THRUST_200600_302600_NS6detail15normal_iteratorINS8_10device_ptrIxEEEEPiiNS8_4plusIiEEEE10hipError_tPvRmT1_T2_T3_mT4_P12ihipStream_tbEUlT_E0_NS1_11comp_targetILNS1_3genE2ELNS1_11target_archE906ELNS1_3gpuE6ELNS1_3repE0EEENS1_30default_config_static_selectorELNS0_4arch9wavefront6targetE1EEEvSK_.private_seg_size, 0
	.set _ZN7rocprim17ROCPRIM_400000_NS6detail17trampoline_kernelINS0_14default_configENS1_22reduce_config_selectorIxEEZNS1_11reduce_implILb1ES3_N6thrust23THRUST_200600_302600_NS6detail15normal_iteratorINS8_10device_ptrIxEEEEPiiNS8_4plusIiEEEE10hipError_tPvRmT1_T2_T3_mT4_P12ihipStream_tbEUlT_E0_NS1_11comp_targetILNS1_3genE2ELNS1_11target_archE906ELNS1_3gpuE6ELNS1_3repE0EEENS1_30default_config_static_selectorELNS0_4arch9wavefront6targetE1EEEvSK_.uses_vcc, 0
	.set _ZN7rocprim17ROCPRIM_400000_NS6detail17trampoline_kernelINS0_14default_configENS1_22reduce_config_selectorIxEEZNS1_11reduce_implILb1ES3_N6thrust23THRUST_200600_302600_NS6detail15normal_iteratorINS8_10device_ptrIxEEEEPiiNS8_4plusIiEEEE10hipError_tPvRmT1_T2_T3_mT4_P12ihipStream_tbEUlT_E0_NS1_11comp_targetILNS1_3genE2ELNS1_11target_archE906ELNS1_3gpuE6ELNS1_3repE0EEENS1_30default_config_static_selectorELNS0_4arch9wavefront6targetE1EEEvSK_.uses_flat_scratch, 0
	.set _ZN7rocprim17ROCPRIM_400000_NS6detail17trampoline_kernelINS0_14default_configENS1_22reduce_config_selectorIxEEZNS1_11reduce_implILb1ES3_N6thrust23THRUST_200600_302600_NS6detail15normal_iteratorINS8_10device_ptrIxEEEEPiiNS8_4plusIiEEEE10hipError_tPvRmT1_T2_T3_mT4_P12ihipStream_tbEUlT_E0_NS1_11comp_targetILNS1_3genE2ELNS1_11target_archE906ELNS1_3gpuE6ELNS1_3repE0EEENS1_30default_config_static_selectorELNS0_4arch9wavefront6targetE1EEEvSK_.has_dyn_sized_stack, 0
	.set _ZN7rocprim17ROCPRIM_400000_NS6detail17trampoline_kernelINS0_14default_configENS1_22reduce_config_selectorIxEEZNS1_11reduce_implILb1ES3_N6thrust23THRUST_200600_302600_NS6detail15normal_iteratorINS8_10device_ptrIxEEEEPiiNS8_4plusIiEEEE10hipError_tPvRmT1_T2_T3_mT4_P12ihipStream_tbEUlT_E0_NS1_11comp_targetILNS1_3genE2ELNS1_11target_archE906ELNS1_3gpuE6ELNS1_3repE0EEENS1_30default_config_static_selectorELNS0_4arch9wavefront6targetE1EEEvSK_.has_recursion, 0
	.set _ZN7rocprim17ROCPRIM_400000_NS6detail17trampoline_kernelINS0_14default_configENS1_22reduce_config_selectorIxEEZNS1_11reduce_implILb1ES3_N6thrust23THRUST_200600_302600_NS6detail15normal_iteratorINS8_10device_ptrIxEEEEPiiNS8_4plusIiEEEE10hipError_tPvRmT1_T2_T3_mT4_P12ihipStream_tbEUlT_E0_NS1_11comp_targetILNS1_3genE2ELNS1_11target_archE906ELNS1_3gpuE6ELNS1_3repE0EEENS1_30default_config_static_selectorELNS0_4arch9wavefront6targetE1EEEvSK_.has_indirect_call, 0
	.section	.AMDGPU.csdata,"",@progbits
; Kernel info:
; codeLenInByte = 0
; TotalNumSgprs: 6
; NumVgprs: 0
; NumAgprs: 0
; TotalNumVgprs: 0
; ScratchSize: 0
; MemoryBound: 0
; FloatMode: 240
; IeeeMode: 1
; LDSByteSize: 0 bytes/workgroup (compile time only)
; SGPRBlocks: 0
; VGPRBlocks: 0
; NumSGPRsForWavesPerEU: 6
; NumVGPRsForWavesPerEU: 1
; AccumOffset: 4
; Occupancy: 8
; WaveLimiterHint : 0
; COMPUTE_PGM_RSRC2:SCRATCH_EN: 0
; COMPUTE_PGM_RSRC2:USER_SGPR: 2
; COMPUTE_PGM_RSRC2:TRAP_HANDLER: 0
; COMPUTE_PGM_RSRC2:TGID_X_EN: 1
; COMPUTE_PGM_RSRC2:TGID_Y_EN: 0
; COMPUTE_PGM_RSRC2:TGID_Z_EN: 0
; COMPUTE_PGM_RSRC2:TIDIG_COMP_CNT: 0
; COMPUTE_PGM_RSRC3_GFX90A:ACCUM_OFFSET: 0
; COMPUTE_PGM_RSRC3_GFX90A:TG_SPLIT: 0
	.section	.text._ZN7rocprim17ROCPRIM_400000_NS6detail17trampoline_kernelINS0_14default_configENS1_22reduce_config_selectorIxEEZNS1_11reduce_implILb1ES3_N6thrust23THRUST_200600_302600_NS6detail15normal_iteratorINS8_10device_ptrIxEEEEPiiNS8_4plusIiEEEE10hipError_tPvRmT1_T2_T3_mT4_P12ihipStream_tbEUlT_E0_NS1_11comp_targetILNS1_3genE10ELNS1_11target_archE1201ELNS1_3gpuE5ELNS1_3repE0EEENS1_30default_config_static_selectorELNS0_4arch9wavefront6targetE1EEEvSK_,"axG",@progbits,_ZN7rocprim17ROCPRIM_400000_NS6detail17trampoline_kernelINS0_14default_configENS1_22reduce_config_selectorIxEEZNS1_11reduce_implILb1ES3_N6thrust23THRUST_200600_302600_NS6detail15normal_iteratorINS8_10device_ptrIxEEEEPiiNS8_4plusIiEEEE10hipError_tPvRmT1_T2_T3_mT4_P12ihipStream_tbEUlT_E0_NS1_11comp_targetILNS1_3genE10ELNS1_11target_archE1201ELNS1_3gpuE5ELNS1_3repE0EEENS1_30default_config_static_selectorELNS0_4arch9wavefront6targetE1EEEvSK_,comdat
	.protected	_ZN7rocprim17ROCPRIM_400000_NS6detail17trampoline_kernelINS0_14default_configENS1_22reduce_config_selectorIxEEZNS1_11reduce_implILb1ES3_N6thrust23THRUST_200600_302600_NS6detail15normal_iteratorINS8_10device_ptrIxEEEEPiiNS8_4plusIiEEEE10hipError_tPvRmT1_T2_T3_mT4_P12ihipStream_tbEUlT_E0_NS1_11comp_targetILNS1_3genE10ELNS1_11target_archE1201ELNS1_3gpuE5ELNS1_3repE0EEENS1_30default_config_static_selectorELNS0_4arch9wavefront6targetE1EEEvSK_ ; -- Begin function _ZN7rocprim17ROCPRIM_400000_NS6detail17trampoline_kernelINS0_14default_configENS1_22reduce_config_selectorIxEEZNS1_11reduce_implILb1ES3_N6thrust23THRUST_200600_302600_NS6detail15normal_iteratorINS8_10device_ptrIxEEEEPiiNS8_4plusIiEEEE10hipError_tPvRmT1_T2_T3_mT4_P12ihipStream_tbEUlT_E0_NS1_11comp_targetILNS1_3genE10ELNS1_11target_archE1201ELNS1_3gpuE5ELNS1_3repE0EEENS1_30default_config_static_selectorELNS0_4arch9wavefront6targetE1EEEvSK_
	.globl	_ZN7rocprim17ROCPRIM_400000_NS6detail17trampoline_kernelINS0_14default_configENS1_22reduce_config_selectorIxEEZNS1_11reduce_implILb1ES3_N6thrust23THRUST_200600_302600_NS6detail15normal_iteratorINS8_10device_ptrIxEEEEPiiNS8_4plusIiEEEE10hipError_tPvRmT1_T2_T3_mT4_P12ihipStream_tbEUlT_E0_NS1_11comp_targetILNS1_3genE10ELNS1_11target_archE1201ELNS1_3gpuE5ELNS1_3repE0EEENS1_30default_config_static_selectorELNS0_4arch9wavefront6targetE1EEEvSK_
	.p2align	8
	.type	_ZN7rocprim17ROCPRIM_400000_NS6detail17trampoline_kernelINS0_14default_configENS1_22reduce_config_selectorIxEEZNS1_11reduce_implILb1ES3_N6thrust23THRUST_200600_302600_NS6detail15normal_iteratorINS8_10device_ptrIxEEEEPiiNS8_4plusIiEEEE10hipError_tPvRmT1_T2_T3_mT4_P12ihipStream_tbEUlT_E0_NS1_11comp_targetILNS1_3genE10ELNS1_11target_archE1201ELNS1_3gpuE5ELNS1_3repE0EEENS1_30default_config_static_selectorELNS0_4arch9wavefront6targetE1EEEvSK_,@function
_ZN7rocprim17ROCPRIM_400000_NS6detail17trampoline_kernelINS0_14default_configENS1_22reduce_config_selectorIxEEZNS1_11reduce_implILb1ES3_N6thrust23THRUST_200600_302600_NS6detail15normal_iteratorINS8_10device_ptrIxEEEEPiiNS8_4plusIiEEEE10hipError_tPvRmT1_T2_T3_mT4_P12ihipStream_tbEUlT_E0_NS1_11comp_targetILNS1_3genE10ELNS1_11target_archE1201ELNS1_3gpuE5ELNS1_3repE0EEENS1_30default_config_static_selectorELNS0_4arch9wavefront6targetE1EEEvSK_: ; @_ZN7rocprim17ROCPRIM_400000_NS6detail17trampoline_kernelINS0_14default_configENS1_22reduce_config_selectorIxEEZNS1_11reduce_implILb1ES3_N6thrust23THRUST_200600_302600_NS6detail15normal_iteratorINS8_10device_ptrIxEEEEPiiNS8_4plusIiEEEE10hipError_tPvRmT1_T2_T3_mT4_P12ihipStream_tbEUlT_E0_NS1_11comp_targetILNS1_3genE10ELNS1_11target_archE1201ELNS1_3gpuE5ELNS1_3repE0EEENS1_30default_config_static_selectorELNS0_4arch9wavefront6targetE1EEEvSK_
; %bb.0:
	.section	.rodata,"a",@progbits
	.p2align	6, 0x0
	.amdhsa_kernel _ZN7rocprim17ROCPRIM_400000_NS6detail17trampoline_kernelINS0_14default_configENS1_22reduce_config_selectorIxEEZNS1_11reduce_implILb1ES3_N6thrust23THRUST_200600_302600_NS6detail15normal_iteratorINS8_10device_ptrIxEEEEPiiNS8_4plusIiEEEE10hipError_tPvRmT1_T2_T3_mT4_P12ihipStream_tbEUlT_E0_NS1_11comp_targetILNS1_3genE10ELNS1_11target_archE1201ELNS1_3gpuE5ELNS1_3repE0EEENS1_30default_config_static_selectorELNS0_4arch9wavefront6targetE1EEEvSK_
		.amdhsa_group_segment_fixed_size 0
		.amdhsa_private_segment_fixed_size 0
		.amdhsa_kernarg_size 56
		.amdhsa_user_sgpr_count 2
		.amdhsa_user_sgpr_dispatch_ptr 0
		.amdhsa_user_sgpr_queue_ptr 0
		.amdhsa_user_sgpr_kernarg_segment_ptr 1
		.amdhsa_user_sgpr_dispatch_id 0
		.amdhsa_user_sgpr_kernarg_preload_length 0
		.amdhsa_user_sgpr_kernarg_preload_offset 0
		.amdhsa_user_sgpr_private_segment_size 0
		.amdhsa_uses_dynamic_stack 0
		.amdhsa_enable_private_segment 0
		.amdhsa_system_sgpr_workgroup_id_x 1
		.amdhsa_system_sgpr_workgroup_id_y 0
		.amdhsa_system_sgpr_workgroup_id_z 0
		.amdhsa_system_sgpr_workgroup_info 0
		.amdhsa_system_vgpr_workitem_id 0
		.amdhsa_next_free_vgpr 1
		.amdhsa_next_free_sgpr 0
		.amdhsa_accum_offset 4
		.amdhsa_reserve_vcc 0
		.amdhsa_float_round_mode_32 0
		.amdhsa_float_round_mode_16_64 0
		.amdhsa_float_denorm_mode_32 3
		.amdhsa_float_denorm_mode_16_64 3
		.amdhsa_dx10_clamp 1
		.amdhsa_ieee_mode 1
		.amdhsa_fp16_overflow 0
		.amdhsa_tg_split 0
		.amdhsa_exception_fp_ieee_invalid_op 0
		.amdhsa_exception_fp_denorm_src 0
		.amdhsa_exception_fp_ieee_div_zero 0
		.amdhsa_exception_fp_ieee_overflow 0
		.amdhsa_exception_fp_ieee_underflow 0
		.amdhsa_exception_fp_ieee_inexact 0
		.amdhsa_exception_int_div_zero 0
	.end_amdhsa_kernel
	.section	.text._ZN7rocprim17ROCPRIM_400000_NS6detail17trampoline_kernelINS0_14default_configENS1_22reduce_config_selectorIxEEZNS1_11reduce_implILb1ES3_N6thrust23THRUST_200600_302600_NS6detail15normal_iteratorINS8_10device_ptrIxEEEEPiiNS8_4plusIiEEEE10hipError_tPvRmT1_T2_T3_mT4_P12ihipStream_tbEUlT_E0_NS1_11comp_targetILNS1_3genE10ELNS1_11target_archE1201ELNS1_3gpuE5ELNS1_3repE0EEENS1_30default_config_static_selectorELNS0_4arch9wavefront6targetE1EEEvSK_,"axG",@progbits,_ZN7rocprim17ROCPRIM_400000_NS6detail17trampoline_kernelINS0_14default_configENS1_22reduce_config_selectorIxEEZNS1_11reduce_implILb1ES3_N6thrust23THRUST_200600_302600_NS6detail15normal_iteratorINS8_10device_ptrIxEEEEPiiNS8_4plusIiEEEE10hipError_tPvRmT1_T2_T3_mT4_P12ihipStream_tbEUlT_E0_NS1_11comp_targetILNS1_3genE10ELNS1_11target_archE1201ELNS1_3gpuE5ELNS1_3repE0EEENS1_30default_config_static_selectorELNS0_4arch9wavefront6targetE1EEEvSK_,comdat
.Lfunc_end464:
	.size	_ZN7rocprim17ROCPRIM_400000_NS6detail17trampoline_kernelINS0_14default_configENS1_22reduce_config_selectorIxEEZNS1_11reduce_implILb1ES3_N6thrust23THRUST_200600_302600_NS6detail15normal_iteratorINS8_10device_ptrIxEEEEPiiNS8_4plusIiEEEE10hipError_tPvRmT1_T2_T3_mT4_P12ihipStream_tbEUlT_E0_NS1_11comp_targetILNS1_3genE10ELNS1_11target_archE1201ELNS1_3gpuE5ELNS1_3repE0EEENS1_30default_config_static_selectorELNS0_4arch9wavefront6targetE1EEEvSK_, .Lfunc_end464-_ZN7rocprim17ROCPRIM_400000_NS6detail17trampoline_kernelINS0_14default_configENS1_22reduce_config_selectorIxEEZNS1_11reduce_implILb1ES3_N6thrust23THRUST_200600_302600_NS6detail15normal_iteratorINS8_10device_ptrIxEEEEPiiNS8_4plusIiEEEE10hipError_tPvRmT1_T2_T3_mT4_P12ihipStream_tbEUlT_E0_NS1_11comp_targetILNS1_3genE10ELNS1_11target_archE1201ELNS1_3gpuE5ELNS1_3repE0EEENS1_30default_config_static_selectorELNS0_4arch9wavefront6targetE1EEEvSK_
                                        ; -- End function
	.set _ZN7rocprim17ROCPRIM_400000_NS6detail17trampoline_kernelINS0_14default_configENS1_22reduce_config_selectorIxEEZNS1_11reduce_implILb1ES3_N6thrust23THRUST_200600_302600_NS6detail15normal_iteratorINS8_10device_ptrIxEEEEPiiNS8_4plusIiEEEE10hipError_tPvRmT1_T2_T3_mT4_P12ihipStream_tbEUlT_E0_NS1_11comp_targetILNS1_3genE10ELNS1_11target_archE1201ELNS1_3gpuE5ELNS1_3repE0EEENS1_30default_config_static_selectorELNS0_4arch9wavefront6targetE1EEEvSK_.num_vgpr, 0
	.set _ZN7rocprim17ROCPRIM_400000_NS6detail17trampoline_kernelINS0_14default_configENS1_22reduce_config_selectorIxEEZNS1_11reduce_implILb1ES3_N6thrust23THRUST_200600_302600_NS6detail15normal_iteratorINS8_10device_ptrIxEEEEPiiNS8_4plusIiEEEE10hipError_tPvRmT1_T2_T3_mT4_P12ihipStream_tbEUlT_E0_NS1_11comp_targetILNS1_3genE10ELNS1_11target_archE1201ELNS1_3gpuE5ELNS1_3repE0EEENS1_30default_config_static_selectorELNS0_4arch9wavefront6targetE1EEEvSK_.num_agpr, 0
	.set _ZN7rocprim17ROCPRIM_400000_NS6detail17trampoline_kernelINS0_14default_configENS1_22reduce_config_selectorIxEEZNS1_11reduce_implILb1ES3_N6thrust23THRUST_200600_302600_NS6detail15normal_iteratorINS8_10device_ptrIxEEEEPiiNS8_4plusIiEEEE10hipError_tPvRmT1_T2_T3_mT4_P12ihipStream_tbEUlT_E0_NS1_11comp_targetILNS1_3genE10ELNS1_11target_archE1201ELNS1_3gpuE5ELNS1_3repE0EEENS1_30default_config_static_selectorELNS0_4arch9wavefront6targetE1EEEvSK_.numbered_sgpr, 0
	.set _ZN7rocprim17ROCPRIM_400000_NS6detail17trampoline_kernelINS0_14default_configENS1_22reduce_config_selectorIxEEZNS1_11reduce_implILb1ES3_N6thrust23THRUST_200600_302600_NS6detail15normal_iteratorINS8_10device_ptrIxEEEEPiiNS8_4plusIiEEEE10hipError_tPvRmT1_T2_T3_mT4_P12ihipStream_tbEUlT_E0_NS1_11comp_targetILNS1_3genE10ELNS1_11target_archE1201ELNS1_3gpuE5ELNS1_3repE0EEENS1_30default_config_static_selectorELNS0_4arch9wavefront6targetE1EEEvSK_.num_named_barrier, 0
	.set _ZN7rocprim17ROCPRIM_400000_NS6detail17trampoline_kernelINS0_14default_configENS1_22reduce_config_selectorIxEEZNS1_11reduce_implILb1ES3_N6thrust23THRUST_200600_302600_NS6detail15normal_iteratorINS8_10device_ptrIxEEEEPiiNS8_4plusIiEEEE10hipError_tPvRmT1_T2_T3_mT4_P12ihipStream_tbEUlT_E0_NS1_11comp_targetILNS1_3genE10ELNS1_11target_archE1201ELNS1_3gpuE5ELNS1_3repE0EEENS1_30default_config_static_selectorELNS0_4arch9wavefront6targetE1EEEvSK_.private_seg_size, 0
	.set _ZN7rocprim17ROCPRIM_400000_NS6detail17trampoline_kernelINS0_14default_configENS1_22reduce_config_selectorIxEEZNS1_11reduce_implILb1ES3_N6thrust23THRUST_200600_302600_NS6detail15normal_iteratorINS8_10device_ptrIxEEEEPiiNS8_4plusIiEEEE10hipError_tPvRmT1_T2_T3_mT4_P12ihipStream_tbEUlT_E0_NS1_11comp_targetILNS1_3genE10ELNS1_11target_archE1201ELNS1_3gpuE5ELNS1_3repE0EEENS1_30default_config_static_selectorELNS0_4arch9wavefront6targetE1EEEvSK_.uses_vcc, 0
	.set _ZN7rocprim17ROCPRIM_400000_NS6detail17trampoline_kernelINS0_14default_configENS1_22reduce_config_selectorIxEEZNS1_11reduce_implILb1ES3_N6thrust23THRUST_200600_302600_NS6detail15normal_iteratorINS8_10device_ptrIxEEEEPiiNS8_4plusIiEEEE10hipError_tPvRmT1_T2_T3_mT4_P12ihipStream_tbEUlT_E0_NS1_11comp_targetILNS1_3genE10ELNS1_11target_archE1201ELNS1_3gpuE5ELNS1_3repE0EEENS1_30default_config_static_selectorELNS0_4arch9wavefront6targetE1EEEvSK_.uses_flat_scratch, 0
	.set _ZN7rocprim17ROCPRIM_400000_NS6detail17trampoline_kernelINS0_14default_configENS1_22reduce_config_selectorIxEEZNS1_11reduce_implILb1ES3_N6thrust23THRUST_200600_302600_NS6detail15normal_iteratorINS8_10device_ptrIxEEEEPiiNS8_4plusIiEEEE10hipError_tPvRmT1_T2_T3_mT4_P12ihipStream_tbEUlT_E0_NS1_11comp_targetILNS1_3genE10ELNS1_11target_archE1201ELNS1_3gpuE5ELNS1_3repE0EEENS1_30default_config_static_selectorELNS0_4arch9wavefront6targetE1EEEvSK_.has_dyn_sized_stack, 0
	.set _ZN7rocprim17ROCPRIM_400000_NS6detail17trampoline_kernelINS0_14default_configENS1_22reduce_config_selectorIxEEZNS1_11reduce_implILb1ES3_N6thrust23THRUST_200600_302600_NS6detail15normal_iteratorINS8_10device_ptrIxEEEEPiiNS8_4plusIiEEEE10hipError_tPvRmT1_T2_T3_mT4_P12ihipStream_tbEUlT_E0_NS1_11comp_targetILNS1_3genE10ELNS1_11target_archE1201ELNS1_3gpuE5ELNS1_3repE0EEENS1_30default_config_static_selectorELNS0_4arch9wavefront6targetE1EEEvSK_.has_recursion, 0
	.set _ZN7rocprim17ROCPRIM_400000_NS6detail17trampoline_kernelINS0_14default_configENS1_22reduce_config_selectorIxEEZNS1_11reduce_implILb1ES3_N6thrust23THRUST_200600_302600_NS6detail15normal_iteratorINS8_10device_ptrIxEEEEPiiNS8_4plusIiEEEE10hipError_tPvRmT1_T2_T3_mT4_P12ihipStream_tbEUlT_E0_NS1_11comp_targetILNS1_3genE10ELNS1_11target_archE1201ELNS1_3gpuE5ELNS1_3repE0EEENS1_30default_config_static_selectorELNS0_4arch9wavefront6targetE1EEEvSK_.has_indirect_call, 0
	.section	.AMDGPU.csdata,"",@progbits
; Kernel info:
; codeLenInByte = 0
; TotalNumSgprs: 6
; NumVgprs: 0
; NumAgprs: 0
; TotalNumVgprs: 0
; ScratchSize: 0
; MemoryBound: 0
; FloatMode: 240
; IeeeMode: 1
; LDSByteSize: 0 bytes/workgroup (compile time only)
; SGPRBlocks: 0
; VGPRBlocks: 0
; NumSGPRsForWavesPerEU: 6
; NumVGPRsForWavesPerEU: 1
; AccumOffset: 4
; Occupancy: 8
; WaveLimiterHint : 0
; COMPUTE_PGM_RSRC2:SCRATCH_EN: 0
; COMPUTE_PGM_RSRC2:USER_SGPR: 2
; COMPUTE_PGM_RSRC2:TRAP_HANDLER: 0
; COMPUTE_PGM_RSRC2:TGID_X_EN: 1
; COMPUTE_PGM_RSRC2:TGID_Y_EN: 0
; COMPUTE_PGM_RSRC2:TGID_Z_EN: 0
; COMPUTE_PGM_RSRC2:TIDIG_COMP_CNT: 0
; COMPUTE_PGM_RSRC3_GFX90A:ACCUM_OFFSET: 0
; COMPUTE_PGM_RSRC3_GFX90A:TG_SPLIT: 0
	.section	.text._ZN7rocprim17ROCPRIM_400000_NS6detail17trampoline_kernelINS0_14default_configENS1_22reduce_config_selectorIxEEZNS1_11reduce_implILb1ES3_N6thrust23THRUST_200600_302600_NS6detail15normal_iteratorINS8_10device_ptrIxEEEEPiiNS8_4plusIiEEEE10hipError_tPvRmT1_T2_T3_mT4_P12ihipStream_tbEUlT_E0_NS1_11comp_targetILNS1_3genE10ELNS1_11target_archE1200ELNS1_3gpuE4ELNS1_3repE0EEENS1_30default_config_static_selectorELNS0_4arch9wavefront6targetE1EEEvSK_,"axG",@progbits,_ZN7rocprim17ROCPRIM_400000_NS6detail17trampoline_kernelINS0_14default_configENS1_22reduce_config_selectorIxEEZNS1_11reduce_implILb1ES3_N6thrust23THRUST_200600_302600_NS6detail15normal_iteratorINS8_10device_ptrIxEEEEPiiNS8_4plusIiEEEE10hipError_tPvRmT1_T2_T3_mT4_P12ihipStream_tbEUlT_E0_NS1_11comp_targetILNS1_3genE10ELNS1_11target_archE1200ELNS1_3gpuE4ELNS1_3repE0EEENS1_30default_config_static_selectorELNS0_4arch9wavefront6targetE1EEEvSK_,comdat
	.protected	_ZN7rocprim17ROCPRIM_400000_NS6detail17trampoline_kernelINS0_14default_configENS1_22reduce_config_selectorIxEEZNS1_11reduce_implILb1ES3_N6thrust23THRUST_200600_302600_NS6detail15normal_iteratorINS8_10device_ptrIxEEEEPiiNS8_4plusIiEEEE10hipError_tPvRmT1_T2_T3_mT4_P12ihipStream_tbEUlT_E0_NS1_11comp_targetILNS1_3genE10ELNS1_11target_archE1200ELNS1_3gpuE4ELNS1_3repE0EEENS1_30default_config_static_selectorELNS0_4arch9wavefront6targetE1EEEvSK_ ; -- Begin function _ZN7rocprim17ROCPRIM_400000_NS6detail17trampoline_kernelINS0_14default_configENS1_22reduce_config_selectorIxEEZNS1_11reduce_implILb1ES3_N6thrust23THRUST_200600_302600_NS6detail15normal_iteratorINS8_10device_ptrIxEEEEPiiNS8_4plusIiEEEE10hipError_tPvRmT1_T2_T3_mT4_P12ihipStream_tbEUlT_E0_NS1_11comp_targetILNS1_3genE10ELNS1_11target_archE1200ELNS1_3gpuE4ELNS1_3repE0EEENS1_30default_config_static_selectorELNS0_4arch9wavefront6targetE1EEEvSK_
	.globl	_ZN7rocprim17ROCPRIM_400000_NS6detail17trampoline_kernelINS0_14default_configENS1_22reduce_config_selectorIxEEZNS1_11reduce_implILb1ES3_N6thrust23THRUST_200600_302600_NS6detail15normal_iteratorINS8_10device_ptrIxEEEEPiiNS8_4plusIiEEEE10hipError_tPvRmT1_T2_T3_mT4_P12ihipStream_tbEUlT_E0_NS1_11comp_targetILNS1_3genE10ELNS1_11target_archE1200ELNS1_3gpuE4ELNS1_3repE0EEENS1_30default_config_static_selectorELNS0_4arch9wavefront6targetE1EEEvSK_
	.p2align	8
	.type	_ZN7rocprim17ROCPRIM_400000_NS6detail17trampoline_kernelINS0_14default_configENS1_22reduce_config_selectorIxEEZNS1_11reduce_implILb1ES3_N6thrust23THRUST_200600_302600_NS6detail15normal_iteratorINS8_10device_ptrIxEEEEPiiNS8_4plusIiEEEE10hipError_tPvRmT1_T2_T3_mT4_P12ihipStream_tbEUlT_E0_NS1_11comp_targetILNS1_3genE10ELNS1_11target_archE1200ELNS1_3gpuE4ELNS1_3repE0EEENS1_30default_config_static_selectorELNS0_4arch9wavefront6targetE1EEEvSK_,@function
_ZN7rocprim17ROCPRIM_400000_NS6detail17trampoline_kernelINS0_14default_configENS1_22reduce_config_selectorIxEEZNS1_11reduce_implILb1ES3_N6thrust23THRUST_200600_302600_NS6detail15normal_iteratorINS8_10device_ptrIxEEEEPiiNS8_4plusIiEEEE10hipError_tPvRmT1_T2_T3_mT4_P12ihipStream_tbEUlT_E0_NS1_11comp_targetILNS1_3genE10ELNS1_11target_archE1200ELNS1_3gpuE4ELNS1_3repE0EEENS1_30default_config_static_selectorELNS0_4arch9wavefront6targetE1EEEvSK_: ; @_ZN7rocprim17ROCPRIM_400000_NS6detail17trampoline_kernelINS0_14default_configENS1_22reduce_config_selectorIxEEZNS1_11reduce_implILb1ES3_N6thrust23THRUST_200600_302600_NS6detail15normal_iteratorINS8_10device_ptrIxEEEEPiiNS8_4plusIiEEEE10hipError_tPvRmT1_T2_T3_mT4_P12ihipStream_tbEUlT_E0_NS1_11comp_targetILNS1_3genE10ELNS1_11target_archE1200ELNS1_3gpuE4ELNS1_3repE0EEENS1_30default_config_static_selectorELNS0_4arch9wavefront6targetE1EEEvSK_
; %bb.0:
	.section	.rodata,"a",@progbits
	.p2align	6, 0x0
	.amdhsa_kernel _ZN7rocprim17ROCPRIM_400000_NS6detail17trampoline_kernelINS0_14default_configENS1_22reduce_config_selectorIxEEZNS1_11reduce_implILb1ES3_N6thrust23THRUST_200600_302600_NS6detail15normal_iteratorINS8_10device_ptrIxEEEEPiiNS8_4plusIiEEEE10hipError_tPvRmT1_T2_T3_mT4_P12ihipStream_tbEUlT_E0_NS1_11comp_targetILNS1_3genE10ELNS1_11target_archE1200ELNS1_3gpuE4ELNS1_3repE0EEENS1_30default_config_static_selectorELNS0_4arch9wavefront6targetE1EEEvSK_
		.amdhsa_group_segment_fixed_size 0
		.amdhsa_private_segment_fixed_size 0
		.amdhsa_kernarg_size 56
		.amdhsa_user_sgpr_count 2
		.amdhsa_user_sgpr_dispatch_ptr 0
		.amdhsa_user_sgpr_queue_ptr 0
		.amdhsa_user_sgpr_kernarg_segment_ptr 1
		.amdhsa_user_sgpr_dispatch_id 0
		.amdhsa_user_sgpr_kernarg_preload_length 0
		.amdhsa_user_sgpr_kernarg_preload_offset 0
		.amdhsa_user_sgpr_private_segment_size 0
		.amdhsa_uses_dynamic_stack 0
		.amdhsa_enable_private_segment 0
		.amdhsa_system_sgpr_workgroup_id_x 1
		.amdhsa_system_sgpr_workgroup_id_y 0
		.amdhsa_system_sgpr_workgroup_id_z 0
		.amdhsa_system_sgpr_workgroup_info 0
		.amdhsa_system_vgpr_workitem_id 0
		.amdhsa_next_free_vgpr 1
		.amdhsa_next_free_sgpr 0
		.amdhsa_accum_offset 4
		.amdhsa_reserve_vcc 0
		.amdhsa_float_round_mode_32 0
		.amdhsa_float_round_mode_16_64 0
		.amdhsa_float_denorm_mode_32 3
		.amdhsa_float_denorm_mode_16_64 3
		.amdhsa_dx10_clamp 1
		.amdhsa_ieee_mode 1
		.amdhsa_fp16_overflow 0
		.amdhsa_tg_split 0
		.amdhsa_exception_fp_ieee_invalid_op 0
		.amdhsa_exception_fp_denorm_src 0
		.amdhsa_exception_fp_ieee_div_zero 0
		.amdhsa_exception_fp_ieee_overflow 0
		.amdhsa_exception_fp_ieee_underflow 0
		.amdhsa_exception_fp_ieee_inexact 0
		.amdhsa_exception_int_div_zero 0
	.end_amdhsa_kernel
	.section	.text._ZN7rocprim17ROCPRIM_400000_NS6detail17trampoline_kernelINS0_14default_configENS1_22reduce_config_selectorIxEEZNS1_11reduce_implILb1ES3_N6thrust23THRUST_200600_302600_NS6detail15normal_iteratorINS8_10device_ptrIxEEEEPiiNS8_4plusIiEEEE10hipError_tPvRmT1_T2_T3_mT4_P12ihipStream_tbEUlT_E0_NS1_11comp_targetILNS1_3genE10ELNS1_11target_archE1200ELNS1_3gpuE4ELNS1_3repE0EEENS1_30default_config_static_selectorELNS0_4arch9wavefront6targetE1EEEvSK_,"axG",@progbits,_ZN7rocprim17ROCPRIM_400000_NS6detail17trampoline_kernelINS0_14default_configENS1_22reduce_config_selectorIxEEZNS1_11reduce_implILb1ES3_N6thrust23THRUST_200600_302600_NS6detail15normal_iteratorINS8_10device_ptrIxEEEEPiiNS8_4plusIiEEEE10hipError_tPvRmT1_T2_T3_mT4_P12ihipStream_tbEUlT_E0_NS1_11comp_targetILNS1_3genE10ELNS1_11target_archE1200ELNS1_3gpuE4ELNS1_3repE0EEENS1_30default_config_static_selectorELNS0_4arch9wavefront6targetE1EEEvSK_,comdat
.Lfunc_end465:
	.size	_ZN7rocprim17ROCPRIM_400000_NS6detail17trampoline_kernelINS0_14default_configENS1_22reduce_config_selectorIxEEZNS1_11reduce_implILb1ES3_N6thrust23THRUST_200600_302600_NS6detail15normal_iteratorINS8_10device_ptrIxEEEEPiiNS8_4plusIiEEEE10hipError_tPvRmT1_T2_T3_mT4_P12ihipStream_tbEUlT_E0_NS1_11comp_targetILNS1_3genE10ELNS1_11target_archE1200ELNS1_3gpuE4ELNS1_3repE0EEENS1_30default_config_static_selectorELNS0_4arch9wavefront6targetE1EEEvSK_, .Lfunc_end465-_ZN7rocprim17ROCPRIM_400000_NS6detail17trampoline_kernelINS0_14default_configENS1_22reduce_config_selectorIxEEZNS1_11reduce_implILb1ES3_N6thrust23THRUST_200600_302600_NS6detail15normal_iteratorINS8_10device_ptrIxEEEEPiiNS8_4plusIiEEEE10hipError_tPvRmT1_T2_T3_mT4_P12ihipStream_tbEUlT_E0_NS1_11comp_targetILNS1_3genE10ELNS1_11target_archE1200ELNS1_3gpuE4ELNS1_3repE0EEENS1_30default_config_static_selectorELNS0_4arch9wavefront6targetE1EEEvSK_
                                        ; -- End function
	.set _ZN7rocprim17ROCPRIM_400000_NS6detail17trampoline_kernelINS0_14default_configENS1_22reduce_config_selectorIxEEZNS1_11reduce_implILb1ES3_N6thrust23THRUST_200600_302600_NS6detail15normal_iteratorINS8_10device_ptrIxEEEEPiiNS8_4plusIiEEEE10hipError_tPvRmT1_T2_T3_mT4_P12ihipStream_tbEUlT_E0_NS1_11comp_targetILNS1_3genE10ELNS1_11target_archE1200ELNS1_3gpuE4ELNS1_3repE0EEENS1_30default_config_static_selectorELNS0_4arch9wavefront6targetE1EEEvSK_.num_vgpr, 0
	.set _ZN7rocprim17ROCPRIM_400000_NS6detail17trampoline_kernelINS0_14default_configENS1_22reduce_config_selectorIxEEZNS1_11reduce_implILb1ES3_N6thrust23THRUST_200600_302600_NS6detail15normal_iteratorINS8_10device_ptrIxEEEEPiiNS8_4plusIiEEEE10hipError_tPvRmT1_T2_T3_mT4_P12ihipStream_tbEUlT_E0_NS1_11comp_targetILNS1_3genE10ELNS1_11target_archE1200ELNS1_3gpuE4ELNS1_3repE0EEENS1_30default_config_static_selectorELNS0_4arch9wavefront6targetE1EEEvSK_.num_agpr, 0
	.set _ZN7rocprim17ROCPRIM_400000_NS6detail17trampoline_kernelINS0_14default_configENS1_22reduce_config_selectorIxEEZNS1_11reduce_implILb1ES3_N6thrust23THRUST_200600_302600_NS6detail15normal_iteratorINS8_10device_ptrIxEEEEPiiNS8_4plusIiEEEE10hipError_tPvRmT1_T2_T3_mT4_P12ihipStream_tbEUlT_E0_NS1_11comp_targetILNS1_3genE10ELNS1_11target_archE1200ELNS1_3gpuE4ELNS1_3repE0EEENS1_30default_config_static_selectorELNS0_4arch9wavefront6targetE1EEEvSK_.numbered_sgpr, 0
	.set _ZN7rocprim17ROCPRIM_400000_NS6detail17trampoline_kernelINS0_14default_configENS1_22reduce_config_selectorIxEEZNS1_11reduce_implILb1ES3_N6thrust23THRUST_200600_302600_NS6detail15normal_iteratorINS8_10device_ptrIxEEEEPiiNS8_4plusIiEEEE10hipError_tPvRmT1_T2_T3_mT4_P12ihipStream_tbEUlT_E0_NS1_11comp_targetILNS1_3genE10ELNS1_11target_archE1200ELNS1_3gpuE4ELNS1_3repE0EEENS1_30default_config_static_selectorELNS0_4arch9wavefront6targetE1EEEvSK_.num_named_barrier, 0
	.set _ZN7rocprim17ROCPRIM_400000_NS6detail17trampoline_kernelINS0_14default_configENS1_22reduce_config_selectorIxEEZNS1_11reduce_implILb1ES3_N6thrust23THRUST_200600_302600_NS6detail15normal_iteratorINS8_10device_ptrIxEEEEPiiNS8_4plusIiEEEE10hipError_tPvRmT1_T2_T3_mT4_P12ihipStream_tbEUlT_E0_NS1_11comp_targetILNS1_3genE10ELNS1_11target_archE1200ELNS1_3gpuE4ELNS1_3repE0EEENS1_30default_config_static_selectorELNS0_4arch9wavefront6targetE1EEEvSK_.private_seg_size, 0
	.set _ZN7rocprim17ROCPRIM_400000_NS6detail17trampoline_kernelINS0_14default_configENS1_22reduce_config_selectorIxEEZNS1_11reduce_implILb1ES3_N6thrust23THRUST_200600_302600_NS6detail15normal_iteratorINS8_10device_ptrIxEEEEPiiNS8_4plusIiEEEE10hipError_tPvRmT1_T2_T3_mT4_P12ihipStream_tbEUlT_E0_NS1_11comp_targetILNS1_3genE10ELNS1_11target_archE1200ELNS1_3gpuE4ELNS1_3repE0EEENS1_30default_config_static_selectorELNS0_4arch9wavefront6targetE1EEEvSK_.uses_vcc, 0
	.set _ZN7rocprim17ROCPRIM_400000_NS6detail17trampoline_kernelINS0_14default_configENS1_22reduce_config_selectorIxEEZNS1_11reduce_implILb1ES3_N6thrust23THRUST_200600_302600_NS6detail15normal_iteratorINS8_10device_ptrIxEEEEPiiNS8_4plusIiEEEE10hipError_tPvRmT1_T2_T3_mT4_P12ihipStream_tbEUlT_E0_NS1_11comp_targetILNS1_3genE10ELNS1_11target_archE1200ELNS1_3gpuE4ELNS1_3repE0EEENS1_30default_config_static_selectorELNS0_4arch9wavefront6targetE1EEEvSK_.uses_flat_scratch, 0
	.set _ZN7rocprim17ROCPRIM_400000_NS6detail17trampoline_kernelINS0_14default_configENS1_22reduce_config_selectorIxEEZNS1_11reduce_implILb1ES3_N6thrust23THRUST_200600_302600_NS6detail15normal_iteratorINS8_10device_ptrIxEEEEPiiNS8_4plusIiEEEE10hipError_tPvRmT1_T2_T3_mT4_P12ihipStream_tbEUlT_E0_NS1_11comp_targetILNS1_3genE10ELNS1_11target_archE1200ELNS1_3gpuE4ELNS1_3repE0EEENS1_30default_config_static_selectorELNS0_4arch9wavefront6targetE1EEEvSK_.has_dyn_sized_stack, 0
	.set _ZN7rocprim17ROCPRIM_400000_NS6detail17trampoline_kernelINS0_14default_configENS1_22reduce_config_selectorIxEEZNS1_11reduce_implILb1ES3_N6thrust23THRUST_200600_302600_NS6detail15normal_iteratorINS8_10device_ptrIxEEEEPiiNS8_4plusIiEEEE10hipError_tPvRmT1_T2_T3_mT4_P12ihipStream_tbEUlT_E0_NS1_11comp_targetILNS1_3genE10ELNS1_11target_archE1200ELNS1_3gpuE4ELNS1_3repE0EEENS1_30default_config_static_selectorELNS0_4arch9wavefront6targetE1EEEvSK_.has_recursion, 0
	.set _ZN7rocprim17ROCPRIM_400000_NS6detail17trampoline_kernelINS0_14default_configENS1_22reduce_config_selectorIxEEZNS1_11reduce_implILb1ES3_N6thrust23THRUST_200600_302600_NS6detail15normal_iteratorINS8_10device_ptrIxEEEEPiiNS8_4plusIiEEEE10hipError_tPvRmT1_T2_T3_mT4_P12ihipStream_tbEUlT_E0_NS1_11comp_targetILNS1_3genE10ELNS1_11target_archE1200ELNS1_3gpuE4ELNS1_3repE0EEENS1_30default_config_static_selectorELNS0_4arch9wavefront6targetE1EEEvSK_.has_indirect_call, 0
	.section	.AMDGPU.csdata,"",@progbits
; Kernel info:
; codeLenInByte = 0
; TotalNumSgprs: 6
; NumVgprs: 0
; NumAgprs: 0
; TotalNumVgprs: 0
; ScratchSize: 0
; MemoryBound: 0
; FloatMode: 240
; IeeeMode: 1
; LDSByteSize: 0 bytes/workgroup (compile time only)
; SGPRBlocks: 0
; VGPRBlocks: 0
; NumSGPRsForWavesPerEU: 6
; NumVGPRsForWavesPerEU: 1
; AccumOffset: 4
; Occupancy: 8
; WaveLimiterHint : 0
; COMPUTE_PGM_RSRC2:SCRATCH_EN: 0
; COMPUTE_PGM_RSRC2:USER_SGPR: 2
; COMPUTE_PGM_RSRC2:TRAP_HANDLER: 0
; COMPUTE_PGM_RSRC2:TGID_X_EN: 1
; COMPUTE_PGM_RSRC2:TGID_Y_EN: 0
; COMPUTE_PGM_RSRC2:TGID_Z_EN: 0
; COMPUTE_PGM_RSRC2:TIDIG_COMP_CNT: 0
; COMPUTE_PGM_RSRC3_GFX90A:ACCUM_OFFSET: 0
; COMPUTE_PGM_RSRC3_GFX90A:TG_SPLIT: 0
	.section	.text._ZN7rocprim17ROCPRIM_400000_NS6detail17trampoline_kernelINS0_14default_configENS1_22reduce_config_selectorIxEEZNS1_11reduce_implILb1ES3_N6thrust23THRUST_200600_302600_NS6detail15normal_iteratorINS8_10device_ptrIxEEEEPiiNS8_4plusIiEEEE10hipError_tPvRmT1_T2_T3_mT4_P12ihipStream_tbEUlT_E0_NS1_11comp_targetILNS1_3genE9ELNS1_11target_archE1100ELNS1_3gpuE3ELNS1_3repE0EEENS1_30default_config_static_selectorELNS0_4arch9wavefront6targetE1EEEvSK_,"axG",@progbits,_ZN7rocprim17ROCPRIM_400000_NS6detail17trampoline_kernelINS0_14default_configENS1_22reduce_config_selectorIxEEZNS1_11reduce_implILb1ES3_N6thrust23THRUST_200600_302600_NS6detail15normal_iteratorINS8_10device_ptrIxEEEEPiiNS8_4plusIiEEEE10hipError_tPvRmT1_T2_T3_mT4_P12ihipStream_tbEUlT_E0_NS1_11comp_targetILNS1_3genE9ELNS1_11target_archE1100ELNS1_3gpuE3ELNS1_3repE0EEENS1_30default_config_static_selectorELNS0_4arch9wavefront6targetE1EEEvSK_,comdat
	.protected	_ZN7rocprim17ROCPRIM_400000_NS6detail17trampoline_kernelINS0_14default_configENS1_22reduce_config_selectorIxEEZNS1_11reduce_implILb1ES3_N6thrust23THRUST_200600_302600_NS6detail15normal_iteratorINS8_10device_ptrIxEEEEPiiNS8_4plusIiEEEE10hipError_tPvRmT1_T2_T3_mT4_P12ihipStream_tbEUlT_E0_NS1_11comp_targetILNS1_3genE9ELNS1_11target_archE1100ELNS1_3gpuE3ELNS1_3repE0EEENS1_30default_config_static_selectorELNS0_4arch9wavefront6targetE1EEEvSK_ ; -- Begin function _ZN7rocprim17ROCPRIM_400000_NS6detail17trampoline_kernelINS0_14default_configENS1_22reduce_config_selectorIxEEZNS1_11reduce_implILb1ES3_N6thrust23THRUST_200600_302600_NS6detail15normal_iteratorINS8_10device_ptrIxEEEEPiiNS8_4plusIiEEEE10hipError_tPvRmT1_T2_T3_mT4_P12ihipStream_tbEUlT_E0_NS1_11comp_targetILNS1_3genE9ELNS1_11target_archE1100ELNS1_3gpuE3ELNS1_3repE0EEENS1_30default_config_static_selectorELNS0_4arch9wavefront6targetE1EEEvSK_
	.globl	_ZN7rocprim17ROCPRIM_400000_NS6detail17trampoline_kernelINS0_14default_configENS1_22reduce_config_selectorIxEEZNS1_11reduce_implILb1ES3_N6thrust23THRUST_200600_302600_NS6detail15normal_iteratorINS8_10device_ptrIxEEEEPiiNS8_4plusIiEEEE10hipError_tPvRmT1_T2_T3_mT4_P12ihipStream_tbEUlT_E0_NS1_11comp_targetILNS1_3genE9ELNS1_11target_archE1100ELNS1_3gpuE3ELNS1_3repE0EEENS1_30default_config_static_selectorELNS0_4arch9wavefront6targetE1EEEvSK_
	.p2align	8
	.type	_ZN7rocprim17ROCPRIM_400000_NS6detail17trampoline_kernelINS0_14default_configENS1_22reduce_config_selectorIxEEZNS1_11reduce_implILb1ES3_N6thrust23THRUST_200600_302600_NS6detail15normal_iteratorINS8_10device_ptrIxEEEEPiiNS8_4plusIiEEEE10hipError_tPvRmT1_T2_T3_mT4_P12ihipStream_tbEUlT_E0_NS1_11comp_targetILNS1_3genE9ELNS1_11target_archE1100ELNS1_3gpuE3ELNS1_3repE0EEENS1_30default_config_static_selectorELNS0_4arch9wavefront6targetE1EEEvSK_,@function
_ZN7rocprim17ROCPRIM_400000_NS6detail17trampoline_kernelINS0_14default_configENS1_22reduce_config_selectorIxEEZNS1_11reduce_implILb1ES3_N6thrust23THRUST_200600_302600_NS6detail15normal_iteratorINS8_10device_ptrIxEEEEPiiNS8_4plusIiEEEE10hipError_tPvRmT1_T2_T3_mT4_P12ihipStream_tbEUlT_E0_NS1_11comp_targetILNS1_3genE9ELNS1_11target_archE1100ELNS1_3gpuE3ELNS1_3repE0EEENS1_30default_config_static_selectorELNS0_4arch9wavefront6targetE1EEEvSK_: ; @_ZN7rocprim17ROCPRIM_400000_NS6detail17trampoline_kernelINS0_14default_configENS1_22reduce_config_selectorIxEEZNS1_11reduce_implILb1ES3_N6thrust23THRUST_200600_302600_NS6detail15normal_iteratorINS8_10device_ptrIxEEEEPiiNS8_4plusIiEEEE10hipError_tPvRmT1_T2_T3_mT4_P12ihipStream_tbEUlT_E0_NS1_11comp_targetILNS1_3genE9ELNS1_11target_archE1100ELNS1_3gpuE3ELNS1_3repE0EEENS1_30default_config_static_selectorELNS0_4arch9wavefront6targetE1EEEvSK_
; %bb.0:
	.section	.rodata,"a",@progbits
	.p2align	6, 0x0
	.amdhsa_kernel _ZN7rocprim17ROCPRIM_400000_NS6detail17trampoline_kernelINS0_14default_configENS1_22reduce_config_selectorIxEEZNS1_11reduce_implILb1ES3_N6thrust23THRUST_200600_302600_NS6detail15normal_iteratorINS8_10device_ptrIxEEEEPiiNS8_4plusIiEEEE10hipError_tPvRmT1_T2_T3_mT4_P12ihipStream_tbEUlT_E0_NS1_11comp_targetILNS1_3genE9ELNS1_11target_archE1100ELNS1_3gpuE3ELNS1_3repE0EEENS1_30default_config_static_selectorELNS0_4arch9wavefront6targetE1EEEvSK_
		.amdhsa_group_segment_fixed_size 0
		.amdhsa_private_segment_fixed_size 0
		.amdhsa_kernarg_size 56
		.amdhsa_user_sgpr_count 2
		.amdhsa_user_sgpr_dispatch_ptr 0
		.amdhsa_user_sgpr_queue_ptr 0
		.amdhsa_user_sgpr_kernarg_segment_ptr 1
		.amdhsa_user_sgpr_dispatch_id 0
		.amdhsa_user_sgpr_kernarg_preload_length 0
		.amdhsa_user_sgpr_kernarg_preload_offset 0
		.amdhsa_user_sgpr_private_segment_size 0
		.amdhsa_uses_dynamic_stack 0
		.amdhsa_enable_private_segment 0
		.amdhsa_system_sgpr_workgroup_id_x 1
		.amdhsa_system_sgpr_workgroup_id_y 0
		.amdhsa_system_sgpr_workgroup_id_z 0
		.amdhsa_system_sgpr_workgroup_info 0
		.amdhsa_system_vgpr_workitem_id 0
		.amdhsa_next_free_vgpr 1
		.amdhsa_next_free_sgpr 0
		.amdhsa_accum_offset 4
		.amdhsa_reserve_vcc 0
		.amdhsa_float_round_mode_32 0
		.amdhsa_float_round_mode_16_64 0
		.amdhsa_float_denorm_mode_32 3
		.amdhsa_float_denorm_mode_16_64 3
		.amdhsa_dx10_clamp 1
		.amdhsa_ieee_mode 1
		.amdhsa_fp16_overflow 0
		.amdhsa_tg_split 0
		.amdhsa_exception_fp_ieee_invalid_op 0
		.amdhsa_exception_fp_denorm_src 0
		.amdhsa_exception_fp_ieee_div_zero 0
		.amdhsa_exception_fp_ieee_overflow 0
		.amdhsa_exception_fp_ieee_underflow 0
		.amdhsa_exception_fp_ieee_inexact 0
		.amdhsa_exception_int_div_zero 0
	.end_amdhsa_kernel
	.section	.text._ZN7rocprim17ROCPRIM_400000_NS6detail17trampoline_kernelINS0_14default_configENS1_22reduce_config_selectorIxEEZNS1_11reduce_implILb1ES3_N6thrust23THRUST_200600_302600_NS6detail15normal_iteratorINS8_10device_ptrIxEEEEPiiNS8_4plusIiEEEE10hipError_tPvRmT1_T2_T3_mT4_P12ihipStream_tbEUlT_E0_NS1_11comp_targetILNS1_3genE9ELNS1_11target_archE1100ELNS1_3gpuE3ELNS1_3repE0EEENS1_30default_config_static_selectorELNS0_4arch9wavefront6targetE1EEEvSK_,"axG",@progbits,_ZN7rocprim17ROCPRIM_400000_NS6detail17trampoline_kernelINS0_14default_configENS1_22reduce_config_selectorIxEEZNS1_11reduce_implILb1ES3_N6thrust23THRUST_200600_302600_NS6detail15normal_iteratorINS8_10device_ptrIxEEEEPiiNS8_4plusIiEEEE10hipError_tPvRmT1_T2_T3_mT4_P12ihipStream_tbEUlT_E0_NS1_11comp_targetILNS1_3genE9ELNS1_11target_archE1100ELNS1_3gpuE3ELNS1_3repE0EEENS1_30default_config_static_selectorELNS0_4arch9wavefront6targetE1EEEvSK_,comdat
.Lfunc_end466:
	.size	_ZN7rocprim17ROCPRIM_400000_NS6detail17trampoline_kernelINS0_14default_configENS1_22reduce_config_selectorIxEEZNS1_11reduce_implILb1ES3_N6thrust23THRUST_200600_302600_NS6detail15normal_iteratorINS8_10device_ptrIxEEEEPiiNS8_4plusIiEEEE10hipError_tPvRmT1_T2_T3_mT4_P12ihipStream_tbEUlT_E0_NS1_11comp_targetILNS1_3genE9ELNS1_11target_archE1100ELNS1_3gpuE3ELNS1_3repE0EEENS1_30default_config_static_selectorELNS0_4arch9wavefront6targetE1EEEvSK_, .Lfunc_end466-_ZN7rocprim17ROCPRIM_400000_NS6detail17trampoline_kernelINS0_14default_configENS1_22reduce_config_selectorIxEEZNS1_11reduce_implILb1ES3_N6thrust23THRUST_200600_302600_NS6detail15normal_iteratorINS8_10device_ptrIxEEEEPiiNS8_4plusIiEEEE10hipError_tPvRmT1_T2_T3_mT4_P12ihipStream_tbEUlT_E0_NS1_11comp_targetILNS1_3genE9ELNS1_11target_archE1100ELNS1_3gpuE3ELNS1_3repE0EEENS1_30default_config_static_selectorELNS0_4arch9wavefront6targetE1EEEvSK_
                                        ; -- End function
	.set _ZN7rocprim17ROCPRIM_400000_NS6detail17trampoline_kernelINS0_14default_configENS1_22reduce_config_selectorIxEEZNS1_11reduce_implILb1ES3_N6thrust23THRUST_200600_302600_NS6detail15normal_iteratorINS8_10device_ptrIxEEEEPiiNS8_4plusIiEEEE10hipError_tPvRmT1_T2_T3_mT4_P12ihipStream_tbEUlT_E0_NS1_11comp_targetILNS1_3genE9ELNS1_11target_archE1100ELNS1_3gpuE3ELNS1_3repE0EEENS1_30default_config_static_selectorELNS0_4arch9wavefront6targetE1EEEvSK_.num_vgpr, 0
	.set _ZN7rocprim17ROCPRIM_400000_NS6detail17trampoline_kernelINS0_14default_configENS1_22reduce_config_selectorIxEEZNS1_11reduce_implILb1ES3_N6thrust23THRUST_200600_302600_NS6detail15normal_iteratorINS8_10device_ptrIxEEEEPiiNS8_4plusIiEEEE10hipError_tPvRmT1_T2_T3_mT4_P12ihipStream_tbEUlT_E0_NS1_11comp_targetILNS1_3genE9ELNS1_11target_archE1100ELNS1_3gpuE3ELNS1_3repE0EEENS1_30default_config_static_selectorELNS0_4arch9wavefront6targetE1EEEvSK_.num_agpr, 0
	.set _ZN7rocprim17ROCPRIM_400000_NS6detail17trampoline_kernelINS0_14default_configENS1_22reduce_config_selectorIxEEZNS1_11reduce_implILb1ES3_N6thrust23THRUST_200600_302600_NS6detail15normal_iteratorINS8_10device_ptrIxEEEEPiiNS8_4plusIiEEEE10hipError_tPvRmT1_T2_T3_mT4_P12ihipStream_tbEUlT_E0_NS1_11comp_targetILNS1_3genE9ELNS1_11target_archE1100ELNS1_3gpuE3ELNS1_3repE0EEENS1_30default_config_static_selectorELNS0_4arch9wavefront6targetE1EEEvSK_.numbered_sgpr, 0
	.set _ZN7rocprim17ROCPRIM_400000_NS6detail17trampoline_kernelINS0_14default_configENS1_22reduce_config_selectorIxEEZNS1_11reduce_implILb1ES3_N6thrust23THRUST_200600_302600_NS6detail15normal_iteratorINS8_10device_ptrIxEEEEPiiNS8_4plusIiEEEE10hipError_tPvRmT1_T2_T3_mT4_P12ihipStream_tbEUlT_E0_NS1_11comp_targetILNS1_3genE9ELNS1_11target_archE1100ELNS1_3gpuE3ELNS1_3repE0EEENS1_30default_config_static_selectorELNS0_4arch9wavefront6targetE1EEEvSK_.num_named_barrier, 0
	.set _ZN7rocprim17ROCPRIM_400000_NS6detail17trampoline_kernelINS0_14default_configENS1_22reduce_config_selectorIxEEZNS1_11reduce_implILb1ES3_N6thrust23THRUST_200600_302600_NS6detail15normal_iteratorINS8_10device_ptrIxEEEEPiiNS8_4plusIiEEEE10hipError_tPvRmT1_T2_T3_mT4_P12ihipStream_tbEUlT_E0_NS1_11comp_targetILNS1_3genE9ELNS1_11target_archE1100ELNS1_3gpuE3ELNS1_3repE0EEENS1_30default_config_static_selectorELNS0_4arch9wavefront6targetE1EEEvSK_.private_seg_size, 0
	.set _ZN7rocprim17ROCPRIM_400000_NS6detail17trampoline_kernelINS0_14default_configENS1_22reduce_config_selectorIxEEZNS1_11reduce_implILb1ES3_N6thrust23THRUST_200600_302600_NS6detail15normal_iteratorINS8_10device_ptrIxEEEEPiiNS8_4plusIiEEEE10hipError_tPvRmT1_T2_T3_mT4_P12ihipStream_tbEUlT_E0_NS1_11comp_targetILNS1_3genE9ELNS1_11target_archE1100ELNS1_3gpuE3ELNS1_3repE0EEENS1_30default_config_static_selectorELNS0_4arch9wavefront6targetE1EEEvSK_.uses_vcc, 0
	.set _ZN7rocprim17ROCPRIM_400000_NS6detail17trampoline_kernelINS0_14default_configENS1_22reduce_config_selectorIxEEZNS1_11reduce_implILb1ES3_N6thrust23THRUST_200600_302600_NS6detail15normal_iteratorINS8_10device_ptrIxEEEEPiiNS8_4plusIiEEEE10hipError_tPvRmT1_T2_T3_mT4_P12ihipStream_tbEUlT_E0_NS1_11comp_targetILNS1_3genE9ELNS1_11target_archE1100ELNS1_3gpuE3ELNS1_3repE0EEENS1_30default_config_static_selectorELNS0_4arch9wavefront6targetE1EEEvSK_.uses_flat_scratch, 0
	.set _ZN7rocprim17ROCPRIM_400000_NS6detail17trampoline_kernelINS0_14default_configENS1_22reduce_config_selectorIxEEZNS1_11reduce_implILb1ES3_N6thrust23THRUST_200600_302600_NS6detail15normal_iteratorINS8_10device_ptrIxEEEEPiiNS8_4plusIiEEEE10hipError_tPvRmT1_T2_T3_mT4_P12ihipStream_tbEUlT_E0_NS1_11comp_targetILNS1_3genE9ELNS1_11target_archE1100ELNS1_3gpuE3ELNS1_3repE0EEENS1_30default_config_static_selectorELNS0_4arch9wavefront6targetE1EEEvSK_.has_dyn_sized_stack, 0
	.set _ZN7rocprim17ROCPRIM_400000_NS6detail17trampoline_kernelINS0_14default_configENS1_22reduce_config_selectorIxEEZNS1_11reduce_implILb1ES3_N6thrust23THRUST_200600_302600_NS6detail15normal_iteratorINS8_10device_ptrIxEEEEPiiNS8_4plusIiEEEE10hipError_tPvRmT1_T2_T3_mT4_P12ihipStream_tbEUlT_E0_NS1_11comp_targetILNS1_3genE9ELNS1_11target_archE1100ELNS1_3gpuE3ELNS1_3repE0EEENS1_30default_config_static_selectorELNS0_4arch9wavefront6targetE1EEEvSK_.has_recursion, 0
	.set _ZN7rocprim17ROCPRIM_400000_NS6detail17trampoline_kernelINS0_14default_configENS1_22reduce_config_selectorIxEEZNS1_11reduce_implILb1ES3_N6thrust23THRUST_200600_302600_NS6detail15normal_iteratorINS8_10device_ptrIxEEEEPiiNS8_4plusIiEEEE10hipError_tPvRmT1_T2_T3_mT4_P12ihipStream_tbEUlT_E0_NS1_11comp_targetILNS1_3genE9ELNS1_11target_archE1100ELNS1_3gpuE3ELNS1_3repE0EEENS1_30default_config_static_selectorELNS0_4arch9wavefront6targetE1EEEvSK_.has_indirect_call, 0
	.section	.AMDGPU.csdata,"",@progbits
; Kernel info:
; codeLenInByte = 0
; TotalNumSgprs: 6
; NumVgprs: 0
; NumAgprs: 0
; TotalNumVgprs: 0
; ScratchSize: 0
; MemoryBound: 0
; FloatMode: 240
; IeeeMode: 1
; LDSByteSize: 0 bytes/workgroup (compile time only)
; SGPRBlocks: 0
; VGPRBlocks: 0
; NumSGPRsForWavesPerEU: 6
; NumVGPRsForWavesPerEU: 1
; AccumOffset: 4
; Occupancy: 8
; WaveLimiterHint : 0
; COMPUTE_PGM_RSRC2:SCRATCH_EN: 0
; COMPUTE_PGM_RSRC2:USER_SGPR: 2
; COMPUTE_PGM_RSRC2:TRAP_HANDLER: 0
; COMPUTE_PGM_RSRC2:TGID_X_EN: 1
; COMPUTE_PGM_RSRC2:TGID_Y_EN: 0
; COMPUTE_PGM_RSRC2:TGID_Z_EN: 0
; COMPUTE_PGM_RSRC2:TIDIG_COMP_CNT: 0
; COMPUTE_PGM_RSRC3_GFX90A:ACCUM_OFFSET: 0
; COMPUTE_PGM_RSRC3_GFX90A:TG_SPLIT: 0
	.section	.text._ZN7rocprim17ROCPRIM_400000_NS6detail17trampoline_kernelINS0_14default_configENS1_22reduce_config_selectorIxEEZNS1_11reduce_implILb1ES3_N6thrust23THRUST_200600_302600_NS6detail15normal_iteratorINS8_10device_ptrIxEEEEPiiNS8_4plusIiEEEE10hipError_tPvRmT1_T2_T3_mT4_P12ihipStream_tbEUlT_E0_NS1_11comp_targetILNS1_3genE8ELNS1_11target_archE1030ELNS1_3gpuE2ELNS1_3repE0EEENS1_30default_config_static_selectorELNS0_4arch9wavefront6targetE1EEEvSK_,"axG",@progbits,_ZN7rocprim17ROCPRIM_400000_NS6detail17trampoline_kernelINS0_14default_configENS1_22reduce_config_selectorIxEEZNS1_11reduce_implILb1ES3_N6thrust23THRUST_200600_302600_NS6detail15normal_iteratorINS8_10device_ptrIxEEEEPiiNS8_4plusIiEEEE10hipError_tPvRmT1_T2_T3_mT4_P12ihipStream_tbEUlT_E0_NS1_11comp_targetILNS1_3genE8ELNS1_11target_archE1030ELNS1_3gpuE2ELNS1_3repE0EEENS1_30default_config_static_selectorELNS0_4arch9wavefront6targetE1EEEvSK_,comdat
	.protected	_ZN7rocprim17ROCPRIM_400000_NS6detail17trampoline_kernelINS0_14default_configENS1_22reduce_config_selectorIxEEZNS1_11reduce_implILb1ES3_N6thrust23THRUST_200600_302600_NS6detail15normal_iteratorINS8_10device_ptrIxEEEEPiiNS8_4plusIiEEEE10hipError_tPvRmT1_T2_T3_mT4_P12ihipStream_tbEUlT_E0_NS1_11comp_targetILNS1_3genE8ELNS1_11target_archE1030ELNS1_3gpuE2ELNS1_3repE0EEENS1_30default_config_static_selectorELNS0_4arch9wavefront6targetE1EEEvSK_ ; -- Begin function _ZN7rocprim17ROCPRIM_400000_NS6detail17trampoline_kernelINS0_14default_configENS1_22reduce_config_selectorIxEEZNS1_11reduce_implILb1ES3_N6thrust23THRUST_200600_302600_NS6detail15normal_iteratorINS8_10device_ptrIxEEEEPiiNS8_4plusIiEEEE10hipError_tPvRmT1_T2_T3_mT4_P12ihipStream_tbEUlT_E0_NS1_11comp_targetILNS1_3genE8ELNS1_11target_archE1030ELNS1_3gpuE2ELNS1_3repE0EEENS1_30default_config_static_selectorELNS0_4arch9wavefront6targetE1EEEvSK_
	.globl	_ZN7rocprim17ROCPRIM_400000_NS6detail17trampoline_kernelINS0_14default_configENS1_22reduce_config_selectorIxEEZNS1_11reduce_implILb1ES3_N6thrust23THRUST_200600_302600_NS6detail15normal_iteratorINS8_10device_ptrIxEEEEPiiNS8_4plusIiEEEE10hipError_tPvRmT1_T2_T3_mT4_P12ihipStream_tbEUlT_E0_NS1_11comp_targetILNS1_3genE8ELNS1_11target_archE1030ELNS1_3gpuE2ELNS1_3repE0EEENS1_30default_config_static_selectorELNS0_4arch9wavefront6targetE1EEEvSK_
	.p2align	8
	.type	_ZN7rocprim17ROCPRIM_400000_NS6detail17trampoline_kernelINS0_14default_configENS1_22reduce_config_selectorIxEEZNS1_11reduce_implILb1ES3_N6thrust23THRUST_200600_302600_NS6detail15normal_iteratorINS8_10device_ptrIxEEEEPiiNS8_4plusIiEEEE10hipError_tPvRmT1_T2_T3_mT4_P12ihipStream_tbEUlT_E0_NS1_11comp_targetILNS1_3genE8ELNS1_11target_archE1030ELNS1_3gpuE2ELNS1_3repE0EEENS1_30default_config_static_selectorELNS0_4arch9wavefront6targetE1EEEvSK_,@function
_ZN7rocprim17ROCPRIM_400000_NS6detail17trampoline_kernelINS0_14default_configENS1_22reduce_config_selectorIxEEZNS1_11reduce_implILb1ES3_N6thrust23THRUST_200600_302600_NS6detail15normal_iteratorINS8_10device_ptrIxEEEEPiiNS8_4plusIiEEEE10hipError_tPvRmT1_T2_T3_mT4_P12ihipStream_tbEUlT_E0_NS1_11comp_targetILNS1_3genE8ELNS1_11target_archE1030ELNS1_3gpuE2ELNS1_3repE0EEENS1_30default_config_static_selectorELNS0_4arch9wavefront6targetE1EEEvSK_: ; @_ZN7rocprim17ROCPRIM_400000_NS6detail17trampoline_kernelINS0_14default_configENS1_22reduce_config_selectorIxEEZNS1_11reduce_implILb1ES3_N6thrust23THRUST_200600_302600_NS6detail15normal_iteratorINS8_10device_ptrIxEEEEPiiNS8_4plusIiEEEE10hipError_tPvRmT1_T2_T3_mT4_P12ihipStream_tbEUlT_E0_NS1_11comp_targetILNS1_3genE8ELNS1_11target_archE1030ELNS1_3gpuE2ELNS1_3repE0EEENS1_30default_config_static_selectorELNS0_4arch9wavefront6targetE1EEEvSK_
; %bb.0:
	.section	.rodata,"a",@progbits
	.p2align	6, 0x0
	.amdhsa_kernel _ZN7rocprim17ROCPRIM_400000_NS6detail17trampoline_kernelINS0_14default_configENS1_22reduce_config_selectorIxEEZNS1_11reduce_implILb1ES3_N6thrust23THRUST_200600_302600_NS6detail15normal_iteratorINS8_10device_ptrIxEEEEPiiNS8_4plusIiEEEE10hipError_tPvRmT1_T2_T3_mT4_P12ihipStream_tbEUlT_E0_NS1_11comp_targetILNS1_3genE8ELNS1_11target_archE1030ELNS1_3gpuE2ELNS1_3repE0EEENS1_30default_config_static_selectorELNS0_4arch9wavefront6targetE1EEEvSK_
		.amdhsa_group_segment_fixed_size 0
		.amdhsa_private_segment_fixed_size 0
		.amdhsa_kernarg_size 56
		.amdhsa_user_sgpr_count 2
		.amdhsa_user_sgpr_dispatch_ptr 0
		.amdhsa_user_sgpr_queue_ptr 0
		.amdhsa_user_sgpr_kernarg_segment_ptr 1
		.amdhsa_user_sgpr_dispatch_id 0
		.amdhsa_user_sgpr_kernarg_preload_length 0
		.amdhsa_user_sgpr_kernarg_preload_offset 0
		.amdhsa_user_sgpr_private_segment_size 0
		.amdhsa_uses_dynamic_stack 0
		.amdhsa_enable_private_segment 0
		.amdhsa_system_sgpr_workgroup_id_x 1
		.amdhsa_system_sgpr_workgroup_id_y 0
		.amdhsa_system_sgpr_workgroup_id_z 0
		.amdhsa_system_sgpr_workgroup_info 0
		.amdhsa_system_vgpr_workitem_id 0
		.amdhsa_next_free_vgpr 1
		.amdhsa_next_free_sgpr 0
		.amdhsa_accum_offset 4
		.amdhsa_reserve_vcc 0
		.amdhsa_float_round_mode_32 0
		.amdhsa_float_round_mode_16_64 0
		.amdhsa_float_denorm_mode_32 3
		.amdhsa_float_denorm_mode_16_64 3
		.amdhsa_dx10_clamp 1
		.amdhsa_ieee_mode 1
		.amdhsa_fp16_overflow 0
		.amdhsa_tg_split 0
		.amdhsa_exception_fp_ieee_invalid_op 0
		.amdhsa_exception_fp_denorm_src 0
		.amdhsa_exception_fp_ieee_div_zero 0
		.amdhsa_exception_fp_ieee_overflow 0
		.amdhsa_exception_fp_ieee_underflow 0
		.amdhsa_exception_fp_ieee_inexact 0
		.amdhsa_exception_int_div_zero 0
	.end_amdhsa_kernel
	.section	.text._ZN7rocprim17ROCPRIM_400000_NS6detail17trampoline_kernelINS0_14default_configENS1_22reduce_config_selectorIxEEZNS1_11reduce_implILb1ES3_N6thrust23THRUST_200600_302600_NS6detail15normal_iteratorINS8_10device_ptrIxEEEEPiiNS8_4plusIiEEEE10hipError_tPvRmT1_T2_T3_mT4_P12ihipStream_tbEUlT_E0_NS1_11comp_targetILNS1_3genE8ELNS1_11target_archE1030ELNS1_3gpuE2ELNS1_3repE0EEENS1_30default_config_static_selectorELNS0_4arch9wavefront6targetE1EEEvSK_,"axG",@progbits,_ZN7rocprim17ROCPRIM_400000_NS6detail17trampoline_kernelINS0_14default_configENS1_22reduce_config_selectorIxEEZNS1_11reduce_implILb1ES3_N6thrust23THRUST_200600_302600_NS6detail15normal_iteratorINS8_10device_ptrIxEEEEPiiNS8_4plusIiEEEE10hipError_tPvRmT1_T2_T3_mT4_P12ihipStream_tbEUlT_E0_NS1_11comp_targetILNS1_3genE8ELNS1_11target_archE1030ELNS1_3gpuE2ELNS1_3repE0EEENS1_30default_config_static_selectorELNS0_4arch9wavefront6targetE1EEEvSK_,comdat
.Lfunc_end467:
	.size	_ZN7rocprim17ROCPRIM_400000_NS6detail17trampoline_kernelINS0_14default_configENS1_22reduce_config_selectorIxEEZNS1_11reduce_implILb1ES3_N6thrust23THRUST_200600_302600_NS6detail15normal_iteratorINS8_10device_ptrIxEEEEPiiNS8_4plusIiEEEE10hipError_tPvRmT1_T2_T3_mT4_P12ihipStream_tbEUlT_E0_NS1_11comp_targetILNS1_3genE8ELNS1_11target_archE1030ELNS1_3gpuE2ELNS1_3repE0EEENS1_30default_config_static_selectorELNS0_4arch9wavefront6targetE1EEEvSK_, .Lfunc_end467-_ZN7rocprim17ROCPRIM_400000_NS6detail17trampoline_kernelINS0_14default_configENS1_22reduce_config_selectorIxEEZNS1_11reduce_implILb1ES3_N6thrust23THRUST_200600_302600_NS6detail15normal_iteratorINS8_10device_ptrIxEEEEPiiNS8_4plusIiEEEE10hipError_tPvRmT1_T2_T3_mT4_P12ihipStream_tbEUlT_E0_NS1_11comp_targetILNS1_3genE8ELNS1_11target_archE1030ELNS1_3gpuE2ELNS1_3repE0EEENS1_30default_config_static_selectorELNS0_4arch9wavefront6targetE1EEEvSK_
                                        ; -- End function
	.set _ZN7rocprim17ROCPRIM_400000_NS6detail17trampoline_kernelINS0_14default_configENS1_22reduce_config_selectorIxEEZNS1_11reduce_implILb1ES3_N6thrust23THRUST_200600_302600_NS6detail15normal_iteratorINS8_10device_ptrIxEEEEPiiNS8_4plusIiEEEE10hipError_tPvRmT1_T2_T3_mT4_P12ihipStream_tbEUlT_E0_NS1_11comp_targetILNS1_3genE8ELNS1_11target_archE1030ELNS1_3gpuE2ELNS1_3repE0EEENS1_30default_config_static_selectorELNS0_4arch9wavefront6targetE1EEEvSK_.num_vgpr, 0
	.set _ZN7rocprim17ROCPRIM_400000_NS6detail17trampoline_kernelINS0_14default_configENS1_22reduce_config_selectorIxEEZNS1_11reduce_implILb1ES3_N6thrust23THRUST_200600_302600_NS6detail15normal_iteratorINS8_10device_ptrIxEEEEPiiNS8_4plusIiEEEE10hipError_tPvRmT1_T2_T3_mT4_P12ihipStream_tbEUlT_E0_NS1_11comp_targetILNS1_3genE8ELNS1_11target_archE1030ELNS1_3gpuE2ELNS1_3repE0EEENS1_30default_config_static_selectorELNS0_4arch9wavefront6targetE1EEEvSK_.num_agpr, 0
	.set _ZN7rocprim17ROCPRIM_400000_NS6detail17trampoline_kernelINS0_14default_configENS1_22reduce_config_selectorIxEEZNS1_11reduce_implILb1ES3_N6thrust23THRUST_200600_302600_NS6detail15normal_iteratorINS8_10device_ptrIxEEEEPiiNS8_4plusIiEEEE10hipError_tPvRmT1_T2_T3_mT4_P12ihipStream_tbEUlT_E0_NS1_11comp_targetILNS1_3genE8ELNS1_11target_archE1030ELNS1_3gpuE2ELNS1_3repE0EEENS1_30default_config_static_selectorELNS0_4arch9wavefront6targetE1EEEvSK_.numbered_sgpr, 0
	.set _ZN7rocprim17ROCPRIM_400000_NS6detail17trampoline_kernelINS0_14default_configENS1_22reduce_config_selectorIxEEZNS1_11reduce_implILb1ES3_N6thrust23THRUST_200600_302600_NS6detail15normal_iteratorINS8_10device_ptrIxEEEEPiiNS8_4plusIiEEEE10hipError_tPvRmT1_T2_T3_mT4_P12ihipStream_tbEUlT_E0_NS1_11comp_targetILNS1_3genE8ELNS1_11target_archE1030ELNS1_3gpuE2ELNS1_3repE0EEENS1_30default_config_static_selectorELNS0_4arch9wavefront6targetE1EEEvSK_.num_named_barrier, 0
	.set _ZN7rocprim17ROCPRIM_400000_NS6detail17trampoline_kernelINS0_14default_configENS1_22reduce_config_selectorIxEEZNS1_11reduce_implILb1ES3_N6thrust23THRUST_200600_302600_NS6detail15normal_iteratorINS8_10device_ptrIxEEEEPiiNS8_4plusIiEEEE10hipError_tPvRmT1_T2_T3_mT4_P12ihipStream_tbEUlT_E0_NS1_11comp_targetILNS1_3genE8ELNS1_11target_archE1030ELNS1_3gpuE2ELNS1_3repE0EEENS1_30default_config_static_selectorELNS0_4arch9wavefront6targetE1EEEvSK_.private_seg_size, 0
	.set _ZN7rocprim17ROCPRIM_400000_NS6detail17trampoline_kernelINS0_14default_configENS1_22reduce_config_selectorIxEEZNS1_11reduce_implILb1ES3_N6thrust23THRUST_200600_302600_NS6detail15normal_iteratorINS8_10device_ptrIxEEEEPiiNS8_4plusIiEEEE10hipError_tPvRmT1_T2_T3_mT4_P12ihipStream_tbEUlT_E0_NS1_11comp_targetILNS1_3genE8ELNS1_11target_archE1030ELNS1_3gpuE2ELNS1_3repE0EEENS1_30default_config_static_selectorELNS0_4arch9wavefront6targetE1EEEvSK_.uses_vcc, 0
	.set _ZN7rocprim17ROCPRIM_400000_NS6detail17trampoline_kernelINS0_14default_configENS1_22reduce_config_selectorIxEEZNS1_11reduce_implILb1ES3_N6thrust23THRUST_200600_302600_NS6detail15normal_iteratorINS8_10device_ptrIxEEEEPiiNS8_4plusIiEEEE10hipError_tPvRmT1_T2_T3_mT4_P12ihipStream_tbEUlT_E0_NS1_11comp_targetILNS1_3genE8ELNS1_11target_archE1030ELNS1_3gpuE2ELNS1_3repE0EEENS1_30default_config_static_selectorELNS0_4arch9wavefront6targetE1EEEvSK_.uses_flat_scratch, 0
	.set _ZN7rocprim17ROCPRIM_400000_NS6detail17trampoline_kernelINS0_14default_configENS1_22reduce_config_selectorIxEEZNS1_11reduce_implILb1ES3_N6thrust23THRUST_200600_302600_NS6detail15normal_iteratorINS8_10device_ptrIxEEEEPiiNS8_4plusIiEEEE10hipError_tPvRmT1_T2_T3_mT4_P12ihipStream_tbEUlT_E0_NS1_11comp_targetILNS1_3genE8ELNS1_11target_archE1030ELNS1_3gpuE2ELNS1_3repE0EEENS1_30default_config_static_selectorELNS0_4arch9wavefront6targetE1EEEvSK_.has_dyn_sized_stack, 0
	.set _ZN7rocprim17ROCPRIM_400000_NS6detail17trampoline_kernelINS0_14default_configENS1_22reduce_config_selectorIxEEZNS1_11reduce_implILb1ES3_N6thrust23THRUST_200600_302600_NS6detail15normal_iteratorINS8_10device_ptrIxEEEEPiiNS8_4plusIiEEEE10hipError_tPvRmT1_T2_T3_mT4_P12ihipStream_tbEUlT_E0_NS1_11comp_targetILNS1_3genE8ELNS1_11target_archE1030ELNS1_3gpuE2ELNS1_3repE0EEENS1_30default_config_static_selectorELNS0_4arch9wavefront6targetE1EEEvSK_.has_recursion, 0
	.set _ZN7rocprim17ROCPRIM_400000_NS6detail17trampoline_kernelINS0_14default_configENS1_22reduce_config_selectorIxEEZNS1_11reduce_implILb1ES3_N6thrust23THRUST_200600_302600_NS6detail15normal_iteratorINS8_10device_ptrIxEEEEPiiNS8_4plusIiEEEE10hipError_tPvRmT1_T2_T3_mT4_P12ihipStream_tbEUlT_E0_NS1_11comp_targetILNS1_3genE8ELNS1_11target_archE1030ELNS1_3gpuE2ELNS1_3repE0EEENS1_30default_config_static_selectorELNS0_4arch9wavefront6targetE1EEEvSK_.has_indirect_call, 0
	.section	.AMDGPU.csdata,"",@progbits
; Kernel info:
; codeLenInByte = 0
; TotalNumSgprs: 6
; NumVgprs: 0
; NumAgprs: 0
; TotalNumVgprs: 0
; ScratchSize: 0
; MemoryBound: 0
; FloatMode: 240
; IeeeMode: 1
; LDSByteSize: 0 bytes/workgroup (compile time only)
; SGPRBlocks: 0
; VGPRBlocks: 0
; NumSGPRsForWavesPerEU: 6
; NumVGPRsForWavesPerEU: 1
; AccumOffset: 4
; Occupancy: 8
; WaveLimiterHint : 0
; COMPUTE_PGM_RSRC2:SCRATCH_EN: 0
; COMPUTE_PGM_RSRC2:USER_SGPR: 2
; COMPUTE_PGM_RSRC2:TRAP_HANDLER: 0
; COMPUTE_PGM_RSRC2:TGID_X_EN: 1
; COMPUTE_PGM_RSRC2:TGID_Y_EN: 0
; COMPUTE_PGM_RSRC2:TGID_Z_EN: 0
; COMPUTE_PGM_RSRC2:TIDIG_COMP_CNT: 0
; COMPUTE_PGM_RSRC3_GFX90A:ACCUM_OFFSET: 0
; COMPUTE_PGM_RSRC3_GFX90A:TG_SPLIT: 0
	.section	.text._ZN7rocprim17ROCPRIM_400000_NS6detail17trampoline_kernelINS0_14default_configENS1_22reduce_config_selectorIxEEZNS1_11reduce_implILb1ES3_N6thrust23THRUST_200600_302600_NS6detail15normal_iteratorINS8_10device_ptrIxEEEEPiiNS8_4plusIiEEEE10hipError_tPvRmT1_T2_T3_mT4_P12ihipStream_tbEUlT_E1_NS1_11comp_targetILNS1_3genE0ELNS1_11target_archE4294967295ELNS1_3gpuE0ELNS1_3repE0EEENS1_30default_config_static_selectorELNS0_4arch9wavefront6targetE1EEEvSK_,"axG",@progbits,_ZN7rocprim17ROCPRIM_400000_NS6detail17trampoline_kernelINS0_14default_configENS1_22reduce_config_selectorIxEEZNS1_11reduce_implILb1ES3_N6thrust23THRUST_200600_302600_NS6detail15normal_iteratorINS8_10device_ptrIxEEEEPiiNS8_4plusIiEEEE10hipError_tPvRmT1_T2_T3_mT4_P12ihipStream_tbEUlT_E1_NS1_11comp_targetILNS1_3genE0ELNS1_11target_archE4294967295ELNS1_3gpuE0ELNS1_3repE0EEENS1_30default_config_static_selectorELNS0_4arch9wavefront6targetE1EEEvSK_,comdat
	.protected	_ZN7rocprim17ROCPRIM_400000_NS6detail17trampoline_kernelINS0_14default_configENS1_22reduce_config_selectorIxEEZNS1_11reduce_implILb1ES3_N6thrust23THRUST_200600_302600_NS6detail15normal_iteratorINS8_10device_ptrIxEEEEPiiNS8_4plusIiEEEE10hipError_tPvRmT1_T2_T3_mT4_P12ihipStream_tbEUlT_E1_NS1_11comp_targetILNS1_3genE0ELNS1_11target_archE4294967295ELNS1_3gpuE0ELNS1_3repE0EEENS1_30default_config_static_selectorELNS0_4arch9wavefront6targetE1EEEvSK_ ; -- Begin function _ZN7rocprim17ROCPRIM_400000_NS6detail17trampoline_kernelINS0_14default_configENS1_22reduce_config_selectorIxEEZNS1_11reduce_implILb1ES3_N6thrust23THRUST_200600_302600_NS6detail15normal_iteratorINS8_10device_ptrIxEEEEPiiNS8_4plusIiEEEE10hipError_tPvRmT1_T2_T3_mT4_P12ihipStream_tbEUlT_E1_NS1_11comp_targetILNS1_3genE0ELNS1_11target_archE4294967295ELNS1_3gpuE0ELNS1_3repE0EEENS1_30default_config_static_selectorELNS0_4arch9wavefront6targetE1EEEvSK_
	.globl	_ZN7rocprim17ROCPRIM_400000_NS6detail17trampoline_kernelINS0_14default_configENS1_22reduce_config_selectorIxEEZNS1_11reduce_implILb1ES3_N6thrust23THRUST_200600_302600_NS6detail15normal_iteratorINS8_10device_ptrIxEEEEPiiNS8_4plusIiEEEE10hipError_tPvRmT1_T2_T3_mT4_P12ihipStream_tbEUlT_E1_NS1_11comp_targetILNS1_3genE0ELNS1_11target_archE4294967295ELNS1_3gpuE0ELNS1_3repE0EEENS1_30default_config_static_selectorELNS0_4arch9wavefront6targetE1EEEvSK_
	.p2align	8
	.type	_ZN7rocprim17ROCPRIM_400000_NS6detail17trampoline_kernelINS0_14default_configENS1_22reduce_config_selectorIxEEZNS1_11reduce_implILb1ES3_N6thrust23THRUST_200600_302600_NS6detail15normal_iteratorINS8_10device_ptrIxEEEEPiiNS8_4plusIiEEEE10hipError_tPvRmT1_T2_T3_mT4_P12ihipStream_tbEUlT_E1_NS1_11comp_targetILNS1_3genE0ELNS1_11target_archE4294967295ELNS1_3gpuE0ELNS1_3repE0EEENS1_30default_config_static_selectorELNS0_4arch9wavefront6targetE1EEEvSK_,@function
_ZN7rocprim17ROCPRIM_400000_NS6detail17trampoline_kernelINS0_14default_configENS1_22reduce_config_selectorIxEEZNS1_11reduce_implILb1ES3_N6thrust23THRUST_200600_302600_NS6detail15normal_iteratorINS8_10device_ptrIxEEEEPiiNS8_4plusIiEEEE10hipError_tPvRmT1_T2_T3_mT4_P12ihipStream_tbEUlT_E1_NS1_11comp_targetILNS1_3genE0ELNS1_11target_archE4294967295ELNS1_3gpuE0ELNS1_3repE0EEENS1_30default_config_static_selectorELNS0_4arch9wavefront6targetE1EEEvSK_: ; @_ZN7rocprim17ROCPRIM_400000_NS6detail17trampoline_kernelINS0_14default_configENS1_22reduce_config_selectorIxEEZNS1_11reduce_implILb1ES3_N6thrust23THRUST_200600_302600_NS6detail15normal_iteratorINS8_10device_ptrIxEEEEPiiNS8_4plusIiEEEE10hipError_tPvRmT1_T2_T3_mT4_P12ihipStream_tbEUlT_E1_NS1_11comp_targetILNS1_3genE0ELNS1_11target_archE4294967295ELNS1_3gpuE0ELNS1_3repE0EEENS1_30default_config_static_selectorELNS0_4arch9wavefront6targetE1EEEvSK_
; %bb.0:
	s_load_dword s33, s[0:1], 0x4
	s_load_dwordx4 s[36:39], s[0:1], 0x8
	s_waitcnt lgkmcnt(0)
	s_cmp_lt_i32 s33, 4
	s_cbranch_scc1 .LBB468_11
; %bb.1:
	s_cmp_gt_i32 s33, 7
	s_cbranch_scc0 .LBB468_12
; %bb.2:
	s_cmp_gt_i32 s33, 15
	s_cbranch_scc0 .LBB468_13
; %bb.3:
	s_cmp_eq_u32 s33, 16
	s_mov_b64 s[34:35], 0
	s_cbranch_scc0 .LBB468_14
; %bb.4:
	s_mov_b32 s3, 0
	s_lshl_b32 s4, s2, 12
	s_mov_b32 s5, s3
	s_lshr_b64 s[6:7], s[38:39], 12
	s_lshl_b64 s[8:9], s[4:5], 3
	s_add_u32 s40, s36, s8
	s_addc_u32 s41, s37, s9
	s_cmp_lg_u64 s[6:7], s[2:3]
	s_cbranch_scc0 .LBB468_23
; %bb.5:
	v_lshlrev_b32_e32 v2, 3, v0
	v_mov_b32_e32 v3, 0
	v_lshl_add_u64 v[4:5], s[40:41], 0, v[2:3]
	global_load_dword v1, v2, s[40:41]
	global_load_dword v12, v2, s[40:41] offset:2048
	v_add_co_u32_e32 v2, vcc, 0x1000, v4
	s_waitcnt vmcnt(0)
	v_add_u32_e32 v1, v12, v1
	v_addc_co_u32_e32 v3, vcc, 0, v5, vcc
	v_add_co_u32_e32 v6, vcc, 0x2000, v4
	s_nop 1
	v_addc_co_u32_e32 v7, vcc, 0, v5, vcc
	v_add_co_u32_e32 v8, vcc, 0x3000, v4
	s_nop 1
	;; [unrolled: 3-line block ×3, first 2 shown]
	v_addc_co_u32_e32 v11, vcc, 0, v5, vcc
	global_load_dword v13, v[2:3], off
	global_load_dword v14, v[2:3], off offset:2048
	global_load_dword v15, v[6:7], off
	global_load_dword v16, v[6:7], off offset:2048
	;; [unrolled: 2-line block ×4, first 2 shown]
	v_add_co_u32_e32 v2, vcc, 0x5000, v4
	s_waitcnt vmcnt(6)
	v_add3_u32 v1, v1, v13, v14
	v_addc_co_u32_e32 v3, vcc, 0, v5, vcc
	v_add_co_u32_e32 v6, vcc, 0x6000, v4
	s_waitcnt vmcnt(4)
	v_add3_u32 v1, v1, v15, v16
	v_addc_co_u32_e32 v7, vcc, 0, v5, vcc
	;; [unrolled: 4-line block ×3, first 2 shown]
	global_load_dword v8, v[2:3], off
	global_load_dword v9, v[2:3], off offset:2048
	global_load_dword v10, v[6:7], off
	global_load_dword v11, v[6:7], off offset:2048
	;; [unrolled: 2-line block ×3, first 2 shown]
	s_waitcnt vmcnt(6)
	v_add3_u32 v1, v1, v19, v20
	v_mbcnt_lo_u32_b32 v2, -1, 0
	v_mbcnt_hi_u32_b32 v2, -1, v2
	v_lshlrev_b32_e32 v3, 2, v2
	v_or_b32_e32 v4, 0xfc, v3
	v_cmp_eq_u32_e32 vcc, 0, v2
	s_waitcnt vmcnt(4)
	v_add3_u32 v1, v1, v8, v9
	s_waitcnt vmcnt(2)
	v_add3_u32 v1, v1, v10, v11
	;; [unrolled: 2-line block ×3, first 2 shown]
	s_nop 1
	v_add_u32_dpp v1, v1, v1 quad_perm:[1,0,3,2] row_mask:0xf bank_mask:0xf bound_ctrl:1
	s_nop 1
	v_add_u32_dpp v1, v1, v1 quad_perm:[2,3,0,1] row_mask:0xf bank_mask:0xf bound_ctrl:1
	s_nop 1
	v_add_u32_dpp v1, v1, v1 row_ror:4 row_mask:0xf bank_mask:0xf bound_ctrl:1
	s_nop 1
	v_add_u32_dpp v1, v1, v1 row_ror:8 row_mask:0xf bank_mask:0xf bound_ctrl:1
	s_nop 1
	v_add_u32_dpp v1, v1, v1 row_bcast:15 row_mask:0xf bank_mask:0xf bound_ctrl:1
	s_nop 1
	v_add_u32_dpp v1, v1, v1 row_bcast:31 row_mask:0xf bank_mask:0xf bound_ctrl:1
	ds_bpermute_b32 v1, v4, v1
	s_and_saveexec_b64 s[6:7], vcc
	s_cbranch_execz .LBB468_7
; %bb.6:
	v_lshrrev_b32_e32 v4, 4, v0
	v_and_b32_e32 v4, 12, v4
	s_waitcnt lgkmcnt(0)
	ds_write_b32 v4, v1
.LBB468_7:
	s_or_b64 exec, exec, s[6:7]
	v_cmp_gt_u32_e32 vcc, 64, v0
	s_waitcnt lgkmcnt(0)
	s_barrier
	s_and_saveexec_b64 s[6:7], vcc
	s_cbranch_execz .LBB468_9
; %bb.8:
	v_and_b32_e32 v1, 3, v2
	v_lshlrev_b32_e32 v4, 2, v1
	ds_read_b32 v4, v4
	v_cmp_ne_u32_e32 vcc, 3, v1
	s_nop 1
	v_addc_co_u32_e32 v1, vcc, 0, v2, vcc
	v_lshlrev_b32_e32 v1, 2, v1
	s_waitcnt lgkmcnt(0)
	ds_bpermute_b32 v1, v1, v4
	v_or_b32_e32 v2, 8, v3
	s_waitcnt lgkmcnt(0)
	v_add_u32_e32 v1, v1, v4
	ds_bpermute_b32 v2, v2, v1
	s_waitcnt lgkmcnt(0)
	v_add_u32_e32 v1, v2, v1
.LBB468_9:
	s_or_b64 exec, exec, s[6:7]
.LBB468_10:
	v_cmp_eq_u32_e64 s[4:5], 0, v0
	s_and_b64 vcc, exec, s[34:35]
	s_cbranch_vccnz .LBB468_15
	s_branch .LBB468_61
.LBB468_11:
	s_mov_b64 s[4:5], 0
                                        ; implicit-def: $vgpr1
	s_cbranch_execnz .LBB468_110
	s_branch .LBB468_140
.LBB468_12:
	s_mov_b64 s[4:5], 0
                                        ; implicit-def: $vgpr1
	s_cbranch_execnz .LBB468_86
	s_branch .LBB468_94
.LBB468_13:
	s_mov_b64 s[34:35], -1
.LBB468_14:
	s_mov_b64 s[4:5], 0
                                        ; implicit-def: $vgpr1
	s_and_b64 vcc, exec, s[34:35]
	s_cbranch_vccz .LBB468_61
.LBB468_15:
	s_cmp_eq_u32 s33, 8
	s_cbranch_scc0 .LBB468_22
; %bb.16:
	s_mov_b32 s3, 0
	s_lshl_b32 s4, s2, 11
	s_mov_b32 s5, s3
	s_lshr_b64 s[6:7], s[38:39], 11
	s_lshl_b64 s[8:9], s[4:5], 3
	s_add_u32 s16, s36, s8
	s_addc_u32 s17, s37, s9
	s_cmp_lg_u64 s[6:7], s[2:3]
	s_cbranch_scc0 .LBB468_62
; %bb.17:
	v_lshlrev_b32_e32 v2, 3, v0
	v_mov_b32_e32 v3, 0
	v_lshl_add_u64 v[4:5], s[16:17], 0, v[2:3]
	v_add_co_u32_e32 v6, vcc, 0x1000, v4
	s_nop 1
	v_addc_co_u32_e32 v7, vcc, 0, v5, vcc
	v_add_co_u32_e32 v8, vcc, 0x2000, v4
	s_nop 1
	v_addc_co_u32_e32 v9, vcc, 0, v5, vcc
	;; [unrolled: 3-line block ×3, first 2 shown]
	global_load_dword v1, v2, s[16:17]
	global_load_dword v10, v2, s[16:17] offset:2048
	global_load_dword v11, v[6:7], off
	global_load_dword v12, v[6:7], off offset:2048
	global_load_dword v13, v[8:9], off
	global_load_dword v14, v[8:9], off offset:2048
	;; [unrolled: 2-line block ×3, first 2 shown]
	v_mbcnt_lo_u32_b32 v2, -1, 0
	v_mbcnt_hi_u32_b32 v2, -1, v2
	v_lshlrev_b32_e32 v3, 2, v2
	v_or_b32_e32 v4, 0xfc, v3
	v_cmp_eq_u32_e32 vcc, 0, v2
	s_waitcnt vmcnt(6)
	v_add_u32_e32 v1, v10, v1
	s_waitcnt vmcnt(4)
	v_add3_u32 v1, v1, v11, v12
	s_waitcnt vmcnt(2)
	v_add3_u32 v1, v1, v13, v14
	;; [unrolled: 2-line block ×3, first 2 shown]
	s_nop 1
	v_add_u32_dpp v1, v1, v1 quad_perm:[1,0,3,2] row_mask:0xf bank_mask:0xf bound_ctrl:1
	s_nop 1
	v_add_u32_dpp v1, v1, v1 quad_perm:[2,3,0,1] row_mask:0xf bank_mask:0xf bound_ctrl:1
	s_nop 1
	v_add_u32_dpp v1, v1, v1 row_ror:4 row_mask:0xf bank_mask:0xf bound_ctrl:1
	s_nop 1
	v_add_u32_dpp v1, v1, v1 row_ror:8 row_mask:0xf bank_mask:0xf bound_ctrl:1
	s_nop 1
	v_add_u32_dpp v1, v1, v1 row_bcast:15 row_mask:0xf bank_mask:0xf bound_ctrl:1
	s_nop 1
	v_add_u32_dpp v1, v1, v1 row_bcast:31 row_mask:0xf bank_mask:0xf bound_ctrl:1
	ds_bpermute_b32 v1, v4, v1
	s_and_saveexec_b64 s[6:7], vcc
	s_cbranch_execz .LBB468_19
; %bb.18:
	v_lshrrev_b32_e32 v4, 4, v0
	v_and_b32_e32 v4, 12, v4
	s_waitcnt lgkmcnt(0)
	ds_write_b32 v4, v1 offset:64
.LBB468_19:
	s_or_b64 exec, exec, s[6:7]
	v_cmp_gt_u32_e32 vcc, 64, v0
	s_waitcnt lgkmcnt(0)
	s_barrier
	s_and_saveexec_b64 s[6:7], vcc
	s_cbranch_execz .LBB468_21
; %bb.20:
	v_and_b32_e32 v1, 3, v2
	v_lshlrev_b32_e32 v4, 2, v1
	ds_read_b32 v4, v4 offset:64
	v_cmp_ne_u32_e32 vcc, 3, v1
	s_nop 1
	v_addc_co_u32_e32 v1, vcc, 0, v2, vcc
	v_lshlrev_b32_e32 v1, 2, v1
	s_waitcnt lgkmcnt(0)
	ds_bpermute_b32 v1, v1, v4
	v_or_b32_e32 v2, 8, v3
	s_waitcnt lgkmcnt(0)
	v_add_u32_e32 v1, v1, v4
	ds_bpermute_b32 v2, v2, v1
	s_waitcnt lgkmcnt(0)
	v_add_u32_e32 v1, v2, v1
.LBB468_21:
	s_or_b64 exec, exec, s[6:7]
	s_mov_b64 s[6:7], 0
	s_branch .LBB468_63
.LBB468_22:
                                        ; implicit-def: $vgpr1
	s_branch .LBB468_94
.LBB468_23:
                                        ; implicit-def: $vgpr1
	s_cbranch_execz .LBB468_10
; %bb.24:
	s_sub_i32 s44, s38, s4
	v_mov_b32_e32 v2, 0
	v_cmp_gt_u32_e32 vcc, s44, v0
	v_mov_b32_e32 v3, v2
	v_mov_b32_e32 v4, v2
	;; [unrolled: 1-line block ×15, first 2 shown]
	s_and_saveexec_b64 s[4:5], vcc
	s_cbranch_execz .LBB468_26
; %bb.25:
	v_lshlrev_b32_e32 v1, 3, v0
	global_load_dword v4, v1, s[40:41]
	v_mov_b32_e32 v5, v2
	v_mov_b32_e32 v6, v2
	;; [unrolled: 1-line block ×15, first 2 shown]
	s_waitcnt vmcnt(0)
	v_mov_b64_e32 v[2:3], v[4:5]
	v_mov_b64_e32 v[4:5], v[6:7]
	;; [unrolled: 1-line block ×8, first 2 shown]
.LBB468_26:
	s_or_b64 exec, exec, s[4:5]
	v_or_b32_e32 v1, 0x100, v0
	v_cmp_gt_u32_e32 vcc, s44, v1
	s_and_saveexec_b64 s[4:5], vcc
	s_cbranch_execz .LBB468_28
; %bb.27:
	v_lshlrev_b32_e32 v1, 3, v0
	global_load_dword v3, v1, s[40:41] offset:2048
.LBB468_28:
	s_or_b64 exec, exec, s[4:5]
	v_or_b32_e32 v1, 0x200, v0
	v_cmp_gt_u32_e64 s[4:5], s44, v1
	s_and_saveexec_b64 s[6:7], s[4:5]
	s_cbranch_execz .LBB468_30
; %bb.29:
	v_lshlrev_b32_e32 v1, 3, v1
	global_load_dword v4, v1, s[40:41]
.LBB468_30:
	s_or_b64 exec, exec, s[6:7]
	v_or_b32_e32 v1, 0x300, v0
	v_cmp_gt_u32_e64 s[6:7], s44, v1
	s_and_saveexec_b64 s[8:9], s[6:7]
	s_cbranch_execz .LBB468_32
; %bb.31:
	v_lshlrev_b32_e32 v1, 3, v1
	global_load_dword v5, v1, s[40:41]
.LBB468_32:
	;; [unrolled: 9-line block ×14, first 2 shown]
	s_or_b64 exec, exec, s[42:43]
	s_waitcnt vmcnt(0)
	v_cndmask_b32_e32 v1, 0, v3, vcc
	v_add_u32_e32 v1, v1, v2
	v_cndmask_b32_e64 v2, 0, v4, s[4:5]
	v_cndmask_b32_e64 v3, 0, v5, s[6:7]
	v_add3_u32 v1, v1, v2, v3
	v_cndmask_b32_e64 v2, 0, v6, s[8:9]
	v_cndmask_b32_e64 v3, 0, v7, s[10:11]
	v_add3_u32 v1, v1, v2, v3
	;; [unrolled: 3-line block ×7, first 2 shown]
	v_mbcnt_lo_u32_b32 v2, -1, 0
	v_mbcnt_hi_u32_b32 v2, -1, v2
	v_and_b32_e32 v4, 63, v2
	v_cmp_ne_u32_e32 vcc, 63, v4
	s_min_u32 s6, s44, 0x100
	v_and_b32_e32 v5, 0xc0, v0
	v_addc_co_u32_e32 v3, vcc, 0, v2, vcc
	v_lshlrev_b32_e32 v3, 2, v3
	ds_bpermute_b32 v3, v3, v1
	v_sub_u32_e64 v5, s6, v5 clamp
	v_add_u32_e32 v6, 1, v4
	v_cmp_lt_u32_e32 vcc, v6, v5
	v_add_u32_e32 v6, 2, v4
	s_waitcnt lgkmcnt(0)
	v_cndmask_b32_e32 v3, 0, v3, vcc
	v_cmp_gt_u32_e32 vcc, 62, v4
	v_add_u32_e32 v1, v1, v3
	s_nop 0
	v_cndmask_b32_e64 v3, 0, 2, vcc
	v_add_lshl_u32 v3, v3, v2, 2
	ds_bpermute_b32 v3, v3, v1
	v_cmp_lt_u32_e32 vcc, v6, v5
	v_add_u32_e32 v6, 4, v4
	s_waitcnt lgkmcnt(0)
	v_cndmask_b32_e32 v3, 0, v3, vcc
	v_cmp_gt_u32_e32 vcc, 60, v4
	v_add_u32_e32 v1, v1, v3
	s_nop 0
	v_cndmask_b32_e64 v3, 0, 4, vcc
	v_add_lshl_u32 v3, v3, v2, 2
	ds_bpermute_b32 v3, v3, v1
	;; [unrolled: 10-line block ×3, first 2 shown]
	v_cmp_lt_u32_e32 vcc, v6, v5
	v_add_u32_e32 v6, 16, v4
	s_waitcnt lgkmcnt(0)
	v_cndmask_b32_e32 v3, 0, v3, vcc
	v_cmp_gt_u32_e32 vcc, 48, v4
	v_add_u32_e32 v1, v1, v3
	v_add_u32_e32 v4, 32, v4
	v_cndmask_b32_e64 v3, 0, 16, vcc
	v_add_lshl_u32 v3, v3, v2, 2
	ds_bpermute_b32 v3, v3, v1
	v_cmp_lt_u32_e32 vcc, v6, v5
	s_waitcnt lgkmcnt(0)
	s_nop 0
	v_cndmask_b32_e32 v3, 0, v3, vcc
	v_add_u32_e32 v1, v1, v3
	v_lshlrev_b32_e32 v3, 2, v2
	v_or_b32_e32 v6, 0x80, v3
	ds_bpermute_b32 v6, v6, v1
	v_cmp_lt_u32_e32 vcc, v4, v5
	s_waitcnt lgkmcnt(0)
	s_nop 0
	v_cndmask_b32_e32 v4, 0, v6, vcc
	v_add_u32_e32 v1, v1, v4
	v_cmp_eq_u32_e32 vcc, 0, v2
	s_and_saveexec_b64 s[4:5], vcc
; %bb.57:
	v_lshrrev_b32_e32 v4, 4, v0
	v_and_b32_e32 v4, 12, v4
	ds_write_b32 v4, v1 offset:80
; %bb.58:
	s_or_b64 exec, exec, s[4:5]
	v_cmp_gt_u32_e32 vcc, 4, v0
	s_waitcnt lgkmcnt(0)
	s_barrier
	s_and_saveexec_b64 s[4:5], vcc
	s_cbranch_execz .LBB468_60
; %bb.59:
	ds_read_b32 v1, v3 offset:80
	v_and_b32_e32 v4, 3, v2
	v_cmp_ne_u32_e32 vcc, 3, v4
	s_add_i32 s6, s6, 63
	s_lshr_b32 s6, s6, 6
	v_addc_co_u32_e32 v2, vcc, 0, v2, vcc
	v_lshlrev_b32_e32 v2, 2, v2
	s_waitcnt lgkmcnt(0)
	ds_bpermute_b32 v2, v2, v1
	v_add_u32_e32 v5, 1, v4
	v_cmp_gt_u32_e32 vcc, s6, v5
	s_waitcnt lgkmcnt(0)
	s_nop 0
	v_cndmask_b32_e32 v2, 0, v2, vcc
	v_add_u32_e32 v1, v2, v1
	v_or_b32_e32 v2, 8, v3
	ds_bpermute_b32 v2, v2, v1
	v_add_u32_e32 v3, 2, v4
	v_cmp_gt_u32_e32 vcc, s6, v3
	s_waitcnt lgkmcnt(0)
	s_nop 0
	v_cndmask_b32_e32 v2, 0, v2, vcc
	v_add_u32_e32 v1, v1, v2
.LBB468_60:
	s_or_b64 exec, exec, s[4:5]
	v_cmp_eq_u32_e64 s[4:5], 0, v0
	s_and_b64 vcc, exec, s[34:35]
	s_cbranch_vccnz .LBB468_15
.LBB468_61:
	s_branch .LBB468_94
.LBB468_62:
	s_mov_b64 s[6:7], -1
                                        ; implicit-def: $vgpr1
.LBB468_63:
	s_and_b64 vcc, exec, s[6:7]
	s_cbranch_vccz .LBB468_85
; %bb.64:
	s_sub_i32 s20, s38, s4
	v_mov_b32_e32 v2, 0
	v_cmp_gt_u32_e32 vcc, s20, v0
	v_mov_b32_e32 v3, v2
	v_mov_b32_e32 v4, v2
	;; [unrolled: 1-line block ×7, first 2 shown]
	s_and_saveexec_b64 s[4:5], vcc
	s_cbranch_execz .LBB468_66
; %bb.65:
	v_lshlrev_b32_e32 v1, 3, v0
	global_load_dword v4, v1, s[16:17]
	v_mov_b32_e32 v5, v2
	v_mov_b32_e32 v6, v2
	v_mov_b32_e32 v7, v2
	v_mov_b32_e32 v8, v2
	v_mov_b32_e32 v9, v2
	v_mov_b32_e32 v10, v2
	v_mov_b32_e32 v11, v2
	s_waitcnt vmcnt(0)
	v_mov_b64_e32 v[2:3], v[4:5]
	v_mov_b64_e32 v[4:5], v[6:7]
	;; [unrolled: 1-line block ×4, first 2 shown]
.LBB468_66:
	s_or_b64 exec, exec, s[4:5]
	v_or_b32_e32 v1, 0x100, v0
	v_cmp_gt_u32_e32 vcc, s20, v1
	s_and_saveexec_b64 s[4:5], vcc
	s_cbranch_execz .LBB468_68
; %bb.67:
	v_lshlrev_b32_e32 v1, 3, v0
	global_load_dword v3, v1, s[16:17] offset:2048
.LBB468_68:
	s_or_b64 exec, exec, s[4:5]
	v_or_b32_e32 v1, 0x200, v0
	v_cmp_gt_u32_e64 s[4:5], s20, v1
	s_and_saveexec_b64 s[6:7], s[4:5]
	s_cbranch_execz .LBB468_70
; %bb.69:
	v_lshlrev_b32_e32 v1, 3, v1
	global_load_dword v4, v1, s[16:17]
.LBB468_70:
	s_or_b64 exec, exec, s[6:7]
	v_or_b32_e32 v1, 0x300, v0
	v_cmp_gt_u32_e64 s[6:7], s20, v1
	s_and_saveexec_b64 s[8:9], s[6:7]
	s_cbranch_execz .LBB468_72
; %bb.71:
	v_lshlrev_b32_e32 v1, 3, v1
	global_load_dword v5, v1, s[16:17]
.LBB468_72:
	;; [unrolled: 9-line block ×6, first 2 shown]
	s_or_b64 exec, exec, s[18:19]
	s_waitcnt vmcnt(0)
	v_cndmask_b32_e32 v1, 0, v3, vcc
	v_add_u32_e32 v1, v1, v2
	v_cndmask_b32_e64 v2, 0, v4, s[4:5]
	v_cndmask_b32_e64 v3, 0, v5, s[6:7]
	v_add3_u32 v1, v1, v2, v3
	v_cndmask_b32_e64 v2, 0, v6, s[8:9]
	v_cndmask_b32_e64 v3, 0, v7, s[10:11]
	v_add3_u32 v1, v1, v2, v3
	v_cndmask_b32_e64 v2, 0, v8, s[12:13]
	v_cndmask_b32_e64 v3, 0, v9, s[14:15]
	v_add3_u32 v1, v1, v2, v3
	v_mbcnt_lo_u32_b32 v2, -1, 0
	v_mbcnt_hi_u32_b32 v2, -1, v2
	v_and_b32_e32 v4, 63, v2
	v_cmp_ne_u32_e32 vcc, 63, v4
	s_min_u32 s6, s20, 0x100
	v_and_b32_e32 v5, 0xc0, v0
	v_addc_co_u32_e32 v3, vcc, 0, v2, vcc
	v_lshlrev_b32_e32 v3, 2, v3
	ds_bpermute_b32 v3, v3, v1
	v_sub_u32_e64 v5, s6, v5 clamp
	v_add_u32_e32 v6, 1, v4
	v_cmp_lt_u32_e32 vcc, v6, v5
	v_add_u32_e32 v6, 2, v4
	s_waitcnt lgkmcnt(0)
	v_cndmask_b32_e32 v3, 0, v3, vcc
	v_cmp_gt_u32_e32 vcc, 62, v4
	v_add_u32_e32 v1, v1, v3
	s_nop 0
	v_cndmask_b32_e64 v3, 0, 2, vcc
	v_add_lshl_u32 v3, v3, v2, 2
	ds_bpermute_b32 v3, v3, v1
	v_cmp_lt_u32_e32 vcc, v6, v5
	v_add_u32_e32 v6, 4, v4
	s_waitcnt lgkmcnt(0)
	v_cndmask_b32_e32 v3, 0, v3, vcc
	v_cmp_gt_u32_e32 vcc, 60, v4
	v_add_u32_e32 v1, v1, v3
	s_nop 0
	v_cndmask_b32_e64 v3, 0, 4, vcc
	v_add_lshl_u32 v3, v3, v2, 2
	ds_bpermute_b32 v3, v3, v1
	;; [unrolled: 10-line block ×3, first 2 shown]
	v_cmp_lt_u32_e32 vcc, v6, v5
	v_add_u32_e32 v6, 16, v4
	s_waitcnt lgkmcnt(0)
	v_cndmask_b32_e32 v3, 0, v3, vcc
	v_cmp_gt_u32_e32 vcc, 48, v4
	v_add_u32_e32 v1, v1, v3
	v_add_u32_e32 v4, 32, v4
	v_cndmask_b32_e64 v3, 0, 16, vcc
	v_add_lshl_u32 v3, v3, v2, 2
	ds_bpermute_b32 v3, v3, v1
	v_cmp_lt_u32_e32 vcc, v6, v5
	s_waitcnt lgkmcnt(0)
	s_nop 0
	v_cndmask_b32_e32 v3, 0, v3, vcc
	v_add_u32_e32 v1, v1, v3
	v_lshlrev_b32_e32 v3, 2, v2
	v_or_b32_e32 v6, 0x80, v3
	ds_bpermute_b32 v6, v6, v1
	v_cmp_lt_u32_e32 vcc, v4, v5
	s_waitcnt lgkmcnt(0)
	s_nop 0
	v_cndmask_b32_e32 v4, 0, v6, vcc
	v_add_u32_e32 v1, v1, v4
	v_cmp_eq_u32_e32 vcc, 0, v2
	s_and_saveexec_b64 s[4:5], vcc
; %bb.81:
	v_lshrrev_b32_e32 v4, 4, v0
	v_and_b32_e32 v4, 12, v4
	ds_write_b32 v4, v1 offset:80
; %bb.82:
	s_or_b64 exec, exec, s[4:5]
	v_cmp_gt_u32_e32 vcc, 4, v0
	s_waitcnt lgkmcnt(0)
	s_barrier
	s_and_saveexec_b64 s[4:5], vcc
	s_cbranch_execz .LBB468_84
; %bb.83:
	ds_read_b32 v1, v3 offset:80
	v_and_b32_e32 v4, 3, v2
	v_cmp_ne_u32_e32 vcc, 3, v4
	s_add_i32 s6, s6, 63
	s_lshr_b32 s6, s6, 6
	v_addc_co_u32_e32 v2, vcc, 0, v2, vcc
	v_lshlrev_b32_e32 v2, 2, v2
	s_waitcnt lgkmcnt(0)
	ds_bpermute_b32 v2, v2, v1
	v_add_u32_e32 v5, 1, v4
	v_cmp_gt_u32_e32 vcc, s6, v5
	s_waitcnt lgkmcnt(0)
	s_nop 0
	v_cndmask_b32_e32 v2, 0, v2, vcc
	v_add_u32_e32 v1, v2, v1
	v_or_b32_e32 v2, 8, v3
	ds_bpermute_b32 v2, v2, v1
	v_add_u32_e32 v3, 2, v4
	v_cmp_gt_u32_e32 vcc, s6, v3
	s_waitcnt lgkmcnt(0)
	s_nop 0
	v_cndmask_b32_e32 v2, 0, v2, vcc
	v_add_u32_e32 v1, v1, v2
.LBB468_84:
	s_or_b64 exec, exec, s[4:5]
.LBB468_85:
	v_cmp_eq_u32_e64 s[4:5], 0, v0
	s_branch .LBB468_94
.LBB468_86:
	s_cmp_eq_u32 s33, 4
	s_cbranch_scc0 .LBB468_93
; %bb.87:
	s_mov_b32 s3, 0
	s_lshl_b32 s4, s2, 10
	s_mov_b32 s5, s3
	s_lshr_b64 s[6:7], s[38:39], 10
	s_lshl_b64 s[8:9], s[4:5], 3
	s_add_u32 s8, s36, s8
	s_addc_u32 s9, s37, s9
	s_cmp_lg_u64 s[6:7], s[2:3]
	s_cbranch_scc0 .LBB468_95
; %bb.88:
	v_lshlrev_b32_e32 v2, 3, v0
	v_mov_b32_e32 v3, 0
	v_lshl_add_u64 v[4:5], s[8:9], 0, v[2:3]
	v_add_co_u32_e32 v4, vcc, 0x1000, v4
	s_nop 1
	v_addc_co_u32_e32 v5, vcc, 0, v5, vcc
	global_load_dword v1, v2, s[8:9]
	global_load_dword v6, v2, s[8:9] offset:2048
	global_load_dword v7, v[4:5], off
	global_load_dword v8, v[4:5], off offset:2048
	v_mbcnt_lo_u32_b32 v2, -1, 0
	v_mbcnt_hi_u32_b32 v2, -1, v2
	v_lshlrev_b32_e32 v3, 2, v2
	v_or_b32_e32 v4, 0xfc, v3
	v_cmp_eq_u32_e32 vcc, 0, v2
	s_waitcnt vmcnt(2)
	v_add_u32_e32 v1, v6, v1
	s_waitcnt vmcnt(0)
	v_add3_u32 v1, v1, v7, v8
	s_nop 1
	v_add_u32_dpp v1, v1, v1 quad_perm:[1,0,3,2] row_mask:0xf bank_mask:0xf bound_ctrl:1
	s_nop 1
	v_add_u32_dpp v1, v1, v1 quad_perm:[2,3,0,1] row_mask:0xf bank_mask:0xf bound_ctrl:1
	s_nop 1
	v_add_u32_dpp v1, v1, v1 row_ror:4 row_mask:0xf bank_mask:0xf bound_ctrl:1
	s_nop 1
	v_add_u32_dpp v1, v1, v1 row_ror:8 row_mask:0xf bank_mask:0xf bound_ctrl:1
	s_nop 1
	v_add_u32_dpp v1, v1, v1 row_bcast:15 row_mask:0xf bank_mask:0xf bound_ctrl:1
	s_nop 1
	v_add_u32_dpp v1, v1, v1 row_bcast:31 row_mask:0xf bank_mask:0xf bound_ctrl:1
	ds_bpermute_b32 v1, v4, v1
	s_and_saveexec_b64 s[6:7], vcc
	s_cbranch_execz .LBB468_90
; %bb.89:
	v_lshrrev_b32_e32 v4, 4, v0
	v_and_b32_e32 v4, 12, v4
	s_waitcnt lgkmcnt(0)
	ds_write_b32 v4, v1 offset:48
.LBB468_90:
	s_or_b64 exec, exec, s[6:7]
	v_cmp_gt_u32_e32 vcc, 64, v0
	s_waitcnt lgkmcnt(0)
	s_barrier
	s_and_saveexec_b64 s[6:7], vcc
	s_cbranch_execz .LBB468_92
; %bb.91:
	v_and_b32_e32 v1, 3, v2
	v_lshlrev_b32_e32 v4, 2, v1
	ds_read_b32 v4, v4 offset:48
	v_cmp_ne_u32_e32 vcc, 3, v1
	s_nop 1
	v_addc_co_u32_e32 v1, vcc, 0, v2, vcc
	v_lshlrev_b32_e32 v1, 2, v1
	s_waitcnt lgkmcnt(0)
	ds_bpermute_b32 v1, v1, v4
	v_or_b32_e32 v2, 8, v3
	s_waitcnt lgkmcnt(0)
	v_add_u32_e32 v1, v1, v4
	ds_bpermute_b32 v2, v2, v1
	s_waitcnt lgkmcnt(0)
	v_add_u32_e32 v1, v2, v1
.LBB468_92:
	s_or_b64 exec, exec, s[6:7]
	s_branch .LBB468_109
.LBB468_93:
                                        ; implicit-def: $vgpr1
.LBB468_94:
	s_branch .LBB468_140
.LBB468_95:
                                        ; implicit-def: $vgpr1
	s_cbranch_execz .LBB468_109
; %bb.96:
	s_sub_i32 s12, s38, s4
	v_mov_b32_e32 v2, 0
	v_cmp_gt_u32_e32 vcc, s12, v0
	v_mov_b32_e32 v3, v2
	v_mov_b32_e32 v4, v2
	;; [unrolled: 1-line block ×3, first 2 shown]
	s_and_saveexec_b64 s[4:5], vcc
	s_cbranch_execz .LBB468_98
; %bb.97:
	v_lshlrev_b32_e32 v1, 3, v0
	global_load_dword v4, v1, s[8:9]
	v_mov_b32_e32 v5, v2
	v_mov_b32_e32 v6, v2
	;; [unrolled: 1-line block ×3, first 2 shown]
	s_waitcnt vmcnt(0)
	v_mov_b64_e32 v[2:3], v[4:5]
	v_mov_b64_e32 v[4:5], v[6:7]
.LBB468_98:
	s_or_b64 exec, exec, s[4:5]
	v_or_b32_e32 v1, 0x100, v0
	v_cmp_gt_u32_e32 vcc, s12, v1
	s_and_saveexec_b64 s[4:5], vcc
	s_cbranch_execz .LBB468_100
; %bb.99:
	v_lshlrev_b32_e32 v1, 3, v0
	global_load_dword v3, v1, s[8:9] offset:2048
.LBB468_100:
	s_or_b64 exec, exec, s[4:5]
	v_or_b32_e32 v1, 0x200, v0
	v_cmp_gt_u32_e64 s[4:5], s12, v1
	s_and_saveexec_b64 s[6:7], s[4:5]
	s_cbranch_execz .LBB468_102
; %bb.101:
	v_lshlrev_b32_e32 v1, 3, v1
	global_load_dword v4, v1, s[8:9]
.LBB468_102:
	s_or_b64 exec, exec, s[6:7]
	v_or_b32_e32 v1, 0x300, v0
	v_cmp_gt_u32_e64 s[6:7], s12, v1
	s_and_saveexec_b64 s[10:11], s[6:7]
	s_cbranch_execz .LBB468_104
; %bb.103:
	v_lshlrev_b32_e32 v1, 3, v1
	global_load_dword v5, v1, s[8:9]
.LBB468_104:
	s_or_b64 exec, exec, s[10:11]
	s_waitcnt vmcnt(0)
	v_cndmask_b32_e32 v1, 0, v3, vcc
	v_add_u32_e32 v1, v1, v2
	v_cndmask_b32_e64 v2, 0, v4, s[4:5]
	v_cndmask_b32_e64 v3, 0, v5, s[6:7]
	v_add3_u32 v1, v1, v2, v3
	v_mbcnt_lo_u32_b32 v2, -1, 0
	v_mbcnt_hi_u32_b32 v2, -1, v2
	v_and_b32_e32 v4, 63, v2
	v_cmp_ne_u32_e32 vcc, 63, v4
	s_min_u32 s6, s12, 0x100
	v_and_b32_e32 v5, 0xc0, v0
	v_addc_co_u32_e32 v3, vcc, 0, v2, vcc
	v_lshlrev_b32_e32 v3, 2, v3
	ds_bpermute_b32 v3, v3, v1
	v_sub_u32_e64 v5, s6, v5 clamp
	v_add_u32_e32 v6, 1, v4
	v_cmp_lt_u32_e32 vcc, v6, v5
	v_add_u32_e32 v6, 2, v4
	s_waitcnt lgkmcnt(0)
	v_cndmask_b32_e32 v3, 0, v3, vcc
	v_cmp_gt_u32_e32 vcc, 62, v4
	v_add_u32_e32 v1, v3, v1
	s_nop 0
	v_cndmask_b32_e64 v3, 0, 2, vcc
	v_add_lshl_u32 v3, v3, v2, 2
	ds_bpermute_b32 v3, v3, v1
	v_cmp_lt_u32_e32 vcc, v6, v5
	v_add_u32_e32 v6, 4, v4
	s_waitcnt lgkmcnt(0)
	v_cndmask_b32_e32 v3, 0, v3, vcc
	v_cmp_gt_u32_e32 vcc, 60, v4
	v_add_u32_e32 v1, v1, v3
	s_nop 0
	v_cndmask_b32_e64 v3, 0, 4, vcc
	v_add_lshl_u32 v3, v3, v2, 2
	ds_bpermute_b32 v3, v3, v1
	;; [unrolled: 10-line block ×3, first 2 shown]
	v_cmp_lt_u32_e32 vcc, v6, v5
	v_add_u32_e32 v6, 16, v4
	s_waitcnt lgkmcnt(0)
	v_cndmask_b32_e32 v3, 0, v3, vcc
	v_cmp_gt_u32_e32 vcc, 48, v4
	v_add_u32_e32 v1, v1, v3
	v_add_u32_e32 v4, 32, v4
	v_cndmask_b32_e64 v3, 0, 16, vcc
	v_add_lshl_u32 v3, v3, v2, 2
	ds_bpermute_b32 v3, v3, v1
	v_cmp_lt_u32_e32 vcc, v6, v5
	s_waitcnt lgkmcnt(0)
	s_nop 0
	v_cndmask_b32_e32 v3, 0, v3, vcc
	v_add_u32_e32 v1, v1, v3
	v_lshlrev_b32_e32 v3, 2, v2
	v_or_b32_e32 v6, 0x80, v3
	ds_bpermute_b32 v6, v6, v1
	v_cmp_lt_u32_e32 vcc, v4, v5
	s_waitcnt lgkmcnt(0)
	s_nop 0
	v_cndmask_b32_e32 v4, 0, v6, vcc
	v_add_u32_e32 v1, v1, v4
	v_cmp_eq_u32_e32 vcc, 0, v2
	s_and_saveexec_b64 s[4:5], vcc
; %bb.105:
	v_lshrrev_b32_e32 v4, 4, v0
	v_and_b32_e32 v4, 12, v4
	ds_write_b32 v4, v1 offset:80
; %bb.106:
	s_or_b64 exec, exec, s[4:5]
	v_cmp_gt_u32_e32 vcc, 4, v0
	s_waitcnt lgkmcnt(0)
	s_barrier
	s_and_saveexec_b64 s[4:5], vcc
	s_cbranch_execz .LBB468_108
; %bb.107:
	ds_read_b32 v1, v3 offset:80
	v_and_b32_e32 v4, 3, v2
	v_cmp_ne_u32_e32 vcc, 3, v4
	s_add_i32 s6, s6, 63
	s_lshr_b32 s6, s6, 6
	v_addc_co_u32_e32 v2, vcc, 0, v2, vcc
	v_lshlrev_b32_e32 v2, 2, v2
	s_waitcnt lgkmcnt(0)
	ds_bpermute_b32 v2, v2, v1
	v_add_u32_e32 v5, 1, v4
	v_cmp_gt_u32_e32 vcc, s6, v5
	s_waitcnt lgkmcnt(0)
	s_nop 0
	v_cndmask_b32_e32 v2, 0, v2, vcc
	v_add_u32_e32 v1, v2, v1
	v_or_b32_e32 v2, 8, v3
	ds_bpermute_b32 v2, v2, v1
	v_add_u32_e32 v3, 2, v4
	v_cmp_gt_u32_e32 vcc, s6, v3
	s_waitcnt lgkmcnt(0)
	s_nop 0
	v_cndmask_b32_e32 v2, 0, v2, vcc
	v_add_u32_e32 v1, v1, v2
.LBB468_108:
	s_or_b64 exec, exec, s[4:5]
.LBB468_109:
	v_cmp_eq_u32_e64 s[4:5], 0, v0
	s_branch .LBB468_140
.LBB468_110:
	s_cmp_gt_i32 s33, 1
	s_cbranch_scc0 .LBB468_118
; %bb.111:
	s_cmp_eq_u32 s33, 2
	s_cbranch_scc0 .LBB468_119
; %bb.112:
	s_mov_b32 s3, 0
	s_lshl_b32 s6, s2, 9
	s_mov_b32 s7, s3
	s_lshr_b64 s[8:9], s[38:39], 9
	s_lshl_b64 s[4:5], s[6:7], 3
	s_add_u32 s4, s36, s4
	s_addc_u32 s5, s37, s5
	s_cmp_lg_u64 s[8:9], s[2:3]
	s_cbranch_scc0 .LBB468_120
; %bb.113:
	v_lshlrev_b32_e32 v1, 3, v0
	global_load_dword v4, v1, s[4:5]
	global_load_dword v5, v1, s[4:5] offset:2048
	v_mbcnt_lo_u32_b32 v1, -1, 0
	v_mbcnt_hi_u32_b32 v2, -1, v1
	v_lshlrev_b32_e32 v3, 2, v2
	v_cmp_eq_u32_e32 vcc, 0, v2
	s_waitcnt vmcnt(0)
	v_add_u32_e32 v1, v5, v4
	s_nop 1
	v_add_u32_dpp v1, v1, v1 quad_perm:[1,0,3,2] row_mask:0xf bank_mask:0xf bound_ctrl:1
	v_or_b32_e32 v4, 0xfc, v3
	s_nop 0
	v_add_u32_dpp v1, v1, v1 quad_perm:[2,3,0,1] row_mask:0xf bank_mask:0xf bound_ctrl:1
	s_nop 1
	v_add_u32_dpp v1, v1, v1 row_ror:4 row_mask:0xf bank_mask:0xf bound_ctrl:1
	s_nop 1
	v_add_u32_dpp v1, v1, v1 row_ror:8 row_mask:0xf bank_mask:0xf bound_ctrl:1
	s_nop 1
	v_add_u32_dpp v1, v1, v1 row_bcast:15 row_mask:0xf bank_mask:0xf bound_ctrl:1
	s_nop 1
	v_add_u32_dpp v1, v1, v1 row_bcast:31 row_mask:0xf bank_mask:0xf bound_ctrl:1
	ds_bpermute_b32 v1, v4, v1
	s_and_saveexec_b64 s[8:9], vcc
	s_cbranch_execz .LBB468_115
; %bb.114:
	v_lshrrev_b32_e32 v4, 4, v0
	v_and_b32_e32 v4, 12, v4
	s_waitcnt lgkmcnt(0)
	ds_write_b32 v4, v1 offset:32
.LBB468_115:
	s_or_b64 exec, exec, s[8:9]
	v_cmp_gt_u32_e32 vcc, 64, v0
	s_waitcnt lgkmcnt(0)
	s_barrier
	s_and_saveexec_b64 s[8:9], vcc
	s_cbranch_execz .LBB468_117
; %bb.116:
	v_and_b32_e32 v1, 3, v2
	v_lshlrev_b32_e32 v4, 2, v1
	ds_read_b32 v4, v4 offset:32
	v_cmp_ne_u32_e32 vcc, 3, v1
	s_nop 1
	v_addc_co_u32_e32 v1, vcc, 0, v2, vcc
	v_lshlrev_b32_e32 v1, 2, v1
	s_waitcnt lgkmcnt(0)
	ds_bpermute_b32 v1, v1, v4
	v_or_b32_e32 v2, 8, v3
	s_waitcnt lgkmcnt(0)
	v_add_u32_e32 v1, v1, v4
	ds_bpermute_b32 v2, v2, v1
	s_waitcnt lgkmcnt(0)
	v_add_u32_e32 v1, v2, v1
.LBB468_117:
	s_or_b64 exec, exec, s[8:9]
	s_branch .LBB468_130
.LBB468_118:
                                        ; implicit-def: $vgpr1
	s_cbranch_execnz .LBB468_131
	s_branch .LBB468_140
.LBB468_119:
                                        ; implicit-def: $vgpr1
	s_branch .LBB468_140
.LBB468_120:
                                        ; implicit-def: $vgpr1
	s_cbranch_execz .LBB468_130
; %bb.121:
	s_sub_i32 s8, s38, s6
	v_mov_b32_e32 v2, 0
	v_cmp_gt_u32_e32 vcc, s8, v0
	v_mov_b32_e32 v3, v2
	s_and_saveexec_b64 s[6:7], vcc
	s_cbranch_execz .LBB468_123
; %bb.122:
	v_lshlrev_b32_e32 v1, 3, v0
	global_load_dword v4, v1, s[4:5]
	v_mov_b32_e32 v5, v2
	s_waitcnt vmcnt(0)
	v_mov_b64_e32 v[2:3], v[4:5]
.LBB468_123:
	s_or_b64 exec, exec, s[6:7]
	v_or_b32_e32 v1, 0x100, v0
	v_cmp_gt_u32_e32 vcc, s8, v1
	s_and_saveexec_b64 s[6:7], vcc
	s_cbranch_execz .LBB468_125
; %bb.124:
	v_lshlrev_b32_e32 v1, 3, v0
	global_load_dword v3, v1, s[4:5] offset:2048
.LBB468_125:
	s_or_b64 exec, exec, s[6:7]
	s_waitcnt vmcnt(0)
	v_cndmask_b32_e32 v1, 0, v3, vcc
	v_add_u32_e32 v1, v1, v2
	v_mbcnt_lo_u32_b32 v2, -1, 0
	v_mbcnt_hi_u32_b32 v2, -1, v2
	v_and_b32_e32 v4, 63, v2
	v_cmp_ne_u32_e32 vcc, 63, v4
	s_min_u32 s6, s8, 0x100
	v_and_b32_e32 v5, 0xc0, v0
	v_addc_co_u32_e32 v3, vcc, 0, v2, vcc
	v_lshlrev_b32_e32 v3, 2, v3
	ds_bpermute_b32 v3, v3, v1
	v_sub_u32_e64 v5, s6, v5 clamp
	v_add_u32_e32 v6, 1, v4
	v_cmp_lt_u32_e32 vcc, v6, v5
	v_add_u32_e32 v6, 2, v4
	s_waitcnt lgkmcnt(0)
	v_cndmask_b32_e32 v3, 0, v3, vcc
	v_cmp_gt_u32_e32 vcc, 62, v4
	v_add_u32_e32 v1, v3, v1
	s_nop 0
	v_cndmask_b32_e64 v3, 0, 2, vcc
	v_add_lshl_u32 v3, v3, v2, 2
	ds_bpermute_b32 v3, v3, v1
	v_cmp_lt_u32_e32 vcc, v6, v5
	v_add_u32_e32 v6, 4, v4
	s_waitcnt lgkmcnt(0)
	v_cndmask_b32_e32 v3, 0, v3, vcc
	v_cmp_gt_u32_e32 vcc, 60, v4
	v_add_u32_e32 v1, v1, v3
	s_nop 0
	v_cndmask_b32_e64 v3, 0, 4, vcc
	v_add_lshl_u32 v3, v3, v2, 2
	ds_bpermute_b32 v3, v3, v1
	v_cmp_lt_u32_e32 vcc, v6, v5
	v_add_u32_e32 v6, 8, v4
	s_waitcnt lgkmcnt(0)
	v_cndmask_b32_e32 v3, 0, v3, vcc
	v_cmp_gt_u32_e32 vcc, 56, v4
	v_add_u32_e32 v1, v1, v3
	s_nop 0
	v_cndmask_b32_e64 v3, 0, 8, vcc
	v_add_lshl_u32 v3, v3, v2, 2
	ds_bpermute_b32 v3, v3, v1
	v_cmp_lt_u32_e32 vcc, v6, v5
	v_add_u32_e32 v6, 16, v4
	s_waitcnt lgkmcnt(0)
	v_cndmask_b32_e32 v3, 0, v3, vcc
	v_cmp_gt_u32_e32 vcc, 48, v4
	v_add_u32_e32 v1, v1, v3
	v_add_u32_e32 v4, 32, v4
	v_cndmask_b32_e64 v3, 0, 16, vcc
	v_add_lshl_u32 v3, v3, v2, 2
	ds_bpermute_b32 v3, v3, v1
	v_cmp_lt_u32_e32 vcc, v6, v5
	s_waitcnt lgkmcnt(0)
	s_nop 0
	v_cndmask_b32_e32 v3, 0, v3, vcc
	v_add_u32_e32 v1, v1, v3
	v_lshlrev_b32_e32 v3, 2, v2
	v_or_b32_e32 v6, 0x80, v3
	ds_bpermute_b32 v6, v6, v1
	v_cmp_lt_u32_e32 vcc, v4, v5
	s_waitcnt lgkmcnt(0)
	s_nop 0
	v_cndmask_b32_e32 v4, 0, v6, vcc
	v_add_u32_e32 v1, v1, v4
	v_cmp_eq_u32_e32 vcc, 0, v2
	s_and_saveexec_b64 s[4:5], vcc
; %bb.126:
	v_lshrrev_b32_e32 v4, 4, v0
	v_and_b32_e32 v4, 12, v4
	ds_write_b32 v4, v1 offset:80
; %bb.127:
	s_or_b64 exec, exec, s[4:5]
	v_cmp_gt_u32_e32 vcc, 4, v0
	s_waitcnt lgkmcnt(0)
	s_barrier
	s_and_saveexec_b64 s[4:5], vcc
	s_cbranch_execz .LBB468_129
; %bb.128:
	ds_read_b32 v1, v3 offset:80
	v_and_b32_e32 v4, 3, v2
	v_cmp_ne_u32_e32 vcc, 3, v4
	s_add_i32 s6, s6, 63
	s_lshr_b32 s6, s6, 6
	v_addc_co_u32_e32 v2, vcc, 0, v2, vcc
	v_lshlrev_b32_e32 v2, 2, v2
	s_waitcnt lgkmcnt(0)
	ds_bpermute_b32 v2, v2, v1
	v_add_u32_e32 v5, 1, v4
	v_cmp_gt_u32_e32 vcc, s6, v5
	s_waitcnt lgkmcnt(0)
	s_nop 0
	v_cndmask_b32_e32 v2, 0, v2, vcc
	v_add_u32_e32 v1, v2, v1
	v_or_b32_e32 v2, 8, v3
	ds_bpermute_b32 v2, v2, v1
	v_add_u32_e32 v3, 2, v4
	v_cmp_gt_u32_e32 vcc, s6, v3
	s_waitcnt lgkmcnt(0)
	s_nop 0
	v_cndmask_b32_e32 v2, 0, v2, vcc
	v_add_u32_e32 v1, v1, v2
.LBB468_129:
	s_or_b64 exec, exec, s[4:5]
.LBB468_130:
	v_cmp_eq_u32_e64 s[4:5], 0, v0
	s_branch .LBB468_140
.LBB468_131:
	s_cmp_eq_u32 s33, 1
	s_cbranch_scc0 .LBB468_139
; %bb.132:
	s_mov_b32 s5, 0
	s_lshl_b32 s4, s2, 8
	s_mov_b32 s3, s5
	s_lshr_b64 s[6:7], s[38:39], 8
	s_cmp_lg_u64 s[6:7], s[2:3]
	v_mbcnt_lo_u32_b32 v2, -1, 0
	s_cbranch_scc0 .LBB468_143
; %bb.133:
	s_lshl_b64 s[6:7], s[4:5], 3
	s_add_u32 s6, s36, s6
	s_addc_u32 s7, s37, s7
	v_lshlrev_b32_e32 v1, 3, v0
	global_load_dword v1, v1, s[6:7]
	v_mbcnt_hi_u32_b32 v3, -1, v2
	v_lshlrev_b32_e32 v4, 2, v3
	v_or_b32_e32 v5, 0xfc, v4
	v_cmp_eq_u32_e32 vcc, 0, v3
	s_waitcnt vmcnt(0)
	v_add_u32_dpp v1, v1, v1 quad_perm:[1,0,3,2] row_mask:0xf bank_mask:0xf bound_ctrl:1
	s_nop 1
	v_add_u32_dpp v1, v1, v1 quad_perm:[2,3,0,1] row_mask:0xf bank_mask:0xf bound_ctrl:1
	s_nop 1
	v_add_u32_dpp v1, v1, v1 row_ror:4 row_mask:0xf bank_mask:0xf bound_ctrl:1
	s_nop 1
	v_add_u32_dpp v1, v1, v1 row_ror:8 row_mask:0xf bank_mask:0xf bound_ctrl:1
	s_nop 1
	v_add_u32_dpp v1, v1, v1 row_bcast:15 row_mask:0xf bank_mask:0xf bound_ctrl:1
	s_nop 1
	v_add_u32_dpp v1, v1, v1 row_bcast:31 row_mask:0xf bank_mask:0xf bound_ctrl:1
	ds_bpermute_b32 v1, v5, v1
	s_and_saveexec_b64 s[6:7], vcc
	s_cbranch_execz .LBB468_135
; %bb.134:
	v_lshrrev_b32_e32 v5, 4, v0
	v_and_b32_e32 v5, 12, v5
	s_waitcnt lgkmcnt(0)
	ds_write_b32 v5, v1 offset:16
.LBB468_135:
	s_or_b64 exec, exec, s[6:7]
	v_cmp_gt_u32_e32 vcc, 64, v0
	s_waitcnt lgkmcnt(0)
	s_barrier
	s_and_saveexec_b64 s[6:7], vcc
	s_cbranch_execz .LBB468_137
; %bb.136:
	v_and_b32_e32 v1, 3, v3
	v_lshlrev_b32_e32 v5, 2, v1
	ds_read_b32 v5, v5 offset:16
	v_cmp_ne_u32_e32 vcc, 3, v1
	s_nop 1
	v_addc_co_u32_e32 v1, vcc, 0, v3, vcc
	v_lshlrev_b32_e32 v1, 2, v1
	s_waitcnt lgkmcnt(0)
	ds_bpermute_b32 v1, v1, v5
	v_or_b32_e32 v3, 8, v4
	s_waitcnt lgkmcnt(0)
	v_add_u32_e32 v1, v1, v5
	ds_bpermute_b32 v3, v3, v1
	s_waitcnt lgkmcnt(0)
	v_add_u32_e32 v1, v3, v1
.LBB468_137:
	s_or_b64 exec, exec, s[6:7]
.LBB468_138:
	v_cmp_eq_u32_e64 s[4:5], 0, v0
	s_and_saveexec_b64 s[6:7], s[4:5]
	s_cbranch_execnz .LBB468_141
	s_branch .LBB468_142
.LBB468_139:
                                        ; implicit-def: $vgpr1
                                        ; implicit-def: $sgpr2_sgpr3
.LBB468_140:
	s_and_saveexec_b64 s[6:7], s[4:5]
	s_cbranch_execz .LBB468_142
.LBB468_141:
	s_load_dwordx2 s[4:5], s[0:1], 0x18
	s_load_dword s6, s[0:1], 0x20
	s_lshl_b64 s[0:1], s[2:3], 2
	v_mov_b32_e32 v0, 0
	s_waitcnt lgkmcnt(0)
	s_add_u32 s0, s4, s0
	s_addc_u32 s1, s5, s1
	s_cmp_lg_u64 s[38:39], 0
	s_cselect_b64 vcc, -1, 0
	v_cndmask_b32_e32 v1, 0, v1, vcc
	v_add_u32_e32 v1, s6, v1
	global_store_dword v0, v1, s[0:1]
.LBB468_142:
	s_endpgm
.LBB468_143:
                                        ; implicit-def: $vgpr1
	s_cbranch_execz .LBB468_138
; %bb.144:
	s_sub_i32 s8, s38, s4
	v_cmp_gt_u32_e32 vcc, s8, v0
                                        ; implicit-def: $vgpr1
	s_and_saveexec_b64 s[6:7], vcc
	s_cbranch_execz .LBB468_146
; %bb.145:
	s_lshl_b64 s[4:5], s[4:5], 3
	s_add_u32 s4, s36, s4
	s_addc_u32 s5, s37, s5
	v_lshlrev_b32_e32 v1, 3, v0
	global_load_dword v1, v1, s[4:5]
.LBB468_146:
	s_or_b64 exec, exec, s[6:7]
	v_mbcnt_hi_u32_b32 v2, -1, v2
	v_and_b32_e32 v4, 63, v2
	v_cmp_ne_u32_e32 vcc, 63, v4
	s_min_u32 s6, s8, 0x100
	v_and_b32_e32 v5, 0xc0, v0
	v_addc_co_u32_e32 v3, vcc, 0, v2, vcc
	v_lshlrev_b32_e32 v3, 2, v3
	s_waitcnt vmcnt(0)
	ds_bpermute_b32 v3, v3, v1
	v_sub_u32_e64 v5, s6, v5 clamp
	v_add_u32_e32 v6, 1, v4
	v_cmp_lt_u32_e32 vcc, v6, v5
	v_add_u32_e32 v6, 2, v4
	s_waitcnt lgkmcnt(0)
	v_cndmask_b32_e32 v3, 0, v3, vcc
	v_cmp_gt_u32_e32 vcc, 62, v4
	v_add_u32_e32 v1, v3, v1
	s_nop 0
	v_cndmask_b32_e64 v3, 0, 2, vcc
	v_add_lshl_u32 v3, v3, v2, 2
	ds_bpermute_b32 v3, v3, v1
	v_cmp_lt_u32_e32 vcc, v6, v5
	v_add_u32_e32 v6, 4, v4
	s_waitcnt lgkmcnt(0)
	v_cndmask_b32_e32 v3, 0, v3, vcc
	v_cmp_gt_u32_e32 vcc, 60, v4
	v_add_u32_e32 v1, v1, v3
	s_nop 0
	v_cndmask_b32_e64 v3, 0, 4, vcc
	v_add_lshl_u32 v3, v3, v2, 2
	ds_bpermute_b32 v3, v3, v1
	;; [unrolled: 10-line block ×3, first 2 shown]
	v_cmp_lt_u32_e32 vcc, v6, v5
	v_add_u32_e32 v6, 16, v4
	s_waitcnt lgkmcnt(0)
	v_cndmask_b32_e32 v3, 0, v3, vcc
	v_cmp_gt_u32_e32 vcc, 48, v4
	v_add_u32_e32 v1, v1, v3
	v_add_u32_e32 v4, 32, v4
	v_cndmask_b32_e64 v3, 0, 16, vcc
	v_add_lshl_u32 v3, v3, v2, 2
	ds_bpermute_b32 v3, v3, v1
	v_cmp_lt_u32_e32 vcc, v6, v5
	s_waitcnt lgkmcnt(0)
	s_nop 0
	v_cndmask_b32_e32 v3, 0, v3, vcc
	v_add_u32_e32 v1, v1, v3
	v_lshlrev_b32_e32 v3, 2, v2
	v_or_b32_e32 v6, 0x80, v3
	ds_bpermute_b32 v6, v6, v1
	v_cmp_lt_u32_e32 vcc, v4, v5
	s_waitcnt lgkmcnt(0)
	s_nop 0
	v_cndmask_b32_e32 v4, 0, v6, vcc
	v_add_u32_e32 v1, v1, v4
	v_cmp_eq_u32_e32 vcc, 0, v2
	s_and_saveexec_b64 s[4:5], vcc
; %bb.147:
	v_lshrrev_b32_e32 v4, 4, v0
	v_and_b32_e32 v4, 12, v4
	ds_write_b32 v4, v1 offset:80
; %bb.148:
	s_or_b64 exec, exec, s[4:5]
	v_cmp_gt_u32_e32 vcc, 4, v0
	s_waitcnt lgkmcnt(0)
	s_barrier
	s_and_saveexec_b64 s[4:5], vcc
	s_cbranch_execz .LBB468_150
; %bb.149:
	ds_read_b32 v1, v3 offset:80
	v_and_b32_e32 v4, 3, v2
	v_cmp_ne_u32_e32 vcc, 3, v4
	s_add_i32 s6, s6, 63
	s_lshr_b32 s6, s6, 6
	v_addc_co_u32_e32 v2, vcc, 0, v2, vcc
	v_lshlrev_b32_e32 v2, 2, v2
	s_waitcnt lgkmcnt(0)
	ds_bpermute_b32 v2, v2, v1
	v_add_u32_e32 v5, 1, v4
	v_cmp_gt_u32_e32 vcc, s6, v5
	s_waitcnt lgkmcnt(0)
	s_nop 0
	v_cndmask_b32_e32 v2, 0, v2, vcc
	v_add_u32_e32 v1, v2, v1
	v_or_b32_e32 v2, 8, v3
	ds_bpermute_b32 v2, v2, v1
	v_add_u32_e32 v3, 2, v4
	v_cmp_gt_u32_e32 vcc, s6, v3
	s_waitcnt lgkmcnt(0)
	s_nop 0
	v_cndmask_b32_e32 v2, 0, v2, vcc
	v_add_u32_e32 v1, v1, v2
.LBB468_150:
	s_or_b64 exec, exec, s[4:5]
	v_cmp_eq_u32_e64 s[4:5], 0, v0
	s_and_saveexec_b64 s[6:7], s[4:5]
	s_cbranch_execnz .LBB468_141
	s_branch .LBB468_142
	.section	.rodata,"a",@progbits
	.p2align	6, 0x0
	.amdhsa_kernel _ZN7rocprim17ROCPRIM_400000_NS6detail17trampoline_kernelINS0_14default_configENS1_22reduce_config_selectorIxEEZNS1_11reduce_implILb1ES3_N6thrust23THRUST_200600_302600_NS6detail15normal_iteratorINS8_10device_ptrIxEEEEPiiNS8_4plusIiEEEE10hipError_tPvRmT1_T2_T3_mT4_P12ihipStream_tbEUlT_E1_NS1_11comp_targetILNS1_3genE0ELNS1_11target_archE4294967295ELNS1_3gpuE0ELNS1_3repE0EEENS1_30default_config_static_selectorELNS0_4arch9wavefront6targetE1EEEvSK_
		.amdhsa_group_segment_fixed_size 96
		.amdhsa_private_segment_fixed_size 0
		.amdhsa_kernarg_size 40
		.amdhsa_user_sgpr_count 2
		.amdhsa_user_sgpr_dispatch_ptr 0
		.amdhsa_user_sgpr_queue_ptr 0
		.amdhsa_user_sgpr_kernarg_segment_ptr 1
		.amdhsa_user_sgpr_dispatch_id 0
		.amdhsa_user_sgpr_kernarg_preload_length 0
		.amdhsa_user_sgpr_kernarg_preload_offset 0
		.amdhsa_user_sgpr_private_segment_size 0
		.amdhsa_uses_dynamic_stack 0
		.amdhsa_enable_private_segment 0
		.amdhsa_system_sgpr_workgroup_id_x 1
		.amdhsa_system_sgpr_workgroup_id_y 0
		.amdhsa_system_sgpr_workgroup_id_z 0
		.amdhsa_system_sgpr_workgroup_info 0
		.amdhsa_system_vgpr_workitem_id 0
		.amdhsa_next_free_vgpr 23
		.amdhsa_next_free_sgpr 45
		.amdhsa_accum_offset 24
		.amdhsa_reserve_vcc 1
		.amdhsa_float_round_mode_32 0
		.amdhsa_float_round_mode_16_64 0
		.amdhsa_float_denorm_mode_32 3
		.amdhsa_float_denorm_mode_16_64 3
		.amdhsa_dx10_clamp 1
		.amdhsa_ieee_mode 1
		.amdhsa_fp16_overflow 0
		.amdhsa_tg_split 0
		.amdhsa_exception_fp_ieee_invalid_op 0
		.amdhsa_exception_fp_denorm_src 0
		.amdhsa_exception_fp_ieee_div_zero 0
		.amdhsa_exception_fp_ieee_overflow 0
		.amdhsa_exception_fp_ieee_underflow 0
		.amdhsa_exception_fp_ieee_inexact 0
		.amdhsa_exception_int_div_zero 0
	.end_amdhsa_kernel
	.section	.text._ZN7rocprim17ROCPRIM_400000_NS6detail17trampoline_kernelINS0_14default_configENS1_22reduce_config_selectorIxEEZNS1_11reduce_implILb1ES3_N6thrust23THRUST_200600_302600_NS6detail15normal_iteratorINS8_10device_ptrIxEEEEPiiNS8_4plusIiEEEE10hipError_tPvRmT1_T2_T3_mT4_P12ihipStream_tbEUlT_E1_NS1_11comp_targetILNS1_3genE0ELNS1_11target_archE4294967295ELNS1_3gpuE0ELNS1_3repE0EEENS1_30default_config_static_selectorELNS0_4arch9wavefront6targetE1EEEvSK_,"axG",@progbits,_ZN7rocprim17ROCPRIM_400000_NS6detail17trampoline_kernelINS0_14default_configENS1_22reduce_config_selectorIxEEZNS1_11reduce_implILb1ES3_N6thrust23THRUST_200600_302600_NS6detail15normal_iteratorINS8_10device_ptrIxEEEEPiiNS8_4plusIiEEEE10hipError_tPvRmT1_T2_T3_mT4_P12ihipStream_tbEUlT_E1_NS1_11comp_targetILNS1_3genE0ELNS1_11target_archE4294967295ELNS1_3gpuE0ELNS1_3repE0EEENS1_30default_config_static_selectorELNS0_4arch9wavefront6targetE1EEEvSK_,comdat
.Lfunc_end468:
	.size	_ZN7rocprim17ROCPRIM_400000_NS6detail17trampoline_kernelINS0_14default_configENS1_22reduce_config_selectorIxEEZNS1_11reduce_implILb1ES3_N6thrust23THRUST_200600_302600_NS6detail15normal_iteratorINS8_10device_ptrIxEEEEPiiNS8_4plusIiEEEE10hipError_tPvRmT1_T2_T3_mT4_P12ihipStream_tbEUlT_E1_NS1_11comp_targetILNS1_3genE0ELNS1_11target_archE4294967295ELNS1_3gpuE0ELNS1_3repE0EEENS1_30default_config_static_selectorELNS0_4arch9wavefront6targetE1EEEvSK_, .Lfunc_end468-_ZN7rocprim17ROCPRIM_400000_NS6detail17trampoline_kernelINS0_14default_configENS1_22reduce_config_selectorIxEEZNS1_11reduce_implILb1ES3_N6thrust23THRUST_200600_302600_NS6detail15normal_iteratorINS8_10device_ptrIxEEEEPiiNS8_4plusIiEEEE10hipError_tPvRmT1_T2_T3_mT4_P12ihipStream_tbEUlT_E1_NS1_11comp_targetILNS1_3genE0ELNS1_11target_archE4294967295ELNS1_3gpuE0ELNS1_3repE0EEENS1_30default_config_static_selectorELNS0_4arch9wavefront6targetE1EEEvSK_
                                        ; -- End function
	.set _ZN7rocprim17ROCPRIM_400000_NS6detail17trampoline_kernelINS0_14default_configENS1_22reduce_config_selectorIxEEZNS1_11reduce_implILb1ES3_N6thrust23THRUST_200600_302600_NS6detail15normal_iteratorINS8_10device_ptrIxEEEEPiiNS8_4plusIiEEEE10hipError_tPvRmT1_T2_T3_mT4_P12ihipStream_tbEUlT_E1_NS1_11comp_targetILNS1_3genE0ELNS1_11target_archE4294967295ELNS1_3gpuE0ELNS1_3repE0EEENS1_30default_config_static_selectorELNS0_4arch9wavefront6targetE1EEEvSK_.num_vgpr, 23
	.set _ZN7rocprim17ROCPRIM_400000_NS6detail17trampoline_kernelINS0_14default_configENS1_22reduce_config_selectorIxEEZNS1_11reduce_implILb1ES3_N6thrust23THRUST_200600_302600_NS6detail15normal_iteratorINS8_10device_ptrIxEEEEPiiNS8_4plusIiEEEE10hipError_tPvRmT1_T2_T3_mT4_P12ihipStream_tbEUlT_E1_NS1_11comp_targetILNS1_3genE0ELNS1_11target_archE4294967295ELNS1_3gpuE0ELNS1_3repE0EEENS1_30default_config_static_selectorELNS0_4arch9wavefront6targetE1EEEvSK_.num_agpr, 0
	.set _ZN7rocprim17ROCPRIM_400000_NS6detail17trampoline_kernelINS0_14default_configENS1_22reduce_config_selectorIxEEZNS1_11reduce_implILb1ES3_N6thrust23THRUST_200600_302600_NS6detail15normal_iteratorINS8_10device_ptrIxEEEEPiiNS8_4plusIiEEEE10hipError_tPvRmT1_T2_T3_mT4_P12ihipStream_tbEUlT_E1_NS1_11comp_targetILNS1_3genE0ELNS1_11target_archE4294967295ELNS1_3gpuE0ELNS1_3repE0EEENS1_30default_config_static_selectorELNS0_4arch9wavefront6targetE1EEEvSK_.numbered_sgpr, 45
	.set _ZN7rocprim17ROCPRIM_400000_NS6detail17trampoline_kernelINS0_14default_configENS1_22reduce_config_selectorIxEEZNS1_11reduce_implILb1ES3_N6thrust23THRUST_200600_302600_NS6detail15normal_iteratorINS8_10device_ptrIxEEEEPiiNS8_4plusIiEEEE10hipError_tPvRmT1_T2_T3_mT4_P12ihipStream_tbEUlT_E1_NS1_11comp_targetILNS1_3genE0ELNS1_11target_archE4294967295ELNS1_3gpuE0ELNS1_3repE0EEENS1_30default_config_static_selectorELNS0_4arch9wavefront6targetE1EEEvSK_.num_named_barrier, 0
	.set _ZN7rocprim17ROCPRIM_400000_NS6detail17trampoline_kernelINS0_14default_configENS1_22reduce_config_selectorIxEEZNS1_11reduce_implILb1ES3_N6thrust23THRUST_200600_302600_NS6detail15normal_iteratorINS8_10device_ptrIxEEEEPiiNS8_4plusIiEEEE10hipError_tPvRmT1_T2_T3_mT4_P12ihipStream_tbEUlT_E1_NS1_11comp_targetILNS1_3genE0ELNS1_11target_archE4294967295ELNS1_3gpuE0ELNS1_3repE0EEENS1_30default_config_static_selectorELNS0_4arch9wavefront6targetE1EEEvSK_.private_seg_size, 0
	.set _ZN7rocprim17ROCPRIM_400000_NS6detail17trampoline_kernelINS0_14default_configENS1_22reduce_config_selectorIxEEZNS1_11reduce_implILb1ES3_N6thrust23THRUST_200600_302600_NS6detail15normal_iteratorINS8_10device_ptrIxEEEEPiiNS8_4plusIiEEEE10hipError_tPvRmT1_T2_T3_mT4_P12ihipStream_tbEUlT_E1_NS1_11comp_targetILNS1_3genE0ELNS1_11target_archE4294967295ELNS1_3gpuE0ELNS1_3repE0EEENS1_30default_config_static_selectorELNS0_4arch9wavefront6targetE1EEEvSK_.uses_vcc, 1
	.set _ZN7rocprim17ROCPRIM_400000_NS6detail17trampoline_kernelINS0_14default_configENS1_22reduce_config_selectorIxEEZNS1_11reduce_implILb1ES3_N6thrust23THRUST_200600_302600_NS6detail15normal_iteratorINS8_10device_ptrIxEEEEPiiNS8_4plusIiEEEE10hipError_tPvRmT1_T2_T3_mT4_P12ihipStream_tbEUlT_E1_NS1_11comp_targetILNS1_3genE0ELNS1_11target_archE4294967295ELNS1_3gpuE0ELNS1_3repE0EEENS1_30default_config_static_selectorELNS0_4arch9wavefront6targetE1EEEvSK_.uses_flat_scratch, 0
	.set _ZN7rocprim17ROCPRIM_400000_NS6detail17trampoline_kernelINS0_14default_configENS1_22reduce_config_selectorIxEEZNS1_11reduce_implILb1ES3_N6thrust23THRUST_200600_302600_NS6detail15normal_iteratorINS8_10device_ptrIxEEEEPiiNS8_4plusIiEEEE10hipError_tPvRmT1_T2_T3_mT4_P12ihipStream_tbEUlT_E1_NS1_11comp_targetILNS1_3genE0ELNS1_11target_archE4294967295ELNS1_3gpuE0ELNS1_3repE0EEENS1_30default_config_static_selectorELNS0_4arch9wavefront6targetE1EEEvSK_.has_dyn_sized_stack, 0
	.set _ZN7rocprim17ROCPRIM_400000_NS6detail17trampoline_kernelINS0_14default_configENS1_22reduce_config_selectorIxEEZNS1_11reduce_implILb1ES3_N6thrust23THRUST_200600_302600_NS6detail15normal_iteratorINS8_10device_ptrIxEEEEPiiNS8_4plusIiEEEE10hipError_tPvRmT1_T2_T3_mT4_P12ihipStream_tbEUlT_E1_NS1_11comp_targetILNS1_3genE0ELNS1_11target_archE4294967295ELNS1_3gpuE0ELNS1_3repE0EEENS1_30default_config_static_selectorELNS0_4arch9wavefront6targetE1EEEvSK_.has_recursion, 0
	.set _ZN7rocprim17ROCPRIM_400000_NS6detail17trampoline_kernelINS0_14default_configENS1_22reduce_config_selectorIxEEZNS1_11reduce_implILb1ES3_N6thrust23THRUST_200600_302600_NS6detail15normal_iteratorINS8_10device_ptrIxEEEEPiiNS8_4plusIiEEEE10hipError_tPvRmT1_T2_T3_mT4_P12ihipStream_tbEUlT_E1_NS1_11comp_targetILNS1_3genE0ELNS1_11target_archE4294967295ELNS1_3gpuE0ELNS1_3repE0EEENS1_30default_config_static_selectorELNS0_4arch9wavefront6targetE1EEEvSK_.has_indirect_call, 0
	.section	.AMDGPU.csdata,"",@progbits
; Kernel info:
; codeLenInByte = 6660
; TotalNumSgprs: 51
; NumVgprs: 23
; NumAgprs: 0
; TotalNumVgprs: 23
; ScratchSize: 0
; MemoryBound: 0
; FloatMode: 240
; IeeeMode: 1
; LDSByteSize: 96 bytes/workgroup (compile time only)
; SGPRBlocks: 6
; VGPRBlocks: 2
; NumSGPRsForWavesPerEU: 51
; NumVGPRsForWavesPerEU: 23
; AccumOffset: 24
; Occupancy: 8
; WaveLimiterHint : 1
; COMPUTE_PGM_RSRC2:SCRATCH_EN: 0
; COMPUTE_PGM_RSRC2:USER_SGPR: 2
; COMPUTE_PGM_RSRC2:TRAP_HANDLER: 0
; COMPUTE_PGM_RSRC2:TGID_X_EN: 1
; COMPUTE_PGM_RSRC2:TGID_Y_EN: 0
; COMPUTE_PGM_RSRC2:TGID_Z_EN: 0
; COMPUTE_PGM_RSRC2:TIDIG_COMP_CNT: 0
; COMPUTE_PGM_RSRC3_GFX90A:ACCUM_OFFSET: 5
; COMPUTE_PGM_RSRC3_GFX90A:TG_SPLIT: 0
	.section	.text._ZN7rocprim17ROCPRIM_400000_NS6detail17trampoline_kernelINS0_14default_configENS1_22reduce_config_selectorIxEEZNS1_11reduce_implILb1ES3_N6thrust23THRUST_200600_302600_NS6detail15normal_iteratorINS8_10device_ptrIxEEEEPiiNS8_4plusIiEEEE10hipError_tPvRmT1_T2_T3_mT4_P12ihipStream_tbEUlT_E1_NS1_11comp_targetILNS1_3genE5ELNS1_11target_archE942ELNS1_3gpuE9ELNS1_3repE0EEENS1_30default_config_static_selectorELNS0_4arch9wavefront6targetE1EEEvSK_,"axG",@progbits,_ZN7rocprim17ROCPRIM_400000_NS6detail17trampoline_kernelINS0_14default_configENS1_22reduce_config_selectorIxEEZNS1_11reduce_implILb1ES3_N6thrust23THRUST_200600_302600_NS6detail15normal_iteratorINS8_10device_ptrIxEEEEPiiNS8_4plusIiEEEE10hipError_tPvRmT1_T2_T3_mT4_P12ihipStream_tbEUlT_E1_NS1_11comp_targetILNS1_3genE5ELNS1_11target_archE942ELNS1_3gpuE9ELNS1_3repE0EEENS1_30default_config_static_selectorELNS0_4arch9wavefront6targetE1EEEvSK_,comdat
	.protected	_ZN7rocprim17ROCPRIM_400000_NS6detail17trampoline_kernelINS0_14default_configENS1_22reduce_config_selectorIxEEZNS1_11reduce_implILb1ES3_N6thrust23THRUST_200600_302600_NS6detail15normal_iteratorINS8_10device_ptrIxEEEEPiiNS8_4plusIiEEEE10hipError_tPvRmT1_T2_T3_mT4_P12ihipStream_tbEUlT_E1_NS1_11comp_targetILNS1_3genE5ELNS1_11target_archE942ELNS1_3gpuE9ELNS1_3repE0EEENS1_30default_config_static_selectorELNS0_4arch9wavefront6targetE1EEEvSK_ ; -- Begin function _ZN7rocprim17ROCPRIM_400000_NS6detail17trampoline_kernelINS0_14default_configENS1_22reduce_config_selectorIxEEZNS1_11reduce_implILb1ES3_N6thrust23THRUST_200600_302600_NS6detail15normal_iteratorINS8_10device_ptrIxEEEEPiiNS8_4plusIiEEEE10hipError_tPvRmT1_T2_T3_mT4_P12ihipStream_tbEUlT_E1_NS1_11comp_targetILNS1_3genE5ELNS1_11target_archE942ELNS1_3gpuE9ELNS1_3repE0EEENS1_30default_config_static_selectorELNS0_4arch9wavefront6targetE1EEEvSK_
	.globl	_ZN7rocprim17ROCPRIM_400000_NS6detail17trampoline_kernelINS0_14default_configENS1_22reduce_config_selectorIxEEZNS1_11reduce_implILb1ES3_N6thrust23THRUST_200600_302600_NS6detail15normal_iteratorINS8_10device_ptrIxEEEEPiiNS8_4plusIiEEEE10hipError_tPvRmT1_T2_T3_mT4_P12ihipStream_tbEUlT_E1_NS1_11comp_targetILNS1_3genE5ELNS1_11target_archE942ELNS1_3gpuE9ELNS1_3repE0EEENS1_30default_config_static_selectorELNS0_4arch9wavefront6targetE1EEEvSK_
	.p2align	8
	.type	_ZN7rocprim17ROCPRIM_400000_NS6detail17trampoline_kernelINS0_14default_configENS1_22reduce_config_selectorIxEEZNS1_11reduce_implILb1ES3_N6thrust23THRUST_200600_302600_NS6detail15normal_iteratorINS8_10device_ptrIxEEEEPiiNS8_4plusIiEEEE10hipError_tPvRmT1_T2_T3_mT4_P12ihipStream_tbEUlT_E1_NS1_11comp_targetILNS1_3genE5ELNS1_11target_archE942ELNS1_3gpuE9ELNS1_3repE0EEENS1_30default_config_static_selectorELNS0_4arch9wavefront6targetE1EEEvSK_,@function
_ZN7rocprim17ROCPRIM_400000_NS6detail17trampoline_kernelINS0_14default_configENS1_22reduce_config_selectorIxEEZNS1_11reduce_implILb1ES3_N6thrust23THRUST_200600_302600_NS6detail15normal_iteratorINS8_10device_ptrIxEEEEPiiNS8_4plusIiEEEE10hipError_tPvRmT1_T2_T3_mT4_P12ihipStream_tbEUlT_E1_NS1_11comp_targetILNS1_3genE5ELNS1_11target_archE942ELNS1_3gpuE9ELNS1_3repE0EEENS1_30default_config_static_selectorELNS0_4arch9wavefront6targetE1EEEvSK_: ; @_ZN7rocprim17ROCPRIM_400000_NS6detail17trampoline_kernelINS0_14default_configENS1_22reduce_config_selectorIxEEZNS1_11reduce_implILb1ES3_N6thrust23THRUST_200600_302600_NS6detail15normal_iteratorINS8_10device_ptrIxEEEEPiiNS8_4plusIiEEEE10hipError_tPvRmT1_T2_T3_mT4_P12ihipStream_tbEUlT_E1_NS1_11comp_targetILNS1_3genE5ELNS1_11target_archE942ELNS1_3gpuE9ELNS1_3repE0EEENS1_30default_config_static_selectorELNS0_4arch9wavefront6targetE1EEEvSK_
; %bb.0:
	.section	.rodata,"a",@progbits
	.p2align	6, 0x0
	.amdhsa_kernel _ZN7rocprim17ROCPRIM_400000_NS6detail17trampoline_kernelINS0_14default_configENS1_22reduce_config_selectorIxEEZNS1_11reduce_implILb1ES3_N6thrust23THRUST_200600_302600_NS6detail15normal_iteratorINS8_10device_ptrIxEEEEPiiNS8_4plusIiEEEE10hipError_tPvRmT1_T2_T3_mT4_P12ihipStream_tbEUlT_E1_NS1_11comp_targetILNS1_3genE5ELNS1_11target_archE942ELNS1_3gpuE9ELNS1_3repE0EEENS1_30default_config_static_selectorELNS0_4arch9wavefront6targetE1EEEvSK_
		.amdhsa_group_segment_fixed_size 0
		.amdhsa_private_segment_fixed_size 0
		.amdhsa_kernarg_size 40
		.amdhsa_user_sgpr_count 2
		.amdhsa_user_sgpr_dispatch_ptr 0
		.amdhsa_user_sgpr_queue_ptr 0
		.amdhsa_user_sgpr_kernarg_segment_ptr 1
		.amdhsa_user_sgpr_dispatch_id 0
		.amdhsa_user_sgpr_kernarg_preload_length 0
		.amdhsa_user_sgpr_kernarg_preload_offset 0
		.amdhsa_user_sgpr_private_segment_size 0
		.amdhsa_uses_dynamic_stack 0
		.amdhsa_enable_private_segment 0
		.amdhsa_system_sgpr_workgroup_id_x 1
		.amdhsa_system_sgpr_workgroup_id_y 0
		.amdhsa_system_sgpr_workgroup_id_z 0
		.amdhsa_system_sgpr_workgroup_info 0
		.amdhsa_system_vgpr_workitem_id 0
		.amdhsa_next_free_vgpr 1
		.amdhsa_next_free_sgpr 0
		.amdhsa_accum_offset 4
		.amdhsa_reserve_vcc 0
		.amdhsa_float_round_mode_32 0
		.amdhsa_float_round_mode_16_64 0
		.amdhsa_float_denorm_mode_32 3
		.amdhsa_float_denorm_mode_16_64 3
		.amdhsa_dx10_clamp 1
		.amdhsa_ieee_mode 1
		.amdhsa_fp16_overflow 0
		.amdhsa_tg_split 0
		.amdhsa_exception_fp_ieee_invalid_op 0
		.amdhsa_exception_fp_denorm_src 0
		.amdhsa_exception_fp_ieee_div_zero 0
		.amdhsa_exception_fp_ieee_overflow 0
		.amdhsa_exception_fp_ieee_underflow 0
		.amdhsa_exception_fp_ieee_inexact 0
		.amdhsa_exception_int_div_zero 0
	.end_amdhsa_kernel
	.section	.text._ZN7rocprim17ROCPRIM_400000_NS6detail17trampoline_kernelINS0_14default_configENS1_22reduce_config_selectorIxEEZNS1_11reduce_implILb1ES3_N6thrust23THRUST_200600_302600_NS6detail15normal_iteratorINS8_10device_ptrIxEEEEPiiNS8_4plusIiEEEE10hipError_tPvRmT1_T2_T3_mT4_P12ihipStream_tbEUlT_E1_NS1_11comp_targetILNS1_3genE5ELNS1_11target_archE942ELNS1_3gpuE9ELNS1_3repE0EEENS1_30default_config_static_selectorELNS0_4arch9wavefront6targetE1EEEvSK_,"axG",@progbits,_ZN7rocprim17ROCPRIM_400000_NS6detail17trampoline_kernelINS0_14default_configENS1_22reduce_config_selectorIxEEZNS1_11reduce_implILb1ES3_N6thrust23THRUST_200600_302600_NS6detail15normal_iteratorINS8_10device_ptrIxEEEEPiiNS8_4plusIiEEEE10hipError_tPvRmT1_T2_T3_mT4_P12ihipStream_tbEUlT_E1_NS1_11comp_targetILNS1_3genE5ELNS1_11target_archE942ELNS1_3gpuE9ELNS1_3repE0EEENS1_30default_config_static_selectorELNS0_4arch9wavefront6targetE1EEEvSK_,comdat
.Lfunc_end469:
	.size	_ZN7rocprim17ROCPRIM_400000_NS6detail17trampoline_kernelINS0_14default_configENS1_22reduce_config_selectorIxEEZNS1_11reduce_implILb1ES3_N6thrust23THRUST_200600_302600_NS6detail15normal_iteratorINS8_10device_ptrIxEEEEPiiNS8_4plusIiEEEE10hipError_tPvRmT1_T2_T3_mT4_P12ihipStream_tbEUlT_E1_NS1_11comp_targetILNS1_3genE5ELNS1_11target_archE942ELNS1_3gpuE9ELNS1_3repE0EEENS1_30default_config_static_selectorELNS0_4arch9wavefront6targetE1EEEvSK_, .Lfunc_end469-_ZN7rocprim17ROCPRIM_400000_NS6detail17trampoline_kernelINS0_14default_configENS1_22reduce_config_selectorIxEEZNS1_11reduce_implILb1ES3_N6thrust23THRUST_200600_302600_NS6detail15normal_iteratorINS8_10device_ptrIxEEEEPiiNS8_4plusIiEEEE10hipError_tPvRmT1_T2_T3_mT4_P12ihipStream_tbEUlT_E1_NS1_11comp_targetILNS1_3genE5ELNS1_11target_archE942ELNS1_3gpuE9ELNS1_3repE0EEENS1_30default_config_static_selectorELNS0_4arch9wavefront6targetE1EEEvSK_
                                        ; -- End function
	.set _ZN7rocprim17ROCPRIM_400000_NS6detail17trampoline_kernelINS0_14default_configENS1_22reduce_config_selectorIxEEZNS1_11reduce_implILb1ES3_N6thrust23THRUST_200600_302600_NS6detail15normal_iteratorINS8_10device_ptrIxEEEEPiiNS8_4plusIiEEEE10hipError_tPvRmT1_T2_T3_mT4_P12ihipStream_tbEUlT_E1_NS1_11comp_targetILNS1_3genE5ELNS1_11target_archE942ELNS1_3gpuE9ELNS1_3repE0EEENS1_30default_config_static_selectorELNS0_4arch9wavefront6targetE1EEEvSK_.num_vgpr, 0
	.set _ZN7rocprim17ROCPRIM_400000_NS6detail17trampoline_kernelINS0_14default_configENS1_22reduce_config_selectorIxEEZNS1_11reduce_implILb1ES3_N6thrust23THRUST_200600_302600_NS6detail15normal_iteratorINS8_10device_ptrIxEEEEPiiNS8_4plusIiEEEE10hipError_tPvRmT1_T2_T3_mT4_P12ihipStream_tbEUlT_E1_NS1_11comp_targetILNS1_3genE5ELNS1_11target_archE942ELNS1_3gpuE9ELNS1_3repE0EEENS1_30default_config_static_selectorELNS0_4arch9wavefront6targetE1EEEvSK_.num_agpr, 0
	.set _ZN7rocprim17ROCPRIM_400000_NS6detail17trampoline_kernelINS0_14default_configENS1_22reduce_config_selectorIxEEZNS1_11reduce_implILb1ES3_N6thrust23THRUST_200600_302600_NS6detail15normal_iteratorINS8_10device_ptrIxEEEEPiiNS8_4plusIiEEEE10hipError_tPvRmT1_T2_T3_mT4_P12ihipStream_tbEUlT_E1_NS1_11comp_targetILNS1_3genE5ELNS1_11target_archE942ELNS1_3gpuE9ELNS1_3repE0EEENS1_30default_config_static_selectorELNS0_4arch9wavefront6targetE1EEEvSK_.numbered_sgpr, 0
	.set _ZN7rocprim17ROCPRIM_400000_NS6detail17trampoline_kernelINS0_14default_configENS1_22reduce_config_selectorIxEEZNS1_11reduce_implILb1ES3_N6thrust23THRUST_200600_302600_NS6detail15normal_iteratorINS8_10device_ptrIxEEEEPiiNS8_4plusIiEEEE10hipError_tPvRmT1_T2_T3_mT4_P12ihipStream_tbEUlT_E1_NS1_11comp_targetILNS1_3genE5ELNS1_11target_archE942ELNS1_3gpuE9ELNS1_3repE0EEENS1_30default_config_static_selectorELNS0_4arch9wavefront6targetE1EEEvSK_.num_named_barrier, 0
	.set _ZN7rocprim17ROCPRIM_400000_NS6detail17trampoline_kernelINS0_14default_configENS1_22reduce_config_selectorIxEEZNS1_11reduce_implILb1ES3_N6thrust23THRUST_200600_302600_NS6detail15normal_iteratorINS8_10device_ptrIxEEEEPiiNS8_4plusIiEEEE10hipError_tPvRmT1_T2_T3_mT4_P12ihipStream_tbEUlT_E1_NS1_11comp_targetILNS1_3genE5ELNS1_11target_archE942ELNS1_3gpuE9ELNS1_3repE0EEENS1_30default_config_static_selectorELNS0_4arch9wavefront6targetE1EEEvSK_.private_seg_size, 0
	.set _ZN7rocprim17ROCPRIM_400000_NS6detail17trampoline_kernelINS0_14default_configENS1_22reduce_config_selectorIxEEZNS1_11reduce_implILb1ES3_N6thrust23THRUST_200600_302600_NS6detail15normal_iteratorINS8_10device_ptrIxEEEEPiiNS8_4plusIiEEEE10hipError_tPvRmT1_T2_T3_mT4_P12ihipStream_tbEUlT_E1_NS1_11comp_targetILNS1_3genE5ELNS1_11target_archE942ELNS1_3gpuE9ELNS1_3repE0EEENS1_30default_config_static_selectorELNS0_4arch9wavefront6targetE1EEEvSK_.uses_vcc, 0
	.set _ZN7rocprim17ROCPRIM_400000_NS6detail17trampoline_kernelINS0_14default_configENS1_22reduce_config_selectorIxEEZNS1_11reduce_implILb1ES3_N6thrust23THRUST_200600_302600_NS6detail15normal_iteratorINS8_10device_ptrIxEEEEPiiNS8_4plusIiEEEE10hipError_tPvRmT1_T2_T3_mT4_P12ihipStream_tbEUlT_E1_NS1_11comp_targetILNS1_3genE5ELNS1_11target_archE942ELNS1_3gpuE9ELNS1_3repE0EEENS1_30default_config_static_selectorELNS0_4arch9wavefront6targetE1EEEvSK_.uses_flat_scratch, 0
	.set _ZN7rocprim17ROCPRIM_400000_NS6detail17trampoline_kernelINS0_14default_configENS1_22reduce_config_selectorIxEEZNS1_11reduce_implILb1ES3_N6thrust23THRUST_200600_302600_NS6detail15normal_iteratorINS8_10device_ptrIxEEEEPiiNS8_4plusIiEEEE10hipError_tPvRmT1_T2_T3_mT4_P12ihipStream_tbEUlT_E1_NS1_11comp_targetILNS1_3genE5ELNS1_11target_archE942ELNS1_3gpuE9ELNS1_3repE0EEENS1_30default_config_static_selectorELNS0_4arch9wavefront6targetE1EEEvSK_.has_dyn_sized_stack, 0
	.set _ZN7rocprim17ROCPRIM_400000_NS6detail17trampoline_kernelINS0_14default_configENS1_22reduce_config_selectorIxEEZNS1_11reduce_implILb1ES3_N6thrust23THRUST_200600_302600_NS6detail15normal_iteratorINS8_10device_ptrIxEEEEPiiNS8_4plusIiEEEE10hipError_tPvRmT1_T2_T3_mT4_P12ihipStream_tbEUlT_E1_NS1_11comp_targetILNS1_3genE5ELNS1_11target_archE942ELNS1_3gpuE9ELNS1_3repE0EEENS1_30default_config_static_selectorELNS0_4arch9wavefront6targetE1EEEvSK_.has_recursion, 0
	.set _ZN7rocprim17ROCPRIM_400000_NS6detail17trampoline_kernelINS0_14default_configENS1_22reduce_config_selectorIxEEZNS1_11reduce_implILb1ES3_N6thrust23THRUST_200600_302600_NS6detail15normal_iteratorINS8_10device_ptrIxEEEEPiiNS8_4plusIiEEEE10hipError_tPvRmT1_T2_T3_mT4_P12ihipStream_tbEUlT_E1_NS1_11comp_targetILNS1_3genE5ELNS1_11target_archE942ELNS1_3gpuE9ELNS1_3repE0EEENS1_30default_config_static_selectorELNS0_4arch9wavefront6targetE1EEEvSK_.has_indirect_call, 0
	.section	.AMDGPU.csdata,"",@progbits
; Kernel info:
; codeLenInByte = 0
; TotalNumSgprs: 6
; NumVgprs: 0
; NumAgprs: 0
; TotalNumVgprs: 0
; ScratchSize: 0
; MemoryBound: 0
; FloatMode: 240
; IeeeMode: 1
; LDSByteSize: 0 bytes/workgroup (compile time only)
; SGPRBlocks: 0
; VGPRBlocks: 0
; NumSGPRsForWavesPerEU: 6
; NumVGPRsForWavesPerEU: 1
; AccumOffset: 4
; Occupancy: 8
; WaveLimiterHint : 0
; COMPUTE_PGM_RSRC2:SCRATCH_EN: 0
; COMPUTE_PGM_RSRC2:USER_SGPR: 2
; COMPUTE_PGM_RSRC2:TRAP_HANDLER: 0
; COMPUTE_PGM_RSRC2:TGID_X_EN: 1
; COMPUTE_PGM_RSRC2:TGID_Y_EN: 0
; COMPUTE_PGM_RSRC2:TGID_Z_EN: 0
; COMPUTE_PGM_RSRC2:TIDIG_COMP_CNT: 0
; COMPUTE_PGM_RSRC3_GFX90A:ACCUM_OFFSET: 0
; COMPUTE_PGM_RSRC3_GFX90A:TG_SPLIT: 0
	.section	.text._ZN7rocprim17ROCPRIM_400000_NS6detail17trampoline_kernelINS0_14default_configENS1_22reduce_config_selectorIxEEZNS1_11reduce_implILb1ES3_N6thrust23THRUST_200600_302600_NS6detail15normal_iteratorINS8_10device_ptrIxEEEEPiiNS8_4plusIiEEEE10hipError_tPvRmT1_T2_T3_mT4_P12ihipStream_tbEUlT_E1_NS1_11comp_targetILNS1_3genE4ELNS1_11target_archE910ELNS1_3gpuE8ELNS1_3repE0EEENS1_30default_config_static_selectorELNS0_4arch9wavefront6targetE1EEEvSK_,"axG",@progbits,_ZN7rocprim17ROCPRIM_400000_NS6detail17trampoline_kernelINS0_14default_configENS1_22reduce_config_selectorIxEEZNS1_11reduce_implILb1ES3_N6thrust23THRUST_200600_302600_NS6detail15normal_iteratorINS8_10device_ptrIxEEEEPiiNS8_4plusIiEEEE10hipError_tPvRmT1_T2_T3_mT4_P12ihipStream_tbEUlT_E1_NS1_11comp_targetILNS1_3genE4ELNS1_11target_archE910ELNS1_3gpuE8ELNS1_3repE0EEENS1_30default_config_static_selectorELNS0_4arch9wavefront6targetE1EEEvSK_,comdat
	.protected	_ZN7rocprim17ROCPRIM_400000_NS6detail17trampoline_kernelINS0_14default_configENS1_22reduce_config_selectorIxEEZNS1_11reduce_implILb1ES3_N6thrust23THRUST_200600_302600_NS6detail15normal_iteratorINS8_10device_ptrIxEEEEPiiNS8_4plusIiEEEE10hipError_tPvRmT1_T2_T3_mT4_P12ihipStream_tbEUlT_E1_NS1_11comp_targetILNS1_3genE4ELNS1_11target_archE910ELNS1_3gpuE8ELNS1_3repE0EEENS1_30default_config_static_selectorELNS0_4arch9wavefront6targetE1EEEvSK_ ; -- Begin function _ZN7rocprim17ROCPRIM_400000_NS6detail17trampoline_kernelINS0_14default_configENS1_22reduce_config_selectorIxEEZNS1_11reduce_implILb1ES3_N6thrust23THRUST_200600_302600_NS6detail15normal_iteratorINS8_10device_ptrIxEEEEPiiNS8_4plusIiEEEE10hipError_tPvRmT1_T2_T3_mT4_P12ihipStream_tbEUlT_E1_NS1_11comp_targetILNS1_3genE4ELNS1_11target_archE910ELNS1_3gpuE8ELNS1_3repE0EEENS1_30default_config_static_selectorELNS0_4arch9wavefront6targetE1EEEvSK_
	.globl	_ZN7rocprim17ROCPRIM_400000_NS6detail17trampoline_kernelINS0_14default_configENS1_22reduce_config_selectorIxEEZNS1_11reduce_implILb1ES3_N6thrust23THRUST_200600_302600_NS6detail15normal_iteratorINS8_10device_ptrIxEEEEPiiNS8_4plusIiEEEE10hipError_tPvRmT1_T2_T3_mT4_P12ihipStream_tbEUlT_E1_NS1_11comp_targetILNS1_3genE4ELNS1_11target_archE910ELNS1_3gpuE8ELNS1_3repE0EEENS1_30default_config_static_selectorELNS0_4arch9wavefront6targetE1EEEvSK_
	.p2align	8
	.type	_ZN7rocprim17ROCPRIM_400000_NS6detail17trampoline_kernelINS0_14default_configENS1_22reduce_config_selectorIxEEZNS1_11reduce_implILb1ES3_N6thrust23THRUST_200600_302600_NS6detail15normal_iteratorINS8_10device_ptrIxEEEEPiiNS8_4plusIiEEEE10hipError_tPvRmT1_T2_T3_mT4_P12ihipStream_tbEUlT_E1_NS1_11comp_targetILNS1_3genE4ELNS1_11target_archE910ELNS1_3gpuE8ELNS1_3repE0EEENS1_30default_config_static_selectorELNS0_4arch9wavefront6targetE1EEEvSK_,@function
_ZN7rocprim17ROCPRIM_400000_NS6detail17trampoline_kernelINS0_14default_configENS1_22reduce_config_selectorIxEEZNS1_11reduce_implILb1ES3_N6thrust23THRUST_200600_302600_NS6detail15normal_iteratorINS8_10device_ptrIxEEEEPiiNS8_4plusIiEEEE10hipError_tPvRmT1_T2_T3_mT4_P12ihipStream_tbEUlT_E1_NS1_11comp_targetILNS1_3genE4ELNS1_11target_archE910ELNS1_3gpuE8ELNS1_3repE0EEENS1_30default_config_static_selectorELNS0_4arch9wavefront6targetE1EEEvSK_: ; @_ZN7rocprim17ROCPRIM_400000_NS6detail17trampoline_kernelINS0_14default_configENS1_22reduce_config_selectorIxEEZNS1_11reduce_implILb1ES3_N6thrust23THRUST_200600_302600_NS6detail15normal_iteratorINS8_10device_ptrIxEEEEPiiNS8_4plusIiEEEE10hipError_tPvRmT1_T2_T3_mT4_P12ihipStream_tbEUlT_E1_NS1_11comp_targetILNS1_3genE4ELNS1_11target_archE910ELNS1_3gpuE8ELNS1_3repE0EEENS1_30default_config_static_selectorELNS0_4arch9wavefront6targetE1EEEvSK_
; %bb.0:
	.section	.rodata,"a",@progbits
	.p2align	6, 0x0
	.amdhsa_kernel _ZN7rocprim17ROCPRIM_400000_NS6detail17trampoline_kernelINS0_14default_configENS1_22reduce_config_selectorIxEEZNS1_11reduce_implILb1ES3_N6thrust23THRUST_200600_302600_NS6detail15normal_iteratorINS8_10device_ptrIxEEEEPiiNS8_4plusIiEEEE10hipError_tPvRmT1_T2_T3_mT4_P12ihipStream_tbEUlT_E1_NS1_11comp_targetILNS1_3genE4ELNS1_11target_archE910ELNS1_3gpuE8ELNS1_3repE0EEENS1_30default_config_static_selectorELNS0_4arch9wavefront6targetE1EEEvSK_
		.amdhsa_group_segment_fixed_size 0
		.amdhsa_private_segment_fixed_size 0
		.amdhsa_kernarg_size 40
		.amdhsa_user_sgpr_count 2
		.amdhsa_user_sgpr_dispatch_ptr 0
		.amdhsa_user_sgpr_queue_ptr 0
		.amdhsa_user_sgpr_kernarg_segment_ptr 1
		.amdhsa_user_sgpr_dispatch_id 0
		.amdhsa_user_sgpr_kernarg_preload_length 0
		.amdhsa_user_sgpr_kernarg_preload_offset 0
		.amdhsa_user_sgpr_private_segment_size 0
		.amdhsa_uses_dynamic_stack 0
		.amdhsa_enable_private_segment 0
		.amdhsa_system_sgpr_workgroup_id_x 1
		.amdhsa_system_sgpr_workgroup_id_y 0
		.amdhsa_system_sgpr_workgroup_id_z 0
		.amdhsa_system_sgpr_workgroup_info 0
		.amdhsa_system_vgpr_workitem_id 0
		.amdhsa_next_free_vgpr 1
		.amdhsa_next_free_sgpr 0
		.amdhsa_accum_offset 4
		.amdhsa_reserve_vcc 0
		.amdhsa_float_round_mode_32 0
		.amdhsa_float_round_mode_16_64 0
		.amdhsa_float_denorm_mode_32 3
		.amdhsa_float_denorm_mode_16_64 3
		.amdhsa_dx10_clamp 1
		.amdhsa_ieee_mode 1
		.amdhsa_fp16_overflow 0
		.amdhsa_tg_split 0
		.amdhsa_exception_fp_ieee_invalid_op 0
		.amdhsa_exception_fp_denorm_src 0
		.amdhsa_exception_fp_ieee_div_zero 0
		.amdhsa_exception_fp_ieee_overflow 0
		.amdhsa_exception_fp_ieee_underflow 0
		.amdhsa_exception_fp_ieee_inexact 0
		.amdhsa_exception_int_div_zero 0
	.end_amdhsa_kernel
	.section	.text._ZN7rocprim17ROCPRIM_400000_NS6detail17trampoline_kernelINS0_14default_configENS1_22reduce_config_selectorIxEEZNS1_11reduce_implILb1ES3_N6thrust23THRUST_200600_302600_NS6detail15normal_iteratorINS8_10device_ptrIxEEEEPiiNS8_4plusIiEEEE10hipError_tPvRmT1_T2_T3_mT4_P12ihipStream_tbEUlT_E1_NS1_11comp_targetILNS1_3genE4ELNS1_11target_archE910ELNS1_3gpuE8ELNS1_3repE0EEENS1_30default_config_static_selectorELNS0_4arch9wavefront6targetE1EEEvSK_,"axG",@progbits,_ZN7rocprim17ROCPRIM_400000_NS6detail17trampoline_kernelINS0_14default_configENS1_22reduce_config_selectorIxEEZNS1_11reduce_implILb1ES3_N6thrust23THRUST_200600_302600_NS6detail15normal_iteratorINS8_10device_ptrIxEEEEPiiNS8_4plusIiEEEE10hipError_tPvRmT1_T2_T3_mT4_P12ihipStream_tbEUlT_E1_NS1_11comp_targetILNS1_3genE4ELNS1_11target_archE910ELNS1_3gpuE8ELNS1_3repE0EEENS1_30default_config_static_selectorELNS0_4arch9wavefront6targetE1EEEvSK_,comdat
.Lfunc_end470:
	.size	_ZN7rocprim17ROCPRIM_400000_NS6detail17trampoline_kernelINS0_14default_configENS1_22reduce_config_selectorIxEEZNS1_11reduce_implILb1ES3_N6thrust23THRUST_200600_302600_NS6detail15normal_iteratorINS8_10device_ptrIxEEEEPiiNS8_4plusIiEEEE10hipError_tPvRmT1_T2_T3_mT4_P12ihipStream_tbEUlT_E1_NS1_11comp_targetILNS1_3genE4ELNS1_11target_archE910ELNS1_3gpuE8ELNS1_3repE0EEENS1_30default_config_static_selectorELNS0_4arch9wavefront6targetE1EEEvSK_, .Lfunc_end470-_ZN7rocprim17ROCPRIM_400000_NS6detail17trampoline_kernelINS0_14default_configENS1_22reduce_config_selectorIxEEZNS1_11reduce_implILb1ES3_N6thrust23THRUST_200600_302600_NS6detail15normal_iteratorINS8_10device_ptrIxEEEEPiiNS8_4plusIiEEEE10hipError_tPvRmT1_T2_T3_mT4_P12ihipStream_tbEUlT_E1_NS1_11comp_targetILNS1_3genE4ELNS1_11target_archE910ELNS1_3gpuE8ELNS1_3repE0EEENS1_30default_config_static_selectorELNS0_4arch9wavefront6targetE1EEEvSK_
                                        ; -- End function
	.set _ZN7rocprim17ROCPRIM_400000_NS6detail17trampoline_kernelINS0_14default_configENS1_22reduce_config_selectorIxEEZNS1_11reduce_implILb1ES3_N6thrust23THRUST_200600_302600_NS6detail15normal_iteratorINS8_10device_ptrIxEEEEPiiNS8_4plusIiEEEE10hipError_tPvRmT1_T2_T3_mT4_P12ihipStream_tbEUlT_E1_NS1_11comp_targetILNS1_3genE4ELNS1_11target_archE910ELNS1_3gpuE8ELNS1_3repE0EEENS1_30default_config_static_selectorELNS0_4arch9wavefront6targetE1EEEvSK_.num_vgpr, 0
	.set _ZN7rocprim17ROCPRIM_400000_NS6detail17trampoline_kernelINS0_14default_configENS1_22reduce_config_selectorIxEEZNS1_11reduce_implILb1ES3_N6thrust23THRUST_200600_302600_NS6detail15normal_iteratorINS8_10device_ptrIxEEEEPiiNS8_4plusIiEEEE10hipError_tPvRmT1_T2_T3_mT4_P12ihipStream_tbEUlT_E1_NS1_11comp_targetILNS1_3genE4ELNS1_11target_archE910ELNS1_3gpuE8ELNS1_3repE0EEENS1_30default_config_static_selectorELNS0_4arch9wavefront6targetE1EEEvSK_.num_agpr, 0
	.set _ZN7rocprim17ROCPRIM_400000_NS6detail17trampoline_kernelINS0_14default_configENS1_22reduce_config_selectorIxEEZNS1_11reduce_implILb1ES3_N6thrust23THRUST_200600_302600_NS6detail15normal_iteratorINS8_10device_ptrIxEEEEPiiNS8_4plusIiEEEE10hipError_tPvRmT1_T2_T3_mT4_P12ihipStream_tbEUlT_E1_NS1_11comp_targetILNS1_3genE4ELNS1_11target_archE910ELNS1_3gpuE8ELNS1_3repE0EEENS1_30default_config_static_selectorELNS0_4arch9wavefront6targetE1EEEvSK_.numbered_sgpr, 0
	.set _ZN7rocprim17ROCPRIM_400000_NS6detail17trampoline_kernelINS0_14default_configENS1_22reduce_config_selectorIxEEZNS1_11reduce_implILb1ES3_N6thrust23THRUST_200600_302600_NS6detail15normal_iteratorINS8_10device_ptrIxEEEEPiiNS8_4plusIiEEEE10hipError_tPvRmT1_T2_T3_mT4_P12ihipStream_tbEUlT_E1_NS1_11comp_targetILNS1_3genE4ELNS1_11target_archE910ELNS1_3gpuE8ELNS1_3repE0EEENS1_30default_config_static_selectorELNS0_4arch9wavefront6targetE1EEEvSK_.num_named_barrier, 0
	.set _ZN7rocprim17ROCPRIM_400000_NS6detail17trampoline_kernelINS0_14default_configENS1_22reduce_config_selectorIxEEZNS1_11reduce_implILb1ES3_N6thrust23THRUST_200600_302600_NS6detail15normal_iteratorINS8_10device_ptrIxEEEEPiiNS8_4plusIiEEEE10hipError_tPvRmT1_T2_T3_mT4_P12ihipStream_tbEUlT_E1_NS1_11comp_targetILNS1_3genE4ELNS1_11target_archE910ELNS1_3gpuE8ELNS1_3repE0EEENS1_30default_config_static_selectorELNS0_4arch9wavefront6targetE1EEEvSK_.private_seg_size, 0
	.set _ZN7rocprim17ROCPRIM_400000_NS6detail17trampoline_kernelINS0_14default_configENS1_22reduce_config_selectorIxEEZNS1_11reduce_implILb1ES3_N6thrust23THRUST_200600_302600_NS6detail15normal_iteratorINS8_10device_ptrIxEEEEPiiNS8_4plusIiEEEE10hipError_tPvRmT1_T2_T3_mT4_P12ihipStream_tbEUlT_E1_NS1_11comp_targetILNS1_3genE4ELNS1_11target_archE910ELNS1_3gpuE8ELNS1_3repE0EEENS1_30default_config_static_selectorELNS0_4arch9wavefront6targetE1EEEvSK_.uses_vcc, 0
	.set _ZN7rocprim17ROCPRIM_400000_NS6detail17trampoline_kernelINS0_14default_configENS1_22reduce_config_selectorIxEEZNS1_11reduce_implILb1ES3_N6thrust23THRUST_200600_302600_NS6detail15normal_iteratorINS8_10device_ptrIxEEEEPiiNS8_4plusIiEEEE10hipError_tPvRmT1_T2_T3_mT4_P12ihipStream_tbEUlT_E1_NS1_11comp_targetILNS1_3genE4ELNS1_11target_archE910ELNS1_3gpuE8ELNS1_3repE0EEENS1_30default_config_static_selectorELNS0_4arch9wavefront6targetE1EEEvSK_.uses_flat_scratch, 0
	.set _ZN7rocprim17ROCPRIM_400000_NS6detail17trampoline_kernelINS0_14default_configENS1_22reduce_config_selectorIxEEZNS1_11reduce_implILb1ES3_N6thrust23THRUST_200600_302600_NS6detail15normal_iteratorINS8_10device_ptrIxEEEEPiiNS8_4plusIiEEEE10hipError_tPvRmT1_T2_T3_mT4_P12ihipStream_tbEUlT_E1_NS1_11comp_targetILNS1_3genE4ELNS1_11target_archE910ELNS1_3gpuE8ELNS1_3repE0EEENS1_30default_config_static_selectorELNS0_4arch9wavefront6targetE1EEEvSK_.has_dyn_sized_stack, 0
	.set _ZN7rocprim17ROCPRIM_400000_NS6detail17trampoline_kernelINS0_14default_configENS1_22reduce_config_selectorIxEEZNS1_11reduce_implILb1ES3_N6thrust23THRUST_200600_302600_NS6detail15normal_iteratorINS8_10device_ptrIxEEEEPiiNS8_4plusIiEEEE10hipError_tPvRmT1_T2_T3_mT4_P12ihipStream_tbEUlT_E1_NS1_11comp_targetILNS1_3genE4ELNS1_11target_archE910ELNS1_3gpuE8ELNS1_3repE0EEENS1_30default_config_static_selectorELNS0_4arch9wavefront6targetE1EEEvSK_.has_recursion, 0
	.set _ZN7rocprim17ROCPRIM_400000_NS6detail17trampoline_kernelINS0_14default_configENS1_22reduce_config_selectorIxEEZNS1_11reduce_implILb1ES3_N6thrust23THRUST_200600_302600_NS6detail15normal_iteratorINS8_10device_ptrIxEEEEPiiNS8_4plusIiEEEE10hipError_tPvRmT1_T2_T3_mT4_P12ihipStream_tbEUlT_E1_NS1_11comp_targetILNS1_3genE4ELNS1_11target_archE910ELNS1_3gpuE8ELNS1_3repE0EEENS1_30default_config_static_selectorELNS0_4arch9wavefront6targetE1EEEvSK_.has_indirect_call, 0
	.section	.AMDGPU.csdata,"",@progbits
; Kernel info:
; codeLenInByte = 0
; TotalNumSgprs: 6
; NumVgprs: 0
; NumAgprs: 0
; TotalNumVgprs: 0
; ScratchSize: 0
; MemoryBound: 0
; FloatMode: 240
; IeeeMode: 1
; LDSByteSize: 0 bytes/workgroup (compile time only)
; SGPRBlocks: 0
; VGPRBlocks: 0
; NumSGPRsForWavesPerEU: 6
; NumVGPRsForWavesPerEU: 1
; AccumOffset: 4
; Occupancy: 8
; WaveLimiterHint : 0
; COMPUTE_PGM_RSRC2:SCRATCH_EN: 0
; COMPUTE_PGM_RSRC2:USER_SGPR: 2
; COMPUTE_PGM_RSRC2:TRAP_HANDLER: 0
; COMPUTE_PGM_RSRC2:TGID_X_EN: 1
; COMPUTE_PGM_RSRC2:TGID_Y_EN: 0
; COMPUTE_PGM_RSRC2:TGID_Z_EN: 0
; COMPUTE_PGM_RSRC2:TIDIG_COMP_CNT: 0
; COMPUTE_PGM_RSRC3_GFX90A:ACCUM_OFFSET: 0
; COMPUTE_PGM_RSRC3_GFX90A:TG_SPLIT: 0
	.section	.text._ZN7rocprim17ROCPRIM_400000_NS6detail17trampoline_kernelINS0_14default_configENS1_22reduce_config_selectorIxEEZNS1_11reduce_implILb1ES3_N6thrust23THRUST_200600_302600_NS6detail15normal_iteratorINS8_10device_ptrIxEEEEPiiNS8_4plusIiEEEE10hipError_tPvRmT1_T2_T3_mT4_P12ihipStream_tbEUlT_E1_NS1_11comp_targetILNS1_3genE3ELNS1_11target_archE908ELNS1_3gpuE7ELNS1_3repE0EEENS1_30default_config_static_selectorELNS0_4arch9wavefront6targetE1EEEvSK_,"axG",@progbits,_ZN7rocprim17ROCPRIM_400000_NS6detail17trampoline_kernelINS0_14default_configENS1_22reduce_config_selectorIxEEZNS1_11reduce_implILb1ES3_N6thrust23THRUST_200600_302600_NS6detail15normal_iteratorINS8_10device_ptrIxEEEEPiiNS8_4plusIiEEEE10hipError_tPvRmT1_T2_T3_mT4_P12ihipStream_tbEUlT_E1_NS1_11comp_targetILNS1_3genE3ELNS1_11target_archE908ELNS1_3gpuE7ELNS1_3repE0EEENS1_30default_config_static_selectorELNS0_4arch9wavefront6targetE1EEEvSK_,comdat
	.protected	_ZN7rocprim17ROCPRIM_400000_NS6detail17trampoline_kernelINS0_14default_configENS1_22reduce_config_selectorIxEEZNS1_11reduce_implILb1ES3_N6thrust23THRUST_200600_302600_NS6detail15normal_iteratorINS8_10device_ptrIxEEEEPiiNS8_4plusIiEEEE10hipError_tPvRmT1_T2_T3_mT4_P12ihipStream_tbEUlT_E1_NS1_11comp_targetILNS1_3genE3ELNS1_11target_archE908ELNS1_3gpuE7ELNS1_3repE0EEENS1_30default_config_static_selectorELNS0_4arch9wavefront6targetE1EEEvSK_ ; -- Begin function _ZN7rocprim17ROCPRIM_400000_NS6detail17trampoline_kernelINS0_14default_configENS1_22reduce_config_selectorIxEEZNS1_11reduce_implILb1ES3_N6thrust23THRUST_200600_302600_NS6detail15normal_iteratorINS8_10device_ptrIxEEEEPiiNS8_4plusIiEEEE10hipError_tPvRmT1_T2_T3_mT4_P12ihipStream_tbEUlT_E1_NS1_11comp_targetILNS1_3genE3ELNS1_11target_archE908ELNS1_3gpuE7ELNS1_3repE0EEENS1_30default_config_static_selectorELNS0_4arch9wavefront6targetE1EEEvSK_
	.globl	_ZN7rocprim17ROCPRIM_400000_NS6detail17trampoline_kernelINS0_14default_configENS1_22reduce_config_selectorIxEEZNS1_11reduce_implILb1ES3_N6thrust23THRUST_200600_302600_NS6detail15normal_iteratorINS8_10device_ptrIxEEEEPiiNS8_4plusIiEEEE10hipError_tPvRmT1_T2_T3_mT4_P12ihipStream_tbEUlT_E1_NS1_11comp_targetILNS1_3genE3ELNS1_11target_archE908ELNS1_3gpuE7ELNS1_3repE0EEENS1_30default_config_static_selectorELNS0_4arch9wavefront6targetE1EEEvSK_
	.p2align	8
	.type	_ZN7rocprim17ROCPRIM_400000_NS6detail17trampoline_kernelINS0_14default_configENS1_22reduce_config_selectorIxEEZNS1_11reduce_implILb1ES3_N6thrust23THRUST_200600_302600_NS6detail15normal_iteratorINS8_10device_ptrIxEEEEPiiNS8_4plusIiEEEE10hipError_tPvRmT1_T2_T3_mT4_P12ihipStream_tbEUlT_E1_NS1_11comp_targetILNS1_3genE3ELNS1_11target_archE908ELNS1_3gpuE7ELNS1_3repE0EEENS1_30default_config_static_selectorELNS0_4arch9wavefront6targetE1EEEvSK_,@function
_ZN7rocprim17ROCPRIM_400000_NS6detail17trampoline_kernelINS0_14default_configENS1_22reduce_config_selectorIxEEZNS1_11reduce_implILb1ES3_N6thrust23THRUST_200600_302600_NS6detail15normal_iteratorINS8_10device_ptrIxEEEEPiiNS8_4plusIiEEEE10hipError_tPvRmT1_T2_T3_mT4_P12ihipStream_tbEUlT_E1_NS1_11comp_targetILNS1_3genE3ELNS1_11target_archE908ELNS1_3gpuE7ELNS1_3repE0EEENS1_30default_config_static_selectorELNS0_4arch9wavefront6targetE1EEEvSK_: ; @_ZN7rocprim17ROCPRIM_400000_NS6detail17trampoline_kernelINS0_14default_configENS1_22reduce_config_selectorIxEEZNS1_11reduce_implILb1ES3_N6thrust23THRUST_200600_302600_NS6detail15normal_iteratorINS8_10device_ptrIxEEEEPiiNS8_4plusIiEEEE10hipError_tPvRmT1_T2_T3_mT4_P12ihipStream_tbEUlT_E1_NS1_11comp_targetILNS1_3genE3ELNS1_11target_archE908ELNS1_3gpuE7ELNS1_3repE0EEENS1_30default_config_static_selectorELNS0_4arch9wavefront6targetE1EEEvSK_
; %bb.0:
	.section	.rodata,"a",@progbits
	.p2align	6, 0x0
	.amdhsa_kernel _ZN7rocprim17ROCPRIM_400000_NS6detail17trampoline_kernelINS0_14default_configENS1_22reduce_config_selectorIxEEZNS1_11reduce_implILb1ES3_N6thrust23THRUST_200600_302600_NS6detail15normal_iteratorINS8_10device_ptrIxEEEEPiiNS8_4plusIiEEEE10hipError_tPvRmT1_T2_T3_mT4_P12ihipStream_tbEUlT_E1_NS1_11comp_targetILNS1_3genE3ELNS1_11target_archE908ELNS1_3gpuE7ELNS1_3repE0EEENS1_30default_config_static_selectorELNS0_4arch9wavefront6targetE1EEEvSK_
		.amdhsa_group_segment_fixed_size 0
		.amdhsa_private_segment_fixed_size 0
		.amdhsa_kernarg_size 40
		.amdhsa_user_sgpr_count 2
		.amdhsa_user_sgpr_dispatch_ptr 0
		.amdhsa_user_sgpr_queue_ptr 0
		.amdhsa_user_sgpr_kernarg_segment_ptr 1
		.amdhsa_user_sgpr_dispatch_id 0
		.amdhsa_user_sgpr_kernarg_preload_length 0
		.amdhsa_user_sgpr_kernarg_preload_offset 0
		.amdhsa_user_sgpr_private_segment_size 0
		.amdhsa_uses_dynamic_stack 0
		.amdhsa_enable_private_segment 0
		.amdhsa_system_sgpr_workgroup_id_x 1
		.amdhsa_system_sgpr_workgroup_id_y 0
		.amdhsa_system_sgpr_workgroup_id_z 0
		.amdhsa_system_sgpr_workgroup_info 0
		.amdhsa_system_vgpr_workitem_id 0
		.amdhsa_next_free_vgpr 1
		.amdhsa_next_free_sgpr 0
		.amdhsa_accum_offset 4
		.amdhsa_reserve_vcc 0
		.amdhsa_float_round_mode_32 0
		.amdhsa_float_round_mode_16_64 0
		.amdhsa_float_denorm_mode_32 3
		.amdhsa_float_denorm_mode_16_64 3
		.amdhsa_dx10_clamp 1
		.amdhsa_ieee_mode 1
		.amdhsa_fp16_overflow 0
		.amdhsa_tg_split 0
		.amdhsa_exception_fp_ieee_invalid_op 0
		.amdhsa_exception_fp_denorm_src 0
		.amdhsa_exception_fp_ieee_div_zero 0
		.amdhsa_exception_fp_ieee_overflow 0
		.amdhsa_exception_fp_ieee_underflow 0
		.amdhsa_exception_fp_ieee_inexact 0
		.amdhsa_exception_int_div_zero 0
	.end_amdhsa_kernel
	.section	.text._ZN7rocprim17ROCPRIM_400000_NS6detail17trampoline_kernelINS0_14default_configENS1_22reduce_config_selectorIxEEZNS1_11reduce_implILb1ES3_N6thrust23THRUST_200600_302600_NS6detail15normal_iteratorINS8_10device_ptrIxEEEEPiiNS8_4plusIiEEEE10hipError_tPvRmT1_T2_T3_mT4_P12ihipStream_tbEUlT_E1_NS1_11comp_targetILNS1_3genE3ELNS1_11target_archE908ELNS1_3gpuE7ELNS1_3repE0EEENS1_30default_config_static_selectorELNS0_4arch9wavefront6targetE1EEEvSK_,"axG",@progbits,_ZN7rocprim17ROCPRIM_400000_NS6detail17trampoline_kernelINS0_14default_configENS1_22reduce_config_selectorIxEEZNS1_11reduce_implILb1ES3_N6thrust23THRUST_200600_302600_NS6detail15normal_iteratorINS8_10device_ptrIxEEEEPiiNS8_4plusIiEEEE10hipError_tPvRmT1_T2_T3_mT4_P12ihipStream_tbEUlT_E1_NS1_11comp_targetILNS1_3genE3ELNS1_11target_archE908ELNS1_3gpuE7ELNS1_3repE0EEENS1_30default_config_static_selectorELNS0_4arch9wavefront6targetE1EEEvSK_,comdat
.Lfunc_end471:
	.size	_ZN7rocprim17ROCPRIM_400000_NS6detail17trampoline_kernelINS0_14default_configENS1_22reduce_config_selectorIxEEZNS1_11reduce_implILb1ES3_N6thrust23THRUST_200600_302600_NS6detail15normal_iteratorINS8_10device_ptrIxEEEEPiiNS8_4plusIiEEEE10hipError_tPvRmT1_T2_T3_mT4_P12ihipStream_tbEUlT_E1_NS1_11comp_targetILNS1_3genE3ELNS1_11target_archE908ELNS1_3gpuE7ELNS1_3repE0EEENS1_30default_config_static_selectorELNS0_4arch9wavefront6targetE1EEEvSK_, .Lfunc_end471-_ZN7rocprim17ROCPRIM_400000_NS6detail17trampoline_kernelINS0_14default_configENS1_22reduce_config_selectorIxEEZNS1_11reduce_implILb1ES3_N6thrust23THRUST_200600_302600_NS6detail15normal_iteratorINS8_10device_ptrIxEEEEPiiNS8_4plusIiEEEE10hipError_tPvRmT1_T2_T3_mT4_P12ihipStream_tbEUlT_E1_NS1_11comp_targetILNS1_3genE3ELNS1_11target_archE908ELNS1_3gpuE7ELNS1_3repE0EEENS1_30default_config_static_selectorELNS0_4arch9wavefront6targetE1EEEvSK_
                                        ; -- End function
	.set _ZN7rocprim17ROCPRIM_400000_NS6detail17trampoline_kernelINS0_14default_configENS1_22reduce_config_selectorIxEEZNS1_11reduce_implILb1ES3_N6thrust23THRUST_200600_302600_NS6detail15normal_iteratorINS8_10device_ptrIxEEEEPiiNS8_4plusIiEEEE10hipError_tPvRmT1_T2_T3_mT4_P12ihipStream_tbEUlT_E1_NS1_11comp_targetILNS1_3genE3ELNS1_11target_archE908ELNS1_3gpuE7ELNS1_3repE0EEENS1_30default_config_static_selectorELNS0_4arch9wavefront6targetE1EEEvSK_.num_vgpr, 0
	.set _ZN7rocprim17ROCPRIM_400000_NS6detail17trampoline_kernelINS0_14default_configENS1_22reduce_config_selectorIxEEZNS1_11reduce_implILb1ES3_N6thrust23THRUST_200600_302600_NS6detail15normal_iteratorINS8_10device_ptrIxEEEEPiiNS8_4plusIiEEEE10hipError_tPvRmT1_T2_T3_mT4_P12ihipStream_tbEUlT_E1_NS1_11comp_targetILNS1_3genE3ELNS1_11target_archE908ELNS1_3gpuE7ELNS1_3repE0EEENS1_30default_config_static_selectorELNS0_4arch9wavefront6targetE1EEEvSK_.num_agpr, 0
	.set _ZN7rocprim17ROCPRIM_400000_NS6detail17trampoline_kernelINS0_14default_configENS1_22reduce_config_selectorIxEEZNS1_11reduce_implILb1ES3_N6thrust23THRUST_200600_302600_NS6detail15normal_iteratorINS8_10device_ptrIxEEEEPiiNS8_4plusIiEEEE10hipError_tPvRmT1_T2_T3_mT4_P12ihipStream_tbEUlT_E1_NS1_11comp_targetILNS1_3genE3ELNS1_11target_archE908ELNS1_3gpuE7ELNS1_3repE0EEENS1_30default_config_static_selectorELNS0_4arch9wavefront6targetE1EEEvSK_.numbered_sgpr, 0
	.set _ZN7rocprim17ROCPRIM_400000_NS6detail17trampoline_kernelINS0_14default_configENS1_22reduce_config_selectorIxEEZNS1_11reduce_implILb1ES3_N6thrust23THRUST_200600_302600_NS6detail15normal_iteratorINS8_10device_ptrIxEEEEPiiNS8_4plusIiEEEE10hipError_tPvRmT1_T2_T3_mT4_P12ihipStream_tbEUlT_E1_NS1_11comp_targetILNS1_3genE3ELNS1_11target_archE908ELNS1_3gpuE7ELNS1_3repE0EEENS1_30default_config_static_selectorELNS0_4arch9wavefront6targetE1EEEvSK_.num_named_barrier, 0
	.set _ZN7rocprim17ROCPRIM_400000_NS6detail17trampoline_kernelINS0_14default_configENS1_22reduce_config_selectorIxEEZNS1_11reduce_implILb1ES3_N6thrust23THRUST_200600_302600_NS6detail15normal_iteratorINS8_10device_ptrIxEEEEPiiNS8_4plusIiEEEE10hipError_tPvRmT1_T2_T3_mT4_P12ihipStream_tbEUlT_E1_NS1_11comp_targetILNS1_3genE3ELNS1_11target_archE908ELNS1_3gpuE7ELNS1_3repE0EEENS1_30default_config_static_selectorELNS0_4arch9wavefront6targetE1EEEvSK_.private_seg_size, 0
	.set _ZN7rocprim17ROCPRIM_400000_NS6detail17trampoline_kernelINS0_14default_configENS1_22reduce_config_selectorIxEEZNS1_11reduce_implILb1ES3_N6thrust23THRUST_200600_302600_NS6detail15normal_iteratorINS8_10device_ptrIxEEEEPiiNS8_4plusIiEEEE10hipError_tPvRmT1_T2_T3_mT4_P12ihipStream_tbEUlT_E1_NS1_11comp_targetILNS1_3genE3ELNS1_11target_archE908ELNS1_3gpuE7ELNS1_3repE0EEENS1_30default_config_static_selectorELNS0_4arch9wavefront6targetE1EEEvSK_.uses_vcc, 0
	.set _ZN7rocprim17ROCPRIM_400000_NS6detail17trampoline_kernelINS0_14default_configENS1_22reduce_config_selectorIxEEZNS1_11reduce_implILb1ES3_N6thrust23THRUST_200600_302600_NS6detail15normal_iteratorINS8_10device_ptrIxEEEEPiiNS8_4plusIiEEEE10hipError_tPvRmT1_T2_T3_mT4_P12ihipStream_tbEUlT_E1_NS1_11comp_targetILNS1_3genE3ELNS1_11target_archE908ELNS1_3gpuE7ELNS1_3repE0EEENS1_30default_config_static_selectorELNS0_4arch9wavefront6targetE1EEEvSK_.uses_flat_scratch, 0
	.set _ZN7rocprim17ROCPRIM_400000_NS6detail17trampoline_kernelINS0_14default_configENS1_22reduce_config_selectorIxEEZNS1_11reduce_implILb1ES3_N6thrust23THRUST_200600_302600_NS6detail15normal_iteratorINS8_10device_ptrIxEEEEPiiNS8_4plusIiEEEE10hipError_tPvRmT1_T2_T3_mT4_P12ihipStream_tbEUlT_E1_NS1_11comp_targetILNS1_3genE3ELNS1_11target_archE908ELNS1_3gpuE7ELNS1_3repE0EEENS1_30default_config_static_selectorELNS0_4arch9wavefront6targetE1EEEvSK_.has_dyn_sized_stack, 0
	.set _ZN7rocprim17ROCPRIM_400000_NS6detail17trampoline_kernelINS0_14default_configENS1_22reduce_config_selectorIxEEZNS1_11reduce_implILb1ES3_N6thrust23THRUST_200600_302600_NS6detail15normal_iteratorINS8_10device_ptrIxEEEEPiiNS8_4plusIiEEEE10hipError_tPvRmT1_T2_T3_mT4_P12ihipStream_tbEUlT_E1_NS1_11comp_targetILNS1_3genE3ELNS1_11target_archE908ELNS1_3gpuE7ELNS1_3repE0EEENS1_30default_config_static_selectorELNS0_4arch9wavefront6targetE1EEEvSK_.has_recursion, 0
	.set _ZN7rocprim17ROCPRIM_400000_NS6detail17trampoline_kernelINS0_14default_configENS1_22reduce_config_selectorIxEEZNS1_11reduce_implILb1ES3_N6thrust23THRUST_200600_302600_NS6detail15normal_iteratorINS8_10device_ptrIxEEEEPiiNS8_4plusIiEEEE10hipError_tPvRmT1_T2_T3_mT4_P12ihipStream_tbEUlT_E1_NS1_11comp_targetILNS1_3genE3ELNS1_11target_archE908ELNS1_3gpuE7ELNS1_3repE0EEENS1_30default_config_static_selectorELNS0_4arch9wavefront6targetE1EEEvSK_.has_indirect_call, 0
	.section	.AMDGPU.csdata,"",@progbits
; Kernel info:
; codeLenInByte = 0
; TotalNumSgprs: 6
; NumVgprs: 0
; NumAgprs: 0
; TotalNumVgprs: 0
; ScratchSize: 0
; MemoryBound: 0
; FloatMode: 240
; IeeeMode: 1
; LDSByteSize: 0 bytes/workgroup (compile time only)
; SGPRBlocks: 0
; VGPRBlocks: 0
; NumSGPRsForWavesPerEU: 6
; NumVGPRsForWavesPerEU: 1
; AccumOffset: 4
; Occupancy: 8
; WaveLimiterHint : 0
; COMPUTE_PGM_RSRC2:SCRATCH_EN: 0
; COMPUTE_PGM_RSRC2:USER_SGPR: 2
; COMPUTE_PGM_RSRC2:TRAP_HANDLER: 0
; COMPUTE_PGM_RSRC2:TGID_X_EN: 1
; COMPUTE_PGM_RSRC2:TGID_Y_EN: 0
; COMPUTE_PGM_RSRC2:TGID_Z_EN: 0
; COMPUTE_PGM_RSRC2:TIDIG_COMP_CNT: 0
; COMPUTE_PGM_RSRC3_GFX90A:ACCUM_OFFSET: 0
; COMPUTE_PGM_RSRC3_GFX90A:TG_SPLIT: 0
	.section	.text._ZN7rocprim17ROCPRIM_400000_NS6detail17trampoline_kernelINS0_14default_configENS1_22reduce_config_selectorIxEEZNS1_11reduce_implILb1ES3_N6thrust23THRUST_200600_302600_NS6detail15normal_iteratorINS8_10device_ptrIxEEEEPiiNS8_4plusIiEEEE10hipError_tPvRmT1_T2_T3_mT4_P12ihipStream_tbEUlT_E1_NS1_11comp_targetILNS1_3genE2ELNS1_11target_archE906ELNS1_3gpuE6ELNS1_3repE0EEENS1_30default_config_static_selectorELNS0_4arch9wavefront6targetE1EEEvSK_,"axG",@progbits,_ZN7rocprim17ROCPRIM_400000_NS6detail17trampoline_kernelINS0_14default_configENS1_22reduce_config_selectorIxEEZNS1_11reduce_implILb1ES3_N6thrust23THRUST_200600_302600_NS6detail15normal_iteratorINS8_10device_ptrIxEEEEPiiNS8_4plusIiEEEE10hipError_tPvRmT1_T2_T3_mT4_P12ihipStream_tbEUlT_E1_NS1_11comp_targetILNS1_3genE2ELNS1_11target_archE906ELNS1_3gpuE6ELNS1_3repE0EEENS1_30default_config_static_selectorELNS0_4arch9wavefront6targetE1EEEvSK_,comdat
	.protected	_ZN7rocprim17ROCPRIM_400000_NS6detail17trampoline_kernelINS0_14default_configENS1_22reduce_config_selectorIxEEZNS1_11reduce_implILb1ES3_N6thrust23THRUST_200600_302600_NS6detail15normal_iteratorINS8_10device_ptrIxEEEEPiiNS8_4plusIiEEEE10hipError_tPvRmT1_T2_T3_mT4_P12ihipStream_tbEUlT_E1_NS1_11comp_targetILNS1_3genE2ELNS1_11target_archE906ELNS1_3gpuE6ELNS1_3repE0EEENS1_30default_config_static_selectorELNS0_4arch9wavefront6targetE1EEEvSK_ ; -- Begin function _ZN7rocprim17ROCPRIM_400000_NS6detail17trampoline_kernelINS0_14default_configENS1_22reduce_config_selectorIxEEZNS1_11reduce_implILb1ES3_N6thrust23THRUST_200600_302600_NS6detail15normal_iteratorINS8_10device_ptrIxEEEEPiiNS8_4plusIiEEEE10hipError_tPvRmT1_T2_T3_mT4_P12ihipStream_tbEUlT_E1_NS1_11comp_targetILNS1_3genE2ELNS1_11target_archE906ELNS1_3gpuE6ELNS1_3repE0EEENS1_30default_config_static_selectorELNS0_4arch9wavefront6targetE1EEEvSK_
	.globl	_ZN7rocprim17ROCPRIM_400000_NS6detail17trampoline_kernelINS0_14default_configENS1_22reduce_config_selectorIxEEZNS1_11reduce_implILb1ES3_N6thrust23THRUST_200600_302600_NS6detail15normal_iteratorINS8_10device_ptrIxEEEEPiiNS8_4plusIiEEEE10hipError_tPvRmT1_T2_T3_mT4_P12ihipStream_tbEUlT_E1_NS1_11comp_targetILNS1_3genE2ELNS1_11target_archE906ELNS1_3gpuE6ELNS1_3repE0EEENS1_30default_config_static_selectorELNS0_4arch9wavefront6targetE1EEEvSK_
	.p2align	8
	.type	_ZN7rocprim17ROCPRIM_400000_NS6detail17trampoline_kernelINS0_14default_configENS1_22reduce_config_selectorIxEEZNS1_11reduce_implILb1ES3_N6thrust23THRUST_200600_302600_NS6detail15normal_iteratorINS8_10device_ptrIxEEEEPiiNS8_4plusIiEEEE10hipError_tPvRmT1_T2_T3_mT4_P12ihipStream_tbEUlT_E1_NS1_11comp_targetILNS1_3genE2ELNS1_11target_archE906ELNS1_3gpuE6ELNS1_3repE0EEENS1_30default_config_static_selectorELNS0_4arch9wavefront6targetE1EEEvSK_,@function
_ZN7rocprim17ROCPRIM_400000_NS6detail17trampoline_kernelINS0_14default_configENS1_22reduce_config_selectorIxEEZNS1_11reduce_implILb1ES3_N6thrust23THRUST_200600_302600_NS6detail15normal_iteratorINS8_10device_ptrIxEEEEPiiNS8_4plusIiEEEE10hipError_tPvRmT1_T2_T3_mT4_P12ihipStream_tbEUlT_E1_NS1_11comp_targetILNS1_3genE2ELNS1_11target_archE906ELNS1_3gpuE6ELNS1_3repE0EEENS1_30default_config_static_selectorELNS0_4arch9wavefront6targetE1EEEvSK_: ; @_ZN7rocprim17ROCPRIM_400000_NS6detail17trampoline_kernelINS0_14default_configENS1_22reduce_config_selectorIxEEZNS1_11reduce_implILb1ES3_N6thrust23THRUST_200600_302600_NS6detail15normal_iteratorINS8_10device_ptrIxEEEEPiiNS8_4plusIiEEEE10hipError_tPvRmT1_T2_T3_mT4_P12ihipStream_tbEUlT_E1_NS1_11comp_targetILNS1_3genE2ELNS1_11target_archE906ELNS1_3gpuE6ELNS1_3repE0EEENS1_30default_config_static_selectorELNS0_4arch9wavefront6targetE1EEEvSK_
; %bb.0:
	.section	.rodata,"a",@progbits
	.p2align	6, 0x0
	.amdhsa_kernel _ZN7rocprim17ROCPRIM_400000_NS6detail17trampoline_kernelINS0_14default_configENS1_22reduce_config_selectorIxEEZNS1_11reduce_implILb1ES3_N6thrust23THRUST_200600_302600_NS6detail15normal_iteratorINS8_10device_ptrIxEEEEPiiNS8_4plusIiEEEE10hipError_tPvRmT1_T2_T3_mT4_P12ihipStream_tbEUlT_E1_NS1_11comp_targetILNS1_3genE2ELNS1_11target_archE906ELNS1_3gpuE6ELNS1_3repE0EEENS1_30default_config_static_selectorELNS0_4arch9wavefront6targetE1EEEvSK_
		.amdhsa_group_segment_fixed_size 0
		.amdhsa_private_segment_fixed_size 0
		.amdhsa_kernarg_size 40
		.amdhsa_user_sgpr_count 2
		.amdhsa_user_sgpr_dispatch_ptr 0
		.amdhsa_user_sgpr_queue_ptr 0
		.amdhsa_user_sgpr_kernarg_segment_ptr 1
		.amdhsa_user_sgpr_dispatch_id 0
		.amdhsa_user_sgpr_kernarg_preload_length 0
		.amdhsa_user_sgpr_kernarg_preload_offset 0
		.amdhsa_user_sgpr_private_segment_size 0
		.amdhsa_uses_dynamic_stack 0
		.amdhsa_enable_private_segment 0
		.amdhsa_system_sgpr_workgroup_id_x 1
		.amdhsa_system_sgpr_workgroup_id_y 0
		.amdhsa_system_sgpr_workgroup_id_z 0
		.amdhsa_system_sgpr_workgroup_info 0
		.amdhsa_system_vgpr_workitem_id 0
		.amdhsa_next_free_vgpr 1
		.amdhsa_next_free_sgpr 0
		.amdhsa_accum_offset 4
		.amdhsa_reserve_vcc 0
		.amdhsa_float_round_mode_32 0
		.amdhsa_float_round_mode_16_64 0
		.amdhsa_float_denorm_mode_32 3
		.amdhsa_float_denorm_mode_16_64 3
		.amdhsa_dx10_clamp 1
		.amdhsa_ieee_mode 1
		.amdhsa_fp16_overflow 0
		.amdhsa_tg_split 0
		.amdhsa_exception_fp_ieee_invalid_op 0
		.amdhsa_exception_fp_denorm_src 0
		.amdhsa_exception_fp_ieee_div_zero 0
		.amdhsa_exception_fp_ieee_overflow 0
		.amdhsa_exception_fp_ieee_underflow 0
		.amdhsa_exception_fp_ieee_inexact 0
		.amdhsa_exception_int_div_zero 0
	.end_amdhsa_kernel
	.section	.text._ZN7rocprim17ROCPRIM_400000_NS6detail17trampoline_kernelINS0_14default_configENS1_22reduce_config_selectorIxEEZNS1_11reduce_implILb1ES3_N6thrust23THRUST_200600_302600_NS6detail15normal_iteratorINS8_10device_ptrIxEEEEPiiNS8_4plusIiEEEE10hipError_tPvRmT1_T2_T3_mT4_P12ihipStream_tbEUlT_E1_NS1_11comp_targetILNS1_3genE2ELNS1_11target_archE906ELNS1_3gpuE6ELNS1_3repE0EEENS1_30default_config_static_selectorELNS0_4arch9wavefront6targetE1EEEvSK_,"axG",@progbits,_ZN7rocprim17ROCPRIM_400000_NS6detail17trampoline_kernelINS0_14default_configENS1_22reduce_config_selectorIxEEZNS1_11reduce_implILb1ES3_N6thrust23THRUST_200600_302600_NS6detail15normal_iteratorINS8_10device_ptrIxEEEEPiiNS8_4plusIiEEEE10hipError_tPvRmT1_T2_T3_mT4_P12ihipStream_tbEUlT_E1_NS1_11comp_targetILNS1_3genE2ELNS1_11target_archE906ELNS1_3gpuE6ELNS1_3repE0EEENS1_30default_config_static_selectorELNS0_4arch9wavefront6targetE1EEEvSK_,comdat
.Lfunc_end472:
	.size	_ZN7rocprim17ROCPRIM_400000_NS6detail17trampoline_kernelINS0_14default_configENS1_22reduce_config_selectorIxEEZNS1_11reduce_implILb1ES3_N6thrust23THRUST_200600_302600_NS6detail15normal_iteratorINS8_10device_ptrIxEEEEPiiNS8_4plusIiEEEE10hipError_tPvRmT1_T2_T3_mT4_P12ihipStream_tbEUlT_E1_NS1_11comp_targetILNS1_3genE2ELNS1_11target_archE906ELNS1_3gpuE6ELNS1_3repE0EEENS1_30default_config_static_selectorELNS0_4arch9wavefront6targetE1EEEvSK_, .Lfunc_end472-_ZN7rocprim17ROCPRIM_400000_NS6detail17trampoline_kernelINS0_14default_configENS1_22reduce_config_selectorIxEEZNS1_11reduce_implILb1ES3_N6thrust23THRUST_200600_302600_NS6detail15normal_iteratorINS8_10device_ptrIxEEEEPiiNS8_4plusIiEEEE10hipError_tPvRmT1_T2_T3_mT4_P12ihipStream_tbEUlT_E1_NS1_11comp_targetILNS1_3genE2ELNS1_11target_archE906ELNS1_3gpuE6ELNS1_3repE0EEENS1_30default_config_static_selectorELNS0_4arch9wavefront6targetE1EEEvSK_
                                        ; -- End function
	.set _ZN7rocprim17ROCPRIM_400000_NS6detail17trampoline_kernelINS0_14default_configENS1_22reduce_config_selectorIxEEZNS1_11reduce_implILb1ES3_N6thrust23THRUST_200600_302600_NS6detail15normal_iteratorINS8_10device_ptrIxEEEEPiiNS8_4plusIiEEEE10hipError_tPvRmT1_T2_T3_mT4_P12ihipStream_tbEUlT_E1_NS1_11comp_targetILNS1_3genE2ELNS1_11target_archE906ELNS1_3gpuE6ELNS1_3repE0EEENS1_30default_config_static_selectorELNS0_4arch9wavefront6targetE1EEEvSK_.num_vgpr, 0
	.set _ZN7rocprim17ROCPRIM_400000_NS6detail17trampoline_kernelINS0_14default_configENS1_22reduce_config_selectorIxEEZNS1_11reduce_implILb1ES3_N6thrust23THRUST_200600_302600_NS6detail15normal_iteratorINS8_10device_ptrIxEEEEPiiNS8_4plusIiEEEE10hipError_tPvRmT1_T2_T3_mT4_P12ihipStream_tbEUlT_E1_NS1_11comp_targetILNS1_3genE2ELNS1_11target_archE906ELNS1_3gpuE6ELNS1_3repE0EEENS1_30default_config_static_selectorELNS0_4arch9wavefront6targetE1EEEvSK_.num_agpr, 0
	.set _ZN7rocprim17ROCPRIM_400000_NS6detail17trampoline_kernelINS0_14default_configENS1_22reduce_config_selectorIxEEZNS1_11reduce_implILb1ES3_N6thrust23THRUST_200600_302600_NS6detail15normal_iteratorINS8_10device_ptrIxEEEEPiiNS8_4plusIiEEEE10hipError_tPvRmT1_T2_T3_mT4_P12ihipStream_tbEUlT_E1_NS1_11comp_targetILNS1_3genE2ELNS1_11target_archE906ELNS1_3gpuE6ELNS1_3repE0EEENS1_30default_config_static_selectorELNS0_4arch9wavefront6targetE1EEEvSK_.numbered_sgpr, 0
	.set _ZN7rocprim17ROCPRIM_400000_NS6detail17trampoline_kernelINS0_14default_configENS1_22reduce_config_selectorIxEEZNS1_11reduce_implILb1ES3_N6thrust23THRUST_200600_302600_NS6detail15normal_iteratorINS8_10device_ptrIxEEEEPiiNS8_4plusIiEEEE10hipError_tPvRmT1_T2_T3_mT4_P12ihipStream_tbEUlT_E1_NS1_11comp_targetILNS1_3genE2ELNS1_11target_archE906ELNS1_3gpuE6ELNS1_3repE0EEENS1_30default_config_static_selectorELNS0_4arch9wavefront6targetE1EEEvSK_.num_named_barrier, 0
	.set _ZN7rocprim17ROCPRIM_400000_NS6detail17trampoline_kernelINS0_14default_configENS1_22reduce_config_selectorIxEEZNS1_11reduce_implILb1ES3_N6thrust23THRUST_200600_302600_NS6detail15normal_iteratorINS8_10device_ptrIxEEEEPiiNS8_4plusIiEEEE10hipError_tPvRmT1_T2_T3_mT4_P12ihipStream_tbEUlT_E1_NS1_11comp_targetILNS1_3genE2ELNS1_11target_archE906ELNS1_3gpuE6ELNS1_3repE0EEENS1_30default_config_static_selectorELNS0_4arch9wavefront6targetE1EEEvSK_.private_seg_size, 0
	.set _ZN7rocprim17ROCPRIM_400000_NS6detail17trampoline_kernelINS0_14default_configENS1_22reduce_config_selectorIxEEZNS1_11reduce_implILb1ES3_N6thrust23THRUST_200600_302600_NS6detail15normal_iteratorINS8_10device_ptrIxEEEEPiiNS8_4plusIiEEEE10hipError_tPvRmT1_T2_T3_mT4_P12ihipStream_tbEUlT_E1_NS1_11comp_targetILNS1_3genE2ELNS1_11target_archE906ELNS1_3gpuE6ELNS1_3repE0EEENS1_30default_config_static_selectorELNS0_4arch9wavefront6targetE1EEEvSK_.uses_vcc, 0
	.set _ZN7rocprim17ROCPRIM_400000_NS6detail17trampoline_kernelINS0_14default_configENS1_22reduce_config_selectorIxEEZNS1_11reduce_implILb1ES3_N6thrust23THRUST_200600_302600_NS6detail15normal_iteratorINS8_10device_ptrIxEEEEPiiNS8_4plusIiEEEE10hipError_tPvRmT1_T2_T3_mT4_P12ihipStream_tbEUlT_E1_NS1_11comp_targetILNS1_3genE2ELNS1_11target_archE906ELNS1_3gpuE6ELNS1_3repE0EEENS1_30default_config_static_selectorELNS0_4arch9wavefront6targetE1EEEvSK_.uses_flat_scratch, 0
	.set _ZN7rocprim17ROCPRIM_400000_NS6detail17trampoline_kernelINS0_14default_configENS1_22reduce_config_selectorIxEEZNS1_11reduce_implILb1ES3_N6thrust23THRUST_200600_302600_NS6detail15normal_iteratorINS8_10device_ptrIxEEEEPiiNS8_4plusIiEEEE10hipError_tPvRmT1_T2_T3_mT4_P12ihipStream_tbEUlT_E1_NS1_11comp_targetILNS1_3genE2ELNS1_11target_archE906ELNS1_3gpuE6ELNS1_3repE0EEENS1_30default_config_static_selectorELNS0_4arch9wavefront6targetE1EEEvSK_.has_dyn_sized_stack, 0
	.set _ZN7rocprim17ROCPRIM_400000_NS6detail17trampoline_kernelINS0_14default_configENS1_22reduce_config_selectorIxEEZNS1_11reduce_implILb1ES3_N6thrust23THRUST_200600_302600_NS6detail15normal_iteratorINS8_10device_ptrIxEEEEPiiNS8_4plusIiEEEE10hipError_tPvRmT1_T2_T3_mT4_P12ihipStream_tbEUlT_E1_NS1_11comp_targetILNS1_3genE2ELNS1_11target_archE906ELNS1_3gpuE6ELNS1_3repE0EEENS1_30default_config_static_selectorELNS0_4arch9wavefront6targetE1EEEvSK_.has_recursion, 0
	.set _ZN7rocprim17ROCPRIM_400000_NS6detail17trampoline_kernelINS0_14default_configENS1_22reduce_config_selectorIxEEZNS1_11reduce_implILb1ES3_N6thrust23THRUST_200600_302600_NS6detail15normal_iteratorINS8_10device_ptrIxEEEEPiiNS8_4plusIiEEEE10hipError_tPvRmT1_T2_T3_mT4_P12ihipStream_tbEUlT_E1_NS1_11comp_targetILNS1_3genE2ELNS1_11target_archE906ELNS1_3gpuE6ELNS1_3repE0EEENS1_30default_config_static_selectorELNS0_4arch9wavefront6targetE1EEEvSK_.has_indirect_call, 0
	.section	.AMDGPU.csdata,"",@progbits
; Kernel info:
; codeLenInByte = 0
; TotalNumSgprs: 6
; NumVgprs: 0
; NumAgprs: 0
; TotalNumVgprs: 0
; ScratchSize: 0
; MemoryBound: 0
; FloatMode: 240
; IeeeMode: 1
; LDSByteSize: 0 bytes/workgroup (compile time only)
; SGPRBlocks: 0
; VGPRBlocks: 0
; NumSGPRsForWavesPerEU: 6
; NumVGPRsForWavesPerEU: 1
; AccumOffset: 4
; Occupancy: 8
; WaveLimiterHint : 0
; COMPUTE_PGM_RSRC2:SCRATCH_EN: 0
; COMPUTE_PGM_RSRC2:USER_SGPR: 2
; COMPUTE_PGM_RSRC2:TRAP_HANDLER: 0
; COMPUTE_PGM_RSRC2:TGID_X_EN: 1
; COMPUTE_PGM_RSRC2:TGID_Y_EN: 0
; COMPUTE_PGM_RSRC2:TGID_Z_EN: 0
; COMPUTE_PGM_RSRC2:TIDIG_COMP_CNT: 0
; COMPUTE_PGM_RSRC3_GFX90A:ACCUM_OFFSET: 0
; COMPUTE_PGM_RSRC3_GFX90A:TG_SPLIT: 0
	.section	.text._ZN7rocprim17ROCPRIM_400000_NS6detail17trampoline_kernelINS0_14default_configENS1_22reduce_config_selectorIxEEZNS1_11reduce_implILb1ES3_N6thrust23THRUST_200600_302600_NS6detail15normal_iteratorINS8_10device_ptrIxEEEEPiiNS8_4plusIiEEEE10hipError_tPvRmT1_T2_T3_mT4_P12ihipStream_tbEUlT_E1_NS1_11comp_targetILNS1_3genE10ELNS1_11target_archE1201ELNS1_3gpuE5ELNS1_3repE0EEENS1_30default_config_static_selectorELNS0_4arch9wavefront6targetE1EEEvSK_,"axG",@progbits,_ZN7rocprim17ROCPRIM_400000_NS6detail17trampoline_kernelINS0_14default_configENS1_22reduce_config_selectorIxEEZNS1_11reduce_implILb1ES3_N6thrust23THRUST_200600_302600_NS6detail15normal_iteratorINS8_10device_ptrIxEEEEPiiNS8_4plusIiEEEE10hipError_tPvRmT1_T2_T3_mT4_P12ihipStream_tbEUlT_E1_NS1_11comp_targetILNS1_3genE10ELNS1_11target_archE1201ELNS1_3gpuE5ELNS1_3repE0EEENS1_30default_config_static_selectorELNS0_4arch9wavefront6targetE1EEEvSK_,comdat
	.protected	_ZN7rocprim17ROCPRIM_400000_NS6detail17trampoline_kernelINS0_14default_configENS1_22reduce_config_selectorIxEEZNS1_11reduce_implILb1ES3_N6thrust23THRUST_200600_302600_NS6detail15normal_iteratorINS8_10device_ptrIxEEEEPiiNS8_4plusIiEEEE10hipError_tPvRmT1_T2_T3_mT4_P12ihipStream_tbEUlT_E1_NS1_11comp_targetILNS1_3genE10ELNS1_11target_archE1201ELNS1_3gpuE5ELNS1_3repE0EEENS1_30default_config_static_selectorELNS0_4arch9wavefront6targetE1EEEvSK_ ; -- Begin function _ZN7rocprim17ROCPRIM_400000_NS6detail17trampoline_kernelINS0_14default_configENS1_22reduce_config_selectorIxEEZNS1_11reduce_implILb1ES3_N6thrust23THRUST_200600_302600_NS6detail15normal_iteratorINS8_10device_ptrIxEEEEPiiNS8_4plusIiEEEE10hipError_tPvRmT1_T2_T3_mT4_P12ihipStream_tbEUlT_E1_NS1_11comp_targetILNS1_3genE10ELNS1_11target_archE1201ELNS1_3gpuE5ELNS1_3repE0EEENS1_30default_config_static_selectorELNS0_4arch9wavefront6targetE1EEEvSK_
	.globl	_ZN7rocprim17ROCPRIM_400000_NS6detail17trampoline_kernelINS0_14default_configENS1_22reduce_config_selectorIxEEZNS1_11reduce_implILb1ES3_N6thrust23THRUST_200600_302600_NS6detail15normal_iteratorINS8_10device_ptrIxEEEEPiiNS8_4plusIiEEEE10hipError_tPvRmT1_T2_T3_mT4_P12ihipStream_tbEUlT_E1_NS1_11comp_targetILNS1_3genE10ELNS1_11target_archE1201ELNS1_3gpuE5ELNS1_3repE0EEENS1_30default_config_static_selectorELNS0_4arch9wavefront6targetE1EEEvSK_
	.p2align	8
	.type	_ZN7rocprim17ROCPRIM_400000_NS6detail17trampoline_kernelINS0_14default_configENS1_22reduce_config_selectorIxEEZNS1_11reduce_implILb1ES3_N6thrust23THRUST_200600_302600_NS6detail15normal_iteratorINS8_10device_ptrIxEEEEPiiNS8_4plusIiEEEE10hipError_tPvRmT1_T2_T3_mT4_P12ihipStream_tbEUlT_E1_NS1_11comp_targetILNS1_3genE10ELNS1_11target_archE1201ELNS1_3gpuE5ELNS1_3repE0EEENS1_30default_config_static_selectorELNS0_4arch9wavefront6targetE1EEEvSK_,@function
_ZN7rocprim17ROCPRIM_400000_NS6detail17trampoline_kernelINS0_14default_configENS1_22reduce_config_selectorIxEEZNS1_11reduce_implILb1ES3_N6thrust23THRUST_200600_302600_NS6detail15normal_iteratorINS8_10device_ptrIxEEEEPiiNS8_4plusIiEEEE10hipError_tPvRmT1_T2_T3_mT4_P12ihipStream_tbEUlT_E1_NS1_11comp_targetILNS1_3genE10ELNS1_11target_archE1201ELNS1_3gpuE5ELNS1_3repE0EEENS1_30default_config_static_selectorELNS0_4arch9wavefront6targetE1EEEvSK_: ; @_ZN7rocprim17ROCPRIM_400000_NS6detail17trampoline_kernelINS0_14default_configENS1_22reduce_config_selectorIxEEZNS1_11reduce_implILb1ES3_N6thrust23THRUST_200600_302600_NS6detail15normal_iteratorINS8_10device_ptrIxEEEEPiiNS8_4plusIiEEEE10hipError_tPvRmT1_T2_T3_mT4_P12ihipStream_tbEUlT_E1_NS1_11comp_targetILNS1_3genE10ELNS1_11target_archE1201ELNS1_3gpuE5ELNS1_3repE0EEENS1_30default_config_static_selectorELNS0_4arch9wavefront6targetE1EEEvSK_
; %bb.0:
	.section	.rodata,"a",@progbits
	.p2align	6, 0x0
	.amdhsa_kernel _ZN7rocprim17ROCPRIM_400000_NS6detail17trampoline_kernelINS0_14default_configENS1_22reduce_config_selectorIxEEZNS1_11reduce_implILb1ES3_N6thrust23THRUST_200600_302600_NS6detail15normal_iteratorINS8_10device_ptrIxEEEEPiiNS8_4plusIiEEEE10hipError_tPvRmT1_T2_T3_mT4_P12ihipStream_tbEUlT_E1_NS1_11comp_targetILNS1_3genE10ELNS1_11target_archE1201ELNS1_3gpuE5ELNS1_3repE0EEENS1_30default_config_static_selectorELNS0_4arch9wavefront6targetE1EEEvSK_
		.amdhsa_group_segment_fixed_size 0
		.amdhsa_private_segment_fixed_size 0
		.amdhsa_kernarg_size 40
		.amdhsa_user_sgpr_count 2
		.amdhsa_user_sgpr_dispatch_ptr 0
		.amdhsa_user_sgpr_queue_ptr 0
		.amdhsa_user_sgpr_kernarg_segment_ptr 1
		.amdhsa_user_sgpr_dispatch_id 0
		.amdhsa_user_sgpr_kernarg_preload_length 0
		.amdhsa_user_sgpr_kernarg_preload_offset 0
		.amdhsa_user_sgpr_private_segment_size 0
		.amdhsa_uses_dynamic_stack 0
		.amdhsa_enable_private_segment 0
		.amdhsa_system_sgpr_workgroup_id_x 1
		.amdhsa_system_sgpr_workgroup_id_y 0
		.amdhsa_system_sgpr_workgroup_id_z 0
		.amdhsa_system_sgpr_workgroup_info 0
		.amdhsa_system_vgpr_workitem_id 0
		.amdhsa_next_free_vgpr 1
		.amdhsa_next_free_sgpr 0
		.amdhsa_accum_offset 4
		.amdhsa_reserve_vcc 0
		.amdhsa_float_round_mode_32 0
		.amdhsa_float_round_mode_16_64 0
		.amdhsa_float_denorm_mode_32 3
		.amdhsa_float_denorm_mode_16_64 3
		.amdhsa_dx10_clamp 1
		.amdhsa_ieee_mode 1
		.amdhsa_fp16_overflow 0
		.amdhsa_tg_split 0
		.amdhsa_exception_fp_ieee_invalid_op 0
		.amdhsa_exception_fp_denorm_src 0
		.amdhsa_exception_fp_ieee_div_zero 0
		.amdhsa_exception_fp_ieee_overflow 0
		.amdhsa_exception_fp_ieee_underflow 0
		.amdhsa_exception_fp_ieee_inexact 0
		.amdhsa_exception_int_div_zero 0
	.end_amdhsa_kernel
	.section	.text._ZN7rocprim17ROCPRIM_400000_NS6detail17trampoline_kernelINS0_14default_configENS1_22reduce_config_selectorIxEEZNS1_11reduce_implILb1ES3_N6thrust23THRUST_200600_302600_NS6detail15normal_iteratorINS8_10device_ptrIxEEEEPiiNS8_4plusIiEEEE10hipError_tPvRmT1_T2_T3_mT4_P12ihipStream_tbEUlT_E1_NS1_11comp_targetILNS1_3genE10ELNS1_11target_archE1201ELNS1_3gpuE5ELNS1_3repE0EEENS1_30default_config_static_selectorELNS0_4arch9wavefront6targetE1EEEvSK_,"axG",@progbits,_ZN7rocprim17ROCPRIM_400000_NS6detail17trampoline_kernelINS0_14default_configENS1_22reduce_config_selectorIxEEZNS1_11reduce_implILb1ES3_N6thrust23THRUST_200600_302600_NS6detail15normal_iteratorINS8_10device_ptrIxEEEEPiiNS8_4plusIiEEEE10hipError_tPvRmT1_T2_T3_mT4_P12ihipStream_tbEUlT_E1_NS1_11comp_targetILNS1_3genE10ELNS1_11target_archE1201ELNS1_3gpuE5ELNS1_3repE0EEENS1_30default_config_static_selectorELNS0_4arch9wavefront6targetE1EEEvSK_,comdat
.Lfunc_end473:
	.size	_ZN7rocprim17ROCPRIM_400000_NS6detail17trampoline_kernelINS0_14default_configENS1_22reduce_config_selectorIxEEZNS1_11reduce_implILb1ES3_N6thrust23THRUST_200600_302600_NS6detail15normal_iteratorINS8_10device_ptrIxEEEEPiiNS8_4plusIiEEEE10hipError_tPvRmT1_T2_T3_mT4_P12ihipStream_tbEUlT_E1_NS1_11comp_targetILNS1_3genE10ELNS1_11target_archE1201ELNS1_3gpuE5ELNS1_3repE0EEENS1_30default_config_static_selectorELNS0_4arch9wavefront6targetE1EEEvSK_, .Lfunc_end473-_ZN7rocprim17ROCPRIM_400000_NS6detail17trampoline_kernelINS0_14default_configENS1_22reduce_config_selectorIxEEZNS1_11reduce_implILb1ES3_N6thrust23THRUST_200600_302600_NS6detail15normal_iteratorINS8_10device_ptrIxEEEEPiiNS8_4plusIiEEEE10hipError_tPvRmT1_T2_T3_mT4_P12ihipStream_tbEUlT_E1_NS1_11comp_targetILNS1_3genE10ELNS1_11target_archE1201ELNS1_3gpuE5ELNS1_3repE0EEENS1_30default_config_static_selectorELNS0_4arch9wavefront6targetE1EEEvSK_
                                        ; -- End function
	.set _ZN7rocprim17ROCPRIM_400000_NS6detail17trampoline_kernelINS0_14default_configENS1_22reduce_config_selectorIxEEZNS1_11reduce_implILb1ES3_N6thrust23THRUST_200600_302600_NS6detail15normal_iteratorINS8_10device_ptrIxEEEEPiiNS8_4plusIiEEEE10hipError_tPvRmT1_T2_T3_mT4_P12ihipStream_tbEUlT_E1_NS1_11comp_targetILNS1_3genE10ELNS1_11target_archE1201ELNS1_3gpuE5ELNS1_3repE0EEENS1_30default_config_static_selectorELNS0_4arch9wavefront6targetE1EEEvSK_.num_vgpr, 0
	.set _ZN7rocprim17ROCPRIM_400000_NS6detail17trampoline_kernelINS0_14default_configENS1_22reduce_config_selectorIxEEZNS1_11reduce_implILb1ES3_N6thrust23THRUST_200600_302600_NS6detail15normal_iteratorINS8_10device_ptrIxEEEEPiiNS8_4plusIiEEEE10hipError_tPvRmT1_T2_T3_mT4_P12ihipStream_tbEUlT_E1_NS1_11comp_targetILNS1_3genE10ELNS1_11target_archE1201ELNS1_3gpuE5ELNS1_3repE0EEENS1_30default_config_static_selectorELNS0_4arch9wavefront6targetE1EEEvSK_.num_agpr, 0
	.set _ZN7rocprim17ROCPRIM_400000_NS6detail17trampoline_kernelINS0_14default_configENS1_22reduce_config_selectorIxEEZNS1_11reduce_implILb1ES3_N6thrust23THRUST_200600_302600_NS6detail15normal_iteratorINS8_10device_ptrIxEEEEPiiNS8_4plusIiEEEE10hipError_tPvRmT1_T2_T3_mT4_P12ihipStream_tbEUlT_E1_NS1_11comp_targetILNS1_3genE10ELNS1_11target_archE1201ELNS1_3gpuE5ELNS1_3repE0EEENS1_30default_config_static_selectorELNS0_4arch9wavefront6targetE1EEEvSK_.numbered_sgpr, 0
	.set _ZN7rocprim17ROCPRIM_400000_NS6detail17trampoline_kernelINS0_14default_configENS1_22reduce_config_selectorIxEEZNS1_11reduce_implILb1ES3_N6thrust23THRUST_200600_302600_NS6detail15normal_iteratorINS8_10device_ptrIxEEEEPiiNS8_4plusIiEEEE10hipError_tPvRmT1_T2_T3_mT4_P12ihipStream_tbEUlT_E1_NS1_11comp_targetILNS1_3genE10ELNS1_11target_archE1201ELNS1_3gpuE5ELNS1_3repE0EEENS1_30default_config_static_selectorELNS0_4arch9wavefront6targetE1EEEvSK_.num_named_barrier, 0
	.set _ZN7rocprim17ROCPRIM_400000_NS6detail17trampoline_kernelINS0_14default_configENS1_22reduce_config_selectorIxEEZNS1_11reduce_implILb1ES3_N6thrust23THRUST_200600_302600_NS6detail15normal_iteratorINS8_10device_ptrIxEEEEPiiNS8_4plusIiEEEE10hipError_tPvRmT1_T2_T3_mT4_P12ihipStream_tbEUlT_E1_NS1_11comp_targetILNS1_3genE10ELNS1_11target_archE1201ELNS1_3gpuE5ELNS1_3repE0EEENS1_30default_config_static_selectorELNS0_4arch9wavefront6targetE1EEEvSK_.private_seg_size, 0
	.set _ZN7rocprim17ROCPRIM_400000_NS6detail17trampoline_kernelINS0_14default_configENS1_22reduce_config_selectorIxEEZNS1_11reduce_implILb1ES3_N6thrust23THRUST_200600_302600_NS6detail15normal_iteratorINS8_10device_ptrIxEEEEPiiNS8_4plusIiEEEE10hipError_tPvRmT1_T2_T3_mT4_P12ihipStream_tbEUlT_E1_NS1_11comp_targetILNS1_3genE10ELNS1_11target_archE1201ELNS1_3gpuE5ELNS1_3repE0EEENS1_30default_config_static_selectorELNS0_4arch9wavefront6targetE1EEEvSK_.uses_vcc, 0
	.set _ZN7rocprim17ROCPRIM_400000_NS6detail17trampoline_kernelINS0_14default_configENS1_22reduce_config_selectorIxEEZNS1_11reduce_implILb1ES3_N6thrust23THRUST_200600_302600_NS6detail15normal_iteratorINS8_10device_ptrIxEEEEPiiNS8_4plusIiEEEE10hipError_tPvRmT1_T2_T3_mT4_P12ihipStream_tbEUlT_E1_NS1_11comp_targetILNS1_3genE10ELNS1_11target_archE1201ELNS1_3gpuE5ELNS1_3repE0EEENS1_30default_config_static_selectorELNS0_4arch9wavefront6targetE1EEEvSK_.uses_flat_scratch, 0
	.set _ZN7rocprim17ROCPRIM_400000_NS6detail17trampoline_kernelINS0_14default_configENS1_22reduce_config_selectorIxEEZNS1_11reduce_implILb1ES3_N6thrust23THRUST_200600_302600_NS6detail15normal_iteratorINS8_10device_ptrIxEEEEPiiNS8_4plusIiEEEE10hipError_tPvRmT1_T2_T3_mT4_P12ihipStream_tbEUlT_E1_NS1_11comp_targetILNS1_3genE10ELNS1_11target_archE1201ELNS1_3gpuE5ELNS1_3repE0EEENS1_30default_config_static_selectorELNS0_4arch9wavefront6targetE1EEEvSK_.has_dyn_sized_stack, 0
	.set _ZN7rocprim17ROCPRIM_400000_NS6detail17trampoline_kernelINS0_14default_configENS1_22reduce_config_selectorIxEEZNS1_11reduce_implILb1ES3_N6thrust23THRUST_200600_302600_NS6detail15normal_iteratorINS8_10device_ptrIxEEEEPiiNS8_4plusIiEEEE10hipError_tPvRmT1_T2_T3_mT4_P12ihipStream_tbEUlT_E1_NS1_11comp_targetILNS1_3genE10ELNS1_11target_archE1201ELNS1_3gpuE5ELNS1_3repE0EEENS1_30default_config_static_selectorELNS0_4arch9wavefront6targetE1EEEvSK_.has_recursion, 0
	.set _ZN7rocprim17ROCPRIM_400000_NS6detail17trampoline_kernelINS0_14default_configENS1_22reduce_config_selectorIxEEZNS1_11reduce_implILb1ES3_N6thrust23THRUST_200600_302600_NS6detail15normal_iteratorINS8_10device_ptrIxEEEEPiiNS8_4plusIiEEEE10hipError_tPvRmT1_T2_T3_mT4_P12ihipStream_tbEUlT_E1_NS1_11comp_targetILNS1_3genE10ELNS1_11target_archE1201ELNS1_3gpuE5ELNS1_3repE0EEENS1_30default_config_static_selectorELNS0_4arch9wavefront6targetE1EEEvSK_.has_indirect_call, 0
	.section	.AMDGPU.csdata,"",@progbits
; Kernel info:
; codeLenInByte = 0
; TotalNumSgprs: 6
; NumVgprs: 0
; NumAgprs: 0
; TotalNumVgprs: 0
; ScratchSize: 0
; MemoryBound: 0
; FloatMode: 240
; IeeeMode: 1
; LDSByteSize: 0 bytes/workgroup (compile time only)
; SGPRBlocks: 0
; VGPRBlocks: 0
; NumSGPRsForWavesPerEU: 6
; NumVGPRsForWavesPerEU: 1
; AccumOffset: 4
; Occupancy: 8
; WaveLimiterHint : 0
; COMPUTE_PGM_RSRC2:SCRATCH_EN: 0
; COMPUTE_PGM_RSRC2:USER_SGPR: 2
; COMPUTE_PGM_RSRC2:TRAP_HANDLER: 0
; COMPUTE_PGM_RSRC2:TGID_X_EN: 1
; COMPUTE_PGM_RSRC2:TGID_Y_EN: 0
; COMPUTE_PGM_RSRC2:TGID_Z_EN: 0
; COMPUTE_PGM_RSRC2:TIDIG_COMP_CNT: 0
; COMPUTE_PGM_RSRC3_GFX90A:ACCUM_OFFSET: 0
; COMPUTE_PGM_RSRC3_GFX90A:TG_SPLIT: 0
	.section	.text._ZN7rocprim17ROCPRIM_400000_NS6detail17trampoline_kernelINS0_14default_configENS1_22reduce_config_selectorIxEEZNS1_11reduce_implILb1ES3_N6thrust23THRUST_200600_302600_NS6detail15normal_iteratorINS8_10device_ptrIxEEEEPiiNS8_4plusIiEEEE10hipError_tPvRmT1_T2_T3_mT4_P12ihipStream_tbEUlT_E1_NS1_11comp_targetILNS1_3genE10ELNS1_11target_archE1200ELNS1_3gpuE4ELNS1_3repE0EEENS1_30default_config_static_selectorELNS0_4arch9wavefront6targetE1EEEvSK_,"axG",@progbits,_ZN7rocprim17ROCPRIM_400000_NS6detail17trampoline_kernelINS0_14default_configENS1_22reduce_config_selectorIxEEZNS1_11reduce_implILb1ES3_N6thrust23THRUST_200600_302600_NS6detail15normal_iteratorINS8_10device_ptrIxEEEEPiiNS8_4plusIiEEEE10hipError_tPvRmT1_T2_T3_mT4_P12ihipStream_tbEUlT_E1_NS1_11comp_targetILNS1_3genE10ELNS1_11target_archE1200ELNS1_3gpuE4ELNS1_3repE0EEENS1_30default_config_static_selectorELNS0_4arch9wavefront6targetE1EEEvSK_,comdat
	.protected	_ZN7rocprim17ROCPRIM_400000_NS6detail17trampoline_kernelINS0_14default_configENS1_22reduce_config_selectorIxEEZNS1_11reduce_implILb1ES3_N6thrust23THRUST_200600_302600_NS6detail15normal_iteratorINS8_10device_ptrIxEEEEPiiNS8_4plusIiEEEE10hipError_tPvRmT1_T2_T3_mT4_P12ihipStream_tbEUlT_E1_NS1_11comp_targetILNS1_3genE10ELNS1_11target_archE1200ELNS1_3gpuE4ELNS1_3repE0EEENS1_30default_config_static_selectorELNS0_4arch9wavefront6targetE1EEEvSK_ ; -- Begin function _ZN7rocprim17ROCPRIM_400000_NS6detail17trampoline_kernelINS0_14default_configENS1_22reduce_config_selectorIxEEZNS1_11reduce_implILb1ES3_N6thrust23THRUST_200600_302600_NS6detail15normal_iteratorINS8_10device_ptrIxEEEEPiiNS8_4plusIiEEEE10hipError_tPvRmT1_T2_T3_mT4_P12ihipStream_tbEUlT_E1_NS1_11comp_targetILNS1_3genE10ELNS1_11target_archE1200ELNS1_3gpuE4ELNS1_3repE0EEENS1_30default_config_static_selectorELNS0_4arch9wavefront6targetE1EEEvSK_
	.globl	_ZN7rocprim17ROCPRIM_400000_NS6detail17trampoline_kernelINS0_14default_configENS1_22reduce_config_selectorIxEEZNS1_11reduce_implILb1ES3_N6thrust23THRUST_200600_302600_NS6detail15normal_iteratorINS8_10device_ptrIxEEEEPiiNS8_4plusIiEEEE10hipError_tPvRmT1_T2_T3_mT4_P12ihipStream_tbEUlT_E1_NS1_11comp_targetILNS1_3genE10ELNS1_11target_archE1200ELNS1_3gpuE4ELNS1_3repE0EEENS1_30default_config_static_selectorELNS0_4arch9wavefront6targetE1EEEvSK_
	.p2align	8
	.type	_ZN7rocprim17ROCPRIM_400000_NS6detail17trampoline_kernelINS0_14default_configENS1_22reduce_config_selectorIxEEZNS1_11reduce_implILb1ES3_N6thrust23THRUST_200600_302600_NS6detail15normal_iteratorINS8_10device_ptrIxEEEEPiiNS8_4plusIiEEEE10hipError_tPvRmT1_T2_T3_mT4_P12ihipStream_tbEUlT_E1_NS1_11comp_targetILNS1_3genE10ELNS1_11target_archE1200ELNS1_3gpuE4ELNS1_3repE0EEENS1_30default_config_static_selectorELNS0_4arch9wavefront6targetE1EEEvSK_,@function
_ZN7rocprim17ROCPRIM_400000_NS6detail17trampoline_kernelINS0_14default_configENS1_22reduce_config_selectorIxEEZNS1_11reduce_implILb1ES3_N6thrust23THRUST_200600_302600_NS6detail15normal_iteratorINS8_10device_ptrIxEEEEPiiNS8_4plusIiEEEE10hipError_tPvRmT1_T2_T3_mT4_P12ihipStream_tbEUlT_E1_NS1_11comp_targetILNS1_3genE10ELNS1_11target_archE1200ELNS1_3gpuE4ELNS1_3repE0EEENS1_30default_config_static_selectorELNS0_4arch9wavefront6targetE1EEEvSK_: ; @_ZN7rocprim17ROCPRIM_400000_NS6detail17trampoline_kernelINS0_14default_configENS1_22reduce_config_selectorIxEEZNS1_11reduce_implILb1ES3_N6thrust23THRUST_200600_302600_NS6detail15normal_iteratorINS8_10device_ptrIxEEEEPiiNS8_4plusIiEEEE10hipError_tPvRmT1_T2_T3_mT4_P12ihipStream_tbEUlT_E1_NS1_11comp_targetILNS1_3genE10ELNS1_11target_archE1200ELNS1_3gpuE4ELNS1_3repE0EEENS1_30default_config_static_selectorELNS0_4arch9wavefront6targetE1EEEvSK_
; %bb.0:
	.section	.rodata,"a",@progbits
	.p2align	6, 0x0
	.amdhsa_kernel _ZN7rocprim17ROCPRIM_400000_NS6detail17trampoline_kernelINS0_14default_configENS1_22reduce_config_selectorIxEEZNS1_11reduce_implILb1ES3_N6thrust23THRUST_200600_302600_NS6detail15normal_iteratorINS8_10device_ptrIxEEEEPiiNS8_4plusIiEEEE10hipError_tPvRmT1_T2_T3_mT4_P12ihipStream_tbEUlT_E1_NS1_11comp_targetILNS1_3genE10ELNS1_11target_archE1200ELNS1_3gpuE4ELNS1_3repE0EEENS1_30default_config_static_selectorELNS0_4arch9wavefront6targetE1EEEvSK_
		.amdhsa_group_segment_fixed_size 0
		.amdhsa_private_segment_fixed_size 0
		.amdhsa_kernarg_size 40
		.amdhsa_user_sgpr_count 2
		.amdhsa_user_sgpr_dispatch_ptr 0
		.amdhsa_user_sgpr_queue_ptr 0
		.amdhsa_user_sgpr_kernarg_segment_ptr 1
		.amdhsa_user_sgpr_dispatch_id 0
		.amdhsa_user_sgpr_kernarg_preload_length 0
		.amdhsa_user_sgpr_kernarg_preload_offset 0
		.amdhsa_user_sgpr_private_segment_size 0
		.amdhsa_uses_dynamic_stack 0
		.amdhsa_enable_private_segment 0
		.amdhsa_system_sgpr_workgroup_id_x 1
		.amdhsa_system_sgpr_workgroup_id_y 0
		.amdhsa_system_sgpr_workgroup_id_z 0
		.amdhsa_system_sgpr_workgroup_info 0
		.amdhsa_system_vgpr_workitem_id 0
		.amdhsa_next_free_vgpr 1
		.amdhsa_next_free_sgpr 0
		.amdhsa_accum_offset 4
		.amdhsa_reserve_vcc 0
		.amdhsa_float_round_mode_32 0
		.amdhsa_float_round_mode_16_64 0
		.amdhsa_float_denorm_mode_32 3
		.amdhsa_float_denorm_mode_16_64 3
		.amdhsa_dx10_clamp 1
		.amdhsa_ieee_mode 1
		.amdhsa_fp16_overflow 0
		.amdhsa_tg_split 0
		.amdhsa_exception_fp_ieee_invalid_op 0
		.amdhsa_exception_fp_denorm_src 0
		.amdhsa_exception_fp_ieee_div_zero 0
		.amdhsa_exception_fp_ieee_overflow 0
		.amdhsa_exception_fp_ieee_underflow 0
		.amdhsa_exception_fp_ieee_inexact 0
		.amdhsa_exception_int_div_zero 0
	.end_amdhsa_kernel
	.section	.text._ZN7rocprim17ROCPRIM_400000_NS6detail17trampoline_kernelINS0_14default_configENS1_22reduce_config_selectorIxEEZNS1_11reduce_implILb1ES3_N6thrust23THRUST_200600_302600_NS6detail15normal_iteratorINS8_10device_ptrIxEEEEPiiNS8_4plusIiEEEE10hipError_tPvRmT1_T2_T3_mT4_P12ihipStream_tbEUlT_E1_NS1_11comp_targetILNS1_3genE10ELNS1_11target_archE1200ELNS1_3gpuE4ELNS1_3repE0EEENS1_30default_config_static_selectorELNS0_4arch9wavefront6targetE1EEEvSK_,"axG",@progbits,_ZN7rocprim17ROCPRIM_400000_NS6detail17trampoline_kernelINS0_14default_configENS1_22reduce_config_selectorIxEEZNS1_11reduce_implILb1ES3_N6thrust23THRUST_200600_302600_NS6detail15normal_iteratorINS8_10device_ptrIxEEEEPiiNS8_4plusIiEEEE10hipError_tPvRmT1_T2_T3_mT4_P12ihipStream_tbEUlT_E1_NS1_11comp_targetILNS1_3genE10ELNS1_11target_archE1200ELNS1_3gpuE4ELNS1_3repE0EEENS1_30default_config_static_selectorELNS0_4arch9wavefront6targetE1EEEvSK_,comdat
.Lfunc_end474:
	.size	_ZN7rocprim17ROCPRIM_400000_NS6detail17trampoline_kernelINS0_14default_configENS1_22reduce_config_selectorIxEEZNS1_11reduce_implILb1ES3_N6thrust23THRUST_200600_302600_NS6detail15normal_iteratorINS8_10device_ptrIxEEEEPiiNS8_4plusIiEEEE10hipError_tPvRmT1_T2_T3_mT4_P12ihipStream_tbEUlT_E1_NS1_11comp_targetILNS1_3genE10ELNS1_11target_archE1200ELNS1_3gpuE4ELNS1_3repE0EEENS1_30default_config_static_selectorELNS0_4arch9wavefront6targetE1EEEvSK_, .Lfunc_end474-_ZN7rocprim17ROCPRIM_400000_NS6detail17trampoline_kernelINS0_14default_configENS1_22reduce_config_selectorIxEEZNS1_11reduce_implILb1ES3_N6thrust23THRUST_200600_302600_NS6detail15normal_iteratorINS8_10device_ptrIxEEEEPiiNS8_4plusIiEEEE10hipError_tPvRmT1_T2_T3_mT4_P12ihipStream_tbEUlT_E1_NS1_11comp_targetILNS1_3genE10ELNS1_11target_archE1200ELNS1_3gpuE4ELNS1_3repE0EEENS1_30default_config_static_selectorELNS0_4arch9wavefront6targetE1EEEvSK_
                                        ; -- End function
	.set _ZN7rocprim17ROCPRIM_400000_NS6detail17trampoline_kernelINS0_14default_configENS1_22reduce_config_selectorIxEEZNS1_11reduce_implILb1ES3_N6thrust23THRUST_200600_302600_NS6detail15normal_iteratorINS8_10device_ptrIxEEEEPiiNS8_4plusIiEEEE10hipError_tPvRmT1_T2_T3_mT4_P12ihipStream_tbEUlT_E1_NS1_11comp_targetILNS1_3genE10ELNS1_11target_archE1200ELNS1_3gpuE4ELNS1_3repE0EEENS1_30default_config_static_selectorELNS0_4arch9wavefront6targetE1EEEvSK_.num_vgpr, 0
	.set _ZN7rocprim17ROCPRIM_400000_NS6detail17trampoline_kernelINS0_14default_configENS1_22reduce_config_selectorIxEEZNS1_11reduce_implILb1ES3_N6thrust23THRUST_200600_302600_NS6detail15normal_iteratorINS8_10device_ptrIxEEEEPiiNS8_4plusIiEEEE10hipError_tPvRmT1_T2_T3_mT4_P12ihipStream_tbEUlT_E1_NS1_11comp_targetILNS1_3genE10ELNS1_11target_archE1200ELNS1_3gpuE4ELNS1_3repE0EEENS1_30default_config_static_selectorELNS0_4arch9wavefront6targetE1EEEvSK_.num_agpr, 0
	.set _ZN7rocprim17ROCPRIM_400000_NS6detail17trampoline_kernelINS0_14default_configENS1_22reduce_config_selectorIxEEZNS1_11reduce_implILb1ES3_N6thrust23THRUST_200600_302600_NS6detail15normal_iteratorINS8_10device_ptrIxEEEEPiiNS8_4plusIiEEEE10hipError_tPvRmT1_T2_T3_mT4_P12ihipStream_tbEUlT_E1_NS1_11comp_targetILNS1_3genE10ELNS1_11target_archE1200ELNS1_3gpuE4ELNS1_3repE0EEENS1_30default_config_static_selectorELNS0_4arch9wavefront6targetE1EEEvSK_.numbered_sgpr, 0
	.set _ZN7rocprim17ROCPRIM_400000_NS6detail17trampoline_kernelINS0_14default_configENS1_22reduce_config_selectorIxEEZNS1_11reduce_implILb1ES3_N6thrust23THRUST_200600_302600_NS6detail15normal_iteratorINS8_10device_ptrIxEEEEPiiNS8_4plusIiEEEE10hipError_tPvRmT1_T2_T3_mT4_P12ihipStream_tbEUlT_E1_NS1_11comp_targetILNS1_3genE10ELNS1_11target_archE1200ELNS1_3gpuE4ELNS1_3repE0EEENS1_30default_config_static_selectorELNS0_4arch9wavefront6targetE1EEEvSK_.num_named_barrier, 0
	.set _ZN7rocprim17ROCPRIM_400000_NS6detail17trampoline_kernelINS0_14default_configENS1_22reduce_config_selectorIxEEZNS1_11reduce_implILb1ES3_N6thrust23THRUST_200600_302600_NS6detail15normal_iteratorINS8_10device_ptrIxEEEEPiiNS8_4plusIiEEEE10hipError_tPvRmT1_T2_T3_mT4_P12ihipStream_tbEUlT_E1_NS1_11comp_targetILNS1_3genE10ELNS1_11target_archE1200ELNS1_3gpuE4ELNS1_3repE0EEENS1_30default_config_static_selectorELNS0_4arch9wavefront6targetE1EEEvSK_.private_seg_size, 0
	.set _ZN7rocprim17ROCPRIM_400000_NS6detail17trampoline_kernelINS0_14default_configENS1_22reduce_config_selectorIxEEZNS1_11reduce_implILb1ES3_N6thrust23THRUST_200600_302600_NS6detail15normal_iteratorINS8_10device_ptrIxEEEEPiiNS8_4plusIiEEEE10hipError_tPvRmT1_T2_T3_mT4_P12ihipStream_tbEUlT_E1_NS1_11comp_targetILNS1_3genE10ELNS1_11target_archE1200ELNS1_3gpuE4ELNS1_3repE0EEENS1_30default_config_static_selectorELNS0_4arch9wavefront6targetE1EEEvSK_.uses_vcc, 0
	.set _ZN7rocprim17ROCPRIM_400000_NS6detail17trampoline_kernelINS0_14default_configENS1_22reduce_config_selectorIxEEZNS1_11reduce_implILb1ES3_N6thrust23THRUST_200600_302600_NS6detail15normal_iteratorINS8_10device_ptrIxEEEEPiiNS8_4plusIiEEEE10hipError_tPvRmT1_T2_T3_mT4_P12ihipStream_tbEUlT_E1_NS1_11comp_targetILNS1_3genE10ELNS1_11target_archE1200ELNS1_3gpuE4ELNS1_3repE0EEENS1_30default_config_static_selectorELNS0_4arch9wavefront6targetE1EEEvSK_.uses_flat_scratch, 0
	.set _ZN7rocprim17ROCPRIM_400000_NS6detail17trampoline_kernelINS0_14default_configENS1_22reduce_config_selectorIxEEZNS1_11reduce_implILb1ES3_N6thrust23THRUST_200600_302600_NS6detail15normal_iteratorINS8_10device_ptrIxEEEEPiiNS8_4plusIiEEEE10hipError_tPvRmT1_T2_T3_mT4_P12ihipStream_tbEUlT_E1_NS1_11comp_targetILNS1_3genE10ELNS1_11target_archE1200ELNS1_3gpuE4ELNS1_3repE0EEENS1_30default_config_static_selectorELNS0_4arch9wavefront6targetE1EEEvSK_.has_dyn_sized_stack, 0
	.set _ZN7rocprim17ROCPRIM_400000_NS6detail17trampoline_kernelINS0_14default_configENS1_22reduce_config_selectorIxEEZNS1_11reduce_implILb1ES3_N6thrust23THRUST_200600_302600_NS6detail15normal_iteratorINS8_10device_ptrIxEEEEPiiNS8_4plusIiEEEE10hipError_tPvRmT1_T2_T3_mT4_P12ihipStream_tbEUlT_E1_NS1_11comp_targetILNS1_3genE10ELNS1_11target_archE1200ELNS1_3gpuE4ELNS1_3repE0EEENS1_30default_config_static_selectorELNS0_4arch9wavefront6targetE1EEEvSK_.has_recursion, 0
	.set _ZN7rocprim17ROCPRIM_400000_NS6detail17trampoline_kernelINS0_14default_configENS1_22reduce_config_selectorIxEEZNS1_11reduce_implILb1ES3_N6thrust23THRUST_200600_302600_NS6detail15normal_iteratorINS8_10device_ptrIxEEEEPiiNS8_4plusIiEEEE10hipError_tPvRmT1_T2_T3_mT4_P12ihipStream_tbEUlT_E1_NS1_11comp_targetILNS1_3genE10ELNS1_11target_archE1200ELNS1_3gpuE4ELNS1_3repE0EEENS1_30default_config_static_selectorELNS0_4arch9wavefront6targetE1EEEvSK_.has_indirect_call, 0
	.section	.AMDGPU.csdata,"",@progbits
; Kernel info:
; codeLenInByte = 0
; TotalNumSgprs: 6
; NumVgprs: 0
; NumAgprs: 0
; TotalNumVgprs: 0
; ScratchSize: 0
; MemoryBound: 0
; FloatMode: 240
; IeeeMode: 1
; LDSByteSize: 0 bytes/workgroup (compile time only)
; SGPRBlocks: 0
; VGPRBlocks: 0
; NumSGPRsForWavesPerEU: 6
; NumVGPRsForWavesPerEU: 1
; AccumOffset: 4
; Occupancy: 8
; WaveLimiterHint : 0
; COMPUTE_PGM_RSRC2:SCRATCH_EN: 0
; COMPUTE_PGM_RSRC2:USER_SGPR: 2
; COMPUTE_PGM_RSRC2:TRAP_HANDLER: 0
; COMPUTE_PGM_RSRC2:TGID_X_EN: 1
; COMPUTE_PGM_RSRC2:TGID_Y_EN: 0
; COMPUTE_PGM_RSRC2:TGID_Z_EN: 0
; COMPUTE_PGM_RSRC2:TIDIG_COMP_CNT: 0
; COMPUTE_PGM_RSRC3_GFX90A:ACCUM_OFFSET: 0
; COMPUTE_PGM_RSRC3_GFX90A:TG_SPLIT: 0
	.section	.text._ZN7rocprim17ROCPRIM_400000_NS6detail17trampoline_kernelINS0_14default_configENS1_22reduce_config_selectorIxEEZNS1_11reduce_implILb1ES3_N6thrust23THRUST_200600_302600_NS6detail15normal_iteratorINS8_10device_ptrIxEEEEPiiNS8_4plusIiEEEE10hipError_tPvRmT1_T2_T3_mT4_P12ihipStream_tbEUlT_E1_NS1_11comp_targetILNS1_3genE9ELNS1_11target_archE1100ELNS1_3gpuE3ELNS1_3repE0EEENS1_30default_config_static_selectorELNS0_4arch9wavefront6targetE1EEEvSK_,"axG",@progbits,_ZN7rocprim17ROCPRIM_400000_NS6detail17trampoline_kernelINS0_14default_configENS1_22reduce_config_selectorIxEEZNS1_11reduce_implILb1ES3_N6thrust23THRUST_200600_302600_NS6detail15normal_iteratorINS8_10device_ptrIxEEEEPiiNS8_4plusIiEEEE10hipError_tPvRmT1_T2_T3_mT4_P12ihipStream_tbEUlT_E1_NS1_11comp_targetILNS1_3genE9ELNS1_11target_archE1100ELNS1_3gpuE3ELNS1_3repE0EEENS1_30default_config_static_selectorELNS0_4arch9wavefront6targetE1EEEvSK_,comdat
	.protected	_ZN7rocprim17ROCPRIM_400000_NS6detail17trampoline_kernelINS0_14default_configENS1_22reduce_config_selectorIxEEZNS1_11reduce_implILb1ES3_N6thrust23THRUST_200600_302600_NS6detail15normal_iteratorINS8_10device_ptrIxEEEEPiiNS8_4plusIiEEEE10hipError_tPvRmT1_T2_T3_mT4_P12ihipStream_tbEUlT_E1_NS1_11comp_targetILNS1_3genE9ELNS1_11target_archE1100ELNS1_3gpuE3ELNS1_3repE0EEENS1_30default_config_static_selectorELNS0_4arch9wavefront6targetE1EEEvSK_ ; -- Begin function _ZN7rocprim17ROCPRIM_400000_NS6detail17trampoline_kernelINS0_14default_configENS1_22reduce_config_selectorIxEEZNS1_11reduce_implILb1ES3_N6thrust23THRUST_200600_302600_NS6detail15normal_iteratorINS8_10device_ptrIxEEEEPiiNS8_4plusIiEEEE10hipError_tPvRmT1_T2_T3_mT4_P12ihipStream_tbEUlT_E1_NS1_11comp_targetILNS1_3genE9ELNS1_11target_archE1100ELNS1_3gpuE3ELNS1_3repE0EEENS1_30default_config_static_selectorELNS0_4arch9wavefront6targetE1EEEvSK_
	.globl	_ZN7rocprim17ROCPRIM_400000_NS6detail17trampoline_kernelINS0_14default_configENS1_22reduce_config_selectorIxEEZNS1_11reduce_implILb1ES3_N6thrust23THRUST_200600_302600_NS6detail15normal_iteratorINS8_10device_ptrIxEEEEPiiNS8_4plusIiEEEE10hipError_tPvRmT1_T2_T3_mT4_P12ihipStream_tbEUlT_E1_NS1_11comp_targetILNS1_3genE9ELNS1_11target_archE1100ELNS1_3gpuE3ELNS1_3repE0EEENS1_30default_config_static_selectorELNS0_4arch9wavefront6targetE1EEEvSK_
	.p2align	8
	.type	_ZN7rocprim17ROCPRIM_400000_NS6detail17trampoline_kernelINS0_14default_configENS1_22reduce_config_selectorIxEEZNS1_11reduce_implILb1ES3_N6thrust23THRUST_200600_302600_NS6detail15normal_iteratorINS8_10device_ptrIxEEEEPiiNS8_4plusIiEEEE10hipError_tPvRmT1_T2_T3_mT4_P12ihipStream_tbEUlT_E1_NS1_11comp_targetILNS1_3genE9ELNS1_11target_archE1100ELNS1_3gpuE3ELNS1_3repE0EEENS1_30default_config_static_selectorELNS0_4arch9wavefront6targetE1EEEvSK_,@function
_ZN7rocprim17ROCPRIM_400000_NS6detail17trampoline_kernelINS0_14default_configENS1_22reduce_config_selectorIxEEZNS1_11reduce_implILb1ES3_N6thrust23THRUST_200600_302600_NS6detail15normal_iteratorINS8_10device_ptrIxEEEEPiiNS8_4plusIiEEEE10hipError_tPvRmT1_T2_T3_mT4_P12ihipStream_tbEUlT_E1_NS1_11comp_targetILNS1_3genE9ELNS1_11target_archE1100ELNS1_3gpuE3ELNS1_3repE0EEENS1_30default_config_static_selectorELNS0_4arch9wavefront6targetE1EEEvSK_: ; @_ZN7rocprim17ROCPRIM_400000_NS6detail17trampoline_kernelINS0_14default_configENS1_22reduce_config_selectorIxEEZNS1_11reduce_implILb1ES3_N6thrust23THRUST_200600_302600_NS6detail15normal_iteratorINS8_10device_ptrIxEEEEPiiNS8_4plusIiEEEE10hipError_tPvRmT1_T2_T3_mT4_P12ihipStream_tbEUlT_E1_NS1_11comp_targetILNS1_3genE9ELNS1_11target_archE1100ELNS1_3gpuE3ELNS1_3repE0EEENS1_30default_config_static_selectorELNS0_4arch9wavefront6targetE1EEEvSK_
; %bb.0:
	.section	.rodata,"a",@progbits
	.p2align	6, 0x0
	.amdhsa_kernel _ZN7rocprim17ROCPRIM_400000_NS6detail17trampoline_kernelINS0_14default_configENS1_22reduce_config_selectorIxEEZNS1_11reduce_implILb1ES3_N6thrust23THRUST_200600_302600_NS6detail15normal_iteratorINS8_10device_ptrIxEEEEPiiNS8_4plusIiEEEE10hipError_tPvRmT1_T2_T3_mT4_P12ihipStream_tbEUlT_E1_NS1_11comp_targetILNS1_3genE9ELNS1_11target_archE1100ELNS1_3gpuE3ELNS1_3repE0EEENS1_30default_config_static_selectorELNS0_4arch9wavefront6targetE1EEEvSK_
		.amdhsa_group_segment_fixed_size 0
		.amdhsa_private_segment_fixed_size 0
		.amdhsa_kernarg_size 40
		.amdhsa_user_sgpr_count 2
		.amdhsa_user_sgpr_dispatch_ptr 0
		.amdhsa_user_sgpr_queue_ptr 0
		.amdhsa_user_sgpr_kernarg_segment_ptr 1
		.amdhsa_user_sgpr_dispatch_id 0
		.amdhsa_user_sgpr_kernarg_preload_length 0
		.amdhsa_user_sgpr_kernarg_preload_offset 0
		.amdhsa_user_sgpr_private_segment_size 0
		.amdhsa_uses_dynamic_stack 0
		.amdhsa_enable_private_segment 0
		.amdhsa_system_sgpr_workgroup_id_x 1
		.amdhsa_system_sgpr_workgroup_id_y 0
		.amdhsa_system_sgpr_workgroup_id_z 0
		.amdhsa_system_sgpr_workgroup_info 0
		.amdhsa_system_vgpr_workitem_id 0
		.amdhsa_next_free_vgpr 1
		.amdhsa_next_free_sgpr 0
		.amdhsa_accum_offset 4
		.amdhsa_reserve_vcc 0
		.amdhsa_float_round_mode_32 0
		.amdhsa_float_round_mode_16_64 0
		.amdhsa_float_denorm_mode_32 3
		.amdhsa_float_denorm_mode_16_64 3
		.amdhsa_dx10_clamp 1
		.amdhsa_ieee_mode 1
		.amdhsa_fp16_overflow 0
		.amdhsa_tg_split 0
		.amdhsa_exception_fp_ieee_invalid_op 0
		.amdhsa_exception_fp_denorm_src 0
		.amdhsa_exception_fp_ieee_div_zero 0
		.amdhsa_exception_fp_ieee_overflow 0
		.amdhsa_exception_fp_ieee_underflow 0
		.amdhsa_exception_fp_ieee_inexact 0
		.amdhsa_exception_int_div_zero 0
	.end_amdhsa_kernel
	.section	.text._ZN7rocprim17ROCPRIM_400000_NS6detail17trampoline_kernelINS0_14default_configENS1_22reduce_config_selectorIxEEZNS1_11reduce_implILb1ES3_N6thrust23THRUST_200600_302600_NS6detail15normal_iteratorINS8_10device_ptrIxEEEEPiiNS8_4plusIiEEEE10hipError_tPvRmT1_T2_T3_mT4_P12ihipStream_tbEUlT_E1_NS1_11comp_targetILNS1_3genE9ELNS1_11target_archE1100ELNS1_3gpuE3ELNS1_3repE0EEENS1_30default_config_static_selectorELNS0_4arch9wavefront6targetE1EEEvSK_,"axG",@progbits,_ZN7rocprim17ROCPRIM_400000_NS6detail17trampoline_kernelINS0_14default_configENS1_22reduce_config_selectorIxEEZNS1_11reduce_implILb1ES3_N6thrust23THRUST_200600_302600_NS6detail15normal_iteratorINS8_10device_ptrIxEEEEPiiNS8_4plusIiEEEE10hipError_tPvRmT1_T2_T3_mT4_P12ihipStream_tbEUlT_E1_NS1_11comp_targetILNS1_3genE9ELNS1_11target_archE1100ELNS1_3gpuE3ELNS1_3repE0EEENS1_30default_config_static_selectorELNS0_4arch9wavefront6targetE1EEEvSK_,comdat
.Lfunc_end475:
	.size	_ZN7rocprim17ROCPRIM_400000_NS6detail17trampoline_kernelINS0_14default_configENS1_22reduce_config_selectorIxEEZNS1_11reduce_implILb1ES3_N6thrust23THRUST_200600_302600_NS6detail15normal_iteratorINS8_10device_ptrIxEEEEPiiNS8_4plusIiEEEE10hipError_tPvRmT1_T2_T3_mT4_P12ihipStream_tbEUlT_E1_NS1_11comp_targetILNS1_3genE9ELNS1_11target_archE1100ELNS1_3gpuE3ELNS1_3repE0EEENS1_30default_config_static_selectorELNS0_4arch9wavefront6targetE1EEEvSK_, .Lfunc_end475-_ZN7rocprim17ROCPRIM_400000_NS6detail17trampoline_kernelINS0_14default_configENS1_22reduce_config_selectorIxEEZNS1_11reduce_implILb1ES3_N6thrust23THRUST_200600_302600_NS6detail15normal_iteratorINS8_10device_ptrIxEEEEPiiNS8_4plusIiEEEE10hipError_tPvRmT1_T2_T3_mT4_P12ihipStream_tbEUlT_E1_NS1_11comp_targetILNS1_3genE9ELNS1_11target_archE1100ELNS1_3gpuE3ELNS1_3repE0EEENS1_30default_config_static_selectorELNS0_4arch9wavefront6targetE1EEEvSK_
                                        ; -- End function
	.set _ZN7rocprim17ROCPRIM_400000_NS6detail17trampoline_kernelINS0_14default_configENS1_22reduce_config_selectorIxEEZNS1_11reduce_implILb1ES3_N6thrust23THRUST_200600_302600_NS6detail15normal_iteratorINS8_10device_ptrIxEEEEPiiNS8_4plusIiEEEE10hipError_tPvRmT1_T2_T3_mT4_P12ihipStream_tbEUlT_E1_NS1_11comp_targetILNS1_3genE9ELNS1_11target_archE1100ELNS1_3gpuE3ELNS1_3repE0EEENS1_30default_config_static_selectorELNS0_4arch9wavefront6targetE1EEEvSK_.num_vgpr, 0
	.set _ZN7rocprim17ROCPRIM_400000_NS6detail17trampoline_kernelINS0_14default_configENS1_22reduce_config_selectorIxEEZNS1_11reduce_implILb1ES3_N6thrust23THRUST_200600_302600_NS6detail15normal_iteratorINS8_10device_ptrIxEEEEPiiNS8_4plusIiEEEE10hipError_tPvRmT1_T2_T3_mT4_P12ihipStream_tbEUlT_E1_NS1_11comp_targetILNS1_3genE9ELNS1_11target_archE1100ELNS1_3gpuE3ELNS1_3repE0EEENS1_30default_config_static_selectorELNS0_4arch9wavefront6targetE1EEEvSK_.num_agpr, 0
	.set _ZN7rocprim17ROCPRIM_400000_NS6detail17trampoline_kernelINS0_14default_configENS1_22reduce_config_selectorIxEEZNS1_11reduce_implILb1ES3_N6thrust23THRUST_200600_302600_NS6detail15normal_iteratorINS8_10device_ptrIxEEEEPiiNS8_4plusIiEEEE10hipError_tPvRmT1_T2_T3_mT4_P12ihipStream_tbEUlT_E1_NS1_11comp_targetILNS1_3genE9ELNS1_11target_archE1100ELNS1_3gpuE3ELNS1_3repE0EEENS1_30default_config_static_selectorELNS0_4arch9wavefront6targetE1EEEvSK_.numbered_sgpr, 0
	.set _ZN7rocprim17ROCPRIM_400000_NS6detail17trampoline_kernelINS0_14default_configENS1_22reduce_config_selectorIxEEZNS1_11reduce_implILb1ES3_N6thrust23THRUST_200600_302600_NS6detail15normal_iteratorINS8_10device_ptrIxEEEEPiiNS8_4plusIiEEEE10hipError_tPvRmT1_T2_T3_mT4_P12ihipStream_tbEUlT_E1_NS1_11comp_targetILNS1_3genE9ELNS1_11target_archE1100ELNS1_3gpuE3ELNS1_3repE0EEENS1_30default_config_static_selectorELNS0_4arch9wavefront6targetE1EEEvSK_.num_named_barrier, 0
	.set _ZN7rocprim17ROCPRIM_400000_NS6detail17trampoline_kernelINS0_14default_configENS1_22reduce_config_selectorIxEEZNS1_11reduce_implILb1ES3_N6thrust23THRUST_200600_302600_NS6detail15normal_iteratorINS8_10device_ptrIxEEEEPiiNS8_4plusIiEEEE10hipError_tPvRmT1_T2_T3_mT4_P12ihipStream_tbEUlT_E1_NS1_11comp_targetILNS1_3genE9ELNS1_11target_archE1100ELNS1_3gpuE3ELNS1_3repE0EEENS1_30default_config_static_selectorELNS0_4arch9wavefront6targetE1EEEvSK_.private_seg_size, 0
	.set _ZN7rocprim17ROCPRIM_400000_NS6detail17trampoline_kernelINS0_14default_configENS1_22reduce_config_selectorIxEEZNS1_11reduce_implILb1ES3_N6thrust23THRUST_200600_302600_NS6detail15normal_iteratorINS8_10device_ptrIxEEEEPiiNS8_4plusIiEEEE10hipError_tPvRmT1_T2_T3_mT4_P12ihipStream_tbEUlT_E1_NS1_11comp_targetILNS1_3genE9ELNS1_11target_archE1100ELNS1_3gpuE3ELNS1_3repE0EEENS1_30default_config_static_selectorELNS0_4arch9wavefront6targetE1EEEvSK_.uses_vcc, 0
	.set _ZN7rocprim17ROCPRIM_400000_NS6detail17trampoline_kernelINS0_14default_configENS1_22reduce_config_selectorIxEEZNS1_11reduce_implILb1ES3_N6thrust23THRUST_200600_302600_NS6detail15normal_iteratorINS8_10device_ptrIxEEEEPiiNS8_4plusIiEEEE10hipError_tPvRmT1_T2_T3_mT4_P12ihipStream_tbEUlT_E1_NS1_11comp_targetILNS1_3genE9ELNS1_11target_archE1100ELNS1_3gpuE3ELNS1_3repE0EEENS1_30default_config_static_selectorELNS0_4arch9wavefront6targetE1EEEvSK_.uses_flat_scratch, 0
	.set _ZN7rocprim17ROCPRIM_400000_NS6detail17trampoline_kernelINS0_14default_configENS1_22reduce_config_selectorIxEEZNS1_11reduce_implILb1ES3_N6thrust23THRUST_200600_302600_NS6detail15normal_iteratorINS8_10device_ptrIxEEEEPiiNS8_4plusIiEEEE10hipError_tPvRmT1_T2_T3_mT4_P12ihipStream_tbEUlT_E1_NS1_11comp_targetILNS1_3genE9ELNS1_11target_archE1100ELNS1_3gpuE3ELNS1_3repE0EEENS1_30default_config_static_selectorELNS0_4arch9wavefront6targetE1EEEvSK_.has_dyn_sized_stack, 0
	.set _ZN7rocprim17ROCPRIM_400000_NS6detail17trampoline_kernelINS0_14default_configENS1_22reduce_config_selectorIxEEZNS1_11reduce_implILb1ES3_N6thrust23THRUST_200600_302600_NS6detail15normal_iteratorINS8_10device_ptrIxEEEEPiiNS8_4plusIiEEEE10hipError_tPvRmT1_T2_T3_mT4_P12ihipStream_tbEUlT_E1_NS1_11comp_targetILNS1_3genE9ELNS1_11target_archE1100ELNS1_3gpuE3ELNS1_3repE0EEENS1_30default_config_static_selectorELNS0_4arch9wavefront6targetE1EEEvSK_.has_recursion, 0
	.set _ZN7rocprim17ROCPRIM_400000_NS6detail17trampoline_kernelINS0_14default_configENS1_22reduce_config_selectorIxEEZNS1_11reduce_implILb1ES3_N6thrust23THRUST_200600_302600_NS6detail15normal_iteratorINS8_10device_ptrIxEEEEPiiNS8_4plusIiEEEE10hipError_tPvRmT1_T2_T3_mT4_P12ihipStream_tbEUlT_E1_NS1_11comp_targetILNS1_3genE9ELNS1_11target_archE1100ELNS1_3gpuE3ELNS1_3repE0EEENS1_30default_config_static_selectorELNS0_4arch9wavefront6targetE1EEEvSK_.has_indirect_call, 0
	.section	.AMDGPU.csdata,"",@progbits
; Kernel info:
; codeLenInByte = 0
; TotalNumSgprs: 6
; NumVgprs: 0
; NumAgprs: 0
; TotalNumVgprs: 0
; ScratchSize: 0
; MemoryBound: 0
; FloatMode: 240
; IeeeMode: 1
; LDSByteSize: 0 bytes/workgroup (compile time only)
; SGPRBlocks: 0
; VGPRBlocks: 0
; NumSGPRsForWavesPerEU: 6
; NumVGPRsForWavesPerEU: 1
; AccumOffset: 4
; Occupancy: 8
; WaveLimiterHint : 0
; COMPUTE_PGM_RSRC2:SCRATCH_EN: 0
; COMPUTE_PGM_RSRC2:USER_SGPR: 2
; COMPUTE_PGM_RSRC2:TRAP_HANDLER: 0
; COMPUTE_PGM_RSRC2:TGID_X_EN: 1
; COMPUTE_PGM_RSRC2:TGID_Y_EN: 0
; COMPUTE_PGM_RSRC2:TGID_Z_EN: 0
; COMPUTE_PGM_RSRC2:TIDIG_COMP_CNT: 0
; COMPUTE_PGM_RSRC3_GFX90A:ACCUM_OFFSET: 0
; COMPUTE_PGM_RSRC3_GFX90A:TG_SPLIT: 0
	.section	.text._ZN7rocprim17ROCPRIM_400000_NS6detail17trampoline_kernelINS0_14default_configENS1_22reduce_config_selectorIxEEZNS1_11reduce_implILb1ES3_N6thrust23THRUST_200600_302600_NS6detail15normal_iteratorINS8_10device_ptrIxEEEEPiiNS8_4plusIiEEEE10hipError_tPvRmT1_T2_T3_mT4_P12ihipStream_tbEUlT_E1_NS1_11comp_targetILNS1_3genE8ELNS1_11target_archE1030ELNS1_3gpuE2ELNS1_3repE0EEENS1_30default_config_static_selectorELNS0_4arch9wavefront6targetE1EEEvSK_,"axG",@progbits,_ZN7rocprim17ROCPRIM_400000_NS6detail17trampoline_kernelINS0_14default_configENS1_22reduce_config_selectorIxEEZNS1_11reduce_implILb1ES3_N6thrust23THRUST_200600_302600_NS6detail15normal_iteratorINS8_10device_ptrIxEEEEPiiNS8_4plusIiEEEE10hipError_tPvRmT1_T2_T3_mT4_P12ihipStream_tbEUlT_E1_NS1_11comp_targetILNS1_3genE8ELNS1_11target_archE1030ELNS1_3gpuE2ELNS1_3repE0EEENS1_30default_config_static_selectorELNS0_4arch9wavefront6targetE1EEEvSK_,comdat
	.protected	_ZN7rocprim17ROCPRIM_400000_NS6detail17trampoline_kernelINS0_14default_configENS1_22reduce_config_selectorIxEEZNS1_11reduce_implILb1ES3_N6thrust23THRUST_200600_302600_NS6detail15normal_iteratorINS8_10device_ptrIxEEEEPiiNS8_4plusIiEEEE10hipError_tPvRmT1_T2_T3_mT4_P12ihipStream_tbEUlT_E1_NS1_11comp_targetILNS1_3genE8ELNS1_11target_archE1030ELNS1_3gpuE2ELNS1_3repE0EEENS1_30default_config_static_selectorELNS0_4arch9wavefront6targetE1EEEvSK_ ; -- Begin function _ZN7rocprim17ROCPRIM_400000_NS6detail17trampoline_kernelINS0_14default_configENS1_22reduce_config_selectorIxEEZNS1_11reduce_implILb1ES3_N6thrust23THRUST_200600_302600_NS6detail15normal_iteratorINS8_10device_ptrIxEEEEPiiNS8_4plusIiEEEE10hipError_tPvRmT1_T2_T3_mT4_P12ihipStream_tbEUlT_E1_NS1_11comp_targetILNS1_3genE8ELNS1_11target_archE1030ELNS1_3gpuE2ELNS1_3repE0EEENS1_30default_config_static_selectorELNS0_4arch9wavefront6targetE1EEEvSK_
	.globl	_ZN7rocprim17ROCPRIM_400000_NS6detail17trampoline_kernelINS0_14default_configENS1_22reduce_config_selectorIxEEZNS1_11reduce_implILb1ES3_N6thrust23THRUST_200600_302600_NS6detail15normal_iteratorINS8_10device_ptrIxEEEEPiiNS8_4plusIiEEEE10hipError_tPvRmT1_T2_T3_mT4_P12ihipStream_tbEUlT_E1_NS1_11comp_targetILNS1_3genE8ELNS1_11target_archE1030ELNS1_3gpuE2ELNS1_3repE0EEENS1_30default_config_static_selectorELNS0_4arch9wavefront6targetE1EEEvSK_
	.p2align	8
	.type	_ZN7rocprim17ROCPRIM_400000_NS6detail17trampoline_kernelINS0_14default_configENS1_22reduce_config_selectorIxEEZNS1_11reduce_implILb1ES3_N6thrust23THRUST_200600_302600_NS6detail15normal_iteratorINS8_10device_ptrIxEEEEPiiNS8_4plusIiEEEE10hipError_tPvRmT1_T2_T3_mT4_P12ihipStream_tbEUlT_E1_NS1_11comp_targetILNS1_3genE8ELNS1_11target_archE1030ELNS1_3gpuE2ELNS1_3repE0EEENS1_30default_config_static_selectorELNS0_4arch9wavefront6targetE1EEEvSK_,@function
_ZN7rocprim17ROCPRIM_400000_NS6detail17trampoline_kernelINS0_14default_configENS1_22reduce_config_selectorIxEEZNS1_11reduce_implILb1ES3_N6thrust23THRUST_200600_302600_NS6detail15normal_iteratorINS8_10device_ptrIxEEEEPiiNS8_4plusIiEEEE10hipError_tPvRmT1_T2_T3_mT4_P12ihipStream_tbEUlT_E1_NS1_11comp_targetILNS1_3genE8ELNS1_11target_archE1030ELNS1_3gpuE2ELNS1_3repE0EEENS1_30default_config_static_selectorELNS0_4arch9wavefront6targetE1EEEvSK_: ; @_ZN7rocprim17ROCPRIM_400000_NS6detail17trampoline_kernelINS0_14default_configENS1_22reduce_config_selectorIxEEZNS1_11reduce_implILb1ES3_N6thrust23THRUST_200600_302600_NS6detail15normal_iteratorINS8_10device_ptrIxEEEEPiiNS8_4plusIiEEEE10hipError_tPvRmT1_T2_T3_mT4_P12ihipStream_tbEUlT_E1_NS1_11comp_targetILNS1_3genE8ELNS1_11target_archE1030ELNS1_3gpuE2ELNS1_3repE0EEENS1_30default_config_static_selectorELNS0_4arch9wavefront6targetE1EEEvSK_
; %bb.0:
	.section	.rodata,"a",@progbits
	.p2align	6, 0x0
	.amdhsa_kernel _ZN7rocprim17ROCPRIM_400000_NS6detail17trampoline_kernelINS0_14default_configENS1_22reduce_config_selectorIxEEZNS1_11reduce_implILb1ES3_N6thrust23THRUST_200600_302600_NS6detail15normal_iteratorINS8_10device_ptrIxEEEEPiiNS8_4plusIiEEEE10hipError_tPvRmT1_T2_T3_mT4_P12ihipStream_tbEUlT_E1_NS1_11comp_targetILNS1_3genE8ELNS1_11target_archE1030ELNS1_3gpuE2ELNS1_3repE0EEENS1_30default_config_static_selectorELNS0_4arch9wavefront6targetE1EEEvSK_
		.amdhsa_group_segment_fixed_size 0
		.amdhsa_private_segment_fixed_size 0
		.amdhsa_kernarg_size 40
		.amdhsa_user_sgpr_count 2
		.amdhsa_user_sgpr_dispatch_ptr 0
		.amdhsa_user_sgpr_queue_ptr 0
		.amdhsa_user_sgpr_kernarg_segment_ptr 1
		.amdhsa_user_sgpr_dispatch_id 0
		.amdhsa_user_sgpr_kernarg_preload_length 0
		.amdhsa_user_sgpr_kernarg_preload_offset 0
		.amdhsa_user_sgpr_private_segment_size 0
		.amdhsa_uses_dynamic_stack 0
		.amdhsa_enable_private_segment 0
		.amdhsa_system_sgpr_workgroup_id_x 1
		.amdhsa_system_sgpr_workgroup_id_y 0
		.amdhsa_system_sgpr_workgroup_id_z 0
		.amdhsa_system_sgpr_workgroup_info 0
		.amdhsa_system_vgpr_workitem_id 0
		.amdhsa_next_free_vgpr 1
		.amdhsa_next_free_sgpr 0
		.amdhsa_accum_offset 4
		.amdhsa_reserve_vcc 0
		.amdhsa_float_round_mode_32 0
		.amdhsa_float_round_mode_16_64 0
		.amdhsa_float_denorm_mode_32 3
		.amdhsa_float_denorm_mode_16_64 3
		.amdhsa_dx10_clamp 1
		.amdhsa_ieee_mode 1
		.amdhsa_fp16_overflow 0
		.amdhsa_tg_split 0
		.amdhsa_exception_fp_ieee_invalid_op 0
		.amdhsa_exception_fp_denorm_src 0
		.amdhsa_exception_fp_ieee_div_zero 0
		.amdhsa_exception_fp_ieee_overflow 0
		.amdhsa_exception_fp_ieee_underflow 0
		.amdhsa_exception_fp_ieee_inexact 0
		.amdhsa_exception_int_div_zero 0
	.end_amdhsa_kernel
	.section	.text._ZN7rocprim17ROCPRIM_400000_NS6detail17trampoline_kernelINS0_14default_configENS1_22reduce_config_selectorIxEEZNS1_11reduce_implILb1ES3_N6thrust23THRUST_200600_302600_NS6detail15normal_iteratorINS8_10device_ptrIxEEEEPiiNS8_4plusIiEEEE10hipError_tPvRmT1_T2_T3_mT4_P12ihipStream_tbEUlT_E1_NS1_11comp_targetILNS1_3genE8ELNS1_11target_archE1030ELNS1_3gpuE2ELNS1_3repE0EEENS1_30default_config_static_selectorELNS0_4arch9wavefront6targetE1EEEvSK_,"axG",@progbits,_ZN7rocprim17ROCPRIM_400000_NS6detail17trampoline_kernelINS0_14default_configENS1_22reduce_config_selectorIxEEZNS1_11reduce_implILb1ES3_N6thrust23THRUST_200600_302600_NS6detail15normal_iteratorINS8_10device_ptrIxEEEEPiiNS8_4plusIiEEEE10hipError_tPvRmT1_T2_T3_mT4_P12ihipStream_tbEUlT_E1_NS1_11comp_targetILNS1_3genE8ELNS1_11target_archE1030ELNS1_3gpuE2ELNS1_3repE0EEENS1_30default_config_static_selectorELNS0_4arch9wavefront6targetE1EEEvSK_,comdat
.Lfunc_end476:
	.size	_ZN7rocprim17ROCPRIM_400000_NS6detail17trampoline_kernelINS0_14default_configENS1_22reduce_config_selectorIxEEZNS1_11reduce_implILb1ES3_N6thrust23THRUST_200600_302600_NS6detail15normal_iteratorINS8_10device_ptrIxEEEEPiiNS8_4plusIiEEEE10hipError_tPvRmT1_T2_T3_mT4_P12ihipStream_tbEUlT_E1_NS1_11comp_targetILNS1_3genE8ELNS1_11target_archE1030ELNS1_3gpuE2ELNS1_3repE0EEENS1_30default_config_static_selectorELNS0_4arch9wavefront6targetE1EEEvSK_, .Lfunc_end476-_ZN7rocprim17ROCPRIM_400000_NS6detail17trampoline_kernelINS0_14default_configENS1_22reduce_config_selectorIxEEZNS1_11reduce_implILb1ES3_N6thrust23THRUST_200600_302600_NS6detail15normal_iteratorINS8_10device_ptrIxEEEEPiiNS8_4plusIiEEEE10hipError_tPvRmT1_T2_T3_mT4_P12ihipStream_tbEUlT_E1_NS1_11comp_targetILNS1_3genE8ELNS1_11target_archE1030ELNS1_3gpuE2ELNS1_3repE0EEENS1_30default_config_static_selectorELNS0_4arch9wavefront6targetE1EEEvSK_
                                        ; -- End function
	.set _ZN7rocprim17ROCPRIM_400000_NS6detail17trampoline_kernelINS0_14default_configENS1_22reduce_config_selectorIxEEZNS1_11reduce_implILb1ES3_N6thrust23THRUST_200600_302600_NS6detail15normal_iteratorINS8_10device_ptrIxEEEEPiiNS8_4plusIiEEEE10hipError_tPvRmT1_T2_T3_mT4_P12ihipStream_tbEUlT_E1_NS1_11comp_targetILNS1_3genE8ELNS1_11target_archE1030ELNS1_3gpuE2ELNS1_3repE0EEENS1_30default_config_static_selectorELNS0_4arch9wavefront6targetE1EEEvSK_.num_vgpr, 0
	.set _ZN7rocprim17ROCPRIM_400000_NS6detail17trampoline_kernelINS0_14default_configENS1_22reduce_config_selectorIxEEZNS1_11reduce_implILb1ES3_N6thrust23THRUST_200600_302600_NS6detail15normal_iteratorINS8_10device_ptrIxEEEEPiiNS8_4plusIiEEEE10hipError_tPvRmT1_T2_T3_mT4_P12ihipStream_tbEUlT_E1_NS1_11comp_targetILNS1_3genE8ELNS1_11target_archE1030ELNS1_3gpuE2ELNS1_3repE0EEENS1_30default_config_static_selectorELNS0_4arch9wavefront6targetE1EEEvSK_.num_agpr, 0
	.set _ZN7rocprim17ROCPRIM_400000_NS6detail17trampoline_kernelINS0_14default_configENS1_22reduce_config_selectorIxEEZNS1_11reduce_implILb1ES3_N6thrust23THRUST_200600_302600_NS6detail15normal_iteratorINS8_10device_ptrIxEEEEPiiNS8_4plusIiEEEE10hipError_tPvRmT1_T2_T3_mT4_P12ihipStream_tbEUlT_E1_NS1_11comp_targetILNS1_3genE8ELNS1_11target_archE1030ELNS1_3gpuE2ELNS1_3repE0EEENS1_30default_config_static_selectorELNS0_4arch9wavefront6targetE1EEEvSK_.numbered_sgpr, 0
	.set _ZN7rocprim17ROCPRIM_400000_NS6detail17trampoline_kernelINS0_14default_configENS1_22reduce_config_selectorIxEEZNS1_11reduce_implILb1ES3_N6thrust23THRUST_200600_302600_NS6detail15normal_iteratorINS8_10device_ptrIxEEEEPiiNS8_4plusIiEEEE10hipError_tPvRmT1_T2_T3_mT4_P12ihipStream_tbEUlT_E1_NS1_11comp_targetILNS1_3genE8ELNS1_11target_archE1030ELNS1_3gpuE2ELNS1_3repE0EEENS1_30default_config_static_selectorELNS0_4arch9wavefront6targetE1EEEvSK_.num_named_barrier, 0
	.set _ZN7rocprim17ROCPRIM_400000_NS6detail17trampoline_kernelINS0_14default_configENS1_22reduce_config_selectorIxEEZNS1_11reduce_implILb1ES3_N6thrust23THRUST_200600_302600_NS6detail15normal_iteratorINS8_10device_ptrIxEEEEPiiNS8_4plusIiEEEE10hipError_tPvRmT1_T2_T3_mT4_P12ihipStream_tbEUlT_E1_NS1_11comp_targetILNS1_3genE8ELNS1_11target_archE1030ELNS1_3gpuE2ELNS1_3repE0EEENS1_30default_config_static_selectorELNS0_4arch9wavefront6targetE1EEEvSK_.private_seg_size, 0
	.set _ZN7rocprim17ROCPRIM_400000_NS6detail17trampoline_kernelINS0_14default_configENS1_22reduce_config_selectorIxEEZNS1_11reduce_implILb1ES3_N6thrust23THRUST_200600_302600_NS6detail15normal_iteratorINS8_10device_ptrIxEEEEPiiNS8_4plusIiEEEE10hipError_tPvRmT1_T2_T3_mT4_P12ihipStream_tbEUlT_E1_NS1_11comp_targetILNS1_3genE8ELNS1_11target_archE1030ELNS1_3gpuE2ELNS1_3repE0EEENS1_30default_config_static_selectorELNS0_4arch9wavefront6targetE1EEEvSK_.uses_vcc, 0
	.set _ZN7rocprim17ROCPRIM_400000_NS6detail17trampoline_kernelINS0_14default_configENS1_22reduce_config_selectorIxEEZNS1_11reduce_implILb1ES3_N6thrust23THRUST_200600_302600_NS6detail15normal_iteratorINS8_10device_ptrIxEEEEPiiNS8_4plusIiEEEE10hipError_tPvRmT1_T2_T3_mT4_P12ihipStream_tbEUlT_E1_NS1_11comp_targetILNS1_3genE8ELNS1_11target_archE1030ELNS1_3gpuE2ELNS1_3repE0EEENS1_30default_config_static_selectorELNS0_4arch9wavefront6targetE1EEEvSK_.uses_flat_scratch, 0
	.set _ZN7rocprim17ROCPRIM_400000_NS6detail17trampoline_kernelINS0_14default_configENS1_22reduce_config_selectorIxEEZNS1_11reduce_implILb1ES3_N6thrust23THRUST_200600_302600_NS6detail15normal_iteratorINS8_10device_ptrIxEEEEPiiNS8_4plusIiEEEE10hipError_tPvRmT1_T2_T3_mT4_P12ihipStream_tbEUlT_E1_NS1_11comp_targetILNS1_3genE8ELNS1_11target_archE1030ELNS1_3gpuE2ELNS1_3repE0EEENS1_30default_config_static_selectorELNS0_4arch9wavefront6targetE1EEEvSK_.has_dyn_sized_stack, 0
	.set _ZN7rocprim17ROCPRIM_400000_NS6detail17trampoline_kernelINS0_14default_configENS1_22reduce_config_selectorIxEEZNS1_11reduce_implILb1ES3_N6thrust23THRUST_200600_302600_NS6detail15normal_iteratorINS8_10device_ptrIxEEEEPiiNS8_4plusIiEEEE10hipError_tPvRmT1_T2_T3_mT4_P12ihipStream_tbEUlT_E1_NS1_11comp_targetILNS1_3genE8ELNS1_11target_archE1030ELNS1_3gpuE2ELNS1_3repE0EEENS1_30default_config_static_selectorELNS0_4arch9wavefront6targetE1EEEvSK_.has_recursion, 0
	.set _ZN7rocprim17ROCPRIM_400000_NS6detail17trampoline_kernelINS0_14default_configENS1_22reduce_config_selectorIxEEZNS1_11reduce_implILb1ES3_N6thrust23THRUST_200600_302600_NS6detail15normal_iteratorINS8_10device_ptrIxEEEEPiiNS8_4plusIiEEEE10hipError_tPvRmT1_T2_T3_mT4_P12ihipStream_tbEUlT_E1_NS1_11comp_targetILNS1_3genE8ELNS1_11target_archE1030ELNS1_3gpuE2ELNS1_3repE0EEENS1_30default_config_static_selectorELNS0_4arch9wavefront6targetE1EEEvSK_.has_indirect_call, 0
	.section	.AMDGPU.csdata,"",@progbits
; Kernel info:
; codeLenInByte = 0
; TotalNumSgprs: 6
; NumVgprs: 0
; NumAgprs: 0
; TotalNumVgprs: 0
; ScratchSize: 0
; MemoryBound: 0
; FloatMode: 240
; IeeeMode: 1
; LDSByteSize: 0 bytes/workgroup (compile time only)
; SGPRBlocks: 0
; VGPRBlocks: 0
; NumSGPRsForWavesPerEU: 6
; NumVGPRsForWavesPerEU: 1
; AccumOffset: 4
; Occupancy: 8
; WaveLimiterHint : 0
; COMPUTE_PGM_RSRC2:SCRATCH_EN: 0
; COMPUTE_PGM_RSRC2:USER_SGPR: 2
; COMPUTE_PGM_RSRC2:TRAP_HANDLER: 0
; COMPUTE_PGM_RSRC2:TGID_X_EN: 1
; COMPUTE_PGM_RSRC2:TGID_Y_EN: 0
; COMPUTE_PGM_RSRC2:TGID_Z_EN: 0
; COMPUTE_PGM_RSRC2:TIDIG_COMP_CNT: 0
; COMPUTE_PGM_RSRC3_GFX90A:ACCUM_OFFSET: 0
; COMPUTE_PGM_RSRC3_GFX90A:TG_SPLIT: 0
	.section	.text._ZN7rocprim17ROCPRIM_400000_NS6detail17trampoline_kernelINS0_14default_configENS1_22reduce_config_selectorIxEEZNS1_11reduce_implILb1ES3_N6thrust23THRUST_200600_302600_NS6detail15normal_iteratorINS8_10device_ptrIxEEEEPffNS8_4plusIfEEEE10hipError_tPvRmT1_T2_T3_mT4_P12ihipStream_tbEUlT_E0_NS1_11comp_targetILNS1_3genE0ELNS1_11target_archE4294967295ELNS1_3gpuE0ELNS1_3repE0EEENS1_30default_config_static_selectorELNS0_4arch9wavefront6targetE1EEEvSK_,"axG",@progbits,_ZN7rocprim17ROCPRIM_400000_NS6detail17trampoline_kernelINS0_14default_configENS1_22reduce_config_selectorIxEEZNS1_11reduce_implILb1ES3_N6thrust23THRUST_200600_302600_NS6detail15normal_iteratorINS8_10device_ptrIxEEEEPffNS8_4plusIfEEEE10hipError_tPvRmT1_T2_T3_mT4_P12ihipStream_tbEUlT_E0_NS1_11comp_targetILNS1_3genE0ELNS1_11target_archE4294967295ELNS1_3gpuE0ELNS1_3repE0EEENS1_30default_config_static_selectorELNS0_4arch9wavefront6targetE1EEEvSK_,comdat
	.protected	_ZN7rocprim17ROCPRIM_400000_NS6detail17trampoline_kernelINS0_14default_configENS1_22reduce_config_selectorIxEEZNS1_11reduce_implILb1ES3_N6thrust23THRUST_200600_302600_NS6detail15normal_iteratorINS8_10device_ptrIxEEEEPffNS8_4plusIfEEEE10hipError_tPvRmT1_T2_T3_mT4_P12ihipStream_tbEUlT_E0_NS1_11comp_targetILNS1_3genE0ELNS1_11target_archE4294967295ELNS1_3gpuE0ELNS1_3repE0EEENS1_30default_config_static_selectorELNS0_4arch9wavefront6targetE1EEEvSK_ ; -- Begin function _ZN7rocprim17ROCPRIM_400000_NS6detail17trampoline_kernelINS0_14default_configENS1_22reduce_config_selectorIxEEZNS1_11reduce_implILb1ES3_N6thrust23THRUST_200600_302600_NS6detail15normal_iteratorINS8_10device_ptrIxEEEEPffNS8_4plusIfEEEE10hipError_tPvRmT1_T2_T3_mT4_P12ihipStream_tbEUlT_E0_NS1_11comp_targetILNS1_3genE0ELNS1_11target_archE4294967295ELNS1_3gpuE0ELNS1_3repE0EEENS1_30default_config_static_selectorELNS0_4arch9wavefront6targetE1EEEvSK_
	.globl	_ZN7rocprim17ROCPRIM_400000_NS6detail17trampoline_kernelINS0_14default_configENS1_22reduce_config_selectorIxEEZNS1_11reduce_implILb1ES3_N6thrust23THRUST_200600_302600_NS6detail15normal_iteratorINS8_10device_ptrIxEEEEPffNS8_4plusIfEEEE10hipError_tPvRmT1_T2_T3_mT4_P12ihipStream_tbEUlT_E0_NS1_11comp_targetILNS1_3genE0ELNS1_11target_archE4294967295ELNS1_3gpuE0ELNS1_3repE0EEENS1_30default_config_static_selectorELNS0_4arch9wavefront6targetE1EEEvSK_
	.p2align	8
	.type	_ZN7rocprim17ROCPRIM_400000_NS6detail17trampoline_kernelINS0_14default_configENS1_22reduce_config_selectorIxEEZNS1_11reduce_implILb1ES3_N6thrust23THRUST_200600_302600_NS6detail15normal_iteratorINS8_10device_ptrIxEEEEPffNS8_4plusIfEEEE10hipError_tPvRmT1_T2_T3_mT4_P12ihipStream_tbEUlT_E0_NS1_11comp_targetILNS1_3genE0ELNS1_11target_archE4294967295ELNS1_3gpuE0ELNS1_3repE0EEENS1_30default_config_static_selectorELNS0_4arch9wavefront6targetE1EEEvSK_,@function
_ZN7rocprim17ROCPRIM_400000_NS6detail17trampoline_kernelINS0_14default_configENS1_22reduce_config_selectorIxEEZNS1_11reduce_implILb1ES3_N6thrust23THRUST_200600_302600_NS6detail15normal_iteratorINS8_10device_ptrIxEEEEPffNS8_4plusIfEEEE10hipError_tPvRmT1_T2_T3_mT4_P12ihipStream_tbEUlT_E0_NS1_11comp_targetILNS1_3genE0ELNS1_11target_archE4294967295ELNS1_3gpuE0ELNS1_3repE0EEENS1_30default_config_static_selectorELNS0_4arch9wavefront6targetE1EEEvSK_: ; @_ZN7rocprim17ROCPRIM_400000_NS6detail17trampoline_kernelINS0_14default_configENS1_22reduce_config_selectorIxEEZNS1_11reduce_implILb1ES3_N6thrust23THRUST_200600_302600_NS6detail15normal_iteratorINS8_10device_ptrIxEEEEPffNS8_4plusIfEEEE10hipError_tPvRmT1_T2_T3_mT4_P12ihipStream_tbEUlT_E0_NS1_11comp_targetILNS1_3genE0ELNS1_11target_archE4294967295ELNS1_3gpuE0ELNS1_3repE0EEENS1_30default_config_static_selectorELNS0_4arch9wavefront6targetE1EEEvSK_
; %bb.0:
	s_load_dwordx8 s[36:43], s[0:1], 0x0
	s_load_dwordx4 s[44:47], s[0:1], 0x20
	v_lshlrev_b32_e32 v20, 3, v0
	v_mbcnt_lo_u32_b32 v1, -1, 0
	s_waitcnt lgkmcnt(0)
	s_lshl_b64 s[4:5], s[38:39], 3
	s_add_u32 s10, s36, s4
	s_addc_u32 s11, s37, s5
	s_lshl_b32 s4, s2, 12
	s_mov_b32 s5, 0
	s_lshr_b64 s[6:7], s[40:41], 12
	s_lshl_b64 s[8:9], s[4:5], 3
	s_add_u32 s30, s10, s8
	s_mov_b32 s3, s5
	s_addc_u32 s31, s11, s9
	s_cmp_lg_u64 s[6:7], s[2:3]
	s_cbranch_scc0 .LBB477_6
; %bb.1:
	v_mov_b32_e32 v21, 0
	v_lshl_add_u64 v[2:3], s[30:31], 0, v[20:21]
	s_movk_i32 s5, 0x1000
	v_add_co_u32_e32 v8, vcc, s5, v2
	flat_load_dwordx2 v[4:5], v[2:3]
	flat_load_dwordx2 v[6:7], v[2:3] offset:2048
	v_addc_co_u32_e32 v9, vcc, 0, v3, vcc
	flat_load_dwordx2 v[10:11], v[8:9]
	flat_load_dwordx2 v[12:13], v[8:9] offset:2048
	s_movk_i32 s5, 0x2000
	v_add_co_u32_e32 v8, vcc, s5, v2
	s_movk_i32 s5, 0x3000
	s_nop 0
	v_addc_co_u32_e32 v9, vcc, 0, v3, vcc
	flat_load_dwordx2 v[14:15], v[8:9]
	flat_load_dwordx2 v[16:17], v[8:9] offset:2048
	v_add_co_u32_e32 v8, vcc, s5, v2
	s_movk_i32 s6, 0x4000
	s_nop 0
	v_addc_co_u32_e32 v9, vcc, 0, v3, vcc
	flat_load_dwordx2 v[22:23], v[8:9]
	v_add_co_u32_e32 v18, vcc, s6, v2
	s_movk_i32 s7, 0x5000
	s_nop 0
	v_addc_co_u32_e32 v19, vcc, 0, v3, vcc
	v_add_co_u32_e32 v24, vcc, s7, v2
	s_movk_i32 s5, 0x6000
	s_nop 0
	v_addc_co_u32_e32 v25, vcc, 0, v3, vcc
	flat_load_dwordx2 v[26:27], v[8:9] offset:2048
	flat_load_dwordx2 v[28:29], v[18:19]
	flat_load_dwordx2 v[30:31], v[18:19] offset:2048
	flat_load_dwordx2 v[32:33], v[24:25]
	s_waitcnt vmcnt(0) lgkmcnt(0)
	v_xor_b32_e32 v8, v4, v5
	v_ffbh_i32_e32 v9, v5
	v_xor_b32_e32 v18, v6, v7
	v_ashrrev_i32_e32 v8, 31, v8
	v_ffbh_i32_e32 v19, v7
	v_add_u32_e32 v9, -1, v9
	v_ashrrev_i32_e32 v18, 31, v18
	v_xor_b32_e32 v21, v10, v11
	v_xor_b32_e32 v35, v12, v13
	v_add_u32_e32 v8, 32, v8
	v_add_u32_e32 v19, -1, v19
	v_ffbh_i32_e32 v34, v11
	v_ffbh_i32_e32 v36, v13
	v_add_u32_e32 v18, 32, v18
	v_ashrrev_i32_e32 v21, 31, v21
	v_ashrrev_i32_e32 v35, 31, v35
	v_min_u32_e32 v8, v9, v8
	v_xor_b32_e32 v37, v14, v15
	v_add_u32_e32 v34, -1, v34
	v_add_u32_e32 v36, -1, v36
	v_min_u32_e32 v9, v19, v18
	v_add_u32_e32 v18, 32, v21
	v_add_u32_e32 v19, 32, v35
	v_lshlrev_b64 v[4:5], v8, v[4:5]
	v_ashrrev_i32_e32 v37, 31, v37
	v_lshlrev_b64 v[6:7], v9, v[6:7]
	v_min_u32_e32 v18, v34, v18
	v_min_u32_e32 v19, v36, v19
	;; [unrolled: 1-line block ×3, first 2 shown]
	v_add_u32_e32 v21, 32, v37
	v_sub_u32_e32 v35, 32, v8
	v_sub_u32_e32 v37, 32, v9
	v_min_u32_e32 v6, 1, v6
	v_lshlrev_b64 v[8:9], v18, v[10:11]
	v_lshlrev_b64 v[10:11], v19, v[12:13]
	v_or_b32_e32 v4, v5, v4
	v_or_b32_e32 v5, v7, v6
	v_min_u32_e32 v6, 1, v8
	v_min_u32_e32 v7, 1, v10
	v_cvt_f32_i32_e32 v4, v4
	v_ffbh_i32_e32 v38, v15
	v_cvt_f32_i32_e32 v5, v5
	v_or_b32_e32 v6, v9, v6
	v_or_b32_e32 v7, v11, v7
	v_add_u32_e32 v38, -1, v38
	v_cvt_f32_i32_e32 v6, v6
	v_cvt_f32_i32_e32 v7, v7
	v_min_u32_e32 v21, v38, v21
	v_lshlrev_b64 v[12:13], v21, v[14:15]
	v_ldexp_f32 v14, v4, v35
	v_xor_b32_e32 v4, v16, v17
	v_sub_u32_e32 v18, 32, v18
	v_sub_u32_e32 v19, 32, v19
	v_ldexp_f32 v15, v5, v37
	v_ashrrev_i32_e32 v4, 31, v4
	v_ffbh_i32_e32 v5, v17
	v_ldexp_f32 v18, v6, v18
	v_ldexp_f32 v19, v7, v19
	v_add_u32_e32 v4, 32, v4
	v_add_u32_e32 v5, -1, v5
	flat_load_dwordx2 v[6:7], v[24:25] offset:2048
	v_min_u32_e32 v9, v5, v4
	v_min_u32_e32 v8, 1, v12
	v_lshlrev_b64 v[4:5], v9, v[16:17]
	v_or_b32_e32 v8, v13, v8
	v_min_u32_e32 v4, 1, v4
	v_cvt_f32_i32_e32 v8, v8
	v_or_b32_e32 v4, v5, v4
	v_cvt_f32_i32_e32 v4, v4
	v_sub_u32_e32 v5, 32, v21
	v_ldexp_f32 v16, v8, v5
	v_sub_u32_e32 v5, 32, v9
	v_ldexp_f32 v17, v4, v5
	v_add_co_u32_e32 v4, vcc, s5, v2
	s_movk_i32 s5, 0x7000
	s_nop 0
	v_addc_co_u32_e32 v5, vcc, 0, v3, vcc
	flat_load_dwordx2 v[8:9], v[4:5]
	v_add_co_u32_e32 v2, vcc, s5, v2
	v_xor_b32_e32 v10, v22, v23
	s_nop 0
	v_addc_co_u32_e32 v3, vcc, 0, v3, vcc
	flat_load_dwordx2 v[12:13], v[2:3]
	v_ashrrev_i32_e32 v10, 31, v10
	flat_load_dwordx2 v[4:5], v[4:5] offset:2048
	v_ffbh_i32_e32 v11, v23
	flat_load_dwordx2 v[2:3], v[2:3] offset:2048
	v_add_u32_e32 v10, 32, v10
	v_add_u32_e32 v11, -1, v11
	v_min_u32_e32 v21, v11, v10
	v_lshlrev_b64 v[10:11], v21, v[22:23]
	v_min_u32_e32 v10, 1, v10
	v_or_b32_e32 v10, v11, v10
	v_cvt_f32_i32_e32 v22, v10
	v_xor_b32_e32 v10, v26, v27
	v_ashrrev_i32_e32 v10, 31, v10
	v_ffbh_i32_e32 v11, v27
	v_add_u32_e32 v10, 32, v10
	v_add_u32_e32 v11, -1, v11
	v_min_u32_e32 v23, v11, v10
	v_lshlrev_b64 v[10:11], v23, v[26:27]
	v_min_u32_e32 v10, 1, v10
	v_or_b32_e32 v10, v11, v10
	v_cvt_f32_i32_e32 v10, v10
	v_sub_u32_e32 v11, 32, v21
	v_ldexp_f32 v21, v22, v11
	v_sub_u32_e32 v11, 32, v23
	v_ldexp_f32 v22, v10, v11
	v_xor_b32_e32 v10, v28, v29
	v_ashrrev_i32_e32 v10, 31, v10
	v_ffbh_i32_e32 v11, v29
	v_add_u32_e32 v10, 32, v10
	v_add_u32_e32 v11, -1, v11
	v_min_u32_e32 v23, v11, v10
	v_lshlrev_b64 v[10:11], v23, v[28:29]
	v_min_u32_e32 v10, 1, v10
	v_or_b32_e32 v10, v11, v10
	v_cvt_f32_i32_e32 v24, v10
	v_xor_b32_e32 v10, v30, v31
	v_ashrrev_i32_e32 v10, 31, v10
	v_ffbh_i32_e32 v11, v31
	v_add_u32_e32 v10, 32, v10
	v_add_u32_e32 v11, -1, v11
	v_min_u32_e32 v25, v11, v10
	v_lshlrev_b64 v[10:11], v25, v[30:31]
	v_min_u32_e32 v10, 1, v10
	v_or_b32_e32 v10, v11, v10
	v_cvt_f32_i32_e32 v10, v10
	v_sub_u32_e32 v11, 32, v23
	v_ldexp_f32 v23, v24, v11
	v_sub_u32_e32 v11, 32, v25
	v_ldexp_f32 v24, v10, v11
	v_xor_b32_e32 v10, v32, v33
	v_ashrrev_i32_e32 v10, 31, v10
	v_ffbh_i32_e32 v11, v33
	v_add_u32_e32 v10, 32, v10
	v_add_u32_e32 v11, -1, v11
	v_min_u32_e32 v25, v11, v10
	v_lshlrev_b64 v[10:11], v25, v[32:33]
	v_min_u32_e32 v10, 1, v10
	v_or_b32_e32 v10, v11, v10
	s_waitcnt vmcnt(0) lgkmcnt(0)
	v_xor_b32_e32 v11, v6, v7
	v_ashrrev_i32_e32 v11, 31, v11
	v_ffbh_i32_e32 v26, v7
	v_add_u32_e32 v11, 32, v11
	v_add_u32_e32 v26, -1, v26
	v_min_u32_e32 v11, v26, v11
	v_lshlrev_b64 v[6:7], v11, v[6:7]
	v_min_u32_e32 v6, 1, v6
	v_cvt_f32_i32_e32 v10, v10
	v_or_b32_e32 v6, v7, v6
	v_cvt_f32_i32_e32 v6, v6
	v_sub_u32_e32 v7, 32, v25
	v_ldexp_f32 v10, v10, v7
	v_sub_u32_e32 v7, 32, v11
	v_ldexp_f32 v11, v6, v7
	v_xor_b32_e32 v6, v8, v9
	v_ashrrev_i32_e32 v6, 31, v6
	v_ffbh_i32_e32 v7, v9
	v_add_u32_e32 v6, 32, v6
	v_add_u32_e32 v7, -1, v7
	v_min_u32_e32 v25, v7, v6
	v_lshlrev_b64 v[6:7], v25, v[8:9]
	v_min_u32_e32 v6, 1, v6
	v_or_b32_e32 v6, v7, v6
	v_xor_b32_e32 v7, v4, v5
	v_ashrrev_i32_e32 v7, 31, v7
	v_ffbh_i32_e32 v8, v5
	v_add_u32_e32 v7, 32, v7
	v_add_u32_e32 v8, -1, v8
	v_min_u32_e32 v7, v8, v7
	v_lshlrev_b64 v[4:5], v7, v[4:5]
	v_min_u32_e32 v4, 1, v4
	v_cvt_f32_i32_e32 v6, v6
	v_or_b32_e32 v4, v5, v4
	v_cvt_f32_i32_e32 v4, v4
	v_sub_u32_e32 v5, 32, v25
	v_ldexp_f32 v6, v6, v5
	v_sub_u32_e32 v5, 32, v7
	v_ldexp_f32 v7, v4, v5
	v_xor_b32_e32 v4, v12, v13
	v_ashrrev_i32_e32 v4, 31, v4
	v_ffbh_i32_e32 v5, v13
	v_add_u32_e32 v4, 32, v4
	v_add_u32_e32 v5, -1, v5
	v_min_u32_e32 v8, v5, v4
	v_lshlrev_b64 v[4:5], v8, v[12:13]
	v_min_u32_e32 v4, 1, v4
	v_or_b32_e32 v4, v5, v4
	v_xor_b32_e32 v5, v2, v3
	v_ashrrev_i32_e32 v5, 31, v5
	v_ffbh_i32_e32 v9, v3
	v_add_u32_e32 v5, 32, v5
	v_add_u32_e32 v9, -1, v9
	v_min_u32_e32 v5, v9, v5
	v_lshlrev_b64 v[2:3], v5, v[2:3]
	v_min_u32_e32 v2, 1, v2
	v_cvt_f32_i32_e32 v4, v4
	v_or_b32_e32 v2, v3, v2
	v_cvt_f32_i32_e32 v2, v2
	v_sub_u32_e32 v3, 32, v8
	v_ldexp_f32 v3, v4, v3
	v_sub_u32_e32 v4, 32, v5
	v_ldexp_f32 v2, v2, v4
	v_add_f32_e32 v4, v14, v15
	v_add_f32_e32 v4, v4, v18
	;; [unrolled: 1-line block ×15, first 2 shown]
	v_mbcnt_hi_u32_b32 v3, -1, v1
	v_lshlrev_b32_e32 v4, 2, v3
	v_add_f32_dpp v2, v2, v2 quad_perm:[1,0,3,2] row_mask:0xf bank_mask:0xf bound_ctrl:1
	v_or_b32_e32 v5, 0xfc, v4
	v_cmp_eq_u32_e32 vcc, 0, v3
	v_add_f32_dpp v2, v2, v2 quad_perm:[2,3,0,1] row_mask:0xf bank_mask:0xf bound_ctrl:1
	s_nop 1
	v_add_f32_dpp v2, v2, v2 row_ror:4 row_mask:0xf bank_mask:0xf bound_ctrl:1
	s_nop 1
	v_add_f32_dpp v2, v2, v2 row_ror:8 row_mask:0xf bank_mask:0xf bound_ctrl:1
	s_nop 1
	v_add_f32_dpp v2, v2, v2 row_bcast:15 row_mask:0xf bank_mask:0xf bound_ctrl:1
	s_nop 1
	v_add_f32_dpp v2, v2, v2 row_bcast:31 row_mask:0xf bank_mask:0xf bound_ctrl:1
	ds_bpermute_b32 v2, v5, v2
	s_and_saveexec_b64 s[6:7], vcc
	s_cbranch_execz .LBB477_3
; %bb.2:
	v_lshrrev_b32_e32 v5, 4, v0
	v_and_b32_e32 v5, 12, v5
	s_waitcnt lgkmcnt(0)
	ds_write_b32 v5, v2
.LBB477_3:
	s_or_b64 exec, exec, s[6:7]
	v_cmp_gt_u32_e32 vcc, 64, v0
	s_waitcnt lgkmcnt(0)
	s_barrier
	s_and_saveexec_b64 s[6:7], vcc
	s_cbranch_execz .LBB477_5
; %bb.4:
	v_and_b32_e32 v2, 3, v3
	v_lshlrev_b32_e32 v5, 2, v2
	ds_read_b32 v5, v5
	v_cmp_ne_u32_e32 vcc, 3, v2
	s_nop 1
	v_addc_co_u32_e32 v2, vcc, 0, v3, vcc
	v_lshlrev_b32_e32 v2, 2, v2
	s_waitcnt lgkmcnt(0)
	ds_bpermute_b32 v2, v2, v5
	v_or_b32_e32 v3, 8, v4
	s_waitcnt lgkmcnt(0)
	v_add_f32_e32 v2, v5, v2
	ds_bpermute_b32 v3, v3, v2
	s_waitcnt lgkmcnt(0)
	v_add_f32_e32 v2, v2, v3
.LBB477_5:
	s_or_b64 exec, exec, s[6:7]
	s_load_dword s33, s[0:1], 0x30
	s_branch .LBB477_44
.LBB477_6:
                                        ; implicit-def: $vgpr2
	s_load_dword s33, s[0:1], 0x30
	s_cbranch_execz .LBB477_44
; %bb.7:
	s_sub_i32 s36, s40, s4
	v_mov_b32_e32 v2, 0
	v_cmp_gt_u32_e32 vcc, s36, v0
	v_mov_b32_e32 v3, v2
	v_mov_b32_e32 v4, v2
	;; [unrolled: 1-line block ×15, first 2 shown]
	s_and_saveexec_b64 s[0:1], vcc
	s_cbranch_execz .LBB477_9
; %bb.8:
	v_mov_b32_e32 v21, v2
	v_lshl_add_u64 v[4:5], s[30:31], 0, v[20:21]
	flat_load_dwordx2 v[18:19], v[4:5]
	v_mov_b32_e32 v5, v2
	v_mov_b32_e32 v6, v2
	;; [unrolled: 1-line block ×13, first 2 shown]
	s_waitcnt vmcnt(0) lgkmcnt(0)
	v_xor_b32_e32 v3, v18, v19
	v_ffbh_i32_e32 v4, v19
	v_ashrrev_i32_e32 v3, 31, v3
	v_add_u32_e32 v4, -1, v4
	v_add_u32_e32 v3, 32, v3
	v_min_u32_e32 v3, v4, v3
	v_lshlrev_b64 v[18:19], v3, v[18:19]
	v_min_u32_e32 v4, 1, v18
	v_or_b32_e32 v4, v19, v4
	v_cvt_f32_i32_e32 v4, v4
	v_sub_u32_e32 v3, 32, v3
	v_mov_b32_e32 v18, v2
	v_mov_b32_e32 v19, v2
	v_ldexp_f32 v4, v4, v3
	v_mov_b64_e32 v[2:3], v[4:5]
	v_mov_b64_e32 v[4:5], v[6:7]
	;; [unrolled: 1-line block ×8, first 2 shown]
.LBB477_9:
	s_or_b64 exec, exec, s[0:1]
	v_or_b32_e32 v18, 0x100, v0
	v_cmp_gt_u32_e32 vcc, s36, v18
	s_and_saveexec_b64 s[0:1], vcc
	s_cbranch_execz .LBB477_11
; %bb.10:
	v_mov_b32_e32 v21, 0
	v_lshl_add_u64 v[18:19], s[30:31], 0, v[20:21]
	flat_load_dwordx2 v[18:19], v[18:19] offset:2048
	s_waitcnt vmcnt(0) lgkmcnt(0)
	v_xor_b32_e32 v3, v18, v19
	v_ffbh_i32_e32 v20, v19
	v_ashrrev_i32_e32 v3, 31, v3
	v_add_u32_e32 v3, 32, v3
	v_add_u32_e32 v20, -1, v20
	v_min_u32_e32 v3, v20, v3
	v_lshlrev_b64 v[18:19], v3, v[18:19]
	v_min_u32_e32 v18, 1, v18
	v_or_b32_e32 v18, v19, v18
	v_cvt_f32_i32_e32 v18, v18
	v_sub_u32_e32 v3, 32, v3
	v_ldexp_f32 v3, v18, v3
.LBB477_11:
	s_or_b64 exec, exec, s[0:1]
	v_or_b32_e32 v18, 0x200, v0
	v_cmp_gt_u32_e64 s[0:1], s36, v18
	s_and_saveexec_b64 s[4:5], s[0:1]
	s_cbranch_execz .LBB477_13
; %bb.12:
	v_lshlrev_b32_e32 v18, 3, v18
	v_mov_b32_e32 v19, 0
	v_lshl_add_u64 v[18:19], s[30:31], 0, v[18:19]
	flat_load_dwordx2 v[18:19], v[18:19]
	s_waitcnt vmcnt(0) lgkmcnt(0)
	v_xor_b32_e32 v4, v18, v19
	v_ffbh_i32_e32 v20, v19
	v_ashrrev_i32_e32 v4, 31, v4
	v_add_u32_e32 v4, 32, v4
	v_add_u32_e32 v20, -1, v20
	v_min_u32_e32 v4, v20, v4
	v_lshlrev_b64 v[18:19], v4, v[18:19]
	v_min_u32_e32 v18, 1, v18
	v_or_b32_e32 v18, v19, v18
	v_cvt_f32_i32_e32 v18, v18
	v_sub_u32_e32 v4, 32, v4
	v_ldexp_f32 v4, v18, v4
.LBB477_13:
	s_or_b64 exec, exec, s[4:5]
	v_or_b32_e32 v18, 0x300, v0
	v_cmp_gt_u32_e64 s[4:5], s36, v18
	s_and_saveexec_b64 s[6:7], s[4:5]
	s_cbranch_execz .LBB477_15
; %bb.14:
	v_lshlrev_b32_e32 v18, 3, v18
	v_mov_b32_e32 v19, 0
	v_lshl_add_u64 v[18:19], s[30:31], 0, v[18:19]
	flat_load_dwordx2 v[18:19], v[18:19]
	s_waitcnt vmcnt(0) lgkmcnt(0)
	v_xor_b32_e32 v5, v18, v19
	v_ffbh_i32_e32 v20, v19
	v_ashrrev_i32_e32 v5, 31, v5
	v_add_u32_e32 v5, 32, v5
	v_add_u32_e32 v20, -1, v20
	v_min_u32_e32 v5, v20, v5
	v_lshlrev_b64 v[18:19], v5, v[18:19]
	v_min_u32_e32 v18, 1, v18
	v_or_b32_e32 v18, v19, v18
	v_cvt_f32_i32_e32 v18, v18
	v_sub_u32_e32 v5, 32, v5
	v_ldexp_f32 v5, v18, v5
.LBB477_15:
	;; [unrolled: 24-line block ×14, first 2 shown]
	s_or_b64 exec, exec, s[34:35]
	v_add_f32_e32 v3, v2, v3
	v_cndmask_b32_e32 v2, v2, v3, vcc
	v_add_f32_e32 v3, v4, v2
	v_cndmask_b32_e64 v2, v2, v3, s[0:1]
	v_add_f32_e32 v3, v5, v2
	v_cndmask_b32_e64 v2, v2, v3, s[4:5]
	;; [unrolled: 2-line block ×12, first 2 shown]
	v_add_f32_e32 v3, v16, v2
	v_mbcnt_hi_u32_b32 v1, -1, v1
	v_cndmask_b32_e64 v2, v2, v3, s[26:27]
	v_and_b32_e32 v4, 63, v1
	v_add_f32_e32 v3, v17, v2
	v_cmp_ne_u32_e32 vcc, 63, v4
	v_cndmask_b32_e64 v2, v2, v3, s[28:29]
	s_min_u32 s6, s36, 0x100
	v_addc_co_u32_e32 v3, vcc, 0, v1, vcc
	v_lshlrev_b32_e32 v3, 2, v3
	ds_bpermute_b32 v3, v3, v2
	v_and_b32_e32 v5, 0xc0, v0
	v_sub_u32_e64 v5, s6, v5 clamp
	v_add_u32_e32 v6, 1, v4
	v_cmp_gt_u32_e64 s[0:1], 62, v4
	s_waitcnt lgkmcnt(0)
	v_add_f32_e32 v3, v2, v3
	v_cmp_lt_u32_e32 vcc, v6, v5
	v_cndmask_b32_e64 v6, 0, 2, s[0:1]
	v_add_lshl_u32 v6, v6, v1, 2
	v_cndmask_b32_e32 v3, v2, v3, vcc
	ds_bpermute_b32 v6, v6, v3
	v_add_u32_e32 v7, 2, v4
	v_cmp_lt_u32_e64 s[0:1], v7, v5
	v_add_u32_e32 v7, 4, v4
	s_waitcnt lgkmcnt(0)
	v_add_f32_e32 v6, v3, v6
	v_cndmask_b32_e64 v3, v3, v6, s[0:1]
	v_cmp_gt_u32_e64 s[0:1], 60, v4
	s_nop 1
	v_cndmask_b32_e64 v6, 0, 4, s[0:1]
	v_add_lshl_u32 v6, v6, v1, 2
	ds_bpermute_b32 v6, v6, v3
	v_cmp_lt_u32_e64 s[0:1], v7, v5
	v_add_u32_e32 v7, 8, v4
	s_waitcnt lgkmcnt(0)
	v_add_f32_e32 v6, v3, v6
	v_cndmask_b32_e64 v3, v3, v6, s[0:1]
	v_cmp_gt_u32_e64 s[0:1], 56, v4
	s_nop 1
	v_cndmask_b32_e64 v6, 0, 8, s[0:1]
	v_add_lshl_u32 v6, v6, v1, 2
	ds_bpermute_b32 v6, v6, v3
	v_cmp_lt_u32_e64 s[0:1], v7, v5
	v_add_u32_e32 v7, 16, v4
	s_waitcnt lgkmcnt(0)
	v_add_f32_e32 v6, v3, v6
	v_cndmask_b32_e64 v3, v3, v6, s[0:1]
	v_cmp_gt_u32_e64 s[0:1], 48, v4
	v_add_u32_e32 v4, 32, v4
	s_nop 0
	v_cndmask_b32_e64 v6, 0, 16, s[0:1]
	v_add_lshl_u32 v6, v6, v1, 2
	ds_bpermute_b32 v6, v6, v3
	v_cmp_lt_u32_e64 s[0:1], v7, v5
	s_waitcnt lgkmcnt(0)
	v_add_f32_e32 v6, v3, v6
	v_cndmask_b32_e64 v6, v3, v6, s[0:1]
	v_lshlrev_b32_e32 v3, 2, v1
	v_or_b32_e32 v7, 0x80, v3
	ds_bpermute_b32 v7, v7, v6
	v_cmp_lt_u32_e64 s[0:1], v4, v5
	s_waitcnt lgkmcnt(0)
	v_add_f32_e32 v7, v6, v7
	v_cndmask_b32_e64 v4, v6, v7, s[0:1]
	v_cndmask_b32_e32 v2, v2, v4, vcc
	v_cmp_eq_u32_e32 vcc, 0, v1
	s_and_saveexec_b64 s[0:1], vcc
; %bb.40:
	v_lshrrev_b32_e32 v4, 4, v0
	v_and_b32_e32 v4, 12, v4
	ds_write_b32 v4, v2 offset:16
; %bb.41:
	s_or_b64 exec, exec, s[0:1]
	v_cmp_gt_u32_e32 vcc, 4, v0
	s_waitcnt lgkmcnt(0)
	s_barrier
	s_and_saveexec_b64 s[4:5], vcc
	s_cbranch_execz .LBB477_43
; %bb.42:
	ds_read_b32 v2, v3 offset:16
	v_and_b32_e32 v4, 3, v1
	v_cmp_ne_u32_e32 vcc, 3, v4
	s_add_i32 s6, s6, 63
	s_lshr_b32 s0, s6, 6
	v_addc_co_u32_e32 v1, vcc, 0, v1, vcc
	v_lshlrev_b32_e32 v1, 2, v1
	s_waitcnt lgkmcnt(0)
	ds_bpermute_b32 v1, v1, v2
	v_add_u32_e32 v5, 1, v4
	v_cmp_gt_u32_e32 vcc, s0, v5
	v_or_b32_e32 v3, 8, v3
	v_add_u32_e32 v4, 2, v4
	s_waitcnt lgkmcnt(0)
	v_add_f32_e32 v1, v2, v1
	v_cndmask_b32_e32 v1, v2, v1, vcc
	ds_bpermute_b32 v3, v3, v1
	v_cmp_gt_u32_e64 s[0:1], s0, v4
	s_waitcnt lgkmcnt(0)
	v_add_f32_e32 v3, v1, v3
	v_cndmask_b32_e64 v1, v1, v3, s[0:1]
	v_cndmask_b32_e32 v2, v2, v1, vcc
.LBB477_43:
	s_or_b64 exec, exec, s[4:5]
.LBB477_44:
	v_cmp_eq_u32_e32 vcc, 0, v0
	s_and_saveexec_b64 s[0:1], vcc
	s_cbranch_execnz .LBB477_46
; %bb.45:
	s_endpgm
.LBB477_46:
	s_mul_i32 s0, s46, s45
	s_mul_hi_u32 s1, s46, s44
	s_add_i32 s0, s1, s0
	s_mul_i32 s1, s47, s44
	s_add_i32 s1, s0, s1
	s_mul_i32 s0, s46, s44
	s_lshl_b64 s[0:1], s[0:1], 2
	s_add_u32 s4, s42, s0
	s_addc_u32 s5, s43, s1
	s_cmp_eq_u64 s[40:41], 0
	s_cselect_b64 vcc, -1, 0
	s_lshl_b64 s[0:1], s[2:3], 2
	s_waitcnt lgkmcnt(0)
	v_mov_b32_e32 v0, s33
	s_add_u32 s0, s4, s0
	v_cndmask_b32_e32 v0, v2, v0, vcc
	s_addc_u32 s1, s5, s1
	v_mov_b32_e32 v1, 0
	global_store_dword v1, v0, s[0:1]
	s_endpgm
	.section	.rodata,"a",@progbits
	.p2align	6, 0x0
	.amdhsa_kernel _ZN7rocprim17ROCPRIM_400000_NS6detail17trampoline_kernelINS0_14default_configENS1_22reduce_config_selectorIxEEZNS1_11reduce_implILb1ES3_N6thrust23THRUST_200600_302600_NS6detail15normal_iteratorINS8_10device_ptrIxEEEEPffNS8_4plusIfEEEE10hipError_tPvRmT1_T2_T3_mT4_P12ihipStream_tbEUlT_E0_NS1_11comp_targetILNS1_3genE0ELNS1_11target_archE4294967295ELNS1_3gpuE0ELNS1_3repE0EEENS1_30default_config_static_selectorELNS0_4arch9wavefront6targetE1EEEvSK_
		.amdhsa_group_segment_fixed_size 32
		.amdhsa_private_segment_fixed_size 0
		.amdhsa_kernarg_size 56
		.amdhsa_user_sgpr_count 2
		.amdhsa_user_sgpr_dispatch_ptr 0
		.amdhsa_user_sgpr_queue_ptr 0
		.amdhsa_user_sgpr_kernarg_segment_ptr 1
		.amdhsa_user_sgpr_dispatch_id 0
		.amdhsa_user_sgpr_kernarg_preload_length 0
		.amdhsa_user_sgpr_kernarg_preload_offset 0
		.amdhsa_user_sgpr_private_segment_size 0
		.amdhsa_uses_dynamic_stack 0
		.amdhsa_enable_private_segment 0
		.amdhsa_system_sgpr_workgroup_id_x 1
		.amdhsa_system_sgpr_workgroup_id_y 0
		.amdhsa_system_sgpr_workgroup_id_z 0
		.amdhsa_system_sgpr_workgroup_info 0
		.amdhsa_system_vgpr_workitem_id 0
		.amdhsa_next_free_vgpr 39
		.amdhsa_next_free_sgpr 48
		.amdhsa_accum_offset 40
		.amdhsa_reserve_vcc 1
		.amdhsa_float_round_mode_32 0
		.amdhsa_float_round_mode_16_64 0
		.amdhsa_float_denorm_mode_32 3
		.amdhsa_float_denorm_mode_16_64 3
		.amdhsa_dx10_clamp 1
		.amdhsa_ieee_mode 1
		.amdhsa_fp16_overflow 0
		.amdhsa_tg_split 0
		.amdhsa_exception_fp_ieee_invalid_op 0
		.amdhsa_exception_fp_denorm_src 0
		.amdhsa_exception_fp_ieee_div_zero 0
		.amdhsa_exception_fp_ieee_overflow 0
		.amdhsa_exception_fp_ieee_underflow 0
		.amdhsa_exception_fp_ieee_inexact 0
		.amdhsa_exception_int_div_zero 0
	.end_amdhsa_kernel
	.section	.text._ZN7rocprim17ROCPRIM_400000_NS6detail17trampoline_kernelINS0_14default_configENS1_22reduce_config_selectorIxEEZNS1_11reduce_implILb1ES3_N6thrust23THRUST_200600_302600_NS6detail15normal_iteratorINS8_10device_ptrIxEEEEPffNS8_4plusIfEEEE10hipError_tPvRmT1_T2_T3_mT4_P12ihipStream_tbEUlT_E0_NS1_11comp_targetILNS1_3genE0ELNS1_11target_archE4294967295ELNS1_3gpuE0ELNS1_3repE0EEENS1_30default_config_static_selectorELNS0_4arch9wavefront6targetE1EEEvSK_,"axG",@progbits,_ZN7rocprim17ROCPRIM_400000_NS6detail17trampoline_kernelINS0_14default_configENS1_22reduce_config_selectorIxEEZNS1_11reduce_implILb1ES3_N6thrust23THRUST_200600_302600_NS6detail15normal_iteratorINS8_10device_ptrIxEEEEPffNS8_4plusIfEEEE10hipError_tPvRmT1_T2_T3_mT4_P12ihipStream_tbEUlT_E0_NS1_11comp_targetILNS1_3genE0ELNS1_11target_archE4294967295ELNS1_3gpuE0ELNS1_3repE0EEENS1_30default_config_static_selectorELNS0_4arch9wavefront6targetE1EEEvSK_,comdat
.Lfunc_end477:
	.size	_ZN7rocprim17ROCPRIM_400000_NS6detail17trampoline_kernelINS0_14default_configENS1_22reduce_config_selectorIxEEZNS1_11reduce_implILb1ES3_N6thrust23THRUST_200600_302600_NS6detail15normal_iteratorINS8_10device_ptrIxEEEEPffNS8_4plusIfEEEE10hipError_tPvRmT1_T2_T3_mT4_P12ihipStream_tbEUlT_E0_NS1_11comp_targetILNS1_3genE0ELNS1_11target_archE4294967295ELNS1_3gpuE0ELNS1_3repE0EEENS1_30default_config_static_selectorELNS0_4arch9wavefront6targetE1EEEvSK_, .Lfunc_end477-_ZN7rocprim17ROCPRIM_400000_NS6detail17trampoline_kernelINS0_14default_configENS1_22reduce_config_selectorIxEEZNS1_11reduce_implILb1ES3_N6thrust23THRUST_200600_302600_NS6detail15normal_iteratorINS8_10device_ptrIxEEEEPffNS8_4plusIfEEEE10hipError_tPvRmT1_T2_T3_mT4_P12ihipStream_tbEUlT_E0_NS1_11comp_targetILNS1_3genE0ELNS1_11target_archE4294967295ELNS1_3gpuE0ELNS1_3repE0EEENS1_30default_config_static_selectorELNS0_4arch9wavefront6targetE1EEEvSK_
                                        ; -- End function
	.set _ZN7rocprim17ROCPRIM_400000_NS6detail17trampoline_kernelINS0_14default_configENS1_22reduce_config_selectorIxEEZNS1_11reduce_implILb1ES3_N6thrust23THRUST_200600_302600_NS6detail15normal_iteratorINS8_10device_ptrIxEEEEPffNS8_4plusIfEEEE10hipError_tPvRmT1_T2_T3_mT4_P12ihipStream_tbEUlT_E0_NS1_11comp_targetILNS1_3genE0ELNS1_11target_archE4294967295ELNS1_3gpuE0ELNS1_3repE0EEENS1_30default_config_static_selectorELNS0_4arch9wavefront6targetE1EEEvSK_.num_vgpr, 39
	.set _ZN7rocprim17ROCPRIM_400000_NS6detail17trampoline_kernelINS0_14default_configENS1_22reduce_config_selectorIxEEZNS1_11reduce_implILb1ES3_N6thrust23THRUST_200600_302600_NS6detail15normal_iteratorINS8_10device_ptrIxEEEEPffNS8_4plusIfEEEE10hipError_tPvRmT1_T2_T3_mT4_P12ihipStream_tbEUlT_E0_NS1_11comp_targetILNS1_3genE0ELNS1_11target_archE4294967295ELNS1_3gpuE0ELNS1_3repE0EEENS1_30default_config_static_selectorELNS0_4arch9wavefront6targetE1EEEvSK_.num_agpr, 0
	.set _ZN7rocprim17ROCPRIM_400000_NS6detail17trampoline_kernelINS0_14default_configENS1_22reduce_config_selectorIxEEZNS1_11reduce_implILb1ES3_N6thrust23THRUST_200600_302600_NS6detail15normal_iteratorINS8_10device_ptrIxEEEEPffNS8_4plusIfEEEE10hipError_tPvRmT1_T2_T3_mT4_P12ihipStream_tbEUlT_E0_NS1_11comp_targetILNS1_3genE0ELNS1_11target_archE4294967295ELNS1_3gpuE0ELNS1_3repE0EEENS1_30default_config_static_selectorELNS0_4arch9wavefront6targetE1EEEvSK_.numbered_sgpr, 48
	.set _ZN7rocprim17ROCPRIM_400000_NS6detail17trampoline_kernelINS0_14default_configENS1_22reduce_config_selectorIxEEZNS1_11reduce_implILb1ES3_N6thrust23THRUST_200600_302600_NS6detail15normal_iteratorINS8_10device_ptrIxEEEEPffNS8_4plusIfEEEE10hipError_tPvRmT1_T2_T3_mT4_P12ihipStream_tbEUlT_E0_NS1_11comp_targetILNS1_3genE0ELNS1_11target_archE4294967295ELNS1_3gpuE0ELNS1_3repE0EEENS1_30default_config_static_selectorELNS0_4arch9wavefront6targetE1EEEvSK_.num_named_barrier, 0
	.set _ZN7rocprim17ROCPRIM_400000_NS6detail17trampoline_kernelINS0_14default_configENS1_22reduce_config_selectorIxEEZNS1_11reduce_implILb1ES3_N6thrust23THRUST_200600_302600_NS6detail15normal_iteratorINS8_10device_ptrIxEEEEPffNS8_4plusIfEEEE10hipError_tPvRmT1_T2_T3_mT4_P12ihipStream_tbEUlT_E0_NS1_11comp_targetILNS1_3genE0ELNS1_11target_archE4294967295ELNS1_3gpuE0ELNS1_3repE0EEENS1_30default_config_static_selectorELNS0_4arch9wavefront6targetE1EEEvSK_.private_seg_size, 0
	.set _ZN7rocprim17ROCPRIM_400000_NS6detail17trampoline_kernelINS0_14default_configENS1_22reduce_config_selectorIxEEZNS1_11reduce_implILb1ES3_N6thrust23THRUST_200600_302600_NS6detail15normal_iteratorINS8_10device_ptrIxEEEEPffNS8_4plusIfEEEE10hipError_tPvRmT1_T2_T3_mT4_P12ihipStream_tbEUlT_E0_NS1_11comp_targetILNS1_3genE0ELNS1_11target_archE4294967295ELNS1_3gpuE0ELNS1_3repE0EEENS1_30default_config_static_selectorELNS0_4arch9wavefront6targetE1EEEvSK_.uses_vcc, 1
	.set _ZN7rocprim17ROCPRIM_400000_NS6detail17trampoline_kernelINS0_14default_configENS1_22reduce_config_selectorIxEEZNS1_11reduce_implILb1ES3_N6thrust23THRUST_200600_302600_NS6detail15normal_iteratorINS8_10device_ptrIxEEEEPffNS8_4plusIfEEEE10hipError_tPvRmT1_T2_T3_mT4_P12ihipStream_tbEUlT_E0_NS1_11comp_targetILNS1_3genE0ELNS1_11target_archE4294967295ELNS1_3gpuE0ELNS1_3repE0EEENS1_30default_config_static_selectorELNS0_4arch9wavefront6targetE1EEEvSK_.uses_flat_scratch, 0
	.set _ZN7rocprim17ROCPRIM_400000_NS6detail17trampoline_kernelINS0_14default_configENS1_22reduce_config_selectorIxEEZNS1_11reduce_implILb1ES3_N6thrust23THRUST_200600_302600_NS6detail15normal_iteratorINS8_10device_ptrIxEEEEPffNS8_4plusIfEEEE10hipError_tPvRmT1_T2_T3_mT4_P12ihipStream_tbEUlT_E0_NS1_11comp_targetILNS1_3genE0ELNS1_11target_archE4294967295ELNS1_3gpuE0ELNS1_3repE0EEENS1_30default_config_static_selectorELNS0_4arch9wavefront6targetE1EEEvSK_.has_dyn_sized_stack, 0
	.set _ZN7rocprim17ROCPRIM_400000_NS6detail17trampoline_kernelINS0_14default_configENS1_22reduce_config_selectorIxEEZNS1_11reduce_implILb1ES3_N6thrust23THRUST_200600_302600_NS6detail15normal_iteratorINS8_10device_ptrIxEEEEPffNS8_4plusIfEEEE10hipError_tPvRmT1_T2_T3_mT4_P12ihipStream_tbEUlT_E0_NS1_11comp_targetILNS1_3genE0ELNS1_11target_archE4294967295ELNS1_3gpuE0ELNS1_3repE0EEENS1_30default_config_static_selectorELNS0_4arch9wavefront6targetE1EEEvSK_.has_recursion, 0
	.set _ZN7rocprim17ROCPRIM_400000_NS6detail17trampoline_kernelINS0_14default_configENS1_22reduce_config_selectorIxEEZNS1_11reduce_implILb1ES3_N6thrust23THRUST_200600_302600_NS6detail15normal_iteratorINS8_10device_ptrIxEEEEPffNS8_4plusIfEEEE10hipError_tPvRmT1_T2_T3_mT4_P12ihipStream_tbEUlT_E0_NS1_11comp_targetILNS1_3genE0ELNS1_11target_archE4294967295ELNS1_3gpuE0ELNS1_3repE0EEENS1_30default_config_static_selectorELNS0_4arch9wavefront6targetE1EEEvSK_.has_indirect_call, 0
	.section	.AMDGPU.csdata,"",@progbits
; Kernel info:
; codeLenInByte = 4284
; TotalNumSgprs: 54
; NumVgprs: 39
; NumAgprs: 0
; TotalNumVgprs: 39
; ScratchSize: 0
; MemoryBound: 0
; FloatMode: 240
; IeeeMode: 1
; LDSByteSize: 32 bytes/workgroup (compile time only)
; SGPRBlocks: 6
; VGPRBlocks: 4
; NumSGPRsForWavesPerEU: 54
; NumVGPRsForWavesPerEU: 39
; AccumOffset: 40
; Occupancy: 8
; WaveLimiterHint : 1
; COMPUTE_PGM_RSRC2:SCRATCH_EN: 0
; COMPUTE_PGM_RSRC2:USER_SGPR: 2
; COMPUTE_PGM_RSRC2:TRAP_HANDLER: 0
; COMPUTE_PGM_RSRC2:TGID_X_EN: 1
; COMPUTE_PGM_RSRC2:TGID_Y_EN: 0
; COMPUTE_PGM_RSRC2:TGID_Z_EN: 0
; COMPUTE_PGM_RSRC2:TIDIG_COMP_CNT: 0
; COMPUTE_PGM_RSRC3_GFX90A:ACCUM_OFFSET: 9
; COMPUTE_PGM_RSRC3_GFX90A:TG_SPLIT: 0
	.section	.text._ZN7rocprim17ROCPRIM_400000_NS6detail17trampoline_kernelINS0_14default_configENS1_22reduce_config_selectorIxEEZNS1_11reduce_implILb1ES3_N6thrust23THRUST_200600_302600_NS6detail15normal_iteratorINS8_10device_ptrIxEEEEPffNS8_4plusIfEEEE10hipError_tPvRmT1_T2_T3_mT4_P12ihipStream_tbEUlT_E0_NS1_11comp_targetILNS1_3genE5ELNS1_11target_archE942ELNS1_3gpuE9ELNS1_3repE0EEENS1_30default_config_static_selectorELNS0_4arch9wavefront6targetE1EEEvSK_,"axG",@progbits,_ZN7rocprim17ROCPRIM_400000_NS6detail17trampoline_kernelINS0_14default_configENS1_22reduce_config_selectorIxEEZNS1_11reduce_implILb1ES3_N6thrust23THRUST_200600_302600_NS6detail15normal_iteratorINS8_10device_ptrIxEEEEPffNS8_4plusIfEEEE10hipError_tPvRmT1_T2_T3_mT4_P12ihipStream_tbEUlT_E0_NS1_11comp_targetILNS1_3genE5ELNS1_11target_archE942ELNS1_3gpuE9ELNS1_3repE0EEENS1_30default_config_static_selectorELNS0_4arch9wavefront6targetE1EEEvSK_,comdat
	.protected	_ZN7rocprim17ROCPRIM_400000_NS6detail17trampoline_kernelINS0_14default_configENS1_22reduce_config_selectorIxEEZNS1_11reduce_implILb1ES3_N6thrust23THRUST_200600_302600_NS6detail15normal_iteratorINS8_10device_ptrIxEEEEPffNS8_4plusIfEEEE10hipError_tPvRmT1_T2_T3_mT4_P12ihipStream_tbEUlT_E0_NS1_11comp_targetILNS1_3genE5ELNS1_11target_archE942ELNS1_3gpuE9ELNS1_3repE0EEENS1_30default_config_static_selectorELNS0_4arch9wavefront6targetE1EEEvSK_ ; -- Begin function _ZN7rocprim17ROCPRIM_400000_NS6detail17trampoline_kernelINS0_14default_configENS1_22reduce_config_selectorIxEEZNS1_11reduce_implILb1ES3_N6thrust23THRUST_200600_302600_NS6detail15normal_iteratorINS8_10device_ptrIxEEEEPffNS8_4plusIfEEEE10hipError_tPvRmT1_T2_T3_mT4_P12ihipStream_tbEUlT_E0_NS1_11comp_targetILNS1_3genE5ELNS1_11target_archE942ELNS1_3gpuE9ELNS1_3repE0EEENS1_30default_config_static_selectorELNS0_4arch9wavefront6targetE1EEEvSK_
	.globl	_ZN7rocprim17ROCPRIM_400000_NS6detail17trampoline_kernelINS0_14default_configENS1_22reduce_config_selectorIxEEZNS1_11reduce_implILb1ES3_N6thrust23THRUST_200600_302600_NS6detail15normal_iteratorINS8_10device_ptrIxEEEEPffNS8_4plusIfEEEE10hipError_tPvRmT1_T2_T3_mT4_P12ihipStream_tbEUlT_E0_NS1_11comp_targetILNS1_3genE5ELNS1_11target_archE942ELNS1_3gpuE9ELNS1_3repE0EEENS1_30default_config_static_selectorELNS0_4arch9wavefront6targetE1EEEvSK_
	.p2align	8
	.type	_ZN7rocprim17ROCPRIM_400000_NS6detail17trampoline_kernelINS0_14default_configENS1_22reduce_config_selectorIxEEZNS1_11reduce_implILb1ES3_N6thrust23THRUST_200600_302600_NS6detail15normal_iteratorINS8_10device_ptrIxEEEEPffNS8_4plusIfEEEE10hipError_tPvRmT1_T2_T3_mT4_P12ihipStream_tbEUlT_E0_NS1_11comp_targetILNS1_3genE5ELNS1_11target_archE942ELNS1_3gpuE9ELNS1_3repE0EEENS1_30default_config_static_selectorELNS0_4arch9wavefront6targetE1EEEvSK_,@function
_ZN7rocprim17ROCPRIM_400000_NS6detail17trampoline_kernelINS0_14default_configENS1_22reduce_config_selectorIxEEZNS1_11reduce_implILb1ES3_N6thrust23THRUST_200600_302600_NS6detail15normal_iteratorINS8_10device_ptrIxEEEEPffNS8_4plusIfEEEE10hipError_tPvRmT1_T2_T3_mT4_P12ihipStream_tbEUlT_E0_NS1_11comp_targetILNS1_3genE5ELNS1_11target_archE942ELNS1_3gpuE9ELNS1_3repE0EEENS1_30default_config_static_selectorELNS0_4arch9wavefront6targetE1EEEvSK_: ; @_ZN7rocprim17ROCPRIM_400000_NS6detail17trampoline_kernelINS0_14default_configENS1_22reduce_config_selectorIxEEZNS1_11reduce_implILb1ES3_N6thrust23THRUST_200600_302600_NS6detail15normal_iteratorINS8_10device_ptrIxEEEEPffNS8_4plusIfEEEE10hipError_tPvRmT1_T2_T3_mT4_P12ihipStream_tbEUlT_E0_NS1_11comp_targetILNS1_3genE5ELNS1_11target_archE942ELNS1_3gpuE9ELNS1_3repE0EEENS1_30default_config_static_selectorELNS0_4arch9wavefront6targetE1EEEvSK_
; %bb.0:
	.section	.rodata,"a",@progbits
	.p2align	6, 0x0
	.amdhsa_kernel _ZN7rocprim17ROCPRIM_400000_NS6detail17trampoline_kernelINS0_14default_configENS1_22reduce_config_selectorIxEEZNS1_11reduce_implILb1ES3_N6thrust23THRUST_200600_302600_NS6detail15normal_iteratorINS8_10device_ptrIxEEEEPffNS8_4plusIfEEEE10hipError_tPvRmT1_T2_T3_mT4_P12ihipStream_tbEUlT_E0_NS1_11comp_targetILNS1_3genE5ELNS1_11target_archE942ELNS1_3gpuE9ELNS1_3repE0EEENS1_30default_config_static_selectorELNS0_4arch9wavefront6targetE1EEEvSK_
		.amdhsa_group_segment_fixed_size 0
		.amdhsa_private_segment_fixed_size 0
		.amdhsa_kernarg_size 56
		.amdhsa_user_sgpr_count 2
		.amdhsa_user_sgpr_dispatch_ptr 0
		.amdhsa_user_sgpr_queue_ptr 0
		.amdhsa_user_sgpr_kernarg_segment_ptr 1
		.amdhsa_user_sgpr_dispatch_id 0
		.amdhsa_user_sgpr_kernarg_preload_length 0
		.amdhsa_user_sgpr_kernarg_preload_offset 0
		.amdhsa_user_sgpr_private_segment_size 0
		.amdhsa_uses_dynamic_stack 0
		.amdhsa_enable_private_segment 0
		.amdhsa_system_sgpr_workgroup_id_x 1
		.amdhsa_system_sgpr_workgroup_id_y 0
		.amdhsa_system_sgpr_workgroup_id_z 0
		.amdhsa_system_sgpr_workgroup_info 0
		.amdhsa_system_vgpr_workitem_id 0
		.amdhsa_next_free_vgpr 1
		.amdhsa_next_free_sgpr 0
		.amdhsa_accum_offset 4
		.amdhsa_reserve_vcc 0
		.amdhsa_float_round_mode_32 0
		.amdhsa_float_round_mode_16_64 0
		.amdhsa_float_denorm_mode_32 3
		.amdhsa_float_denorm_mode_16_64 3
		.amdhsa_dx10_clamp 1
		.amdhsa_ieee_mode 1
		.amdhsa_fp16_overflow 0
		.amdhsa_tg_split 0
		.amdhsa_exception_fp_ieee_invalid_op 0
		.amdhsa_exception_fp_denorm_src 0
		.amdhsa_exception_fp_ieee_div_zero 0
		.amdhsa_exception_fp_ieee_overflow 0
		.amdhsa_exception_fp_ieee_underflow 0
		.amdhsa_exception_fp_ieee_inexact 0
		.amdhsa_exception_int_div_zero 0
	.end_amdhsa_kernel
	.section	.text._ZN7rocprim17ROCPRIM_400000_NS6detail17trampoline_kernelINS0_14default_configENS1_22reduce_config_selectorIxEEZNS1_11reduce_implILb1ES3_N6thrust23THRUST_200600_302600_NS6detail15normal_iteratorINS8_10device_ptrIxEEEEPffNS8_4plusIfEEEE10hipError_tPvRmT1_T2_T3_mT4_P12ihipStream_tbEUlT_E0_NS1_11comp_targetILNS1_3genE5ELNS1_11target_archE942ELNS1_3gpuE9ELNS1_3repE0EEENS1_30default_config_static_selectorELNS0_4arch9wavefront6targetE1EEEvSK_,"axG",@progbits,_ZN7rocprim17ROCPRIM_400000_NS6detail17trampoline_kernelINS0_14default_configENS1_22reduce_config_selectorIxEEZNS1_11reduce_implILb1ES3_N6thrust23THRUST_200600_302600_NS6detail15normal_iteratorINS8_10device_ptrIxEEEEPffNS8_4plusIfEEEE10hipError_tPvRmT1_T2_T3_mT4_P12ihipStream_tbEUlT_E0_NS1_11comp_targetILNS1_3genE5ELNS1_11target_archE942ELNS1_3gpuE9ELNS1_3repE0EEENS1_30default_config_static_selectorELNS0_4arch9wavefront6targetE1EEEvSK_,comdat
.Lfunc_end478:
	.size	_ZN7rocprim17ROCPRIM_400000_NS6detail17trampoline_kernelINS0_14default_configENS1_22reduce_config_selectorIxEEZNS1_11reduce_implILb1ES3_N6thrust23THRUST_200600_302600_NS6detail15normal_iteratorINS8_10device_ptrIxEEEEPffNS8_4plusIfEEEE10hipError_tPvRmT1_T2_T3_mT4_P12ihipStream_tbEUlT_E0_NS1_11comp_targetILNS1_3genE5ELNS1_11target_archE942ELNS1_3gpuE9ELNS1_3repE0EEENS1_30default_config_static_selectorELNS0_4arch9wavefront6targetE1EEEvSK_, .Lfunc_end478-_ZN7rocprim17ROCPRIM_400000_NS6detail17trampoline_kernelINS0_14default_configENS1_22reduce_config_selectorIxEEZNS1_11reduce_implILb1ES3_N6thrust23THRUST_200600_302600_NS6detail15normal_iteratorINS8_10device_ptrIxEEEEPffNS8_4plusIfEEEE10hipError_tPvRmT1_T2_T3_mT4_P12ihipStream_tbEUlT_E0_NS1_11comp_targetILNS1_3genE5ELNS1_11target_archE942ELNS1_3gpuE9ELNS1_3repE0EEENS1_30default_config_static_selectorELNS0_4arch9wavefront6targetE1EEEvSK_
                                        ; -- End function
	.set _ZN7rocprim17ROCPRIM_400000_NS6detail17trampoline_kernelINS0_14default_configENS1_22reduce_config_selectorIxEEZNS1_11reduce_implILb1ES3_N6thrust23THRUST_200600_302600_NS6detail15normal_iteratorINS8_10device_ptrIxEEEEPffNS8_4plusIfEEEE10hipError_tPvRmT1_T2_T3_mT4_P12ihipStream_tbEUlT_E0_NS1_11comp_targetILNS1_3genE5ELNS1_11target_archE942ELNS1_3gpuE9ELNS1_3repE0EEENS1_30default_config_static_selectorELNS0_4arch9wavefront6targetE1EEEvSK_.num_vgpr, 0
	.set _ZN7rocprim17ROCPRIM_400000_NS6detail17trampoline_kernelINS0_14default_configENS1_22reduce_config_selectorIxEEZNS1_11reduce_implILb1ES3_N6thrust23THRUST_200600_302600_NS6detail15normal_iteratorINS8_10device_ptrIxEEEEPffNS8_4plusIfEEEE10hipError_tPvRmT1_T2_T3_mT4_P12ihipStream_tbEUlT_E0_NS1_11comp_targetILNS1_3genE5ELNS1_11target_archE942ELNS1_3gpuE9ELNS1_3repE0EEENS1_30default_config_static_selectorELNS0_4arch9wavefront6targetE1EEEvSK_.num_agpr, 0
	.set _ZN7rocprim17ROCPRIM_400000_NS6detail17trampoline_kernelINS0_14default_configENS1_22reduce_config_selectorIxEEZNS1_11reduce_implILb1ES3_N6thrust23THRUST_200600_302600_NS6detail15normal_iteratorINS8_10device_ptrIxEEEEPffNS8_4plusIfEEEE10hipError_tPvRmT1_T2_T3_mT4_P12ihipStream_tbEUlT_E0_NS1_11comp_targetILNS1_3genE5ELNS1_11target_archE942ELNS1_3gpuE9ELNS1_3repE0EEENS1_30default_config_static_selectorELNS0_4arch9wavefront6targetE1EEEvSK_.numbered_sgpr, 0
	.set _ZN7rocprim17ROCPRIM_400000_NS6detail17trampoline_kernelINS0_14default_configENS1_22reduce_config_selectorIxEEZNS1_11reduce_implILb1ES3_N6thrust23THRUST_200600_302600_NS6detail15normal_iteratorINS8_10device_ptrIxEEEEPffNS8_4plusIfEEEE10hipError_tPvRmT1_T2_T3_mT4_P12ihipStream_tbEUlT_E0_NS1_11comp_targetILNS1_3genE5ELNS1_11target_archE942ELNS1_3gpuE9ELNS1_3repE0EEENS1_30default_config_static_selectorELNS0_4arch9wavefront6targetE1EEEvSK_.num_named_barrier, 0
	.set _ZN7rocprim17ROCPRIM_400000_NS6detail17trampoline_kernelINS0_14default_configENS1_22reduce_config_selectorIxEEZNS1_11reduce_implILb1ES3_N6thrust23THRUST_200600_302600_NS6detail15normal_iteratorINS8_10device_ptrIxEEEEPffNS8_4plusIfEEEE10hipError_tPvRmT1_T2_T3_mT4_P12ihipStream_tbEUlT_E0_NS1_11comp_targetILNS1_3genE5ELNS1_11target_archE942ELNS1_3gpuE9ELNS1_3repE0EEENS1_30default_config_static_selectorELNS0_4arch9wavefront6targetE1EEEvSK_.private_seg_size, 0
	.set _ZN7rocprim17ROCPRIM_400000_NS6detail17trampoline_kernelINS0_14default_configENS1_22reduce_config_selectorIxEEZNS1_11reduce_implILb1ES3_N6thrust23THRUST_200600_302600_NS6detail15normal_iteratorINS8_10device_ptrIxEEEEPffNS8_4plusIfEEEE10hipError_tPvRmT1_T2_T3_mT4_P12ihipStream_tbEUlT_E0_NS1_11comp_targetILNS1_3genE5ELNS1_11target_archE942ELNS1_3gpuE9ELNS1_3repE0EEENS1_30default_config_static_selectorELNS0_4arch9wavefront6targetE1EEEvSK_.uses_vcc, 0
	.set _ZN7rocprim17ROCPRIM_400000_NS6detail17trampoline_kernelINS0_14default_configENS1_22reduce_config_selectorIxEEZNS1_11reduce_implILb1ES3_N6thrust23THRUST_200600_302600_NS6detail15normal_iteratorINS8_10device_ptrIxEEEEPffNS8_4plusIfEEEE10hipError_tPvRmT1_T2_T3_mT4_P12ihipStream_tbEUlT_E0_NS1_11comp_targetILNS1_3genE5ELNS1_11target_archE942ELNS1_3gpuE9ELNS1_3repE0EEENS1_30default_config_static_selectorELNS0_4arch9wavefront6targetE1EEEvSK_.uses_flat_scratch, 0
	.set _ZN7rocprim17ROCPRIM_400000_NS6detail17trampoline_kernelINS0_14default_configENS1_22reduce_config_selectorIxEEZNS1_11reduce_implILb1ES3_N6thrust23THRUST_200600_302600_NS6detail15normal_iteratorINS8_10device_ptrIxEEEEPffNS8_4plusIfEEEE10hipError_tPvRmT1_T2_T3_mT4_P12ihipStream_tbEUlT_E0_NS1_11comp_targetILNS1_3genE5ELNS1_11target_archE942ELNS1_3gpuE9ELNS1_3repE0EEENS1_30default_config_static_selectorELNS0_4arch9wavefront6targetE1EEEvSK_.has_dyn_sized_stack, 0
	.set _ZN7rocprim17ROCPRIM_400000_NS6detail17trampoline_kernelINS0_14default_configENS1_22reduce_config_selectorIxEEZNS1_11reduce_implILb1ES3_N6thrust23THRUST_200600_302600_NS6detail15normal_iteratorINS8_10device_ptrIxEEEEPffNS8_4plusIfEEEE10hipError_tPvRmT1_T2_T3_mT4_P12ihipStream_tbEUlT_E0_NS1_11comp_targetILNS1_3genE5ELNS1_11target_archE942ELNS1_3gpuE9ELNS1_3repE0EEENS1_30default_config_static_selectorELNS0_4arch9wavefront6targetE1EEEvSK_.has_recursion, 0
	.set _ZN7rocprim17ROCPRIM_400000_NS6detail17trampoline_kernelINS0_14default_configENS1_22reduce_config_selectorIxEEZNS1_11reduce_implILb1ES3_N6thrust23THRUST_200600_302600_NS6detail15normal_iteratorINS8_10device_ptrIxEEEEPffNS8_4plusIfEEEE10hipError_tPvRmT1_T2_T3_mT4_P12ihipStream_tbEUlT_E0_NS1_11comp_targetILNS1_3genE5ELNS1_11target_archE942ELNS1_3gpuE9ELNS1_3repE0EEENS1_30default_config_static_selectorELNS0_4arch9wavefront6targetE1EEEvSK_.has_indirect_call, 0
	.section	.AMDGPU.csdata,"",@progbits
; Kernel info:
; codeLenInByte = 0
; TotalNumSgprs: 6
; NumVgprs: 0
; NumAgprs: 0
; TotalNumVgprs: 0
; ScratchSize: 0
; MemoryBound: 0
; FloatMode: 240
; IeeeMode: 1
; LDSByteSize: 0 bytes/workgroup (compile time only)
; SGPRBlocks: 0
; VGPRBlocks: 0
; NumSGPRsForWavesPerEU: 6
; NumVGPRsForWavesPerEU: 1
; AccumOffset: 4
; Occupancy: 8
; WaveLimiterHint : 0
; COMPUTE_PGM_RSRC2:SCRATCH_EN: 0
; COMPUTE_PGM_RSRC2:USER_SGPR: 2
; COMPUTE_PGM_RSRC2:TRAP_HANDLER: 0
; COMPUTE_PGM_RSRC2:TGID_X_EN: 1
; COMPUTE_PGM_RSRC2:TGID_Y_EN: 0
; COMPUTE_PGM_RSRC2:TGID_Z_EN: 0
; COMPUTE_PGM_RSRC2:TIDIG_COMP_CNT: 0
; COMPUTE_PGM_RSRC3_GFX90A:ACCUM_OFFSET: 0
; COMPUTE_PGM_RSRC3_GFX90A:TG_SPLIT: 0
	.section	.text._ZN7rocprim17ROCPRIM_400000_NS6detail17trampoline_kernelINS0_14default_configENS1_22reduce_config_selectorIxEEZNS1_11reduce_implILb1ES3_N6thrust23THRUST_200600_302600_NS6detail15normal_iteratorINS8_10device_ptrIxEEEEPffNS8_4plusIfEEEE10hipError_tPvRmT1_T2_T3_mT4_P12ihipStream_tbEUlT_E0_NS1_11comp_targetILNS1_3genE4ELNS1_11target_archE910ELNS1_3gpuE8ELNS1_3repE0EEENS1_30default_config_static_selectorELNS0_4arch9wavefront6targetE1EEEvSK_,"axG",@progbits,_ZN7rocprim17ROCPRIM_400000_NS6detail17trampoline_kernelINS0_14default_configENS1_22reduce_config_selectorIxEEZNS1_11reduce_implILb1ES3_N6thrust23THRUST_200600_302600_NS6detail15normal_iteratorINS8_10device_ptrIxEEEEPffNS8_4plusIfEEEE10hipError_tPvRmT1_T2_T3_mT4_P12ihipStream_tbEUlT_E0_NS1_11comp_targetILNS1_3genE4ELNS1_11target_archE910ELNS1_3gpuE8ELNS1_3repE0EEENS1_30default_config_static_selectorELNS0_4arch9wavefront6targetE1EEEvSK_,comdat
	.protected	_ZN7rocprim17ROCPRIM_400000_NS6detail17trampoline_kernelINS0_14default_configENS1_22reduce_config_selectorIxEEZNS1_11reduce_implILb1ES3_N6thrust23THRUST_200600_302600_NS6detail15normal_iteratorINS8_10device_ptrIxEEEEPffNS8_4plusIfEEEE10hipError_tPvRmT1_T2_T3_mT4_P12ihipStream_tbEUlT_E0_NS1_11comp_targetILNS1_3genE4ELNS1_11target_archE910ELNS1_3gpuE8ELNS1_3repE0EEENS1_30default_config_static_selectorELNS0_4arch9wavefront6targetE1EEEvSK_ ; -- Begin function _ZN7rocprim17ROCPRIM_400000_NS6detail17trampoline_kernelINS0_14default_configENS1_22reduce_config_selectorIxEEZNS1_11reduce_implILb1ES3_N6thrust23THRUST_200600_302600_NS6detail15normal_iteratorINS8_10device_ptrIxEEEEPffNS8_4plusIfEEEE10hipError_tPvRmT1_T2_T3_mT4_P12ihipStream_tbEUlT_E0_NS1_11comp_targetILNS1_3genE4ELNS1_11target_archE910ELNS1_3gpuE8ELNS1_3repE0EEENS1_30default_config_static_selectorELNS0_4arch9wavefront6targetE1EEEvSK_
	.globl	_ZN7rocprim17ROCPRIM_400000_NS6detail17trampoline_kernelINS0_14default_configENS1_22reduce_config_selectorIxEEZNS1_11reduce_implILb1ES3_N6thrust23THRUST_200600_302600_NS6detail15normal_iteratorINS8_10device_ptrIxEEEEPffNS8_4plusIfEEEE10hipError_tPvRmT1_T2_T3_mT4_P12ihipStream_tbEUlT_E0_NS1_11comp_targetILNS1_3genE4ELNS1_11target_archE910ELNS1_3gpuE8ELNS1_3repE0EEENS1_30default_config_static_selectorELNS0_4arch9wavefront6targetE1EEEvSK_
	.p2align	8
	.type	_ZN7rocprim17ROCPRIM_400000_NS6detail17trampoline_kernelINS0_14default_configENS1_22reduce_config_selectorIxEEZNS1_11reduce_implILb1ES3_N6thrust23THRUST_200600_302600_NS6detail15normal_iteratorINS8_10device_ptrIxEEEEPffNS8_4plusIfEEEE10hipError_tPvRmT1_T2_T3_mT4_P12ihipStream_tbEUlT_E0_NS1_11comp_targetILNS1_3genE4ELNS1_11target_archE910ELNS1_3gpuE8ELNS1_3repE0EEENS1_30default_config_static_selectorELNS0_4arch9wavefront6targetE1EEEvSK_,@function
_ZN7rocprim17ROCPRIM_400000_NS6detail17trampoline_kernelINS0_14default_configENS1_22reduce_config_selectorIxEEZNS1_11reduce_implILb1ES3_N6thrust23THRUST_200600_302600_NS6detail15normal_iteratorINS8_10device_ptrIxEEEEPffNS8_4plusIfEEEE10hipError_tPvRmT1_T2_T3_mT4_P12ihipStream_tbEUlT_E0_NS1_11comp_targetILNS1_3genE4ELNS1_11target_archE910ELNS1_3gpuE8ELNS1_3repE0EEENS1_30default_config_static_selectorELNS0_4arch9wavefront6targetE1EEEvSK_: ; @_ZN7rocprim17ROCPRIM_400000_NS6detail17trampoline_kernelINS0_14default_configENS1_22reduce_config_selectorIxEEZNS1_11reduce_implILb1ES3_N6thrust23THRUST_200600_302600_NS6detail15normal_iteratorINS8_10device_ptrIxEEEEPffNS8_4plusIfEEEE10hipError_tPvRmT1_T2_T3_mT4_P12ihipStream_tbEUlT_E0_NS1_11comp_targetILNS1_3genE4ELNS1_11target_archE910ELNS1_3gpuE8ELNS1_3repE0EEENS1_30default_config_static_selectorELNS0_4arch9wavefront6targetE1EEEvSK_
; %bb.0:
	.section	.rodata,"a",@progbits
	.p2align	6, 0x0
	.amdhsa_kernel _ZN7rocprim17ROCPRIM_400000_NS6detail17trampoline_kernelINS0_14default_configENS1_22reduce_config_selectorIxEEZNS1_11reduce_implILb1ES3_N6thrust23THRUST_200600_302600_NS6detail15normal_iteratorINS8_10device_ptrIxEEEEPffNS8_4plusIfEEEE10hipError_tPvRmT1_T2_T3_mT4_P12ihipStream_tbEUlT_E0_NS1_11comp_targetILNS1_3genE4ELNS1_11target_archE910ELNS1_3gpuE8ELNS1_3repE0EEENS1_30default_config_static_selectorELNS0_4arch9wavefront6targetE1EEEvSK_
		.amdhsa_group_segment_fixed_size 0
		.amdhsa_private_segment_fixed_size 0
		.amdhsa_kernarg_size 56
		.amdhsa_user_sgpr_count 2
		.amdhsa_user_sgpr_dispatch_ptr 0
		.amdhsa_user_sgpr_queue_ptr 0
		.amdhsa_user_sgpr_kernarg_segment_ptr 1
		.amdhsa_user_sgpr_dispatch_id 0
		.amdhsa_user_sgpr_kernarg_preload_length 0
		.amdhsa_user_sgpr_kernarg_preload_offset 0
		.amdhsa_user_sgpr_private_segment_size 0
		.amdhsa_uses_dynamic_stack 0
		.amdhsa_enable_private_segment 0
		.amdhsa_system_sgpr_workgroup_id_x 1
		.amdhsa_system_sgpr_workgroup_id_y 0
		.amdhsa_system_sgpr_workgroup_id_z 0
		.amdhsa_system_sgpr_workgroup_info 0
		.amdhsa_system_vgpr_workitem_id 0
		.amdhsa_next_free_vgpr 1
		.amdhsa_next_free_sgpr 0
		.amdhsa_accum_offset 4
		.amdhsa_reserve_vcc 0
		.amdhsa_float_round_mode_32 0
		.amdhsa_float_round_mode_16_64 0
		.amdhsa_float_denorm_mode_32 3
		.amdhsa_float_denorm_mode_16_64 3
		.amdhsa_dx10_clamp 1
		.amdhsa_ieee_mode 1
		.amdhsa_fp16_overflow 0
		.amdhsa_tg_split 0
		.amdhsa_exception_fp_ieee_invalid_op 0
		.amdhsa_exception_fp_denorm_src 0
		.amdhsa_exception_fp_ieee_div_zero 0
		.amdhsa_exception_fp_ieee_overflow 0
		.amdhsa_exception_fp_ieee_underflow 0
		.amdhsa_exception_fp_ieee_inexact 0
		.amdhsa_exception_int_div_zero 0
	.end_amdhsa_kernel
	.section	.text._ZN7rocprim17ROCPRIM_400000_NS6detail17trampoline_kernelINS0_14default_configENS1_22reduce_config_selectorIxEEZNS1_11reduce_implILb1ES3_N6thrust23THRUST_200600_302600_NS6detail15normal_iteratorINS8_10device_ptrIxEEEEPffNS8_4plusIfEEEE10hipError_tPvRmT1_T2_T3_mT4_P12ihipStream_tbEUlT_E0_NS1_11comp_targetILNS1_3genE4ELNS1_11target_archE910ELNS1_3gpuE8ELNS1_3repE0EEENS1_30default_config_static_selectorELNS0_4arch9wavefront6targetE1EEEvSK_,"axG",@progbits,_ZN7rocprim17ROCPRIM_400000_NS6detail17trampoline_kernelINS0_14default_configENS1_22reduce_config_selectorIxEEZNS1_11reduce_implILb1ES3_N6thrust23THRUST_200600_302600_NS6detail15normal_iteratorINS8_10device_ptrIxEEEEPffNS8_4plusIfEEEE10hipError_tPvRmT1_T2_T3_mT4_P12ihipStream_tbEUlT_E0_NS1_11comp_targetILNS1_3genE4ELNS1_11target_archE910ELNS1_3gpuE8ELNS1_3repE0EEENS1_30default_config_static_selectorELNS0_4arch9wavefront6targetE1EEEvSK_,comdat
.Lfunc_end479:
	.size	_ZN7rocprim17ROCPRIM_400000_NS6detail17trampoline_kernelINS0_14default_configENS1_22reduce_config_selectorIxEEZNS1_11reduce_implILb1ES3_N6thrust23THRUST_200600_302600_NS6detail15normal_iteratorINS8_10device_ptrIxEEEEPffNS8_4plusIfEEEE10hipError_tPvRmT1_T2_T3_mT4_P12ihipStream_tbEUlT_E0_NS1_11comp_targetILNS1_3genE4ELNS1_11target_archE910ELNS1_3gpuE8ELNS1_3repE0EEENS1_30default_config_static_selectorELNS0_4arch9wavefront6targetE1EEEvSK_, .Lfunc_end479-_ZN7rocprim17ROCPRIM_400000_NS6detail17trampoline_kernelINS0_14default_configENS1_22reduce_config_selectorIxEEZNS1_11reduce_implILb1ES3_N6thrust23THRUST_200600_302600_NS6detail15normal_iteratorINS8_10device_ptrIxEEEEPffNS8_4plusIfEEEE10hipError_tPvRmT1_T2_T3_mT4_P12ihipStream_tbEUlT_E0_NS1_11comp_targetILNS1_3genE4ELNS1_11target_archE910ELNS1_3gpuE8ELNS1_3repE0EEENS1_30default_config_static_selectorELNS0_4arch9wavefront6targetE1EEEvSK_
                                        ; -- End function
	.set _ZN7rocprim17ROCPRIM_400000_NS6detail17trampoline_kernelINS0_14default_configENS1_22reduce_config_selectorIxEEZNS1_11reduce_implILb1ES3_N6thrust23THRUST_200600_302600_NS6detail15normal_iteratorINS8_10device_ptrIxEEEEPffNS8_4plusIfEEEE10hipError_tPvRmT1_T2_T3_mT4_P12ihipStream_tbEUlT_E0_NS1_11comp_targetILNS1_3genE4ELNS1_11target_archE910ELNS1_3gpuE8ELNS1_3repE0EEENS1_30default_config_static_selectorELNS0_4arch9wavefront6targetE1EEEvSK_.num_vgpr, 0
	.set _ZN7rocprim17ROCPRIM_400000_NS6detail17trampoline_kernelINS0_14default_configENS1_22reduce_config_selectorIxEEZNS1_11reduce_implILb1ES3_N6thrust23THRUST_200600_302600_NS6detail15normal_iteratorINS8_10device_ptrIxEEEEPffNS8_4plusIfEEEE10hipError_tPvRmT1_T2_T3_mT4_P12ihipStream_tbEUlT_E0_NS1_11comp_targetILNS1_3genE4ELNS1_11target_archE910ELNS1_3gpuE8ELNS1_3repE0EEENS1_30default_config_static_selectorELNS0_4arch9wavefront6targetE1EEEvSK_.num_agpr, 0
	.set _ZN7rocprim17ROCPRIM_400000_NS6detail17trampoline_kernelINS0_14default_configENS1_22reduce_config_selectorIxEEZNS1_11reduce_implILb1ES3_N6thrust23THRUST_200600_302600_NS6detail15normal_iteratorINS8_10device_ptrIxEEEEPffNS8_4plusIfEEEE10hipError_tPvRmT1_T2_T3_mT4_P12ihipStream_tbEUlT_E0_NS1_11comp_targetILNS1_3genE4ELNS1_11target_archE910ELNS1_3gpuE8ELNS1_3repE0EEENS1_30default_config_static_selectorELNS0_4arch9wavefront6targetE1EEEvSK_.numbered_sgpr, 0
	.set _ZN7rocprim17ROCPRIM_400000_NS6detail17trampoline_kernelINS0_14default_configENS1_22reduce_config_selectorIxEEZNS1_11reduce_implILb1ES3_N6thrust23THRUST_200600_302600_NS6detail15normal_iteratorINS8_10device_ptrIxEEEEPffNS8_4plusIfEEEE10hipError_tPvRmT1_T2_T3_mT4_P12ihipStream_tbEUlT_E0_NS1_11comp_targetILNS1_3genE4ELNS1_11target_archE910ELNS1_3gpuE8ELNS1_3repE0EEENS1_30default_config_static_selectorELNS0_4arch9wavefront6targetE1EEEvSK_.num_named_barrier, 0
	.set _ZN7rocprim17ROCPRIM_400000_NS6detail17trampoline_kernelINS0_14default_configENS1_22reduce_config_selectorIxEEZNS1_11reduce_implILb1ES3_N6thrust23THRUST_200600_302600_NS6detail15normal_iteratorINS8_10device_ptrIxEEEEPffNS8_4plusIfEEEE10hipError_tPvRmT1_T2_T3_mT4_P12ihipStream_tbEUlT_E0_NS1_11comp_targetILNS1_3genE4ELNS1_11target_archE910ELNS1_3gpuE8ELNS1_3repE0EEENS1_30default_config_static_selectorELNS0_4arch9wavefront6targetE1EEEvSK_.private_seg_size, 0
	.set _ZN7rocprim17ROCPRIM_400000_NS6detail17trampoline_kernelINS0_14default_configENS1_22reduce_config_selectorIxEEZNS1_11reduce_implILb1ES3_N6thrust23THRUST_200600_302600_NS6detail15normal_iteratorINS8_10device_ptrIxEEEEPffNS8_4plusIfEEEE10hipError_tPvRmT1_T2_T3_mT4_P12ihipStream_tbEUlT_E0_NS1_11comp_targetILNS1_3genE4ELNS1_11target_archE910ELNS1_3gpuE8ELNS1_3repE0EEENS1_30default_config_static_selectorELNS0_4arch9wavefront6targetE1EEEvSK_.uses_vcc, 0
	.set _ZN7rocprim17ROCPRIM_400000_NS6detail17trampoline_kernelINS0_14default_configENS1_22reduce_config_selectorIxEEZNS1_11reduce_implILb1ES3_N6thrust23THRUST_200600_302600_NS6detail15normal_iteratorINS8_10device_ptrIxEEEEPffNS8_4plusIfEEEE10hipError_tPvRmT1_T2_T3_mT4_P12ihipStream_tbEUlT_E0_NS1_11comp_targetILNS1_3genE4ELNS1_11target_archE910ELNS1_3gpuE8ELNS1_3repE0EEENS1_30default_config_static_selectorELNS0_4arch9wavefront6targetE1EEEvSK_.uses_flat_scratch, 0
	.set _ZN7rocprim17ROCPRIM_400000_NS6detail17trampoline_kernelINS0_14default_configENS1_22reduce_config_selectorIxEEZNS1_11reduce_implILb1ES3_N6thrust23THRUST_200600_302600_NS6detail15normal_iteratorINS8_10device_ptrIxEEEEPffNS8_4plusIfEEEE10hipError_tPvRmT1_T2_T3_mT4_P12ihipStream_tbEUlT_E0_NS1_11comp_targetILNS1_3genE4ELNS1_11target_archE910ELNS1_3gpuE8ELNS1_3repE0EEENS1_30default_config_static_selectorELNS0_4arch9wavefront6targetE1EEEvSK_.has_dyn_sized_stack, 0
	.set _ZN7rocprim17ROCPRIM_400000_NS6detail17trampoline_kernelINS0_14default_configENS1_22reduce_config_selectorIxEEZNS1_11reduce_implILb1ES3_N6thrust23THRUST_200600_302600_NS6detail15normal_iteratorINS8_10device_ptrIxEEEEPffNS8_4plusIfEEEE10hipError_tPvRmT1_T2_T3_mT4_P12ihipStream_tbEUlT_E0_NS1_11comp_targetILNS1_3genE4ELNS1_11target_archE910ELNS1_3gpuE8ELNS1_3repE0EEENS1_30default_config_static_selectorELNS0_4arch9wavefront6targetE1EEEvSK_.has_recursion, 0
	.set _ZN7rocprim17ROCPRIM_400000_NS6detail17trampoline_kernelINS0_14default_configENS1_22reduce_config_selectorIxEEZNS1_11reduce_implILb1ES3_N6thrust23THRUST_200600_302600_NS6detail15normal_iteratorINS8_10device_ptrIxEEEEPffNS8_4plusIfEEEE10hipError_tPvRmT1_T2_T3_mT4_P12ihipStream_tbEUlT_E0_NS1_11comp_targetILNS1_3genE4ELNS1_11target_archE910ELNS1_3gpuE8ELNS1_3repE0EEENS1_30default_config_static_selectorELNS0_4arch9wavefront6targetE1EEEvSK_.has_indirect_call, 0
	.section	.AMDGPU.csdata,"",@progbits
; Kernel info:
; codeLenInByte = 0
; TotalNumSgprs: 6
; NumVgprs: 0
; NumAgprs: 0
; TotalNumVgprs: 0
; ScratchSize: 0
; MemoryBound: 0
; FloatMode: 240
; IeeeMode: 1
; LDSByteSize: 0 bytes/workgroup (compile time only)
; SGPRBlocks: 0
; VGPRBlocks: 0
; NumSGPRsForWavesPerEU: 6
; NumVGPRsForWavesPerEU: 1
; AccumOffset: 4
; Occupancy: 8
; WaveLimiterHint : 0
; COMPUTE_PGM_RSRC2:SCRATCH_EN: 0
; COMPUTE_PGM_RSRC2:USER_SGPR: 2
; COMPUTE_PGM_RSRC2:TRAP_HANDLER: 0
; COMPUTE_PGM_RSRC2:TGID_X_EN: 1
; COMPUTE_PGM_RSRC2:TGID_Y_EN: 0
; COMPUTE_PGM_RSRC2:TGID_Z_EN: 0
; COMPUTE_PGM_RSRC2:TIDIG_COMP_CNT: 0
; COMPUTE_PGM_RSRC3_GFX90A:ACCUM_OFFSET: 0
; COMPUTE_PGM_RSRC3_GFX90A:TG_SPLIT: 0
	.section	.text._ZN7rocprim17ROCPRIM_400000_NS6detail17trampoline_kernelINS0_14default_configENS1_22reduce_config_selectorIxEEZNS1_11reduce_implILb1ES3_N6thrust23THRUST_200600_302600_NS6detail15normal_iteratorINS8_10device_ptrIxEEEEPffNS8_4plusIfEEEE10hipError_tPvRmT1_T2_T3_mT4_P12ihipStream_tbEUlT_E0_NS1_11comp_targetILNS1_3genE3ELNS1_11target_archE908ELNS1_3gpuE7ELNS1_3repE0EEENS1_30default_config_static_selectorELNS0_4arch9wavefront6targetE1EEEvSK_,"axG",@progbits,_ZN7rocprim17ROCPRIM_400000_NS6detail17trampoline_kernelINS0_14default_configENS1_22reduce_config_selectorIxEEZNS1_11reduce_implILb1ES3_N6thrust23THRUST_200600_302600_NS6detail15normal_iteratorINS8_10device_ptrIxEEEEPffNS8_4plusIfEEEE10hipError_tPvRmT1_T2_T3_mT4_P12ihipStream_tbEUlT_E0_NS1_11comp_targetILNS1_3genE3ELNS1_11target_archE908ELNS1_3gpuE7ELNS1_3repE0EEENS1_30default_config_static_selectorELNS0_4arch9wavefront6targetE1EEEvSK_,comdat
	.protected	_ZN7rocprim17ROCPRIM_400000_NS6detail17trampoline_kernelINS0_14default_configENS1_22reduce_config_selectorIxEEZNS1_11reduce_implILb1ES3_N6thrust23THRUST_200600_302600_NS6detail15normal_iteratorINS8_10device_ptrIxEEEEPffNS8_4plusIfEEEE10hipError_tPvRmT1_T2_T3_mT4_P12ihipStream_tbEUlT_E0_NS1_11comp_targetILNS1_3genE3ELNS1_11target_archE908ELNS1_3gpuE7ELNS1_3repE0EEENS1_30default_config_static_selectorELNS0_4arch9wavefront6targetE1EEEvSK_ ; -- Begin function _ZN7rocprim17ROCPRIM_400000_NS6detail17trampoline_kernelINS0_14default_configENS1_22reduce_config_selectorIxEEZNS1_11reduce_implILb1ES3_N6thrust23THRUST_200600_302600_NS6detail15normal_iteratorINS8_10device_ptrIxEEEEPffNS8_4plusIfEEEE10hipError_tPvRmT1_T2_T3_mT4_P12ihipStream_tbEUlT_E0_NS1_11comp_targetILNS1_3genE3ELNS1_11target_archE908ELNS1_3gpuE7ELNS1_3repE0EEENS1_30default_config_static_selectorELNS0_4arch9wavefront6targetE1EEEvSK_
	.globl	_ZN7rocprim17ROCPRIM_400000_NS6detail17trampoline_kernelINS0_14default_configENS1_22reduce_config_selectorIxEEZNS1_11reduce_implILb1ES3_N6thrust23THRUST_200600_302600_NS6detail15normal_iteratorINS8_10device_ptrIxEEEEPffNS8_4plusIfEEEE10hipError_tPvRmT1_T2_T3_mT4_P12ihipStream_tbEUlT_E0_NS1_11comp_targetILNS1_3genE3ELNS1_11target_archE908ELNS1_3gpuE7ELNS1_3repE0EEENS1_30default_config_static_selectorELNS0_4arch9wavefront6targetE1EEEvSK_
	.p2align	8
	.type	_ZN7rocprim17ROCPRIM_400000_NS6detail17trampoline_kernelINS0_14default_configENS1_22reduce_config_selectorIxEEZNS1_11reduce_implILb1ES3_N6thrust23THRUST_200600_302600_NS6detail15normal_iteratorINS8_10device_ptrIxEEEEPffNS8_4plusIfEEEE10hipError_tPvRmT1_T2_T3_mT4_P12ihipStream_tbEUlT_E0_NS1_11comp_targetILNS1_3genE3ELNS1_11target_archE908ELNS1_3gpuE7ELNS1_3repE0EEENS1_30default_config_static_selectorELNS0_4arch9wavefront6targetE1EEEvSK_,@function
_ZN7rocprim17ROCPRIM_400000_NS6detail17trampoline_kernelINS0_14default_configENS1_22reduce_config_selectorIxEEZNS1_11reduce_implILb1ES3_N6thrust23THRUST_200600_302600_NS6detail15normal_iteratorINS8_10device_ptrIxEEEEPffNS8_4plusIfEEEE10hipError_tPvRmT1_T2_T3_mT4_P12ihipStream_tbEUlT_E0_NS1_11comp_targetILNS1_3genE3ELNS1_11target_archE908ELNS1_3gpuE7ELNS1_3repE0EEENS1_30default_config_static_selectorELNS0_4arch9wavefront6targetE1EEEvSK_: ; @_ZN7rocprim17ROCPRIM_400000_NS6detail17trampoline_kernelINS0_14default_configENS1_22reduce_config_selectorIxEEZNS1_11reduce_implILb1ES3_N6thrust23THRUST_200600_302600_NS6detail15normal_iteratorINS8_10device_ptrIxEEEEPffNS8_4plusIfEEEE10hipError_tPvRmT1_T2_T3_mT4_P12ihipStream_tbEUlT_E0_NS1_11comp_targetILNS1_3genE3ELNS1_11target_archE908ELNS1_3gpuE7ELNS1_3repE0EEENS1_30default_config_static_selectorELNS0_4arch9wavefront6targetE1EEEvSK_
; %bb.0:
	.section	.rodata,"a",@progbits
	.p2align	6, 0x0
	.amdhsa_kernel _ZN7rocprim17ROCPRIM_400000_NS6detail17trampoline_kernelINS0_14default_configENS1_22reduce_config_selectorIxEEZNS1_11reduce_implILb1ES3_N6thrust23THRUST_200600_302600_NS6detail15normal_iteratorINS8_10device_ptrIxEEEEPffNS8_4plusIfEEEE10hipError_tPvRmT1_T2_T3_mT4_P12ihipStream_tbEUlT_E0_NS1_11comp_targetILNS1_3genE3ELNS1_11target_archE908ELNS1_3gpuE7ELNS1_3repE0EEENS1_30default_config_static_selectorELNS0_4arch9wavefront6targetE1EEEvSK_
		.amdhsa_group_segment_fixed_size 0
		.amdhsa_private_segment_fixed_size 0
		.amdhsa_kernarg_size 56
		.amdhsa_user_sgpr_count 2
		.amdhsa_user_sgpr_dispatch_ptr 0
		.amdhsa_user_sgpr_queue_ptr 0
		.amdhsa_user_sgpr_kernarg_segment_ptr 1
		.amdhsa_user_sgpr_dispatch_id 0
		.amdhsa_user_sgpr_kernarg_preload_length 0
		.amdhsa_user_sgpr_kernarg_preload_offset 0
		.amdhsa_user_sgpr_private_segment_size 0
		.amdhsa_uses_dynamic_stack 0
		.amdhsa_enable_private_segment 0
		.amdhsa_system_sgpr_workgroup_id_x 1
		.amdhsa_system_sgpr_workgroup_id_y 0
		.amdhsa_system_sgpr_workgroup_id_z 0
		.amdhsa_system_sgpr_workgroup_info 0
		.amdhsa_system_vgpr_workitem_id 0
		.amdhsa_next_free_vgpr 1
		.amdhsa_next_free_sgpr 0
		.amdhsa_accum_offset 4
		.amdhsa_reserve_vcc 0
		.amdhsa_float_round_mode_32 0
		.amdhsa_float_round_mode_16_64 0
		.amdhsa_float_denorm_mode_32 3
		.amdhsa_float_denorm_mode_16_64 3
		.amdhsa_dx10_clamp 1
		.amdhsa_ieee_mode 1
		.amdhsa_fp16_overflow 0
		.amdhsa_tg_split 0
		.amdhsa_exception_fp_ieee_invalid_op 0
		.amdhsa_exception_fp_denorm_src 0
		.amdhsa_exception_fp_ieee_div_zero 0
		.amdhsa_exception_fp_ieee_overflow 0
		.amdhsa_exception_fp_ieee_underflow 0
		.amdhsa_exception_fp_ieee_inexact 0
		.amdhsa_exception_int_div_zero 0
	.end_amdhsa_kernel
	.section	.text._ZN7rocprim17ROCPRIM_400000_NS6detail17trampoline_kernelINS0_14default_configENS1_22reduce_config_selectorIxEEZNS1_11reduce_implILb1ES3_N6thrust23THRUST_200600_302600_NS6detail15normal_iteratorINS8_10device_ptrIxEEEEPffNS8_4plusIfEEEE10hipError_tPvRmT1_T2_T3_mT4_P12ihipStream_tbEUlT_E0_NS1_11comp_targetILNS1_3genE3ELNS1_11target_archE908ELNS1_3gpuE7ELNS1_3repE0EEENS1_30default_config_static_selectorELNS0_4arch9wavefront6targetE1EEEvSK_,"axG",@progbits,_ZN7rocprim17ROCPRIM_400000_NS6detail17trampoline_kernelINS0_14default_configENS1_22reduce_config_selectorIxEEZNS1_11reduce_implILb1ES3_N6thrust23THRUST_200600_302600_NS6detail15normal_iteratorINS8_10device_ptrIxEEEEPffNS8_4plusIfEEEE10hipError_tPvRmT1_T2_T3_mT4_P12ihipStream_tbEUlT_E0_NS1_11comp_targetILNS1_3genE3ELNS1_11target_archE908ELNS1_3gpuE7ELNS1_3repE0EEENS1_30default_config_static_selectorELNS0_4arch9wavefront6targetE1EEEvSK_,comdat
.Lfunc_end480:
	.size	_ZN7rocprim17ROCPRIM_400000_NS6detail17trampoline_kernelINS0_14default_configENS1_22reduce_config_selectorIxEEZNS1_11reduce_implILb1ES3_N6thrust23THRUST_200600_302600_NS6detail15normal_iteratorINS8_10device_ptrIxEEEEPffNS8_4plusIfEEEE10hipError_tPvRmT1_T2_T3_mT4_P12ihipStream_tbEUlT_E0_NS1_11comp_targetILNS1_3genE3ELNS1_11target_archE908ELNS1_3gpuE7ELNS1_3repE0EEENS1_30default_config_static_selectorELNS0_4arch9wavefront6targetE1EEEvSK_, .Lfunc_end480-_ZN7rocprim17ROCPRIM_400000_NS6detail17trampoline_kernelINS0_14default_configENS1_22reduce_config_selectorIxEEZNS1_11reduce_implILb1ES3_N6thrust23THRUST_200600_302600_NS6detail15normal_iteratorINS8_10device_ptrIxEEEEPffNS8_4plusIfEEEE10hipError_tPvRmT1_T2_T3_mT4_P12ihipStream_tbEUlT_E0_NS1_11comp_targetILNS1_3genE3ELNS1_11target_archE908ELNS1_3gpuE7ELNS1_3repE0EEENS1_30default_config_static_selectorELNS0_4arch9wavefront6targetE1EEEvSK_
                                        ; -- End function
	.set _ZN7rocprim17ROCPRIM_400000_NS6detail17trampoline_kernelINS0_14default_configENS1_22reduce_config_selectorIxEEZNS1_11reduce_implILb1ES3_N6thrust23THRUST_200600_302600_NS6detail15normal_iteratorINS8_10device_ptrIxEEEEPffNS8_4plusIfEEEE10hipError_tPvRmT1_T2_T3_mT4_P12ihipStream_tbEUlT_E0_NS1_11comp_targetILNS1_3genE3ELNS1_11target_archE908ELNS1_3gpuE7ELNS1_3repE0EEENS1_30default_config_static_selectorELNS0_4arch9wavefront6targetE1EEEvSK_.num_vgpr, 0
	.set _ZN7rocprim17ROCPRIM_400000_NS6detail17trampoline_kernelINS0_14default_configENS1_22reduce_config_selectorIxEEZNS1_11reduce_implILb1ES3_N6thrust23THRUST_200600_302600_NS6detail15normal_iteratorINS8_10device_ptrIxEEEEPffNS8_4plusIfEEEE10hipError_tPvRmT1_T2_T3_mT4_P12ihipStream_tbEUlT_E0_NS1_11comp_targetILNS1_3genE3ELNS1_11target_archE908ELNS1_3gpuE7ELNS1_3repE0EEENS1_30default_config_static_selectorELNS0_4arch9wavefront6targetE1EEEvSK_.num_agpr, 0
	.set _ZN7rocprim17ROCPRIM_400000_NS6detail17trampoline_kernelINS0_14default_configENS1_22reduce_config_selectorIxEEZNS1_11reduce_implILb1ES3_N6thrust23THRUST_200600_302600_NS6detail15normal_iteratorINS8_10device_ptrIxEEEEPffNS8_4plusIfEEEE10hipError_tPvRmT1_T2_T3_mT4_P12ihipStream_tbEUlT_E0_NS1_11comp_targetILNS1_3genE3ELNS1_11target_archE908ELNS1_3gpuE7ELNS1_3repE0EEENS1_30default_config_static_selectorELNS0_4arch9wavefront6targetE1EEEvSK_.numbered_sgpr, 0
	.set _ZN7rocprim17ROCPRIM_400000_NS6detail17trampoline_kernelINS0_14default_configENS1_22reduce_config_selectorIxEEZNS1_11reduce_implILb1ES3_N6thrust23THRUST_200600_302600_NS6detail15normal_iteratorINS8_10device_ptrIxEEEEPffNS8_4plusIfEEEE10hipError_tPvRmT1_T2_T3_mT4_P12ihipStream_tbEUlT_E0_NS1_11comp_targetILNS1_3genE3ELNS1_11target_archE908ELNS1_3gpuE7ELNS1_3repE0EEENS1_30default_config_static_selectorELNS0_4arch9wavefront6targetE1EEEvSK_.num_named_barrier, 0
	.set _ZN7rocprim17ROCPRIM_400000_NS6detail17trampoline_kernelINS0_14default_configENS1_22reduce_config_selectorIxEEZNS1_11reduce_implILb1ES3_N6thrust23THRUST_200600_302600_NS6detail15normal_iteratorINS8_10device_ptrIxEEEEPffNS8_4plusIfEEEE10hipError_tPvRmT1_T2_T3_mT4_P12ihipStream_tbEUlT_E0_NS1_11comp_targetILNS1_3genE3ELNS1_11target_archE908ELNS1_3gpuE7ELNS1_3repE0EEENS1_30default_config_static_selectorELNS0_4arch9wavefront6targetE1EEEvSK_.private_seg_size, 0
	.set _ZN7rocprim17ROCPRIM_400000_NS6detail17trampoline_kernelINS0_14default_configENS1_22reduce_config_selectorIxEEZNS1_11reduce_implILb1ES3_N6thrust23THRUST_200600_302600_NS6detail15normal_iteratorINS8_10device_ptrIxEEEEPffNS8_4plusIfEEEE10hipError_tPvRmT1_T2_T3_mT4_P12ihipStream_tbEUlT_E0_NS1_11comp_targetILNS1_3genE3ELNS1_11target_archE908ELNS1_3gpuE7ELNS1_3repE0EEENS1_30default_config_static_selectorELNS0_4arch9wavefront6targetE1EEEvSK_.uses_vcc, 0
	.set _ZN7rocprim17ROCPRIM_400000_NS6detail17trampoline_kernelINS0_14default_configENS1_22reduce_config_selectorIxEEZNS1_11reduce_implILb1ES3_N6thrust23THRUST_200600_302600_NS6detail15normal_iteratorINS8_10device_ptrIxEEEEPffNS8_4plusIfEEEE10hipError_tPvRmT1_T2_T3_mT4_P12ihipStream_tbEUlT_E0_NS1_11comp_targetILNS1_3genE3ELNS1_11target_archE908ELNS1_3gpuE7ELNS1_3repE0EEENS1_30default_config_static_selectorELNS0_4arch9wavefront6targetE1EEEvSK_.uses_flat_scratch, 0
	.set _ZN7rocprim17ROCPRIM_400000_NS6detail17trampoline_kernelINS0_14default_configENS1_22reduce_config_selectorIxEEZNS1_11reduce_implILb1ES3_N6thrust23THRUST_200600_302600_NS6detail15normal_iteratorINS8_10device_ptrIxEEEEPffNS8_4plusIfEEEE10hipError_tPvRmT1_T2_T3_mT4_P12ihipStream_tbEUlT_E0_NS1_11comp_targetILNS1_3genE3ELNS1_11target_archE908ELNS1_3gpuE7ELNS1_3repE0EEENS1_30default_config_static_selectorELNS0_4arch9wavefront6targetE1EEEvSK_.has_dyn_sized_stack, 0
	.set _ZN7rocprim17ROCPRIM_400000_NS6detail17trampoline_kernelINS0_14default_configENS1_22reduce_config_selectorIxEEZNS1_11reduce_implILb1ES3_N6thrust23THRUST_200600_302600_NS6detail15normal_iteratorINS8_10device_ptrIxEEEEPffNS8_4plusIfEEEE10hipError_tPvRmT1_T2_T3_mT4_P12ihipStream_tbEUlT_E0_NS1_11comp_targetILNS1_3genE3ELNS1_11target_archE908ELNS1_3gpuE7ELNS1_3repE0EEENS1_30default_config_static_selectorELNS0_4arch9wavefront6targetE1EEEvSK_.has_recursion, 0
	.set _ZN7rocprim17ROCPRIM_400000_NS6detail17trampoline_kernelINS0_14default_configENS1_22reduce_config_selectorIxEEZNS1_11reduce_implILb1ES3_N6thrust23THRUST_200600_302600_NS6detail15normal_iteratorINS8_10device_ptrIxEEEEPffNS8_4plusIfEEEE10hipError_tPvRmT1_T2_T3_mT4_P12ihipStream_tbEUlT_E0_NS1_11comp_targetILNS1_3genE3ELNS1_11target_archE908ELNS1_3gpuE7ELNS1_3repE0EEENS1_30default_config_static_selectorELNS0_4arch9wavefront6targetE1EEEvSK_.has_indirect_call, 0
	.section	.AMDGPU.csdata,"",@progbits
; Kernel info:
; codeLenInByte = 0
; TotalNumSgprs: 6
; NumVgprs: 0
; NumAgprs: 0
; TotalNumVgprs: 0
; ScratchSize: 0
; MemoryBound: 0
; FloatMode: 240
; IeeeMode: 1
; LDSByteSize: 0 bytes/workgroup (compile time only)
; SGPRBlocks: 0
; VGPRBlocks: 0
; NumSGPRsForWavesPerEU: 6
; NumVGPRsForWavesPerEU: 1
; AccumOffset: 4
; Occupancy: 8
; WaveLimiterHint : 0
; COMPUTE_PGM_RSRC2:SCRATCH_EN: 0
; COMPUTE_PGM_RSRC2:USER_SGPR: 2
; COMPUTE_PGM_RSRC2:TRAP_HANDLER: 0
; COMPUTE_PGM_RSRC2:TGID_X_EN: 1
; COMPUTE_PGM_RSRC2:TGID_Y_EN: 0
; COMPUTE_PGM_RSRC2:TGID_Z_EN: 0
; COMPUTE_PGM_RSRC2:TIDIG_COMP_CNT: 0
; COMPUTE_PGM_RSRC3_GFX90A:ACCUM_OFFSET: 0
; COMPUTE_PGM_RSRC3_GFX90A:TG_SPLIT: 0
	.section	.text._ZN7rocprim17ROCPRIM_400000_NS6detail17trampoline_kernelINS0_14default_configENS1_22reduce_config_selectorIxEEZNS1_11reduce_implILb1ES3_N6thrust23THRUST_200600_302600_NS6detail15normal_iteratorINS8_10device_ptrIxEEEEPffNS8_4plusIfEEEE10hipError_tPvRmT1_T2_T3_mT4_P12ihipStream_tbEUlT_E0_NS1_11comp_targetILNS1_3genE2ELNS1_11target_archE906ELNS1_3gpuE6ELNS1_3repE0EEENS1_30default_config_static_selectorELNS0_4arch9wavefront6targetE1EEEvSK_,"axG",@progbits,_ZN7rocprim17ROCPRIM_400000_NS6detail17trampoline_kernelINS0_14default_configENS1_22reduce_config_selectorIxEEZNS1_11reduce_implILb1ES3_N6thrust23THRUST_200600_302600_NS6detail15normal_iteratorINS8_10device_ptrIxEEEEPffNS8_4plusIfEEEE10hipError_tPvRmT1_T2_T3_mT4_P12ihipStream_tbEUlT_E0_NS1_11comp_targetILNS1_3genE2ELNS1_11target_archE906ELNS1_3gpuE6ELNS1_3repE0EEENS1_30default_config_static_selectorELNS0_4arch9wavefront6targetE1EEEvSK_,comdat
	.protected	_ZN7rocprim17ROCPRIM_400000_NS6detail17trampoline_kernelINS0_14default_configENS1_22reduce_config_selectorIxEEZNS1_11reduce_implILb1ES3_N6thrust23THRUST_200600_302600_NS6detail15normal_iteratorINS8_10device_ptrIxEEEEPffNS8_4plusIfEEEE10hipError_tPvRmT1_T2_T3_mT4_P12ihipStream_tbEUlT_E0_NS1_11comp_targetILNS1_3genE2ELNS1_11target_archE906ELNS1_3gpuE6ELNS1_3repE0EEENS1_30default_config_static_selectorELNS0_4arch9wavefront6targetE1EEEvSK_ ; -- Begin function _ZN7rocprim17ROCPRIM_400000_NS6detail17trampoline_kernelINS0_14default_configENS1_22reduce_config_selectorIxEEZNS1_11reduce_implILb1ES3_N6thrust23THRUST_200600_302600_NS6detail15normal_iteratorINS8_10device_ptrIxEEEEPffNS8_4plusIfEEEE10hipError_tPvRmT1_T2_T3_mT4_P12ihipStream_tbEUlT_E0_NS1_11comp_targetILNS1_3genE2ELNS1_11target_archE906ELNS1_3gpuE6ELNS1_3repE0EEENS1_30default_config_static_selectorELNS0_4arch9wavefront6targetE1EEEvSK_
	.globl	_ZN7rocprim17ROCPRIM_400000_NS6detail17trampoline_kernelINS0_14default_configENS1_22reduce_config_selectorIxEEZNS1_11reduce_implILb1ES3_N6thrust23THRUST_200600_302600_NS6detail15normal_iteratorINS8_10device_ptrIxEEEEPffNS8_4plusIfEEEE10hipError_tPvRmT1_T2_T3_mT4_P12ihipStream_tbEUlT_E0_NS1_11comp_targetILNS1_3genE2ELNS1_11target_archE906ELNS1_3gpuE6ELNS1_3repE0EEENS1_30default_config_static_selectorELNS0_4arch9wavefront6targetE1EEEvSK_
	.p2align	8
	.type	_ZN7rocprim17ROCPRIM_400000_NS6detail17trampoline_kernelINS0_14default_configENS1_22reduce_config_selectorIxEEZNS1_11reduce_implILb1ES3_N6thrust23THRUST_200600_302600_NS6detail15normal_iteratorINS8_10device_ptrIxEEEEPffNS8_4plusIfEEEE10hipError_tPvRmT1_T2_T3_mT4_P12ihipStream_tbEUlT_E0_NS1_11comp_targetILNS1_3genE2ELNS1_11target_archE906ELNS1_3gpuE6ELNS1_3repE0EEENS1_30default_config_static_selectorELNS0_4arch9wavefront6targetE1EEEvSK_,@function
_ZN7rocprim17ROCPRIM_400000_NS6detail17trampoline_kernelINS0_14default_configENS1_22reduce_config_selectorIxEEZNS1_11reduce_implILb1ES3_N6thrust23THRUST_200600_302600_NS6detail15normal_iteratorINS8_10device_ptrIxEEEEPffNS8_4plusIfEEEE10hipError_tPvRmT1_T2_T3_mT4_P12ihipStream_tbEUlT_E0_NS1_11comp_targetILNS1_3genE2ELNS1_11target_archE906ELNS1_3gpuE6ELNS1_3repE0EEENS1_30default_config_static_selectorELNS0_4arch9wavefront6targetE1EEEvSK_: ; @_ZN7rocprim17ROCPRIM_400000_NS6detail17trampoline_kernelINS0_14default_configENS1_22reduce_config_selectorIxEEZNS1_11reduce_implILb1ES3_N6thrust23THRUST_200600_302600_NS6detail15normal_iteratorINS8_10device_ptrIxEEEEPffNS8_4plusIfEEEE10hipError_tPvRmT1_T2_T3_mT4_P12ihipStream_tbEUlT_E0_NS1_11comp_targetILNS1_3genE2ELNS1_11target_archE906ELNS1_3gpuE6ELNS1_3repE0EEENS1_30default_config_static_selectorELNS0_4arch9wavefront6targetE1EEEvSK_
; %bb.0:
	.section	.rodata,"a",@progbits
	.p2align	6, 0x0
	.amdhsa_kernel _ZN7rocprim17ROCPRIM_400000_NS6detail17trampoline_kernelINS0_14default_configENS1_22reduce_config_selectorIxEEZNS1_11reduce_implILb1ES3_N6thrust23THRUST_200600_302600_NS6detail15normal_iteratorINS8_10device_ptrIxEEEEPffNS8_4plusIfEEEE10hipError_tPvRmT1_T2_T3_mT4_P12ihipStream_tbEUlT_E0_NS1_11comp_targetILNS1_3genE2ELNS1_11target_archE906ELNS1_3gpuE6ELNS1_3repE0EEENS1_30default_config_static_selectorELNS0_4arch9wavefront6targetE1EEEvSK_
		.amdhsa_group_segment_fixed_size 0
		.amdhsa_private_segment_fixed_size 0
		.amdhsa_kernarg_size 56
		.amdhsa_user_sgpr_count 2
		.amdhsa_user_sgpr_dispatch_ptr 0
		.amdhsa_user_sgpr_queue_ptr 0
		.amdhsa_user_sgpr_kernarg_segment_ptr 1
		.amdhsa_user_sgpr_dispatch_id 0
		.amdhsa_user_sgpr_kernarg_preload_length 0
		.amdhsa_user_sgpr_kernarg_preload_offset 0
		.amdhsa_user_sgpr_private_segment_size 0
		.amdhsa_uses_dynamic_stack 0
		.amdhsa_enable_private_segment 0
		.amdhsa_system_sgpr_workgroup_id_x 1
		.amdhsa_system_sgpr_workgroup_id_y 0
		.amdhsa_system_sgpr_workgroup_id_z 0
		.amdhsa_system_sgpr_workgroup_info 0
		.amdhsa_system_vgpr_workitem_id 0
		.amdhsa_next_free_vgpr 1
		.amdhsa_next_free_sgpr 0
		.amdhsa_accum_offset 4
		.amdhsa_reserve_vcc 0
		.amdhsa_float_round_mode_32 0
		.amdhsa_float_round_mode_16_64 0
		.amdhsa_float_denorm_mode_32 3
		.amdhsa_float_denorm_mode_16_64 3
		.amdhsa_dx10_clamp 1
		.amdhsa_ieee_mode 1
		.amdhsa_fp16_overflow 0
		.amdhsa_tg_split 0
		.amdhsa_exception_fp_ieee_invalid_op 0
		.amdhsa_exception_fp_denorm_src 0
		.amdhsa_exception_fp_ieee_div_zero 0
		.amdhsa_exception_fp_ieee_overflow 0
		.amdhsa_exception_fp_ieee_underflow 0
		.amdhsa_exception_fp_ieee_inexact 0
		.amdhsa_exception_int_div_zero 0
	.end_amdhsa_kernel
	.section	.text._ZN7rocprim17ROCPRIM_400000_NS6detail17trampoline_kernelINS0_14default_configENS1_22reduce_config_selectorIxEEZNS1_11reduce_implILb1ES3_N6thrust23THRUST_200600_302600_NS6detail15normal_iteratorINS8_10device_ptrIxEEEEPffNS8_4plusIfEEEE10hipError_tPvRmT1_T2_T3_mT4_P12ihipStream_tbEUlT_E0_NS1_11comp_targetILNS1_3genE2ELNS1_11target_archE906ELNS1_3gpuE6ELNS1_3repE0EEENS1_30default_config_static_selectorELNS0_4arch9wavefront6targetE1EEEvSK_,"axG",@progbits,_ZN7rocprim17ROCPRIM_400000_NS6detail17trampoline_kernelINS0_14default_configENS1_22reduce_config_selectorIxEEZNS1_11reduce_implILb1ES3_N6thrust23THRUST_200600_302600_NS6detail15normal_iteratorINS8_10device_ptrIxEEEEPffNS8_4plusIfEEEE10hipError_tPvRmT1_T2_T3_mT4_P12ihipStream_tbEUlT_E0_NS1_11comp_targetILNS1_3genE2ELNS1_11target_archE906ELNS1_3gpuE6ELNS1_3repE0EEENS1_30default_config_static_selectorELNS0_4arch9wavefront6targetE1EEEvSK_,comdat
.Lfunc_end481:
	.size	_ZN7rocprim17ROCPRIM_400000_NS6detail17trampoline_kernelINS0_14default_configENS1_22reduce_config_selectorIxEEZNS1_11reduce_implILb1ES3_N6thrust23THRUST_200600_302600_NS6detail15normal_iteratorINS8_10device_ptrIxEEEEPffNS8_4plusIfEEEE10hipError_tPvRmT1_T2_T3_mT4_P12ihipStream_tbEUlT_E0_NS1_11comp_targetILNS1_3genE2ELNS1_11target_archE906ELNS1_3gpuE6ELNS1_3repE0EEENS1_30default_config_static_selectorELNS0_4arch9wavefront6targetE1EEEvSK_, .Lfunc_end481-_ZN7rocprim17ROCPRIM_400000_NS6detail17trampoline_kernelINS0_14default_configENS1_22reduce_config_selectorIxEEZNS1_11reduce_implILb1ES3_N6thrust23THRUST_200600_302600_NS6detail15normal_iteratorINS8_10device_ptrIxEEEEPffNS8_4plusIfEEEE10hipError_tPvRmT1_T2_T3_mT4_P12ihipStream_tbEUlT_E0_NS1_11comp_targetILNS1_3genE2ELNS1_11target_archE906ELNS1_3gpuE6ELNS1_3repE0EEENS1_30default_config_static_selectorELNS0_4arch9wavefront6targetE1EEEvSK_
                                        ; -- End function
	.set _ZN7rocprim17ROCPRIM_400000_NS6detail17trampoline_kernelINS0_14default_configENS1_22reduce_config_selectorIxEEZNS1_11reduce_implILb1ES3_N6thrust23THRUST_200600_302600_NS6detail15normal_iteratorINS8_10device_ptrIxEEEEPffNS8_4plusIfEEEE10hipError_tPvRmT1_T2_T3_mT4_P12ihipStream_tbEUlT_E0_NS1_11comp_targetILNS1_3genE2ELNS1_11target_archE906ELNS1_3gpuE6ELNS1_3repE0EEENS1_30default_config_static_selectorELNS0_4arch9wavefront6targetE1EEEvSK_.num_vgpr, 0
	.set _ZN7rocprim17ROCPRIM_400000_NS6detail17trampoline_kernelINS0_14default_configENS1_22reduce_config_selectorIxEEZNS1_11reduce_implILb1ES3_N6thrust23THRUST_200600_302600_NS6detail15normal_iteratorINS8_10device_ptrIxEEEEPffNS8_4plusIfEEEE10hipError_tPvRmT1_T2_T3_mT4_P12ihipStream_tbEUlT_E0_NS1_11comp_targetILNS1_3genE2ELNS1_11target_archE906ELNS1_3gpuE6ELNS1_3repE0EEENS1_30default_config_static_selectorELNS0_4arch9wavefront6targetE1EEEvSK_.num_agpr, 0
	.set _ZN7rocprim17ROCPRIM_400000_NS6detail17trampoline_kernelINS0_14default_configENS1_22reduce_config_selectorIxEEZNS1_11reduce_implILb1ES3_N6thrust23THRUST_200600_302600_NS6detail15normal_iteratorINS8_10device_ptrIxEEEEPffNS8_4plusIfEEEE10hipError_tPvRmT1_T2_T3_mT4_P12ihipStream_tbEUlT_E0_NS1_11comp_targetILNS1_3genE2ELNS1_11target_archE906ELNS1_3gpuE6ELNS1_3repE0EEENS1_30default_config_static_selectorELNS0_4arch9wavefront6targetE1EEEvSK_.numbered_sgpr, 0
	.set _ZN7rocprim17ROCPRIM_400000_NS6detail17trampoline_kernelINS0_14default_configENS1_22reduce_config_selectorIxEEZNS1_11reduce_implILb1ES3_N6thrust23THRUST_200600_302600_NS6detail15normal_iteratorINS8_10device_ptrIxEEEEPffNS8_4plusIfEEEE10hipError_tPvRmT1_T2_T3_mT4_P12ihipStream_tbEUlT_E0_NS1_11comp_targetILNS1_3genE2ELNS1_11target_archE906ELNS1_3gpuE6ELNS1_3repE0EEENS1_30default_config_static_selectorELNS0_4arch9wavefront6targetE1EEEvSK_.num_named_barrier, 0
	.set _ZN7rocprim17ROCPRIM_400000_NS6detail17trampoline_kernelINS0_14default_configENS1_22reduce_config_selectorIxEEZNS1_11reduce_implILb1ES3_N6thrust23THRUST_200600_302600_NS6detail15normal_iteratorINS8_10device_ptrIxEEEEPffNS8_4plusIfEEEE10hipError_tPvRmT1_T2_T3_mT4_P12ihipStream_tbEUlT_E0_NS1_11comp_targetILNS1_3genE2ELNS1_11target_archE906ELNS1_3gpuE6ELNS1_3repE0EEENS1_30default_config_static_selectorELNS0_4arch9wavefront6targetE1EEEvSK_.private_seg_size, 0
	.set _ZN7rocprim17ROCPRIM_400000_NS6detail17trampoline_kernelINS0_14default_configENS1_22reduce_config_selectorIxEEZNS1_11reduce_implILb1ES3_N6thrust23THRUST_200600_302600_NS6detail15normal_iteratorINS8_10device_ptrIxEEEEPffNS8_4plusIfEEEE10hipError_tPvRmT1_T2_T3_mT4_P12ihipStream_tbEUlT_E0_NS1_11comp_targetILNS1_3genE2ELNS1_11target_archE906ELNS1_3gpuE6ELNS1_3repE0EEENS1_30default_config_static_selectorELNS0_4arch9wavefront6targetE1EEEvSK_.uses_vcc, 0
	.set _ZN7rocprim17ROCPRIM_400000_NS6detail17trampoline_kernelINS0_14default_configENS1_22reduce_config_selectorIxEEZNS1_11reduce_implILb1ES3_N6thrust23THRUST_200600_302600_NS6detail15normal_iteratorINS8_10device_ptrIxEEEEPffNS8_4plusIfEEEE10hipError_tPvRmT1_T2_T3_mT4_P12ihipStream_tbEUlT_E0_NS1_11comp_targetILNS1_3genE2ELNS1_11target_archE906ELNS1_3gpuE6ELNS1_3repE0EEENS1_30default_config_static_selectorELNS0_4arch9wavefront6targetE1EEEvSK_.uses_flat_scratch, 0
	.set _ZN7rocprim17ROCPRIM_400000_NS6detail17trampoline_kernelINS0_14default_configENS1_22reduce_config_selectorIxEEZNS1_11reduce_implILb1ES3_N6thrust23THRUST_200600_302600_NS6detail15normal_iteratorINS8_10device_ptrIxEEEEPffNS8_4plusIfEEEE10hipError_tPvRmT1_T2_T3_mT4_P12ihipStream_tbEUlT_E0_NS1_11comp_targetILNS1_3genE2ELNS1_11target_archE906ELNS1_3gpuE6ELNS1_3repE0EEENS1_30default_config_static_selectorELNS0_4arch9wavefront6targetE1EEEvSK_.has_dyn_sized_stack, 0
	.set _ZN7rocprim17ROCPRIM_400000_NS6detail17trampoline_kernelINS0_14default_configENS1_22reduce_config_selectorIxEEZNS1_11reduce_implILb1ES3_N6thrust23THRUST_200600_302600_NS6detail15normal_iteratorINS8_10device_ptrIxEEEEPffNS8_4plusIfEEEE10hipError_tPvRmT1_T2_T3_mT4_P12ihipStream_tbEUlT_E0_NS1_11comp_targetILNS1_3genE2ELNS1_11target_archE906ELNS1_3gpuE6ELNS1_3repE0EEENS1_30default_config_static_selectorELNS0_4arch9wavefront6targetE1EEEvSK_.has_recursion, 0
	.set _ZN7rocprim17ROCPRIM_400000_NS6detail17trampoline_kernelINS0_14default_configENS1_22reduce_config_selectorIxEEZNS1_11reduce_implILb1ES3_N6thrust23THRUST_200600_302600_NS6detail15normal_iteratorINS8_10device_ptrIxEEEEPffNS8_4plusIfEEEE10hipError_tPvRmT1_T2_T3_mT4_P12ihipStream_tbEUlT_E0_NS1_11comp_targetILNS1_3genE2ELNS1_11target_archE906ELNS1_3gpuE6ELNS1_3repE0EEENS1_30default_config_static_selectorELNS0_4arch9wavefront6targetE1EEEvSK_.has_indirect_call, 0
	.section	.AMDGPU.csdata,"",@progbits
; Kernel info:
; codeLenInByte = 0
; TotalNumSgprs: 6
; NumVgprs: 0
; NumAgprs: 0
; TotalNumVgprs: 0
; ScratchSize: 0
; MemoryBound: 0
; FloatMode: 240
; IeeeMode: 1
; LDSByteSize: 0 bytes/workgroup (compile time only)
; SGPRBlocks: 0
; VGPRBlocks: 0
; NumSGPRsForWavesPerEU: 6
; NumVGPRsForWavesPerEU: 1
; AccumOffset: 4
; Occupancy: 8
; WaveLimiterHint : 0
; COMPUTE_PGM_RSRC2:SCRATCH_EN: 0
; COMPUTE_PGM_RSRC2:USER_SGPR: 2
; COMPUTE_PGM_RSRC2:TRAP_HANDLER: 0
; COMPUTE_PGM_RSRC2:TGID_X_EN: 1
; COMPUTE_PGM_RSRC2:TGID_Y_EN: 0
; COMPUTE_PGM_RSRC2:TGID_Z_EN: 0
; COMPUTE_PGM_RSRC2:TIDIG_COMP_CNT: 0
; COMPUTE_PGM_RSRC3_GFX90A:ACCUM_OFFSET: 0
; COMPUTE_PGM_RSRC3_GFX90A:TG_SPLIT: 0
	.section	.text._ZN7rocprim17ROCPRIM_400000_NS6detail17trampoline_kernelINS0_14default_configENS1_22reduce_config_selectorIxEEZNS1_11reduce_implILb1ES3_N6thrust23THRUST_200600_302600_NS6detail15normal_iteratorINS8_10device_ptrIxEEEEPffNS8_4plusIfEEEE10hipError_tPvRmT1_T2_T3_mT4_P12ihipStream_tbEUlT_E0_NS1_11comp_targetILNS1_3genE10ELNS1_11target_archE1201ELNS1_3gpuE5ELNS1_3repE0EEENS1_30default_config_static_selectorELNS0_4arch9wavefront6targetE1EEEvSK_,"axG",@progbits,_ZN7rocprim17ROCPRIM_400000_NS6detail17trampoline_kernelINS0_14default_configENS1_22reduce_config_selectorIxEEZNS1_11reduce_implILb1ES3_N6thrust23THRUST_200600_302600_NS6detail15normal_iteratorINS8_10device_ptrIxEEEEPffNS8_4plusIfEEEE10hipError_tPvRmT1_T2_T3_mT4_P12ihipStream_tbEUlT_E0_NS1_11comp_targetILNS1_3genE10ELNS1_11target_archE1201ELNS1_3gpuE5ELNS1_3repE0EEENS1_30default_config_static_selectorELNS0_4arch9wavefront6targetE1EEEvSK_,comdat
	.protected	_ZN7rocprim17ROCPRIM_400000_NS6detail17trampoline_kernelINS0_14default_configENS1_22reduce_config_selectorIxEEZNS1_11reduce_implILb1ES3_N6thrust23THRUST_200600_302600_NS6detail15normal_iteratorINS8_10device_ptrIxEEEEPffNS8_4plusIfEEEE10hipError_tPvRmT1_T2_T3_mT4_P12ihipStream_tbEUlT_E0_NS1_11comp_targetILNS1_3genE10ELNS1_11target_archE1201ELNS1_3gpuE5ELNS1_3repE0EEENS1_30default_config_static_selectorELNS0_4arch9wavefront6targetE1EEEvSK_ ; -- Begin function _ZN7rocprim17ROCPRIM_400000_NS6detail17trampoline_kernelINS0_14default_configENS1_22reduce_config_selectorIxEEZNS1_11reduce_implILb1ES3_N6thrust23THRUST_200600_302600_NS6detail15normal_iteratorINS8_10device_ptrIxEEEEPffNS8_4plusIfEEEE10hipError_tPvRmT1_T2_T3_mT4_P12ihipStream_tbEUlT_E0_NS1_11comp_targetILNS1_3genE10ELNS1_11target_archE1201ELNS1_3gpuE5ELNS1_3repE0EEENS1_30default_config_static_selectorELNS0_4arch9wavefront6targetE1EEEvSK_
	.globl	_ZN7rocprim17ROCPRIM_400000_NS6detail17trampoline_kernelINS0_14default_configENS1_22reduce_config_selectorIxEEZNS1_11reduce_implILb1ES3_N6thrust23THRUST_200600_302600_NS6detail15normal_iteratorINS8_10device_ptrIxEEEEPffNS8_4plusIfEEEE10hipError_tPvRmT1_T2_T3_mT4_P12ihipStream_tbEUlT_E0_NS1_11comp_targetILNS1_3genE10ELNS1_11target_archE1201ELNS1_3gpuE5ELNS1_3repE0EEENS1_30default_config_static_selectorELNS0_4arch9wavefront6targetE1EEEvSK_
	.p2align	8
	.type	_ZN7rocprim17ROCPRIM_400000_NS6detail17trampoline_kernelINS0_14default_configENS1_22reduce_config_selectorIxEEZNS1_11reduce_implILb1ES3_N6thrust23THRUST_200600_302600_NS6detail15normal_iteratorINS8_10device_ptrIxEEEEPffNS8_4plusIfEEEE10hipError_tPvRmT1_T2_T3_mT4_P12ihipStream_tbEUlT_E0_NS1_11comp_targetILNS1_3genE10ELNS1_11target_archE1201ELNS1_3gpuE5ELNS1_3repE0EEENS1_30default_config_static_selectorELNS0_4arch9wavefront6targetE1EEEvSK_,@function
_ZN7rocprim17ROCPRIM_400000_NS6detail17trampoline_kernelINS0_14default_configENS1_22reduce_config_selectorIxEEZNS1_11reduce_implILb1ES3_N6thrust23THRUST_200600_302600_NS6detail15normal_iteratorINS8_10device_ptrIxEEEEPffNS8_4plusIfEEEE10hipError_tPvRmT1_T2_T3_mT4_P12ihipStream_tbEUlT_E0_NS1_11comp_targetILNS1_3genE10ELNS1_11target_archE1201ELNS1_3gpuE5ELNS1_3repE0EEENS1_30default_config_static_selectorELNS0_4arch9wavefront6targetE1EEEvSK_: ; @_ZN7rocprim17ROCPRIM_400000_NS6detail17trampoline_kernelINS0_14default_configENS1_22reduce_config_selectorIxEEZNS1_11reduce_implILb1ES3_N6thrust23THRUST_200600_302600_NS6detail15normal_iteratorINS8_10device_ptrIxEEEEPffNS8_4plusIfEEEE10hipError_tPvRmT1_T2_T3_mT4_P12ihipStream_tbEUlT_E0_NS1_11comp_targetILNS1_3genE10ELNS1_11target_archE1201ELNS1_3gpuE5ELNS1_3repE0EEENS1_30default_config_static_selectorELNS0_4arch9wavefront6targetE1EEEvSK_
; %bb.0:
	.section	.rodata,"a",@progbits
	.p2align	6, 0x0
	.amdhsa_kernel _ZN7rocprim17ROCPRIM_400000_NS6detail17trampoline_kernelINS0_14default_configENS1_22reduce_config_selectorIxEEZNS1_11reduce_implILb1ES3_N6thrust23THRUST_200600_302600_NS6detail15normal_iteratorINS8_10device_ptrIxEEEEPffNS8_4plusIfEEEE10hipError_tPvRmT1_T2_T3_mT4_P12ihipStream_tbEUlT_E0_NS1_11comp_targetILNS1_3genE10ELNS1_11target_archE1201ELNS1_3gpuE5ELNS1_3repE0EEENS1_30default_config_static_selectorELNS0_4arch9wavefront6targetE1EEEvSK_
		.amdhsa_group_segment_fixed_size 0
		.amdhsa_private_segment_fixed_size 0
		.amdhsa_kernarg_size 56
		.amdhsa_user_sgpr_count 2
		.amdhsa_user_sgpr_dispatch_ptr 0
		.amdhsa_user_sgpr_queue_ptr 0
		.amdhsa_user_sgpr_kernarg_segment_ptr 1
		.amdhsa_user_sgpr_dispatch_id 0
		.amdhsa_user_sgpr_kernarg_preload_length 0
		.amdhsa_user_sgpr_kernarg_preload_offset 0
		.amdhsa_user_sgpr_private_segment_size 0
		.amdhsa_uses_dynamic_stack 0
		.amdhsa_enable_private_segment 0
		.amdhsa_system_sgpr_workgroup_id_x 1
		.amdhsa_system_sgpr_workgroup_id_y 0
		.amdhsa_system_sgpr_workgroup_id_z 0
		.amdhsa_system_sgpr_workgroup_info 0
		.amdhsa_system_vgpr_workitem_id 0
		.amdhsa_next_free_vgpr 1
		.amdhsa_next_free_sgpr 0
		.amdhsa_accum_offset 4
		.amdhsa_reserve_vcc 0
		.amdhsa_float_round_mode_32 0
		.amdhsa_float_round_mode_16_64 0
		.amdhsa_float_denorm_mode_32 3
		.amdhsa_float_denorm_mode_16_64 3
		.amdhsa_dx10_clamp 1
		.amdhsa_ieee_mode 1
		.amdhsa_fp16_overflow 0
		.amdhsa_tg_split 0
		.amdhsa_exception_fp_ieee_invalid_op 0
		.amdhsa_exception_fp_denorm_src 0
		.amdhsa_exception_fp_ieee_div_zero 0
		.amdhsa_exception_fp_ieee_overflow 0
		.amdhsa_exception_fp_ieee_underflow 0
		.amdhsa_exception_fp_ieee_inexact 0
		.amdhsa_exception_int_div_zero 0
	.end_amdhsa_kernel
	.section	.text._ZN7rocprim17ROCPRIM_400000_NS6detail17trampoline_kernelINS0_14default_configENS1_22reduce_config_selectorIxEEZNS1_11reduce_implILb1ES3_N6thrust23THRUST_200600_302600_NS6detail15normal_iteratorINS8_10device_ptrIxEEEEPffNS8_4plusIfEEEE10hipError_tPvRmT1_T2_T3_mT4_P12ihipStream_tbEUlT_E0_NS1_11comp_targetILNS1_3genE10ELNS1_11target_archE1201ELNS1_3gpuE5ELNS1_3repE0EEENS1_30default_config_static_selectorELNS0_4arch9wavefront6targetE1EEEvSK_,"axG",@progbits,_ZN7rocprim17ROCPRIM_400000_NS6detail17trampoline_kernelINS0_14default_configENS1_22reduce_config_selectorIxEEZNS1_11reduce_implILb1ES3_N6thrust23THRUST_200600_302600_NS6detail15normal_iteratorINS8_10device_ptrIxEEEEPffNS8_4plusIfEEEE10hipError_tPvRmT1_T2_T3_mT4_P12ihipStream_tbEUlT_E0_NS1_11comp_targetILNS1_3genE10ELNS1_11target_archE1201ELNS1_3gpuE5ELNS1_3repE0EEENS1_30default_config_static_selectorELNS0_4arch9wavefront6targetE1EEEvSK_,comdat
.Lfunc_end482:
	.size	_ZN7rocprim17ROCPRIM_400000_NS6detail17trampoline_kernelINS0_14default_configENS1_22reduce_config_selectorIxEEZNS1_11reduce_implILb1ES3_N6thrust23THRUST_200600_302600_NS6detail15normal_iteratorINS8_10device_ptrIxEEEEPffNS8_4plusIfEEEE10hipError_tPvRmT1_T2_T3_mT4_P12ihipStream_tbEUlT_E0_NS1_11comp_targetILNS1_3genE10ELNS1_11target_archE1201ELNS1_3gpuE5ELNS1_3repE0EEENS1_30default_config_static_selectorELNS0_4arch9wavefront6targetE1EEEvSK_, .Lfunc_end482-_ZN7rocprim17ROCPRIM_400000_NS6detail17trampoline_kernelINS0_14default_configENS1_22reduce_config_selectorIxEEZNS1_11reduce_implILb1ES3_N6thrust23THRUST_200600_302600_NS6detail15normal_iteratorINS8_10device_ptrIxEEEEPffNS8_4plusIfEEEE10hipError_tPvRmT1_T2_T3_mT4_P12ihipStream_tbEUlT_E0_NS1_11comp_targetILNS1_3genE10ELNS1_11target_archE1201ELNS1_3gpuE5ELNS1_3repE0EEENS1_30default_config_static_selectorELNS0_4arch9wavefront6targetE1EEEvSK_
                                        ; -- End function
	.set _ZN7rocprim17ROCPRIM_400000_NS6detail17trampoline_kernelINS0_14default_configENS1_22reduce_config_selectorIxEEZNS1_11reduce_implILb1ES3_N6thrust23THRUST_200600_302600_NS6detail15normal_iteratorINS8_10device_ptrIxEEEEPffNS8_4plusIfEEEE10hipError_tPvRmT1_T2_T3_mT4_P12ihipStream_tbEUlT_E0_NS1_11comp_targetILNS1_3genE10ELNS1_11target_archE1201ELNS1_3gpuE5ELNS1_3repE0EEENS1_30default_config_static_selectorELNS0_4arch9wavefront6targetE1EEEvSK_.num_vgpr, 0
	.set _ZN7rocprim17ROCPRIM_400000_NS6detail17trampoline_kernelINS0_14default_configENS1_22reduce_config_selectorIxEEZNS1_11reduce_implILb1ES3_N6thrust23THRUST_200600_302600_NS6detail15normal_iteratorINS8_10device_ptrIxEEEEPffNS8_4plusIfEEEE10hipError_tPvRmT1_T2_T3_mT4_P12ihipStream_tbEUlT_E0_NS1_11comp_targetILNS1_3genE10ELNS1_11target_archE1201ELNS1_3gpuE5ELNS1_3repE0EEENS1_30default_config_static_selectorELNS0_4arch9wavefront6targetE1EEEvSK_.num_agpr, 0
	.set _ZN7rocprim17ROCPRIM_400000_NS6detail17trampoline_kernelINS0_14default_configENS1_22reduce_config_selectorIxEEZNS1_11reduce_implILb1ES3_N6thrust23THRUST_200600_302600_NS6detail15normal_iteratorINS8_10device_ptrIxEEEEPffNS8_4plusIfEEEE10hipError_tPvRmT1_T2_T3_mT4_P12ihipStream_tbEUlT_E0_NS1_11comp_targetILNS1_3genE10ELNS1_11target_archE1201ELNS1_3gpuE5ELNS1_3repE0EEENS1_30default_config_static_selectorELNS0_4arch9wavefront6targetE1EEEvSK_.numbered_sgpr, 0
	.set _ZN7rocprim17ROCPRIM_400000_NS6detail17trampoline_kernelINS0_14default_configENS1_22reduce_config_selectorIxEEZNS1_11reduce_implILb1ES3_N6thrust23THRUST_200600_302600_NS6detail15normal_iteratorINS8_10device_ptrIxEEEEPffNS8_4plusIfEEEE10hipError_tPvRmT1_T2_T3_mT4_P12ihipStream_tbEUlT_E0_NS1_11comp_targetILNS1_3genE10ELNS1_11target_archE1201ELNS1_3gpuE5ELNS1_3repE0EEENS1_30default_config_static_selectorELNS0_4arch9wavefront6targetE1EEEvSK_.num_named_barrier, 0
	.set _ZN7rocprim17ROCPRIM_400000_NS6detail17trampoline_kernelINS0_14default_configENS1_22reduce_config_selectorIxEEZNS1_11reduce_implILb1ES3_N6thrust23THRUST_200600_302600_NS6detail15normal_iteratorINS8_10device_ptrIxEEEEPffNS8_4plusIfEEEE10hipError_tPvRmT1_T2_T3_mT4_P12ihipStream_tbEUlT_E0_NS1_11comp_targetILNS1_3genE10ELNS1_11target_archE1201ELNS1_3gpuE5ELNS1_3repE0EEENS1_30default_config_static_selectorELNS0_4arch9wavefront6targetE1EEEvSK_.private_seg_size, 0
	.set _ZN7rocprim17ROCPRIM_400000_NS6detail17trampoline_kernelINS0_14default_configENS1_22reduce_config_selectorIxEEZNS1_11reduce_implILb1ES3_N6thrust23THRUST_200600_302600_NS6detail15normal_iteratorINS8_10device_ptrIxEEEEPffNS8_4plusIfEEEE10hipError_tPvRmT1_T2_T3_mT4_P12ihipStream_tbEUlT_E0_NS1_11comp_targetILNS1_3genE10ELNS1_11target_archE1201ELNS1_3gpuE5ELNS1_3repE0EEENS1_30default_config_static_selectorELNS0_4arch9wavefront6targetE1EEEvSK_.uses_vcc, 0
	.set _ZN7rocprim17ROCPRIM_400000_NS6detail17trampoline_kernelINS0_14default_configENS1_22reduce_config_selectorIxEEZNS1_11reduce_implILb1ES3_N6thrust23THRUST_200600_302600_NS6detail15normal_iteratorINS8_10device_ptrIxEEEEPffNS8_4plusIfEEEE10hipError_tPvRmT1_T2_T3_mT4_P12ihipStream_tbEUlT_E0_NS1_11comp_targetILNS1_3genE10ELNS1_11target_archE1201ELNS1_3gpuE5ELNS1_3repE0EEENS1_30default_config_static_selectorELNS0_4arch9wavefront6targetE1EEEvSK_.uses_flat_scratch, 0
	.set _ZN7rocprim17ROCPRIM_400000_NS6detail17trampoline_kernelINS0_14default_configENS1_22reduce_config_selectorIxEEZNS1_11reduce_implILb1ES3_N6thrust23THRUST_200600_302600_NS6detail15normal_iteratorINS8_10device_ptrIxEEEEPffNS8_4plusIfEEEE10hipError_tPvRmT1_T2_T3_mT4_P12ihipStream_tbEUlT_E0_NS1_11comp_targetILNS1_3genE10ELNS1_11target_archE1201ELNS1_3gpuE5ELNS1_3repE0EEENS1_30default_config_static_selectorELNS0_4arch9wavefront6targetE1EEEvSK_.has_dyn_sized_stack, 0
	.set _ZN7rocprim17ROCPRIM_400000_NS6detail17trampoline_kernelINS0_14default_configENS1_22reduce_config_selectorIxEEZNS1_11reduce_implILb1ES3_N6thrust23THRUST_200600_302600_NS6detail15normal_iteratorINS8_10device_ptrIxEEEEPffNS8_4plusIfEEEE10hipError_tPvRmT1_T2_T3_mT4_P12ihipStream_tbEUlT_E0_NS1_11comp_targetILNS1_3genE10ELNS1_11target_archE1201ELNS1_3gpuE5ELNS1_3repE0EEENS1_30default_config_static_selectorELNS0_4arch9wavefront6targetE1EEEvSK_.has_recursion, 0
	.set _ZN7rocprim17ROCPRIM_400000_NS6detail17trampoline_kernelINS0_14default_configENS1_22reduce_config_selectorIxEEZNS1_11reduce_implILb1ES3_N6thrust23THRUST_200600_302600_NS6detail15normal_iteratorINS8_10device_ptrIxEEEEPffNS8_4plusIfEEEE10hipError_tPvRmT1_T2_T3_mT4_P12ihipStream_tbEUlT_E0_NS1_11comp_targetILNS1_3genE10ELNS1_11target_archE1201ELNS1_3gpuE5ELNS1_3repE0EEENS1_30default_config_static_selectorELNS0_4arch9wavefront6targetE1EEEvSK_.has_indirect_call, 0
	.section	.AMDGPU.csdata,"",@progbits
; Kernel info:
; codeLenInByte = 0
; TotalNumSgprs: 6
; NumVgprs: 0
; NumAgprs: 0
; TotalNumVgprs: 0
; ScratchSize: 0
; MemoryBound: 0
; FloatMode: 240
; IeeeMode: 1
; LDSByteSize: 0 bytes/workgroup (compile time only)
; SGPRBlocks: 0
; VGPRBlocks: 0
; NumSGPRsForWavesPerEU: 6
; NumVGPRsForWavesPerEU: 1
; AccumOffset: 4
; Occupancy: 8
; WaveLimiterHint : 0
; COMPUTE_PGM_RSRC2:SCRATCH_EN: 0
; COMPUTE_PGM_RSRC2:USER_SGPR: 2
; COMPUTE_PGM_RSRC2:TRAP_HANDLER: 0
; COMPUTE_PGM_RSRC2:TGID_X_EN: 1
; COMPUTE_PGM_RSRC2:TGID_Y_EN: 0
; COMPUTE_PGM_RSRC2:TGID_Z_EN: 0
; COMPUTE_PGM_RSRC2:TIDIG_COMP_CNT: 0
; COMPUTE_PGM_RSRC3_GFX90A:ACCUM_OFFSET: 0
; COMPUTE_PGM_RSRC3_GFX90A:TG_SPLIT: 0
	.section	.text._ZN7rocprim17ROCPRIM_400000_NS6detail17trampoline_kernelINS0_14default_configENS1_22reduce_config_selectorIxEEZNS1_11reduce_implILb1ES3_N6thrust23THRUST_200600_302600_NS6detail15normal_iteratorINS8_10device_ptrIxEEEEPffNS8_4plusIfEEEE10hipError_tPvRmT1_T2_T3_mT4_P12ihipStream_tbEUlT_E0_NS1_11comp_targetILNS1_3genE10ELNS1_11target_archE1200ELNS1_3gpuE4ELNS1_3repE0EEENS1_30default_config_static_selectorELNS0_4arch9wavefront6targetE1EEEvSK_,"axG",@progbits,_ZN7rocprim17ROCPRIM_400000_NS6detail17trampoline_kernelINS0_14default_configENS1_22reduce_config_selectorIxEEZNS1_11reduce_implILb1ES3_N6thrust23THRUST_200600_302600_NS6detail15normal_iteratorINS8_10device_ptrIxEEEEPffNS8_4plusIfEEEE10hipError_tPvRmT1_T2_T3_mT4_P12ihipStream_tbEUlT_E0_NS1_11comp_targetILNS1_3genE10ELNS1_11target_archE1200ELNS1_3gpuE4ELNS1_3repE0EEENS1_30default_config_static_selectorELNS0_4arch9wavefront6targetE1EEEvSK_,comdat
	.protected	_ZN7rocprim17ROCPRIM_400000_NS6detail17trampoline_kernelINS0_14default_configENS1_22reduce_config_selectorIxEEZNS1_11reduce_implILb1ES3_N6thrust23THRUST_200600_302600_NS6detail15normal_iteratorINS8_10device_ptrIxEEEEPffNS8_4plusIfEEEE10hipError_tPvRmT1_T2_T3_mT4_P12ihipStream_tbEUlT_E0_NS1_11comp_targetILNS1_3genE10ELNS1_11target_archE1200ELNS1_3gpuE4ELNS1_3repE0EEENS1_30default_config_static_selectorELNS0_4arch9wavefront6targetE1EEEvSK_ ; -- Begin function _ZN7rocprim17ROCPRIM_400000_NS6detail17trampoline_kernelINS0_14default_configENS1_22reduce_config_selectorIxEEZNS1_11reduce_implILb1ES3_N6thrust23THRUST_200600_302600_NS6detail15normal_iteratorINS8_10device_ptrIxEEEEPffNS8_4plusIfEEEE10hipError_tPvRmT1_T2_T3_mT4_P12ihipStream_tbEUlT_E0_NS1_11comp_targetILNS1_3genE10ELNS1_11target_archE1200ELNS1_3gpuE4ELNS1_3repE0EEENS1_30default_config_static_selectorELNS0_4arch9wavefront6targetE1EEEvSK_
	.globl	_ZN7rocprim17ROCPRIM_400000_NS6detail17trampoline_kernelINS0_14default_configENS1_22reduce_config_selectorIxEEZNS1_11reduce_implILb1ES3_N6thrust23THRUST_200600_302600_NS6detail15normal_iteratorINS8_10device_ptrIxEEEEPffNS8_4plusIfEEEE10hipError_tPvRmT1_T2_T3_mT4_P12ihipStream_tbEUlT_E0_NS1_11comp_targetILNS1_3genE10ELNS1_11target_archE1200ELNS1_3gpuE4ELNS1_3repE0EEENS1_30default_config_static_selectorELNS0_4arch9wavefront6targetE1EEEvSK_
	.p2align	8
	.type	_ZN7rocprim17ROCPRIM_400000_NS6detail17trampoline_kernelINS0_14default_configENS1_22reduce_config_selectorIxEEZNS1_11reduce_implILb1ES3_N6thrust23THRUST_200600_302600_NS6detail15normal_iteratorINS8_10device_ptrIxEEEEPffNS8_4plusIfEEEE10hipError_tPvRmT1_T2_T3_mT4_P12ihipStream_tbEUlT_E0_NS1_11comp_targetILNS1_3genE10ELNS1_11target_archE1200ELNS1_3gpuE4ELNS1_3repE0EEENS1_30default_config_static_selectorELNS0_4arch9wavefront6targetE1EEEvSK_,@function
_ZN7rocprim17ROCPRIM_400000_NS6detail17trampoline_kernelINS0_14default_configENS1_22reduce_config_selectorIxEEZNS1_11reduce_implILb1ES3_N6thrust23THRUST_200600_302600_NS6detail15normal_iteratorINS8_10device_ptrIxEEEEPffNS8_4plusIfEEEE10hipError_tPvRmT1_T2_T3_mT4_P12ihipStream_tbEUlT_E0_NS1_11comp_targetILNS1_3genE10ELNS1_11target_archE1200ELNS1_3gpuE4ELNS1_3repE0EEENS1_30default_config_static_selectorELNS0_4arch9wavefront6targetE1EEEvSK_: ; @_ZN7rocprim17ROCPRIM_400000_NS6detail17trampoline_kernelINS0_14default_configENS1_22reduce_config_selectorIxEEZNS1_11reduce_implILb1ES3_N6thrust23THRUST_200600_302600_NS6detail15normal_iteratorINS8_10device_ptrIxEEEEPffNS8_4plusIfEEEE10hipError_tPvRmT1_T2_T3_mT4_P12ihipStream_tbEUlT_E0_NS1_11comp_targetILNS1_3genE10ELNS1_11target_archE1200ELNS1_3gpuE4ELNS1_3repE0EEENS1_30default_config_static_selectorELNS0_4arch9wavefront6targetE1EEEvSK_
; %bb.0:
	.section	.rodata,"a",@progbits
	.p2align	6, 0x0
	.amdhsa_kernel _ZN7rocprim17ROCPRIM_400000_NS6detail17trampoline_kernelINS0_14default_configENS1_22reduce_config_selectorIxEEZNS1_11reduce_implILb1ES3_N6thrust23THRUST_200600_302600_NS6detail15normal_iteratorINS8_10device_ptrIxEEEEPffNS8_4plusIfEEEE10hipError_tPvRmT1_T2_T3_mT4_P12ihipStream_tbEUlT_E0_NS1_11comp_targetILNS1_3genE10ELNS1_11target_archE1200ELNS1_3gpuE4ELNS1_3repE0EEENS1_30default_config_static_selectorELNS0_4arch9wavefront6targetE1EEEvSK_
		.amdhsa_group_segment_fixed_size 0
		.amdhsa_private_segment_fixed_size 0
		.amdhsa_kernarg_size 56
		.amdhsa_user_sgpr_count 2
		.amdhsa_user_sgpr_dispatch_ptr 0
		.amdhsa_user_sgpr_queue_ptr 0
		.amdhsa_user_sgpr_kernarg_segment_ptr 1
		.amdhsa_user_sgpr_dispatch_id 0
		.amdhsa_user_sgpr_kernarg_preload_length 0
		.amdhsa_user_sgpr_kernarg_preload_offset 0
		.amdhsa_user_sgpr_private_segment_size 0
		.amdhsa_uses_dynamic_stack 0
		.amdhsa_enable_private_segment 0
		.amdhsa_system_sgpr_workgroup_id_x 1
		.amdhsa_system_sgpr_workgroup_id_y 0
		.amdhsa_system_sgpr_workgroup_id_z 0
		.amdhsa_system_sgpr_workgroup_info 0
		.amdhsa_system_vgpr_workitem_id 0
		.amdhsa_next_free_vgpr 1
		.amdhsa_next_free_sgpr 0
		.amdhsa_accum_offset 4
		.amdhsa_reserve_vcc 0
		.amdhsa_float_round_mode_32 0
		.amdhsa_float_round_mode_16_64 0
		.amdhsa_float_denorm_mode_32 3
		.amdhsa_float_denorm_mode_16_64 3
		.amdhsa_dx10_clamp 1
		.amdhsa_ieee_mode 1
		.amdhsa_fp16_overflow 0
		.amdhsa_tg_split 0
		.amdhsa_exception_fp_ieee_invalid_op 0
		.amdhsa_exception_fp_denorm_src 0
		.amdhsa_exception_fp_ieee_div_zero 0
		.amdhsa_exception_fp_ieee_overflow 0
		.amdhsa_exception_fp_ieee_underflow 0
		.amdhsa_exception_fp_ieee_inexact 0
		.amdhsa_exception_int_div_zero 0
	.end_amdhsa_kernel
	.section	.text._ZN7rocprim17ROCPRIM_400000_NS6detail17trampoline_kernelINS0_14default_configENS1_22reduce_config_selectorIxEEZNS1_11reduce_implILb1ES3_N6thrust23THRUST_200600_302600_NS6detail15normal_iteratorINS8_10device_ptrIxEEEEPffNS8_4plusIfEEEE10hipError_tPvRmT1_T2_T3_mT4_P12ihipStream_tbEUlT_E0_NS1_11comp_targetILNS1_3genE10ELNS1_11target_archE1200ELNS1_3gpuE4ELNS1_3repE0EEENS1_30default_config_static_selectorELNS0_4arch9wavefront6targetE1EEEvSK_,"axG",@progbits,_ZN7rocprim17ROCPRIM_400000_NS6detail17trampoline_kernelINS0_14default_configENS1_22reduce_config_selectorIxEEZNS1_11reduce_implILb1ES3_N6thrust23THRUST_200600_302600_NS6detail15normal_iteratorINS8_10device_ptrIxEEEEPffNS8_4plusIfEEEE10hipError_tPvRmT1_T2_T3_mT4_P12ihipStream_tbEUlT_E0_NS1_11comp_targetILNS1_3genE10ELNS1_11target_archE1200ELNS1_3gpuE4ELNS1_3repE0EEENS1_30default_config_static_selectorELNS0_4arch9wavefront6targetE1EEEvSK_,comdat
.Lfunc_end483:
	.size	_ZN7rocprim17ROCPRIM_400000_NS6detail17trampoline_kernelINS0_14default_configENS1_22reduce_config_selectorIxEEZNS1_11reduce_implILb1ES3_N6thrust23THRUST_200600_302600_NS6detail15normal_iteratorINS8_10device_ptrIxEEEEPffNS8_4plusIfEEEE10hipError_tPvRmT1_T2_T3_mT4_P12ihipStream_tbEUlT_E0_NS1_11comp_targetILNS1_3genE10ELNS1_11target_archE1200ELNS1_3gpuE4ELNS1_3repE0EEENS1_30default_config_static_selectorELNS0_4arch9wavefront6targetE1EEEvSK_, .Lfunc_end483-_ZN7rocprim17ROCPRIM_400000_NS6detail17trampoline_kernelINS0_14default_configENS1_22reduce_config_selectorIxEEZNS1_11reduce_implILb1ES3_N6thrust23THRUST_200600_302600_NS6detail15normal_iteratorINS8_10device_ptrIxEEEEPffNS8_4plusIfEEEE10hipError_tPvRmT1_T2_T3_mT4_P12ihipStream_tbEUlT_E0_NS1_11comp_targetILNS1_3genE10ELNS1_11target_archE1200ELNS1_3gpuE4ELNS1_3repE0EEENS1_30default_config_static_selectorELNS0_4arch9wavefront6targetE1EEEvSK_
                                        ; -- End function
	.set _ZN7rocprim17ROCPRIM_400000_NS6detail17trampoline_kernelINS0_14default_configENS1_22reduce_config_selectorIxEEZNS1_11reduce_implILb1ES3_N6thrust23THRUST_200600_302600_NS6detail15normal_iteratorINS8_10device_ptrIxEEEEPffNS8_4plusIfEEEE10hipError_tPvRmT1_T2_T3_mT4_P12ihipStream_tbEUlT_E0_NS1_11comp_targetILNS1_3genE10ELNS1_11target_archE1200ELNS1_3gpuE4ELNS1_3repE0EEENS1_30default_config_static_selectorELNS0_4arch9wavefront6targetE1EEEvSK_.num_vgpr, 0
	.set _ZN7rocprim17ROCPRIM_400000_NS6detail17trampoline_kernelINS0_14default_configENS1_22reduce_config_selectorIxEEZNS1_11reduce_implILb1ES3_N6thrust23THRUST_200600_302600_NS6detail15normal_iteratorINS8_10device_ptrIxEEEEPffNS8_4plusIfEEEE10hipError_tPvRmT1_T2_T3_mT4_P12ihipStream_tbEUlT_E0_NS1_11comp_targetILNS1_3genE10ELNS1_11target_archE1200ELNS1_3gpuE4ELNS1_3repE0EEENS1_30default_config_static_selectorELNS0_4arch9wavefront6targetE1EEEvSK_.num_agpr, 0
	.set _ZN7rocprim17ROCPRIM_400000_NS6detail17trampoline_kernelINS0_14default_configENS1_22reduce_config_selectorIxEEZNS1_11reduce_implILb1ES3_N6thrust23THRUST_200600_302600_NS6detail15normal_iteratorINS8_10device_ptrIxEEEEPffNS8_4plusIfEEEE10hipError_tPvRmT1_T2_T3_mT4_P12ihipStream_tbEUlT_E0_NS1_11comp_targetILNS1_3genE10ELNS1_11target_archE1200ELNS1_3gpuE4ELNS1_3repE0EEENS1_30default_config_static_selectorELNS0_4arch9wavefront6targetE1EEEvSK_.numbered_sgpr, 0
	.set _ZN7rocprim17ROCPRIM_400000_NS6detail17trampoline_kernelINS0_14default_configENS1_22reduce_config_selectorIxEEZNS1_11reduce_implILb1ES3_N6thrust23THRUST_200600_302600_NS6detail15normal_iteratorINS8_10device_ptrIxEEEEPffNS8_4plusIfEEEE10hipError_tPvRmT1_T2_T3_mT4_P12ihipStream_tbEUlT_E0_NS1_11comp_targetILNS1_3genE10ELNS1_11target_archE1200ELNS1_3gpuE4ELNS1_3repE0EEENS1_30default_config_static_selectorELNS0_4arch9wavefront6targetE1EEEvSK_.num_named_barrier, 0
	.set _ZN7rocprim17ROCPRIM_400000_NS6detail17trampoline_kernelINS0_14default_configENS1_22reduce_config_selectorIxEEZNS1_11reduce_implILb1ES3_N6thrust23THRUST_200600_302600_NS6detail15normal_iteratorINS8_10device_ptrIxEEEEPffNS8_4plusIfEEEE10hipError_tPvRmT1_T2_T3_mT4_P12ihipStream_tbEUlT_E0_NS1_11comp_targetILNS1_3genE10ELNS1_11target_archE1200ELNS1_3gpuE4ELNS1_3repE0EEENS1_30default_config_static_selectorELNS0_4arch9wavefront6targetE1EEEvSK_.private_seg_size, 0
	.set _ZN7rocprim17ROCPRIM_400000_NS6detail17trampoline_kernelINS0_14default_configENS1_22reduce_config_selectorIxEEZNS1_11reduce_implILb1ES3_N6thrust23THRUST_200600_302600_NS6detail15normal_iteratorINS8_10device_ptrIxEEEEPffNS8_4plusIfEEEE10hipError_tPvRmT1_T2_T3_mT4_P12ihipStream_tbEUlT_E0_NS1_11comp_targetILNS1_3genE10ELNS1_11target_archE1200ELNS1_3gpuE4ELNS1_3repE0EEENS1_30default_config_static_selectorELNS0_4arch9wavefront6targetE1EEEvSK_.uses_vcc, 0
	.set _ZN7rocprim17ROCPRIM_400000_NS6detail17trampoline_kernelINS0_14default_configENS1_22reduce_config_selectorIxEEZNS1_11reduce_implILb1ES3_N6thrust23THRUST_200600_302600_NS6detail15normal_iteratorINS8_10device_ptrIxEEEEPffNS8_4plusIfEEEE10hipError_tPvRmT1_T2_T3_mT4_P12ihipStream_tbEUlT_E0_NS1_11comp_targetILNS1_3genE10ELNS1_11target_archE1200ELNS1_3gpuE4ELNS1_3repE0EEENS1_30default_config_static_selectorELNS0_4arch9wavefront6targetE1EEEvSK_.uses_flat_scratch, 0
	.set _ZN7rocprim17ROCPRIM_400000_NS6detail17trampoline_kernelINS0_14default_configENS1_22reduce_config_selectorIxEEZNS1_11reduce_implILb1ES3_N6thrust23THRUST_200600_302600_NS6detail15normal_iteratorINS8_10device_ptrIxEEEEPffNS8_4plusIfEEEE10hipError_tPvRmT1_T2_T3_mT4_P12ihipStream_tbEUlT_E0_NS1_11comp_targetILNS1_3genE10ELNS1_11target_archE1200ELNS1_3gpuE4ELNS1_3repE0EEENS1_30default_config_static_selectorELNS0_4arch9wavefront6targetE1EEEvSK_.has_dyn_sized_stack, 0
	.set _ZN7rocprim17ROCPRIM_400000_NS6detail17trampoline_kernelINS0_14default_configENS1_22reduce_config_selectorIxEEZNS1_11reduce_implILb1ES3_N6thrust23THRUST_200600_302600_NS6detail15normal_iteratorINS8_10device_ptrIxEEEEPffNS8_4plusIfEEEE10hipError_tPvRmT1_T2_T3_mT4_P12ihipStream_tbEUlT_E0_NS1_11comp_targetILNS1_3genE10ELNS1_11target_archE1200ELNS1_3gpuE4ELNS1_3repE0EEENS1_30default_config_static_selectorELNS0_4arch9wavefront6targetE1EEEvSK_.has_recursion, 0
	.set _ZN7rocprim17ROCPRIM_400000_NS6detail17trampoline_kernelINS0_14default_configENS1_22reduce_config_selectorIxEEZNS1_11reduce_implILb1ES3_N6thrust23THRUST_200600_302600_NS6detail15normal_iteratorINS8_10device_ptrIxEEEEPffNS8_4plusIfEEEE10hipError_tPvRmT1_T2_T3_mT4_P12ihipStream_tbEUlT_E0_NS1_11comp_targetILNS1_3genE10ELNS1_11target_archE1200ELNS1_3gpuE4ELNS1_3repE0EEENS1_30default_config_static_selectorELNS0_4arch9wavefront6targetE1EEEvSK_.has_indirect_call, 0
	.section	.AMDGPU.csdata,"",@progbits
; Kernel info:
; codeLenInByte = 0
; TotalNumSgprs: 6
; NumVgprs: 0
; NumAgprs: 0
; TotalNumVgprs: 0
; ScratchSize: 0
; MemoryBound: 0
; FloatMode: 240
; IeeeMode: 1
; LDSByteSize: 0 bytes/workgroup (compile time only)
; SGPRBlocks: 0
; VGPRBlocks: 0
; NumSGPRsForWavesPerEU: 6
; NumVGPRsForWavesPerEU: 1
; AccumOffset: 4
; Occupancy: 8
; WaveLimiterHint : 0
; COMPUTE_PGM_RSRC2:SCRATCH_EN: 0
; COMPUTE_PGM_RSRC2:USER_SGPR: 2
; COMPUTE_PGM_RSRC2:TRAP_HANDLER: 0
; COMPUTE_PGM_RSRC2:TGID_X_EN: 1
; COMPUTE_PGM_RSRC2:TGID_Y_EN: 0
; COMPUTE_PGM_RSRC2:TGID_Z_EN: 0
; COMPUTE_PGM_RSRC2:TIDIG_COMP_CNT: 0
; COMPUTE_PGM_RSRC3_GFX90A:ACCUM_OFFSET: 0
; COMPUTE_PGM_RSRC3_GFX90A:TG_SPLIT: 0
	.section	.text._ZN7rocprim17ROCPRIM_400000_NS6detail17trampoline_kernelINS0_14default_configENS1_22reduce_config_selectorIxEEZNS1_11reduce_implILb1ES3_N6thrust23THRUST_200600_302600_NS6detail15normal_iteratorINS8_10device_ptrIxEEEEPffNS8_4plusIfEEEE10hipError_tPvRmT1_T2_T3_mT4_P12ihipStream_tbEUlT_E0_NS1_11comp_targetILNS1_3genE9ELNS1_11target_archE1100ELNS1_3gpuE3ELNS1_3repE0EEENS1_30default_config_static_selectorELNS0_4arch9wavefront6targetE1EEEvSK_,"axG",@progbits,_ZN7rocprim17ROCPRIM_400000_NS6detail17trampoline_kernelINS0_14default_configENS1_22reduce_config_selectorIxEEZNS1_11reduce_implILb1ES3_N6thrust23THRUST_200600_302600_NS6detail15normal_iteratorINS8_10device_ptrIxEEEEPffNS8_4plusIfEEEE10hipError_tPvRmT1_T2_T3_mT4_P12ihipStream_tbEUlT_E0_NS1_11comp_targetILNS1_3genE9ELNS1_11target_archE1100ELNS1_3gpuE3ELNS1_3repE0EEENS1_30default_config_static_selectorELNS0_4arch9wavefront6targetE1EEEvSK_,comdat
	.protected	_ZN7rocprim17ROCPRIM_400000_NS6detail17trampoline_kernelINS0_14default_configENS1_22reduce_config_selectorIxEEZNS1_11reduce_implILb1ES3_N6thrust23THRUST_200600_302600_NS6detail15normal_iteratorINS8_10device_ptrIxEEEEPffNS8_4plusIfEEEE10hipError_tPvRmT1_T2_T3_mT4_P12ihipStream_tbEUlT_E0_NS1_11comp_targetILNS1_3genE9ELNS1_11target_archE1100ELNS1_3gpuE3ELNS1_3repE0EEENS1_30default_config_static_selectorELNS0_4arch9wavefront6targetE1EEEvSK_ ; -- Begin function _ZN7rocprim17ROCPRIM_400000_NS6detail17trampoline_kernelINS0_14default_configENS1_22reduce_config_selectorIxEEZNS1_11reduce_implILb1ES3_N6thrust23THRUST_200600_302600_NS6detail15normal_iteratorINS8_10device_ptrIxEEEEPffNS8_4plusIfEEEE10hipError_tPvRmT1_T2_T3_mT4_P12ihipStream_tbEUlT_E0_NS1_11comp_targetILNS1_3genE9ELNS1_11target_archE1100ELNS1_3gpuE3ELNS1_3repE0EEENS1_30default_config_static_selectorELNS0_4arch9wavefront6targetE1EEEvSK_
	.globl	_ZN7rocprim17ROCPRIM_400000_NS6detail17trampoline_kernelINS0_14default_configENS1_22reduce_config_selectorIxEEZNS1_11reduce_implILb1ES3_N6thrust23THRUST_200600_302600_NS6detail15normal_iteratorINS8_10device_ptrIxEEEEPffNS8_4plusIfEEEE10hipError_tPvRmT1_T2_T3_mT4_P12ihipStream_tbEUlT_E0_NS1_11comp_targetILNS1_3genE9ELNS1_11target_archE1100ELNS1_3gpuE3ELNS1_3repE0EEENS1_30default_config_static_selectorELNS0_4arch9wavefront6targetE1EEEvSK_
	.p2align	8
	.type	_ZN7rocprim17ROCPRIM_400000_NS6detail17trampoline_kernelINS0_14default_configENS1_22reduce_config_selectorIxEEZNS1_11reduce_implILb1ES3_N6thrust23THRUST_200600_302600_NS6detail15normal_iteratorINS8_10device_ptrIxEEEEPffNS8_4plusIfEEEE10hipError_tPvRmT1_T2_T3_mT4_P12ihipStream_tbEUlT_E0_NS1_11comp_targetILNS1_3genE9ELNS1_11target_archE1100ELNS1_3gpuE3ELNS1_3repE0EEENS1_30default_config_static_selectorELNS0_4arch9wavefront6targetE1EEEvSK_,@function
_ZN7rocprim17ROCPRIM_400000_NS6detail17trampoline_kernelINS0_14default_configENS1_22reduce_config_selectorIxEEZNS1_11reduce_implILb1ES3_N6thrust23THRUST_200600_302600_NS6detail15normal_iteratorINS8_10device_ptrIxEEEEPffNS8_4plusIfEEEE10hipError_tPvRmT1_T2_T3_mT4_P12ihipStream_tbEUlT_E0_NS1_11comp_targetILNS1_3genE9ELNS1_11target_archE1100ELNS1_3gpuE3ELNS1_3repE0EEENS1_30default_config_static_selectorELNS0_4arch9wavefront6targetE1EEEvSK_: ; @_ZN7rocprim17ROCPRIM_400000_NS6detail17trampoline_kernelINS0_14default_configENS1_22reduce_config_selectorIxEEZNS1_11reduce_implILb1ES3_N6thrust23THRUST_200600_302600_NS6detail15normal_iteratorINS8_10device_ptrIxEEEEPffNS8_4plusIfEEEE10hipError_tPvRmT1_T2_T3_mT4_P12ihipStream_tbEUlT_E0_NS1_11comp_targetILNS1_3genE9ELNS1_11target_archE1100ELNS1_3gpuE3ELNS1_3repE0EEENS1_30default_config_static_selectorELNS0_4arch9wavefront6targetE1EEEvSK_
; %bb.0:
	.section	.rodata,"a",@progbits
	.p2align	6, 0x0
	.amdhsa_kernel _ZN7rocprim17ROCPRIM_400000_NS6detail17trampoline_kernelINS0_14default_configENS1_22reduce_config_selectorIxEEZNS1_11reduce_implILb1ES3_N6thrust23THRUST_200600_302600_NS6detail15normal_iteratorINS8_10device_ptrIxEEEEPffNS8_4plusIfEEEE10hipError_tPvRmT1_T2_T3_mT4_P12ihipStream_tbEUlT_E0_NS1_11comp_targetILNS1_3genE9ELNS1_11target_archE1100ELNS1_3gpuE3ELNS1_3repE0EEENS1_30default_config_static_selectorELNS0_4arch9wavefront6targetE1EEEvSK_
		.amdhsa_group_segment_fixed_size 0
		.amdhsa_private_segment_fixed_size 0
		.amdhsa_kernarg_size 56
		.amdhsa_user_sgpr_count 2
		.amdhsa_user_sgpr_dispatch_ptr 0
		.amdhsa_user_sgpr_queue_ptr 0
		.amdhsa_user_sgpr_kernarg_segment_ptr 1
		.amdhsa_user_sgpr_dispatch_id 0
		.amdhsa_user_sgpr_kernarg_preload_length 0
		.amdhsa_user_sgpr_kernarg_preload_offset 0
		.amdhsa_user_sgpr_private_segment_size 0
		.amdhsa_uses_dynamic_stack 0
		.amdhsa_enable_private_segment 0
		.amdhsa_system_sgpr_workgroup_id_x 1
		.amdhsa_system_sgpr_workgroup_id_y 0
		.amdhsa_system_sgpr_workgroup_id_z 0
		.amdhsa_system_sgpr_workgroup_info 0
		.amdhsa_system_vgpr_workitem_id 0
		.amdhsa_next_free_vgpr 1
		.amdhsa_next_free_sgpr 0
		.amdhsa_accum_offset 4
		.amdhsa_reserve_vcc 0
		.amdhsa_float_round_mode_32 0
		.amdhsa_float_round_mode_16_64 0
		.amdhsa_float_denorm_mode_32 3
		.amdhsa_float_denorm_mode_16_64 3
		.amdhsa_dx10_clamp 1
		.amdhsa_ieee_mode 1
		.amdhsa_fp16_overflow 0
		.amdhsa_tg_split 0
		.amdhsa_exception_fp_ieee_invalid_op 0
		.amdhsa_exception_fp_denorm_src 0
		.amdhsa_exception_fp_ieee_div_zero 0
		.amdhsa_exception_fp_ieee_overflow 0
		.amdhsa_exception_fp_ieee_underflow 0
		.amdhsa_exception_fp_ieee_inexact 0
		.amdhsa_exception_int_div_zero 0
	.end_amdhsa_kernel
	.section	.text._ZN7rocprim17ROCPRIM_400000_NS6detail17trampoline_kernelINS0_14default_configENS1_22reduce_config_selectorIxEEZNS1_11reduce_implILb1ES3_N6thrust23THRUST_200600_302600_NS6detail15normal_iteratorINS8_10device_ptrIxEEEEPffNS8_4plusIfEEEE10hipError_tPvRmT1_T2_T3_mT4_P12ihipStream_tbEUlT_E0_NS1_11comp_targetILNS1_3genE9ELNS1_11target_archE1100ELNS1_3gpuE3ELNS1_3repE0EEENS1_30default_config_static_selectorELNS0_4arch9wavefront6targetE1EEEvSK_,"axG",@progbits,_ZN7rocprim17ROCPRIM_400000_NS6detail17trampoline_kernelINS0_14default_configENS1_22reduce_config_selectorIxEEZNS1_11reduce_implILb1ES3_N6thrust23THRUST_200600_302600_NS6detail15normal_iteratorINS8_10device_ptrIxEEEEPffNS8_4plusIfEEEE10hipError_tPvRmT1_T2_T3_mT4_P12ihipStream_tbEUlT_E0_NS1_11comp_targetILNS1_3genE9ELNS1_11target_archE1100ELNS1_3gpuE3ELNS1_3repE0EEENS1_30default_config_static_selectorELNS0_4arch9wavefront6targetE1EEEvSK_,comdat
.Lfunc_end484:
	.size	_ZN7rocprim17ROCPRIM_400000_NS6detail17trampoline_kernelINS0_14default_configENS1_22reduce_config_selectorIxEEZNS1_11reduce_implILb1ES3_N6thrust23THRUST_200600_302600_NS6detail15normal_iteratorINS8_10device_ptrIxEEEEPffNS8_4plusIfEEEE10hipError_tPvRmT1_T2_T3_mT4_P12ihipStream_tbEUlT_E0_NS1_11comp_targetILNS1_3genE9ELNS1_11target_archE1100ELNS1_3gpuE3ELNS1_3repE0EEENS1_30default_config_static_selectorELNS0_4arch9wavefront6targetE1EEEvSK_, .Lfunc_end484-_ZN7rocprim17ROCPRIM_400000_NS6detail17trampoline_kernelINS0_14default_configENS1_22reduce_config_selectorIxEEZNS1_11reduce_implILb1ES3_N6thrust23THRUST_200600_302600_NS6detail15normal_iteratorINS8_10device_ptrIxEEEEPffNS8_4plusIfEEEE10hipError_tPvRmT1_T2_T3_mT4_P12ihipStream_tbEUlT_E0_NS1_11comp_targetILNS1_3genE9ELNS1_11target_archE1100ELNS1_3gpuE3ELNS1_3repE0EEENS1_30default_config_static_selectorELNS0_4arch9wavefront6targetE1EEEvSK_
                                        ; -- End function
	.set _ZN7rocprim17ROCPRIM_400000_NS6detail17trampoline_kernelINS0_14default_configENS1_22reduce_config_selectorIxEEZNS1_11reduce_implILb1ES3_N6thrust23THRUST_200600_302600_NS6detail15normal_iteratorINS8_10device_ptrIxEEEEPffNS8_4plusIfEEEE10hipError_tPvRmT1_T2_T3_mT4_P12ihipStream_tbEUlT_E0_NS1_11comp_targetILNS1_3genE9ELNS1_11target_archE1100ELNS1_3gpuE3ELNS1_3repE0EEENS1_30default_config_static_selectorELNS0_4arch9wavefront6targetE1EEEvSK_.num_vgpr, 0
	.set _ZN7rocprim17ROCPRIM_400000_NS6detail17trampoline_kernelINS0_14default_configENS1_22reduce_config_selectorIxEEZNS1_11reduce_implILb1ES3_N6thrust23THRUST_200600_302600_NS6detail15normal_iteratorINS8_10device_ptrIxEEEEPffNS8_4plusIfEEEE10hipError_tPvRmT1_T2_T3_mT4_P12ihipStream_tbEUlT_E0_NS1_11comp_targetILNS1_3genE9ELNS1_11target_archE1100ELNS1_3gpuE3ELNS1_3repE0EEENS1_30default_config_static_selectorELNS0_4arch9wavefront6targetE1EEEvSK_.num_agpr, 0
	.set _ZN7rocprim17ROCPRIM_400000_NS6detail17trampoline_kernelINS0_14default_configENS1_22reduce_config_selectorIxEEZNS1_11reduce_implILb1ES3_N6thrust23THRUST_200600_302600_NS6detail15normal_iteratorINS8_10device_ptrIxEEEEPffNS8_4plusIfEEEE10hipError_tPvRmT1_T2_T3_mT4_P12ihipStream_tbEUlT_E0_NS1_11comp_targetILNS1_3genE9ELNS1_11target_archE1100ELNS1_3gpuE3ELNS1_3repE0EEENS1_30default_config_static_selectorELNS0_4arch9wavefront6targetE1EEEvSK_.numbered_sgpr, 0
	.set _ZN7rocprim17ROCPRIM_400000_NS6detail17trampoline_kernelINS0_14default_configENS1_22reduce_config_selectorIxEEZNS1_11reduce_implILb1ES3_N6thrust23THRUST_200600_302600_NS6detail15normal_iteratorINS8_10device_ptrIxEEEEPffNS8_4plusIfEEEE10hipError_tPvRmT1_T2_T3_mT4_P12ihipStream_tbEUlT_E0_NS1_11comp_targetILNS1_3genE9ELNS1_11target_archE1100ELNS1_3gpuE3ELNS1_3repE0EEENS1_30default_config_static_selectorELNS0_4arch9wavefront6targetE1EEEvSK_.num_named_barrier, 0
	.set _ZN7rocprim17ROCPRIM_400000_NS6detail17trampoline_kernelINS0_14default_configENS1_22reduce_config_selectorIxEEZNS1_11reduce_implILb1ES3_N6thrust23THRUST_200600_302600_NS6detail15normal_iteratorINS8_10device_ptrIxEEEEPffNS8_4plusIfEEEE10hipError_tPvRmT1_T2_T3_mT4_P12ihipStream_tbEUlT_E0_NS1_11comp_targetILNS1_3genE9ELNS1_11target_archE1100ELNS1_3gpuE3ELNS1_3repE0EEENS1_30default_config_static_selectorELNS0_4arch9wavefront6targetE1EEEvSK_.private_seg_size, 0
	.set _ZN7rocprim17ROCPRIM_400000_NS6detail17trampoline_kernelINS0_14default_configENS1_22reduce_config_selectorIxEEZNS1_11reduce_implILb1ES3_N6thrust23THRUST_200600_302600_NS6detail15normal_iteratorINS8_10device_ptrIxEEEEPffNS8_4plusIfEEEE10hipError_tPvRmT1_T2_T3_mT4_P12ihipStream_tbEUlT_E0_NS1_11comp_targetILNS1_3genE9ELNS1_11target_archE1100ELNS1_3gpuE3ELNS1_3repE0EEENS1_30default_config_static_selectorELNS0_4arch9wavefront6targetE1EEEvSK_.uses_vcc, 0
	.set _ZN7rocprim17ROCPRIM_400000_NS6detail17trampoline_kernelINS0_14default_configENS1_22reduce_config_selectorIxEEZNS1_11reduce_implILb1ES3_N6thrust23THRUST_200600_302600_NS6detail15normal_iteratorINS8_10device_ptrIxEEEEPffNS8_4plusIfEEEE10hipError_tPvRmT1_T2_T3_mT4_P12ihipStream_tbEUlT_E0_NS1_11comp_targetILNS1_3genE9ELNS1_11target_archE1100ELNS1_3gpuE3ELNS1_3repE0EEENS1_30default_config_static_selectorELNS0_4arch9wavefront6targetE1EEEvSK_.uses_flat_scratch, 0
	.set _ZN7rocprim17ROCPRIM_400000_NS6detail17trampoline_kernelINS0_14default_configENS1_22reduce_config_selectorIxEEZNS1_11reduce_implILb1ES3_N6thrust23THRUST_200600_302600_NS6detail15normal_iteratorINS8_10device_ptrIxEEEEPffNS8_4plusIfEEEE10hipError_tPvRmT1_T2_T3_mT4_P12ihipStream_tbEUlT_E0_NS1_11comp_targetILNS1_3genE9ELNS1_11target_archE1100ELNS1_3gpuE3ELNS1_3repE0EEENS1_30default_config_static_selectorELNS0_4arch9wavefront6targetE1EEEvSK_.has_dyn_sized_stack, 0
	.set _ZN7rocprim17ROCPRIM_400000_NS6detail17trampoline_kernelINS0_14default_configENS1_22reduce_config_selectorIxEEZNS1_11reduce_implILb1ES3_N6thrust23THRUST_200600_302600_NS6detail15normal_iteratorINS8_10device_ptrIxEEEEPffNS8_4plusIfEEEE10hipError_tPvRmT1_T2_T3_mT4_P12ihipStream_tbEUlT_E0_NS1_11comp_targetILNS1_3genE9ELNS1_11target_archE1100ELNS1_3gpuE3ELNS1_3repE0EEENS1_30default_config_static_selectorELNS0_4arch9wavefront6targetE1EEEvSK_.has_recursion, 0
	.set _ZN7rocprim17ROCPRIM_400000_NS6detail17trampoline_kernelINS0_14default_configENS1_22reduce_config_selectorIxEEZNS1_11reduce_implILb1ES3_N6thrust23THRUST_200600_302600_NS6detail15normal_iteratorINS8_10device_ptrIxEEEEPffNS8_4plusIfEEEE10hipError_tPvRmT1_T2_T3_mT4_P12ihipStream_tbEUlT_E0_NS1_11comp_targetILNS1_3genE9ELNS1_11target_archE1100ELNS1_3gpuE3ELNS1_3repE0EEENS1_30default_config_static_selectorELNS0_4arch9wavefront6targetE1EEEvSK_.has_indirect_call, 0
	.section	.AMDGPU.csdata,"",@progbits
; Kernel info:
; codeLenInByte = 0
; TotalNumSgprs: 6
; NumVgprs: 0
; NumAgprs: 0
; TotalNumVgprs: 0
; ScratchSize: 0
; MemoryBound: 0
; FloatMode: 240
; IeeeMode: 1
; LDSByteSize: 0 bytes/workgroup (compile time only)
; SGPRBlocks: 0
; VGPRBlocks: 0
; NumSGPRsForWavesPerEU: 6
; NumVGPRsForWavesPerEU: 1
; AccumOffset: 4
; Occupancy: 8
; WaveLimiterHint : 0
; COMPUTE_PGM_RSRC2:SCRATCH_EN: 0
; COMPUTE_PGM_RSRC2:USER_SGPR: 2
; COMPUTE_PGM_RSRC2:TRAP_HANDLER: 0
; COMPUTE_PGM_RSRC2:TGID_X_EN: 1
; COMPUTE_PGM_RSRC2:TGID_Y_EN: 0
; COMPUTE_PGM_RSRC2:TGID_Z_EN: 0
; COMPUTE_PGM_RSRC2:TIDIG_COMP_CNT: 0
; COMPUTE_PGM_RSRC3_GFX90A:ACCUM_OFFSET: 0
; COMPUTE_PGM_RSRC3_GFX90A:TG_SPLIT: 0
	.section	.text._ZN7rocprim17ROCPRIM_400000_NS6detail17trampoline_kernelINS0_14default_configENS1_22reduce_config_selectorIxEEZNS1_11reduce_implILb1ES3_N6thrust23THRUST_200600_302600_NS6detail15normal_iteratorINS8_10device_ptrIxEEEEPffNS8_4plusIfEEEE10hipError_tPvRmT1_T2_T3_mT4_P12ihipStream_tbEUlT_E0_NS1_11comp_targetILNS1_3genE8ELNS1_11target_archE1030ELNS1_3gpuE2ELNS1_3repE0EEENS1_30default_config_static_selectorELNS0_4arch9wavefront6targetE1EEEvSK_,"axG",@progbits,_ZN7rocprim17ROCPRIM_400000_NS6detail17trampoline_kernelINS0_14default_configENS1_22reduce_config_selectorIxEEZNS1_11reduce_implILb1ES3_N6thrust23THRUST_200600_302600_NS6detail15normal_iteratorINS8_10device_ptrIxEEEEPffNS8_4plusIfEEEE10hipError_tPvRmT1_T2_T3_mT4_P12ihipStream_tbEUlT_E0_NS1_11comp_targetILNS1_3genE8ELNS1_11target_archE1030ELNS1_3gpuE2ELNS1_3repE0EEENS1_30default_config_static_selectorELNS0_4arch9wavefront6targetE1EEEvSK_,comdat
	.protected	_ZN7rocprim17ROCPRIM_400000_NS6detail17trampoline_kernelINS0_14default_configENS1_22reduce_config_selectorIxEEZNS1_11reduce_implILb1ES3_N6thrust23THRUST_200600_302600_NS6detail15normal_iteratorINS8_10device_ptrIxEEEEPffNS8_4plusIfEEEE10hipError_tPvRmT1_T2_T3_mT4_P12ihipStream_tbEUlT_E0_NS1_11comp_targetILNS1_3genE8ELNS1_11target_archE1030ELNS1_3gpuE2ELNS1_3repE0EEENS1_30default_config_static_selectorELNS0_4arch9wavefront6targetE1EEEvSK_ ; -- Begin function _ZN7rocprim17ROCPRIM_400000_NS6detail17trampoline_kernelINS0_14default_configENS1_22reduce_config_selectorIxEEZNS1_11reduce_implILb1ES3_N6thrust23THRUST_200600_302600_NS6detail15normal_iteratorINS8_10device_ptrIxEEEEPffNS8_4plusIfEEEE10hipError_tPvRmT1_T2_T3_mT4_P12ihipStream_tbEUlT_E0_NS1_11comp_targetILNS1_3genE8ELNS1_11target_archE1030ELNS1_3gpuE2ELNS1_3repE0EEENS1_30default_config_static_selectorELNS0_4arch9wavefront6targetE1EEEvSK_
	.globl	_ZN7rocprim17ROCPRIM_400000_NS6detail17trampoline_kernelINS0_14default_configENS1_22reduce_config_selectorIxEEZNS1_11reduce_implILb1ES3_N6thrust23THRUST_200600_302600_NS6detail15normal_iteratorINS8_10device_ptrIxEEEEPffNS8_4plusIfEEEE10hipError_tPvRmT1_T2_T3_mT4_P12ihipStream_tbEUlT_E0_NS1_11comp_targetILNS1_3genE8ELNS1_11target_archE1030ELNS1_3gpuE2ELNS1_3repE0EEENS1_30default_config_static_selectorELNS0_4arch9wavefront6targetE1EEEvSK_
	.p2align	8
	.type	_ZN7rocprim17ROCPRIM_400000_NS6detail17trampoline_kernelINS0_14default_configENS1_22reduce_config_selectorIxEEZNS1_11reduce_implILb1ES3_N6thrust23THRUST_200600_302600_NS6detail15normal_iteratorINS8_10device_ptrIxEEEEPffNS8_4plusIfEEEE10hipError_tPvRmT1_T2_T3_mT4_P12ihipStream_tbEUlT_E0_NS1_11comp_targetILNS1_3genE8ELNS1_11target_archE1030ELNS1_3gpuE2ELNS1_3repE0EEENS1_30default_config_static_selectorELNS0_4arch9wavefront6targetE1EEEvSK_,@function
_ZN7rocprim17ROCPRIM_400000_NS6detail17trampoline_kernelINS0_14default_configENS1_22reduce_config_selectorIxEEZNS1_11reduce_implILb1ES3_N6thrust23THRUST_200600_302600_NS6detail15normal_iteratorINS8_10device_ptrIxEEEEPffNS8_4plusIfEEEE10hipError_tPvRmT1_T2_T3_mT4_P12ihipStream_tbEUlT_E0_NS1_11comp_targetILNS1_3genE8ELNS1_11target_archE1030ELNS1_3gpuE2ELNS1_3repE0EEENS1_30default_config_static_selectorELNS0_4arch9wavefront6targetE1EEEvSK_: ; @_ZN7rocprim17ROCPRIM_400000_NS6detail17trampoline_kernelINS0_14default_configENS1_22reduce_config_selectorIxEEZNS1_11reduce_implILb1ES3_N6thrust23THRUST_200600_302600_NS6detail15normal_iteratorINS8_10device_ptrIxEEEEPffNS8_4plusIfEEEE10hipError_tPvRmT1_T2_T3_mT4_P12ihipStream_tbEUlT_E0_NS1_11comp_targetILNS1_3genE8ELNS1_11target_archE1030ELNS1_3gpuE2ELNS1_3repE0EEENS1_30default_config_static_selectorELNS0_4arch9wavefront6targetE1EEEvSK_
; %bb.0:
	.section	.rodata,"a",@progbits
	.p2align	6, 0x0
	.amdhsa_kernel _ZN7rocprim17ROCPRIM_400000_NS6detail17trampoline_kernelINS0_14default_configENS1_22reduce_config_selectorIxEEZNS1_11reduce_implILb1ES3_N6thrust23THRUST_200600_302600_NS6detail15normal_iteratorINS8_10device_ptrIxEEEEPffNS8_4plusIfEEEE10hipError_tPvRmT1_T2_T3_mT4_P12ihipStream_tbEUlT_E0_NS1_11comp_targetILNS1_3genE8ELNS1_11target_archE1030ELNS1_3gpuE2ELNS1_3repE0EEENS1_30default_config_static_selectorELNS0_4arch9wavefront6targetE1EEEvSK_
		.amdhsa_group_segment_fixed_size 0
		.amdhsa_private_segment_fixed_size 0
		.amdhsa_kernarg_size 56
		.amdhsa_user_sgpr_count 2
		.amdhsa_user_sgpr_dispatch_ptr 0
		.amdhsa_user_sgpr_queue_ptr 0
		.amdhsa_user_sgpr_kernarg_segment_ptr 1
		.amdhsa_user_sgpr_dispatch_id 0
		.amdhsa_user_sgpr_kernarg_preload_length 0
		.amdhsa_user_sgpr_kernarg_preload_offset 0
		.amdhsa_user_sgpr_private_segment_size 0
		.amdhsa_uses_dynamic_stack 0
		.amdhsa_enable_private_segment 0
		.amdhsa_system_sgpr_workgroup_id_x 1
		.amdhsa_system_sgpr_workgroup_id_y 0
		.amdhsa_system_sgpr_workgroup_id_z 0
		.amdhsa_system_sgpr_workgroup_info 0
		.amdhsa_system_vgpr_workitem_id 0
		.amdhsa_next_free_vgpr 1
		.amdhsa_next_free_sgpr 0
		.amdhsa_accum_offset 4
		.amdhsa_reserve_vcc 0
		.amdhsa_float_round_mode_32 0
		.amdhsa_float_round_mode_16_64 0
		.amdhsa_float_denorm_mode_32 3
		.amdhsa_float_denorm_mode_16_64 3
		.amdhsa_dx10_clamp 1
		.amdhsa_ieee_mode 1
		.amdhsa_fp16_overflow 0
		.amdhsa_tg_split 0
		.amdhsa_exception_fp_ieee_invalid_op 0
		.amdhsa_exception_fp_denorm_src 0
		.amdhsa_exception_fp_ieee_div_zero 0
		.amdhsa_exception_fp_ieee_overflow 0
		.amdhsa_exception_fp_ieee_underflow 0
		.amdhsa_exception_fp_ieee_inexact 0
		.amdhsa_exception_int_div_zero 0
	.end_amdhsa_kernel
	.section	.text._ZN7rocprim17ROCPRIM_400000_NS6detail17trampoline_kernelINS0_14default_configENS1_22reduce_config_selectorIxEEZNS1_11reduce_implILb1ES3_N6thrust23THRUST_200600_302600_NS6detail15normal_iteratorINS8_10device_ptrIxEEEEPffNS8_4plusIfEEEE10hipError_tPvRmT1_T2_T3_mT4_P12ihipStream_tbEUlT_E0_NS1_11comp_targetILNS1_3genE8ELNS1_11target_archE1030ELNS1_3gpuE2ELNS1_3repE0EEENS1_30default_config_static_selectorELNS0_4arch9wavefront6targetE1EEEvSK_,"axG",@progbits,_ZN7rocprim17ROCPRIM_400000_NS6detail17trampoline_kernelINS0_14default_configENS1_22reduce_config_selectorIxEEZNS1_11reduce_implILb1ES3_N6thrust23THRUST_200600_302600_NS6detail15normal_iteratorINS8_10device_ptrIxEEEEPffNS8_4plusIfEEEE10hipError_tPvRmT1_T2_T3_mT4_P12ihipStream_tbEUlT_E0_NS1_11comp_targetILNS1_3genE8ELNS1_11target_archE1030ELNS1_3gpuE2ELNS1_3repE0EEENS1_30default_config_static_selectorELNS0_4arch9wavefront6targetE1EEEvSK_,comdat
.Lfunc_end485:
	.size	_ZN7rocprim17ROCPRIM_400000_NS6detail17trampoline_kernelINS0_14default_configENS1_22reduce_config_selectorIxEEZNS1_11reduce_implILb1ES3_N6thrust23THRUST_200600_302600_NS6detail15normal_iteratorINS8_10device_ptrIxEEEEPffNS8_4plusIfEEEE10hipError_tPvRmT1_T2_T3_mT4_P12ihipStream_tbEUlT_E0_NS1_11comp_targetILNS1_3genE8ELNS1_11target_archE1030ELNS1_3gpuE2ELNS1_3repE0EEENS1_30default_config_static_selectorELNS0_4arch9wavefront6targetE1EEEvSK_, .Lfunc_end485-_ZN7rocprim17ROCPRIM_400000_NS6detail17trampoline_kernelINS0_14default_configENS1_22reduce_config_selectorIxEEZNS1_11reduce_implILb1ES3_N6thrust23THRUST_200600_302600_NS6detail15normal_iteratorINS8_10device_ptrIxEEEEPffNS8_4plusIfEEEE10hipError_tPvRmT1_T2_T3_mT4_P12ihipStream_tbEUlT_E0_NS1_11comp_targetILNS1_3genE8ELNS1_11target_archE1030ELNS1_3gpuE2ELNS1_3repE0EEENS1_30default_config_static_selectorELNS0_4arch9wavefront6targetE1EEEvSK_
                                        ; -- End function
	.set _ZN7rocprim17ROCPRIM_400000_NS6detail17trampoline_kernelINS0_14default_configENS1_22reduce_config_selectorIxEEZNS1_11reduce_implILb1ES3_N6thrust23THRUST_200600_302600_NS6detail15normal_iteratorINS8_10device_ptrIxEEEEPffNS8_4plusIfEEEE10hipError_tPvRmT1_T2_T3_mT4_P12ihipStream_tbEUlT_E0_NS1_11comp_targetILNS1_3genE8ELNS1_11target_archE1030ELNS1_3gpuE2ELNS1_3repE0EEENS1_30default_config_static_selectorELNS0_4arch9wavefront6targetE1EEEvSK_.num_vgpr, 0
	.set _ZN7rocprim17ROCPRIM_400000_NS6detail17trampoline_kernelINS0_14default_configENS1_22reduce_config_selectorIxEEZNS1_11reduce_implILb1ES3_N6thrust23THRUST_200600_302600_NS6detail15normal_iteratorINS8_10device_ptrIxEEEEPffNS8_4plusIfEEEE10hipError_tPvRmT1_T2_T3_mT4_P12ihipStream_tbEUlT_E0_NS1_11comp_targetILNS1_3genE8ELNS1_11target_archE1030ELNS1_3gpuE2ELNS1_3repE0EEENS1_30default_config_static_selectorELNS0_4arch9wavefront6targetE1EEEvSK_.num_agpr, 0
	.set _ZN7rocprim17ROCPRIM_400000_NS6detail17trampoline_kernelINS0_14default_configENS1_22reduce_config_selectorIxEEZNS1_11reduce_implILb1ES3_N6thrust23THRUST_200600_302600_NS6detail15normal_iteratorINS8_10device_ptrIxEEEEPffNS8_4plusIfEEEE10hipError_tPvRmT1_T2_T3_mT4_P12ihipStream_tbEUlT_E0_NS1_11comp_targetILNS1_3genE8ELNS1_11target_archE1030ELNS1_3gpuE2ELNS1_3repE0EEENS1_30default_config_static_selectorELNS0_4arch9wavefront6targetE1EEEvSK_.numbered_sgpr, 0
	.set _ZN7rocprim17ROCPRIM_400000_NS6detail17trampoline_kernelINS0_14default_configENS1_22reduce_config_selectorIxEEZNS1_11reduce_implILb1ES3_N6thrust23THRUST_200600_302600_NS6detail15normal_iteratorINS8_10device_ptrIxEEEEPffNS8_4plusIfEEEE10hipError_tPvRmT1_T2_T3_mT4_P12ihipStream_tbEUlT_E0_NS1_11comp_targetILNS1_3genE8ELNS1_11target_archE1030ELNS1_3gpuE2ELNS1_3repE0EEENS1_30default_config_static_selectorELNS0_4arch9wavefront6targetE1EEEvSK_.num_named_barrier, 0
	.set _ZN7rocprim17ROCPRIM_400000_NS6detail17trampoline_kernelINS0_14default_configENS1_22reduce_config_selectorIxEEZNS1_11reduce_implILb1ES3_N6thrust23THRUST_200600_302600_NS6detail15normal_iteratorINS8_10device_ptrIxEEEEPffNS8_4plusIfEEEE10hipError_tPvRmT1_T2_T3_mT4_P12ihipStream_tbEUlT_E0_NS1_11comp_targetILNS1_3genE8ELNS1_11target_archE1030ELNS1_3gpuE2ELNS1_3repE0EEENS1_30default_config_static_selectorELNS0_4arch9wavefront6targetE1EEEvSK_.private_seg_size, 0
	.set _ZN7rocprim17ROCPRIM_400000_NS6detail17trampoline_kernelINS0_14default_configENS1_22reduce_config_selectorIxEEZNS1_11reduce_implILb1ES3_N6thrust23THRUST_200600_302600_NS6detail15normal_iteratorINS8_10device_ptrIxEEEEPffNS8_4plusIfEEEE10hipError_tPvRmT1_T2_T3_mT4_P12ihipStream_tbEUlT_E0_NS1_11comp_targetILNS1_3genE8ELNS1_11target_archE1030ELNS1_3gpuE2ELNS1_3repE0EEENS1_30default_config_static_selectorELNS0_4arch9wavefront6targetE1EEEvSK_.uses_vcc, 0
	.set _ZN7rocprim17ROCPRIM_400000_NS6detail17trampoline_kernelINS0_14default_configENS1_22reduce_config_selectorIxEEZNS1_11reduce_implILb1ES3_N6thrust23THRUST_200600_302600_NS6detail15normal_iteratorINS8_10device_ptrIxEEEEPffNS8_4plusIfEEEE10hipError_tPvRmT1_T2_T3_mT4_P12ihipStream_tbEUlT_E0_NS1_11comp_targetILNS1_3genE8ELNS1_11target_archE1030ELNS1_3gpuE2ELNS1_3repE0EEENS1_30default_config_static_selectorELNS0_4arch9wavefront6targetE1EEEvSK_.uses_flat_scratch, 0
	.set _ZN7rocprim17ROCPRIM_400000_NS6detail17trampoline_kernelINS0_14default_configENS1_22reduce_config_selectorIxEEZNS1_11reduce_implILb1ES3_N6thrust23THRUST_200600_302600_NS6detail15normal_iteratorINS8_10device_ptrIxEEEEPffNS8_4plusIfEEEE10hipError_tPvRmT1_T2_T3_mT4_P12ihipStream_tbEUlT_E0_NS1_11comp_targetILNS1_3genE8ELNS1_11target_archE1030ELNS1_3gpuE2ELNS1_3repE0EEENS1_30default_config_static_selectorELNS0_4arch9wavefront6targetE1EEEvSK_.has_dyn_sized_stack, 0
	.set _ZN7rocprim17ROCPRIM_400000_NS6detail17trampoline_kernelINS0_14default_configENS1_22reduce_config_selectorIxEEZNS1_11reduce_implILb1ES3_N6thrust23THRUST_200600_302600_NS6detail15normal_iteratorINS8_10device_ptrIxEEEEPffNS8_4plusIfEEEE10hipError_tPvRmT1_T2_T3_mT4_P12ihipStream_tbEUlT_E0_NS1_11comp_targetILNS1_3genE8ELNS1_11target_archE1030ELNS1_3gpuE2ELNS1_3repE0EEENS1_30default_config_static_selectorELNS0_4arch9wavefront6targetE1EEEvSK_.has_recursion, 0
	.set _ZN7rocprim17ROCPRIM_400000_NS6detail17trampoline_kernelINS0_14default_configENS1_22reduce_config_selectorIxEEZNS1_11reduce_implILb1ES3_N6thrust23THRUST_200600_302600_NS6detail15normal_iteratorINS8_10device_ptrIxEEEEPffNS8_4plusIfEEEE10hipError_tPvRmT1_T2_T3_mT4_P12ihipStream_tbEUlT_E0_NS1_11comp_targetILNS1_3genE8ELNS1_11target_archE1030ELNS1_3gpuE2ELNS1_3repE0EEENS1_30default_config_static_selectorELNS0_4arch9wavefront6targetE1EEEvSK_.has_indirect_call, 0
	.section	.AMDGPU.csdata,"",@progbits
; Kernel info:
; codeLenInByte = 0
; TotalNumSgprs: 6
; NumVgprs: 0
; NumAgprs: 0
; TotalNumVgprs: 0
; ScratchSize: 0
; MemoryBound: 0
; FloatMode: 240
; IeeeMode: 1
; LDSByteSize: 0 bytes/workgroup (compile time only)
; SGPRBlocks: 0
; VGPRBlocks: 0
; NumSGPRsForWavesPerEU: 6
; NumVGPRsForWavesPerEU: 1
; AccumOffset: 4
; Occupancy: 8
; WaveLimiterHint : 0
; COMPUTE_PGM_RSRC2:SCRATCH_EN: 0
; COMPUTE_PGM_RSRC2:USER_SGPR: 2
; COMPUTE_PGM_RSRC2:TRAP_HANDLER: 0
; COMPUTE_PGM_RSRC2:TGID_X_EN: 1
; COMPUTE_PGM_RSRC2:TGID_Y_EN: 0
; COMPUTE_PGM_RSRC2:TGID_Z_EN: 0
; COMPUTE_PGM_RSRC2:TIDIG_COMP_CNT: 0
; COMPUTE_PGM_RSRC3_GFX90A:ACCUM_OFFSET: 0
; COMPUTE_PGM_RSRC3_GFX90A:TG_SPLIT: 0
	.section	.text._ZN7rocprim17ROCPRIM_400000_NS6detail17trampoline_kernelINS0_14default_configENS1_22reduce_config_selectorIxEEZNS1_11reduce_implILb1ES3_N6thrust23THRUST_200600_302600_NS6detail15normal_iteratorINS8_10device_ptrIxEEEEPffNS8_4plusIfEEEE10hipError_tPvRmT1_T2_T3_mT4_P12ihipStream_tbEUlT_E1_NS1_11comp_targetILNS1_3genE0ELNS1_11target_archE4294967295ELNS1_3gpuE0ELNS1_3repE0EEENS1_30default_config_static_selectorELNS0_4arch9wavefront6targetE1EEEvSK_,"axG",@progbits,_ZN7rocprim17ROCPRIM_400000_NS6detail17trampoline_kernelINS0_14default_configENS1_22reduce_config_selectorIxEEZNS1_11reduce_implILb1ES3_N6thrust23THRUST_200600_302600_NS6detail15normal_iteratorINS8_10device_ptrIxEEEEPffNS8_4plusIfEEEE10hipError_tPvRmT1_T2_T3_mT4_P12ihipStream_tbEUlT_E1_NS1_11comp_targetILNS1_3genE0ELNS1_11target_archE4294967295ELNS1_3gpuE0ELNS1_3repE0EEENS1_30default_config_static_selectorELNS0_4arch9wavefront6targetE1EEEvSK_,comdat
	.protected	_ZN7rocprim17ROCPRIM_400000_NS6detail17trampoline_kernelINS0_14default_configENS1_22reduce_config_selectorIxEEZNS1_11reduce_implILb1ES3_N6thrust23THRUST_200600_302600_NS6detail15normal_iteratorINS8_10device_ptrIxEEEEPffNS8_4plusIfEEEE10hipError_tPvRmT1_T2_T3_mT4_P12ihipStream_tbEUlT_E1_NS1_11comp_targetILNS1_3genE0ELNS1_11target_archE4294967295ELNS1_3gpuE0ELNS1_3repE0EEENS1_30default_config_static_selectorELNS0_4arch9wavefront6targetE1EEEvSK_ ; -- Begin function _ZN7rocprim17ROCPRIM_400000_NS6detail17trampoline_kernelINS0_14default_configENS1_22reduce_config_selectorIxEEZNS1_11reduce_implILb1ES3_N6thrust23THRUST_200600_302600_NS6detail15normal_iteratorINS8_10device_ptrIxEEEEPffNS8_4plusIfEEEE10hipError_tPvRmT1_T2_T3_mT4_P12ihipStream_tbEUlT_E1_NS1_11comp_targetILNS1_3genE0ELNS1_11target_archE4294967295ELNS1_3gpuE0ELNS1_3repE0EEENS1_30default_config_static_selectorELNS0_4arch9wavefront6targetE1EEEvSK_
	.globl	_ZN7rocprim17ROCPRIM_400000_NS6detail17trampoline_kernelINS0_14default_configENS1_22reduce_config_selectorIxEEZNS1_11reduce_implILb1ES3_N6thrust23THRUST_200600_302600_NS6detail15normal_iteratorINS8_10device_ptrIxEEEEPffNS8_4plusIfEEEE10hipError_tPvRmT1_T2_T3_mT4_P12ihipStream_tbEUlT_E1_NS1_11comp_targetILNS1_3genE0ELNS1_11target_archE4294967295ELNS1_3gpuE0ELNS1_3repE0EEENS1_30default_config_static_selectorELNS0_4arch9wavefront6targetE1EEEvSK_
	.p2align	8
	.type	_ZN7rocprim17ROCPRIM_400000_NS6detail17trampoline_kernelINS0_14default_configENS1_22reduce_config_selectorIxEEZNS1_11reduce_implILb1ES3_N6thrust23THRUST_200600_302600_NS6detail15normal_iteratorINS8_10device_ptrIxEEEEPffNS8_4plusIfEEEE10hipError_tPvRmT1_T2_T3_mT4_P12ihipStream_tbEUlT_E1_NS1_11comp_targetILNS1_3genE0ELNS1_11target_archE4294967295ELNS1_3gpuE0ELNS1_3repE0EEENS1_30default_config_static_selectorELNS0_4arch9wavefront6targetE1EEEvSK_,@function
_ZN7rocprim17ROCPRIM_400000_NS6detail17trampoline_kernelINS0_14default_configENS1_22reduce_config_selectorIxEEZNS1_11reduce_implILb1ES3_N6thrust23THRUST_200600_302600_NS6detail15normal_iteratorINS8_10device_ptrIxEEEEPffNS8_4plusIfEEEE10hipError_tPvRmT1_T2_T3_mT4_P12ihipStream_tbEUlT_E1_NS1_11comp_targetILNS1_3genE0ELNS1_11target_archE4294967295ELNS1_3gpuE0ELNS1_3repE0EEENS1_30default_config_static_selectorELNS0_4arch9wavefront6targetE1EEEvSK_: ; @_ZN7rocprim17ROCPRIM_400000_NS6detail17trampoline_kernelINS0_14default_configENS1_22reduce_config_selectorIxEEZNS1_11reduce_implILb1ES3_N6thrust23THRUST_200600_302600_NS6detail15normal_iteratorINS8_10device_ptrIxEEEEPffNS8_4plusIfEEEE10hipError_tPvRmT1_T2_T3_mT4_P12ihipStream_tbEUlT_E1_NS1_11comp_targetILNS1_3genE0ELNS1_11target_archE4294967295ELNS1_3gpuE0ELNS1_3repE0EEENS1_30default_config_static_selectorELNS0_4arch9wavefront6targetE1EEEvSK_
; %bb.0:
	s_load_dword s33, s[0:1], 0x4
	s_load_dwordx4 s[36:39], s[0:1], 0x8
	s_waitcnt lgkmcnt(0)
	s_cmp_lt_i32 s33, 4
	s_cbranch_scc1 .LBB486_11
; %bb.1:
	s_cmp_gt_i32 s33, 7
	s_cbranch_scc0 .LBB486_12
; %bb.2:
	s_cmp_gt_i32 s33, 15
	s_cbranch_scc0 .LBB486_13
; %bb.3:
	s_cmp_eq_u32 s33, 16
	s_mov_b64 s[34:35], 0
	s_cbranch_scc0 .LBB486_14
; %bb.4:
	s_mov_b32 s3, 0
	s_lshl_b32 s4, s2, 12
	s_mov_b32 s5, s3
	s_lshr_b64 s[6:7], s[38:39], 12
	s_lshl_b64 s[8:9], s[4:5], 3
	s_add_u32 s40, s36, s8
	s_addc_u32 s41, s37, s9
	s_cmp_lg_u64 s[6:7], s[2:3]
	s_cbranch_scc0 .LBB486_23
; %bb.5:
	v_lshlrev_b32_e32 v8, 3, v0
	v_mov_b32_e32 v9, 0
	v_lshl_add_u64 v[2:3], s[40:41], 0, v[8:9]
	s_movk_i32 s6, 0x2000
	global_load_dwordx2 v[4:5], v8, s[40:41]
	global_load_dwordx2 v[6:7], v8, s[40:41] offset:2048
	v_add_co_u32_e32 v8, vcc, s6, v2
	s_movk_i32 s5, 0x1000
	s_nop 0
	v_addc_co_u32_e32 v9, vcc, 0, v3, vcc
	v_add_co_u32_e32 v12, vcc, s5, v2
	global_load_dwordx2 v[10:11], v[8:9], off offset:-4096
	global_load_dwordx2 v[14:15], v[8:9], off
	v_addc_co_u32_e32 v13, vcc, 0, v3, vcc
	global_load_dwordx2 v[12:13], v[12:13], off offset:2048
	s_movk_i32 s5, 0x3000
	global_load_dwordx2 v[8:9], v[8:9], off offset:2048
	v_add_co_u32_e32 v16, vcc, s5, v2
	s_movk_i32 s6, 0x4000
	s_nop 0
	v_addc_co_u32_e32 v17, vcc, 0, v3, vcc
	v_add_co_u32_e32 v18, vcc, s6, v2
	s_movk_i32 s7, 0x5000
	s_nop 0
	v_addc_co_u32_e32 v19, vcc, 0, v3, vcc
	;; [unrolled: 4-line block ×4, first 2 shown]
	global_load_dwordx2 v[24:25], v[18:19], off offset:-4096
	global_load_dwordx2 v[26:27], v[18:19], off
	global_load_dwordx2 v[28:29], v[18:19], off offset:2048
	global_load_dwordx2 v[30:31], v[16:17], off offset:2048
	;; [unrolled: 1-line block ×3, first 2 shown]
	global_load_dwordx2 v[34:35], v[22:23], off
	global_load_dwordx2 v[36:37], v[22:23], off offset:2048
	v_add_co_u32_e32 v2, vcc, s8, v2
	s_waitcnt vmcnt(12)
	v_xor_b32_e32 v1, v4, v5
	s_waitcnt vmcnt(11)
	v_xor_b32_e32 v17, v6, v7
	v_ffbh_i32_e32 v16, v5
	v_ffbh_i32_e32 v18, v7
	v_ashrrev_i32_e32 v1, 31, v1
	v_ashrrev_i32_e32 v17, 31, v17
	v_add_u32_e32 v16, -1, v16
	v_add_u32_e32 v18, -1, v18
	v_add_u32_e32 v1, 32, v1
	v_add_u32_e32 v17, 32, v17
	s_waitcnt vmcnt(10)
	v_xor_b32_e32 v19, v10, v11
	v_ffbh_i32_e32 v20, v11
	v_min_u32_e32 v1, v16, v1
	s_waitcnt vmcnt(8)
	v_xor_b32_e32 v21, v12, v13
	v_min_u32_e32 v16, v18, v17
	v_ashrrev_i32_e32 v17, 31, v19
	v_ffbh_i32_e32 v22, v13
	v_add_u32_e32 v18, -1, v20
	v_ashrrev_i32_e32 v19, 31, v21
	v_lshlrev_b64 v[4:5], v1, v[4:5]
	v_add_u32_e32 v17, 32, v17
	v_add_u32_e32 v20, -1, v22
	v_lshlrev_b64 v[6:7], v16, v[6:7]
	v_add_u32_e32 v19, 32, v19
	v_min_u32_e32 v4, 1, v4
	v_min_u32_e32 v17, v18, v17
	;; [unrolled: 1-line block ×4, first 2 shown]
	v_or_b32_e32 v19, v5, v4
	v_lshlrev_b64 v[4:5], v17, v[10:11]
	v_or_b32_e32 v20, v7, v6
	v_lshlrev_b64 v[6:7], v18, v[12:13]
	v_min_u32_e32 v4, 1, v4
	v_min_u32_e32 v6, 1, v6
	v_or_b32_e32 v4, v5, v4
	v_addc_co_u32_e32 v3, vcc, 0, v3, vcc
	v_or_b32_e32 v6, v7, v6
	v_cvt_f32_i32_e32 v7, v4
	global_load_dwordx2 v[4:5], v[2:3], off offset:-4096
	v_cvt_f32_i32_e32 v10, v19
	v_cvt_f32_i32_e32 v11, v20
	;; [unrolled: 1-line block ×3, first 2 shown]
	v_sub_u32_e32 v1, 32, v1
	v_sub_u32_e32 v16, 32, v16
	v_ldexp_f32 v1, v10, v1
	v_ldexp_f32 v10, v11, v16
	v_sub_u32_e32 v11, 32, v17
	v_ldexp_f32 v11, v7, v11
	v_sub_u32_e32 v7, 32, v18
	v_ldexp_f32 v12, v6, v7
	v_xor_b32_e32 v6, v14, v15
	v_ashrrev_i32_e32 v6, 31, v6
	v_ffbh_i32_e32 v7, v15
	v_add_u32_e32 v6, 32, v6
	v_add_u32_e32 v7, -1, v7
	v_min_u32_e32 v13, v7, v6
	v_lshlrev_b64 v[6:7], v13, v[14:15]
	v_min_u32_e32 v6, 1, v6
	v_or_b32_e32 v6, v7, v6
	v_cvt_f32_i32_e32 v14, v6
	s_waitcnt vmcnt(8)
	v_xor_b32_e32 v6, v8, v9
	v_ashrrev_i32_e32 v6, 31, v6
	v_ffbh_i32_e32 v7, v9
	v_add_u32_e32 v6, 32, v6
	v_add_u32_e32 v7, -1, v7
	v_min_u32_e32 v15, v7, v6
	v_lshlrev_b64 v[6:7], v15, v[8:9]
	global_load_dwordx2 v[8:9], v[2:3], off
	v_min_u32_e32 v6, 1, v6
	global_load_dwordx2 v[2:3], v[2:3], off offset:2048
	v_or_b32_e32 v6, v7, v6
	v_cvt_f32_i32_e32 v6, v6
	v_sub_u32_e32 v7, 32, v13
	v_ldexp_f32 v13, v14, v7
	v_sub_u32_e32 v7, 32, v15
	v_ldexp_f32 v14, v6, v7
	s_waitcnt vmcnt(9)
	v_xor_b32_e32 v6, v24, v25
	v_ashrrev_i32_e32 v6, 31, v6
	v_ffbh_i32_e32 v7, v25
	v_add_u32_e32 v6, 32, v6
	v_add_u32_e32 v7, -1, v7
	v_min_u32_e32 v15, v7, v6
	v_lshlrev_b64 v[6:7], v15, v[24:25]
	v_min_u32_e32 v6, 1, v6
	v_or_b32_e32 v6, v7, v6
	v_cvt_f32_i32_e32 v16, v6
	s_waitcnt vmcnt(6)
	v_xor_b32_e32 v6, v30, v31
	v_ashrrev_i32_e32 v6, 31, v6
	v_ffbh_i32_e32 v7, v31
	v_add_u32_e32 v6, 32, v6
	v_add_u32_e32 v7, -1, v7
	v_min_u32_e32 v17, v7, v6
	v_lshlrev_b64 v[6:7], v17, v[30:31]
	v_min_u32_e32 v6, 1, v6
	v_or_b32_e32 v6, v7, v6
	v_cvt_f32_i32_e32 v6, v6
	v_sub_u32_e32 v7, 32, v15
	v_ldexp_f32 v15, v16, v7
	v_sub_u32_e32 v7, 32, v17
	v_ldexp_f32 v16, v6, v7
	v_xor_b32_e32 v6, v26, v27
	v_ashrrev_i32_e32 v6, 31, v6
	v_ffbh_i32_e32 v7, v27
	v_add_u32_e32 v6, 32, v6
	v_add_u32_e32 v7, -1, v7
	v_min_u32_e32 v17, v7, v6
	v_lshlrev_b64 v[6:7], v17, v[26:27]
	v_min_u32_e32 v6, 1, v6
	v_or_b32_e32 v6, v7, v6
	v_cvt_f32_i32_e32 v18, v6
	v_xor_b32_e32 v6, v28, v29
	v_ashrrev_i32_e32 v6, 31, v6
	v_ffbh_i32_e32 v7, v29
	v_add_u32_e32 v6, 32, v6
	v_add_u32_e32 v7, -1, v7
	v_min_u32_e32 v19, v7, v6
	v_lshlrev_b64 v[6:7], v19, v[28:29]
	v_min_u32_e32 v6, 1, v6
	v_or_b32_e32 v6, v7, v6
	v_cvt_f32_i32_e32 v6, v6
	v_sub_u32_e32 v7, 32, v17
	v_sub_u32_e32 v17, 32, v19
	v_ldexp_f32 v7, v18, v7
	v_ldexp_f32 v6, v6, v17
	s_waitcnt vmcnt(2)
	v_xor_b32_e32 v17, v4, v5
	v_ashrrev_i32_e32 v17, 31, v17
	v_ffbh_i32_e32 v18, v5
	v_add_u32_e32 v17, 32, v17
	v_add_u32_e32 v18, -1, v18
	v_min_u32_e32 v17, v18, v17
	v_lshlrev_b64 v[4:5], v17, v[4:5]
	v_min_u32_e32 v4, 1, v4
	v_or_b32_e32 v4, v5, v4
	v_cvt_f32_i32_e32 v18, v4
	v_xor_b32_e32 v4, v32, v33
	v_ashrrev_i32_e32 v4, 31, v4
	v_ffbh_i32_e32 v5, v33
	v_add_u32_e32 v4, 32, v4
	v_add_u32_e32 v5, -1, v5
	v_min_u32_e32 v19, v5, v4
	v_lshlrev_b64 v[4:5], v19, v[32:33]
	v_min_u32_e32 v4, 1, v4
	v_or_b32_e32 v4, v5, v4
	v_cvt_f32_i32_e32 v4, v4
	v_sub_u32_e32 v5, 32, v17
	v_ldexp_f32 v17, v18, v5
	v_sub_u32_e32 v5, 32, v19
	v_ldexp_f32 v18, v4, v5
	s_waitcnt vmcnt(1)
	v_xor_b32_e32 v4, v8, v9
	v_ashrrev_i32_e32 v4, 31, v4
	v_ffbh_i32_e32 v5, v9
	v_add_u32_e32 v4, 32, v4
	v_add_u32_e32 v5, -1, v5
	v_min_u32_e32 v19, v5, v4
	v_lshlrev_b64 v[4:5], v19, v[8:9]
	v_min_u32_e32 v4, 1, v4
	v_or_b32_e32 v4, v5, v4
	s_waitcnt vmcnt(0)
	v_xor_b32_e32 v5, v2, v3
	v_ashrrev_i32_e32 v5, 31, v5
	v_ffbh_i32_e32 v8, v3
	v_add_u32_e32 v5, 32, v5
	v_add_u32_e32 v8, -1, v8
	v_min_u32_e32 v5, v8, v5
	v_lshlrev_b64 v[2:3], v5, v[2:3]
	v_min_u32_e32 v2, 1, v2
	v_cvt_f32_i32_e32 v4, v4
	v_or_b32_e32 v2, v3, v2
	v_cvt_f32_i32_e32 v2, v2
	v_sub_u32_e32 v3, 32, v19
	v_ldexp_f32 v4, v4, v3
	v_sub_u32_e32 v3, 32, v5
	v_ldexp_f32 v5, v2, v3
	v_xor_b32_e32 v2, v34, v35
	v_ashrrev_i32_e32 v2, 31, v2
	v_ffbh_i32_e32 v3, v35
	v_add_u32_e32 v2, 32, v2
	v_add_u32_e32 v3, -1, v3
	v_min_u32_e32 v8, v3, v2
	v_lshlrev_b64 v[2:3], v8, v[34:35]
	v_min_u32_e32 v2, 1, v2
	v_add_f32_e32 v1, v1, v10
	v_or_b32_e32 v2, v3, v2
	v_add_f32_e32 v1, v1, v11
	v_cvt_f32_i32_e32 v9, v2
	v_xor_b32_e32 v2, v36, v37
	v_add_f32_e32 v1, v1, v12
	v_ashrrev_i32_e32 v2, 31, v2
	v_ffbh_i32_e32 v3, v37
	v_add_f32_e32 v1, v1, v13
	v_add_u32_e32 v2, 32, v2
	v_add_u32_e32 v3, -1, v3
	v_add_f32_e32 v1, v1, v14
	v_min_u32_e32 v19, v3, v2
	v_add_f32_e32 v1, v1, v15
	v_lshlrev_b64 v[2:3], v19, v[36:37]
	v_add_f32_e32 v1, v1, v16
	v_min_u32_e32 v2, 1, v2
	v_add_f32_e32 v1, v1, v7
	v_or_b32_e32 v2, v3, v2
	v_add_f32_e32 v1, v1, v6
	v_cvt_f32_i32_e32 v2, v2
	v_add_f32_e32 v1, v1, v17
	v_add_f32_e32 v1, v1, v18
	v_sub_u32_e32 v3, 32, v8
	v_add_f32_e32 v1, v1, v4
	v_ldexp_f32 v3, v9, v3
	v_sub_u32_e32 v8, 32, v19
	v_add_f32_e32 v1, v1, v5
	v_ldexp_f32 v2, v2, v8
	v_add_f32_e32 v1, v1, v3
	v_add_f32_e32 v1, v1, v2
	v_mbcnt_lo_u32_b32 v2, -1, 0
	v_mbcnt_hi_u32_b32 v2, -1, v2
	v_add_f32_dpp v1, v1, v1 quad_perm:[1,0,3,2] row_mask:0xf bank_mask:0xf bound_ctrl:1
	v_lshlrev_b32_e32 v3, 2, v2
	v_or_b32_e32 v4, 0xfc, v3
	v_add_f32_dpp v1, v1, v1 quad_perm:[2,3,0,1] row_mask:0xf bank_mask:0xf bound_ctrl:1
	v_cmp_eq_u32_e32 vcc, 0, v2
	s_nop 0
	v_add_f32_dpp v1, v1, v1 row_ror:4 row_mask:0xf bank_mask:0xf bound_ctrl:1
	s_nop 1
	v_add_f32_dpp v1, v1, v1 row_ror:8 row_mask:0xf bank_mask:0xf bound_ctrl:1
	s_nop 1
	v_add_f32_dpp v1, v1, v1 row_bcast:15 row_mask:0xf bank_mask:0xf bound_ctrl:1
	s_nop 1
	v_add_f32_dpp v1, v1, v1 row_bcast:31 row_mask:0xf bank_mask:0xf bound_ctrl:1
	ds_bpermute_b32 v1, v4, v1
	s_and_saveexec_b64 s[6:7], vcc
	s_cbranch_execz .LBB486_7
; %bb.6:
	v_lshrrev_b32_e32 v4, 4, v0
	v_and_b32_e32 v4, 12, v4
	s_waitcnt lgkmcnt(0)
	ds_write_b32 v4, v1
.LBB486_7:
	s_or_b64 exec, exec, s[6:7]
	v_cmp_gt_u32_e32 vcc, 64, v0
	s_waitcnt lgkmcnt(0)
	s_barrier
	s_and_saveexec_b64 s[6:7], vcc
	s_cbranch_execz .LBB486_9
; %bb.8:
	v_and_b32_e32 v1, 3, v2
	v_lshlrev_b32_e32 v4, 2, v1
	ds_read_b32 v4, v4
	v_cmp_ne_u32_e32 vcc, 3, v1
	s_nop 1
	v_addc_co_u32_e32 v1, vcc, 0, v2, vcc
	v_lshlrev_b32_e32 v1, 2, v1
	s_waitcnt lgkmcnt(0)
	ds_bpermute_b32 v1, v1, v4
	v_or_b32_e32 v2, 8, v3
	s_waitcnt lgkmcnt(0)
	v_add_f32_e32 v1, v4, v1
	ds_bpermute_b32 v2, v2, v1
	s_waitcnt lgkmcnt(0)
	v_add_f32_e32 v1, v1, v2
.LBB486_9:
	s_or_b64 exec, exec, s[6:7]
.LBB486_10:
	v_cmp_eq_u32_e64 s[4:5], 0, v0
	s_and_b64 vcc, exec, s[34:35]
	s_cbranch_vccnz .LBB486_15
	s_branch .LBB486_61
.LBB486_11:
	s_mov_b64 s[4:5], 0
                                        ; implicit-def: $vgpr1
	s_cbranch_execnz .LBB486_110
	s_branch .LBB486_140
.LBB486_12:
	s_mov_b64 s[4:5], 0
                                        ; implicit-def: $vgpr1
	s_cbranch_execnz .LBB486_86
	s_branch .LBB486_94
.LBB486_13:
	s_mov_b64 s[34:35], -1
.LBB486_14:
	s_mov_b64 s[4:5], 0
                                        ; implicit-def: $vgpr1
	s_and_b64 vcc, exec, s[34:35]
	s_cbranch_vccz .LBB486_61
.LBB486_15:
	s_cmp_eq_u32 s33, 8
	s_cbranch_scc0 .LBB486_22
; %bb.16:
	s_mov_b32 s3, 0
	s_lshl_b32 s4, s2, 11
	s_mov_b32 s5, s3
	s_lshr_b64 s[6:7], s[38:39], 11
	s_lshl_b64 s[8:9], s[4:5], 3
	s_add_u32 s16, s36, s8
	s_addc_u32 s17, s37, s9
	s_cmp_lg_u64 s[6:7], s[2:3]
	s_cbranch_scc0 .LBB486_62
; %bb.17:
	v_lshlrev_b32_e32 v2, 3, v0
	v_mov_b32_e32 v3, 0
	v_lshl_add_u64 v[4:5], s[16:17], 0, v[2:3]
	s_movk_i32 s6, 0x2000
	global_load_dwordx2 v[6:7], v2, s[16:17]
	global_load_dwordx2 v[8:9], v2, s[16:17] offset:2048
	v_add_co_u32_e32 v2, vcc, s6, v4
	s_movk_i32 s5, 0x1000
	s_nop 0
	v_addc_co_u32_e32 v3, vcc, 0, v5, vcc
	v_add_co_u32_e32 v12, vcc, s5, v4
	global_load_dwordx2 v[10:11], v[2:3], off offset:-4096
	s_nop 0
	v_addc_co_u32_e32 v13, vcc, 0, v5, vcc
	global_load_dwordx2 v[14:15], v[12:13], off offset:2048
	global_load_dwordx2 v[16:17], v[2:3], off
	global_load_dwordx2 v[18:19], v[2:3], off offset:2048
	s_movk_i32 s5, 0x3000
	v_add_co_u32_e32 v2, vcc, s5, v4
	s_waitcnt vmcnt(5)
	v_xor_b32_e32 v1, v6, v7
	v_addc_co_u32_e32 v3, vcc, 0, v5, vcc
	global_load_dwordx2 v[4:5], v[2:3], off
	global_load_dwordx2 v[12:13], v[2:3], off offset:2048
	s_waitcnt vmcnt(6)
	v_xor_b32_e32 v3, v8, v9
	v_ffbh_i32_e32 v2, v7
	v_ffbh_i32_e32 v20, v9
	v_ashrrev_i32_e32 v1, 31, v1
	v_ashrrev_i32_e32 v3, 31, v3
	v_add_u32_e32 v2, -1, v2
	v_add_u32_e32 v20, -1, v20
	v_add_u32_e32 v1, 32, v1
	v_add_u32_e32 v3, 32, v3
	s_waitcnt vmcnt(5)
	v_xor_b32_e32 v21, v10, v11
	v_ffbh_i32_e32 v22, v11
	s_waitcnt vmcnt(4)
	v_xor_b32_e32 v23, v14, v15
	s_waitcnt vmcnt(2)
	v_xor_b32_e32 v27, v18, v19
	v_min_u32_e32 v1, v2, v1
	v_min_u32_e32 v20, v20, v3
	v_ashrrev_i32_e32 v21, 31, v21
	v_ffbh_i32_e32 v24, v15
	v_ffbh_i32_e32 v28, v19
	v_add_u32_e32 v22, -1, v22
	v_ashrrev_i32_e32 v23, 31, v23
	v_ashrrev_i32_e32 v27, 31, v27
	v_lshlrev_b64 v[2:3], v1, v[6:7]
	v_lshlrev_b64 v[6:7], v20, v[8:9]
	v_add_u32_e32 v8, 32, v21
	v_add_u32_e32 v24, -1, v24
	v_add_u32_e32 v28, -1, v28
	v_add_u32_e32 v9, 32, v23
	v_add_u32_e32 v23, 32, v27
	v_min_u32_e32 v2, 1, v2
	v_min_u32_e32 v8, v22, v8
	;; [unrolled: 1-line block ×5, first 2 shown]
	v_or_b32_e32 v23, v3, v2
	v_lshlrev_b64 v[2:3], v8, v[10:11]
	v_xor_b32_e32 v25, v16, v17
	v_or_b32_e32 v24, v7, v6
	v_lshlrev_b64 v[6:7], v9, v[14:15]
	v_lshlrev_b64 v[10:11], v22, v[18:19]
	v_min_u32_e32 v2, 1, v2
	v_ffbh_i32_e32 v26, v17
	v_ashrrev_i32_e32 v25, 31, v25
	v_min_u32_e32 v6, 1, v6
	v_min_u32_e32 v10, 1, v10
	v_or_b32_e32 v2, v3, v2
	v_add_u32_e32 v26, -1, v26
	v_add_u32_e32 v21, 32, v25
	v_or_b32_e32 v3, v7, v6
	v_or_b32_e32 v7, v11, v10
	v_cvt_f32_i32_e32 v2, v2
	v_min_u32_e32 v21, v26, v21
	v_cvt_f32_i32_e32 v7, v7
	v_sub_u32_e32 v25, 32, v8
	v_sub_u32_e32 v14, 32, v9
	v_lshlrev_b64 v[8:9], v21, v[16:17]
	v_cvt_f32_i32_e32 v3, v3
	v_min_u32_e32 v8, 1, v8
	v_or_b32_e32 v6, v9, v8
	v_ldexp_f32 v9, v2, v25
	v_sub_u32_e32 v2, 32, v22
	v_ldexp_f32 v7, v7, v2
	v_ldexp_f32 v10, v3, v14
	v_cvt_f32_i32_e32 v16, v23
	v_cvt_f32_i32_e32 v17, v24
	v_sub_u32_e32 v1, 32, v1
	v_sub_u32_e32 v20, 32, v20
	v_cvt_f32_i32_e32 v6, v6
	v_ldexp_f32 v1, v16, v1
	v_ldexp_f32 v8, v17, v20
	v_add_f32_e32 v1, v1, v8
	v_sub_u32_e32 v15, 32, v21
	v_add_f32_e32 v1, v1, v9
	v_ldexp_f32 v6, v6, v15
	v_add_f32_e32 v1, v1, v10
	v_add_f32_e32 v1, v1, v6
	;; [unrolled: 1-line block ×3, first 2 shown]
	s_waitcnt vmcnt(1)
	v_xor_b32_e32 v2, v4, v5
	v_ashrrev_i32_e32 v2, 31, v2
	v_ffbh_i32_e32 v3, v5
	v_add_u32_e32 v2, 32, v2
	v_add_u32_e32 v3, -1, v3
	v_min_u32_e32 v11, v3, v2
	v_lshlrev_b64 v[2:3], v11, v[4:5]
	v_min_u32_e32 v2, 1, v2
	v_or_b32_e32 v2, v3, v2
	v_cvt_f32_i32_e32 v4, v2
	s_waitcnt vmcnt(0)
	v_xor_b32_e32 v2, v12, v13
	v_ashrrev_i32_e32 v2, 31, v2
	v_ffbh_i32_e32 v3, v13
	v_add_u32_e32 v2, 32, v2
	v_add_u32_e32 v3, -1, v3
	v_min_u32_e32 v5, v3, v2
	v_lshlrev_b64 v[2:3], v5, v[12:13]
	v_min_u32_e32 v2, 1, v2
	v_or_b32_e32 v2, v3, v2
	v_cvt_f32_i32_e32 v2, v2
	v_sub_u32_e32 v3, 32, v11
	v_ldexp_f32 v3, v4, v3
	v_sub_u32_e32 v4, 32, v5
	v_ldexp_f32 v2, v2, v4
	v_add_f32_e32 v1, v1, v3
	v_add_f32_e32 v1, v1, v2
	v_mbcnt_lo_u32_b32 v2, -1, 0
	v_mbcnt_hi_u32_b32 v2, -1, v2
	v_add_f32_dpp v1, v1, v1 quad_perm:[1,0,3,2] row_mask:0xf bank_mask:0xf bound_ctrl:1
	v_lshlrev_b32_e32 v3, 2, v2
	v_or_b32_e32 v4, 0xfc, v3
	v_add_f32_dpp v1, v1, v1 quad_perm:[2,3,0,1] row_mask:0xf bank_mask:0xf bound_ctrl:1
	v_cmp_eq_u32_e32 vcc, 0, v2
	s_nop 0
	v_add_f32_dpp v1, v1, v1 row_ror:4 row_mask:0xf bank_mask:0xf bound_ctrl:1
	s_nop 1
	v_add_f32_dpp v1, v1, v1 row_ror:8 row_mask:0xf bank_mask:0xf bound_ctrl:1
	s_nop 1
	v_add_f32_dpp v1, v1, v1 row_bcast:15 row_mask:0xf bank_mask:0xf bound_ctrl:1
	s_nop 1
	v_add_f32_dpp v1, v1, v1 row_bcast:31 row_mask:0xf bank_mask:0xf bound_ctrl:1
	ds_bpermute_b32 v1, v4, v1
	s_and_saveexec_b64 s[6:7], vcc
	s_cbranch_execz .LBB486_19
; %bb.18:
	v_lshrrev_b32_e32 v4, 4, v0
	v_and_b32_e32 v4, 12, v4
	s_waitcnt lgkmcnt(0)
	ds_write_b32 v4, v1 offset:64
.LBB486_19:
	s_or_b64 exec, exec, s[6:7]
	v_cmp_gt_u32_e32 vcc, 64, v0
	s_waitcnt lgkmcnt(0)
	s_barrier
	s_and_saveexec_b64 s[6:7], vcc
	s_cbranch_execz .LBB486_21
; %bb.20:
	v_and_b32_e32 v1, 3, v2
	v_lshlrev_b32_e32 v4, 2, v1
	ds_read_b32 v4, v4 offset:64
	v_cmp_ne_u32_e32 vcc, 3, v1
	s_nop 1
	v_addc_co_u32_e32 v1, vcc, 0, v2, vcc
	v_lshlrev_b32_e32 v1, 2, v1
	s_waitcnt lgkmcnt(0)
	ds_bpermute_b32 v1, v1, v4
	v_or_b32_e32 v2, 8, v3
	s_waitcnt lgkmcnt(0)
	v_add_f32_e32 v1, v4, v1
	ds_bpermute_b32 v2, v2, v1
	s_waitcnt lgkmcnt(0)
	v_add_f32_e32 v1, v1, v2
.LBB486_21:
	s_or_b64 exec, exec, s[6:7]
	s_mov_b64 s[6:7], 0
	s_branch .LBB486_63
.LBB486_22:
                                        ; implicit-def: $vgpr1
	s_branch .LBB486_94
.LBB486_23:
                                        ; implicit-def: $vgpr1
	s_cbranch_execz .LBB486_10
; %bb.24:
	s_sub_i32 s44, s38, s4
	v_mov_b32_e32 v2, 0
	v_cmp_gt_u32_e32 vcc, s44, v0
	v_mov_b32_e32 v3, v2
	v_mov_b32_e32 v4, v2
	;; [unrolled: 1-line block ×15, first 2 shown]
	s_and_saveexec_b64 s[4:5], vcc
	s_cbranch_execz .LBB486_26
; %bb.25:
	v_lshlrev_b32_e32 v1, 3, v0
	global_load_dwordx2 v[18:19], v1, s[40:41]
	v_mov_b32_e32 v5, v2
	v_mov_b32_e32 v6, v2
	;; [unrolled: 1-line block ×13, first 2 shown]
	s_waitcnt vmcnt(0)
	v_xor_b32_e32 v1, v18, v19
	v_ffbh_i32_e32 v3, v19
	v_ashrrev_i32_e32 v1, 31, v1
	v_add_u32_e32 v3, -1, v3
	v_add_u32_e32 v1, 32, v1
	v_min_u32_e32 v1, v3, v1
	v_lshlrev_b64 v[18:19], v1, v[18:19]
	v_min_u32_e32 v3, 1, v18
	v_or_b32_e32 v3, v19, v3
	v_cvt_f32_i32_e32 v3, v3
	v_sub_u32_e32 v1, 32, v1
	v_mov_b32_e32 v18, v2
	v_mov_b32_e32 v19, v2
	v_ldexp_f32 v4, v3, v1
	v_mov_b64_e32 v[2:3], v[4:5]
	v_mov_b64_e32 v[4:5], v[6:7]
	;; [unrolled: 1-line block ×8, first 2 shown]
.LBB486_26:
	s_or_b64 exec, exec, s[4:5]
	v_or_b32_e32 v1, 0x100, v0
	v_cmp_gt_u32_e32 vcc, s44, v1
	s_and_saveexec_b64 s[4:5], vcc
	s_cbranch_execz .LBB486_28
; %bb.27:
	v_lshlrev_b32_e32 v1, 3, v0
	global_load_dwordx2 v[18:19], v1, s[40:41] offset:2048
	s_waitcnt vmcnt(0)
	v_xor_b32_e32 v1, v18, v19
	v_ffbh_i32_e32 v3, v19
	v_ashrrev_i32_e32 v1, 31, v1
	v_add_u32_e32 v1, 32, v1
	v_add_u32_e32 v3, -1, v3
	v_min_u32_e32 v1, v3, v1
	v_lshlrev_b64 v[18:19], v1, v[18:19]
	v_min_u32_e32 v3, 1, v18
	v_or_b32_e32 v3, v19, v3
	v_cvt_f32_i32_e32 v3, v3
	v_sub_u32_e32 v1, 32, v1
	v_ldexp_f32 v3, v3, v1
.LBB486_28:
	s_or_b64 exec, exec, s[4:5]
	v_or_b32_e32 v1, 0x200, v0
	v_cmp_gt_u32_e64 s[4:5], s44, v1
	s_and_saveexec_b64 s[6:7], s[4:5]
	s_cbranch_execz .LBB486_30
; %bb.29:
	v_lshlrev_b32_e32 v1, 3, v1
	global_load_dwordx2 v[18:19], v1, s[40:41]
	s_waitcnt vmcnt(0)
	v_xor_b32_e32 v1, v18, v19
	v_ffbh_i32_e32 v4, v19
	v_ashrrev_i32_e32 v1, 31, v1
	v_add_u32_e32 v1, 32, v1
	v_add_u32_e32 v4, -1, v4
	v_min_u32_e32 v1, v4, v1
	v_lshlrev_b64 v[18:19], v1, v[18:19]
	v_min_u32_e32 v4, 1, v18
	v_or_b32_e32 v4, v19, v4
	v_cvt_f32_i32_e32 v4, v4
	v_sub_u32_e32 v1, 32, v1
	v_ldexp_f32 v4, v4, v1
.LBB486_30:
	s_or_b64 exec, exec, s[6:7]
	v_or_b32_e32 v1, 0x300, v0
	v_cmp_gt_u32_e64 s[6:7], s44, v1
	s_and_saveexec_b64 s[8:9], s[6:7]
	s_cbranch_execz .LBB486_32
; %bb.31:
	v_lshlrev_b32_e32 v1, 3, v1
	global_load_dwordx2 v[18:19], v1, s[40:41]
	s_waitcnt vmcnt(0)
	v_xor_b32_e32 v1, v18, v19
	v_ffbh_i32_e32 v5, v19
	v_ashrrev_i32_e32 v1, 31, v1
	v_add_u32_e32 v1, 32, v1
	v_add_u32_e32 v5, -1, v5
	v_min_u32_e32 v1, v5, v1
	v_lshlrev_b64 v[18:19], v1, v[18:19]
	v_min_u32_e32 v5, 1, v18
	v_or_b32_e32 v5, v19, v5
	v_cvt_f32_i32_e32 v5, v5
	v_sub_u32_e32 v1, 32, v1
	v_ldexp_f32 v5, v5, v1
.LBB486_32:
	;; [unrolled: 22-line block ×14, first 2 shown]
	s_or_b64 exec, exec, s[42:43]
	v_add_f32_e32 v1, v2, v3
	v_cndmask_b32_e32 v1, v2, v1, vcc
	v_add_f32_e32 v2, v4, v1
	v_cndmask_b32_e64 v1, v1, v2, s[4:5]
	v_add_f32_e32 v2, v5, v1
	v_cndmask_b32_e64 v1, v1, v2, s[6:7]
	;; [unrolled: 2-line block ×14, first 2 shown]
	v_mbcnt_lo_u32_b32 v2, -1, 0
	v_mbcnt_hi_u32_b32 v2, -1, v2
	v_and_b32_e32 v4, 63, v2
	v_cmp_ne_u32_e32 vcc, 63, v4
	s_min_u32 s8, s44, 0x100
	v_and_b32_e32 v5, 0xc0, v0
	v_addc_co_u32_e32 v3, vcc, 0, v2, vcc
	v_lshlrev_b32_e32 v3, 2, v3
	ds_bpermute_b32 v3, v3, v1
	v_sub_u32_e64 v5, s8, v5 clamp
	v_add_u32_e32 v6, 1, v4
	v_cmp_gt_u32_e64 s[4:5], 62, v4
	v_cmp_lt_u32_e32 vcc, v6, v5
	s_waitcnt lgkmcnt(0)
	v_add_f32_e32 v3, v1, v3
	v_cndmask_b32_e64 v6, 0, 2, s[4:5]
	v_cndmask_b32_e32 v3, v1, v3, vcc
	v_add_lshl_u32 v6, v6, v2, 2
	ds_bpermute_b32 v6, v6, v3
	v_add_u32_e32 v7, 2, v4
	v_cmp_lt_u32_e64 s[4:5], v7, v5
	v_add_u32_e32 v7, 4, v4
	s_waitcnt lgkmcnt(0)
	v_add_f32_e32 v6, v3, v6
	v_cndmask_b32_e64 v3, v3, v6, s[4:5]
	v_cmp_gt_u32_e64 s[4:5], 60, v4
	s_nop 1
	v_cndmask_b32_e64 v6, 0, 4, s[4:5]
	v_add_lshl_u32 v6, v6, v2, 2
	ds_bpermute_b32 v6, v6, v3
	v_cmp_lt_u32_e64 s[4:5], v7, v5
	v_add_u32_e32 v7, 8, v4
	s_waitcnt lgkmcnt(0)
	v_add_f32_e32 v6, v3, v6
	v_cndmask_b32_e64 v3, v3, v6, s[4:5]
	v_cmp_gt_u32_e64 s[4:5], 56, v4
	s_nop 1
	v_cndmask_b32_e64 v6, 0, 8, s[4:5]
	v_add_lshl_u32 v6, v6, v2, 2
	ds_bpermute_b32 v6, v6, v3
	v_cmp_lt_u32_e64 s[4:5], v7, v5
	v_add_u32_e32 v7, 16, v4
	s_waitcnt lgkmcnt(0)
	v_add_f32_e32 v6, v3, v6
	v_cndmask_b32_e64 v3, v3, v6, s[4:5]
	v_cmp_gt_u32_e64 s[4:5], 48, v4
	v_add_u32_e32 v4, 32, v4
	s_nop 0
	v_cndmask_b32_e64 v6, 0, 16, s[4:5]
	v_add_lshl_u32 v6, v6, v2, 2
	ds_bpermute_b32 v6, v6, v3
	v_cmp_lt_u32_e64 s[4:5], v7, v5
	s_waitcnt lgkmcnt(0)
	v_add_f32_e32 v6, v3, v6
	v_cndmask_b32_e64 v6, v3, v6, s[4:5]
	v_lshlrev_b32_e32 v3, 2, v2
	v_or_b32_e32 v7, 0x80, v3
	ds_bpermute_b32 v7, v7, v6
	v_cmp_lt_u32_e64 s[4:5], v4, v5
	s_waitcnt lgkmcnt(0)
	v_add_f32_e32 v7, v6, v7
	v_cndmask_b32_e64 v4, v6, v7, s[4:5]
	v_cndmask_b32_e32 v1, v1, v4, vcc
	v_cmp_eq_u32_e32 vcc, 0, v2
	s_and_saveexec_b64 s[4:5], vcc
; %bb.57:
	v_lshrrev_b32_e32 v4, 4, v0
	v_and_b32_e32 v4, 12, v4
	ds_write_b32 v4, v1 offset:80
; %bb.58:
	s_or_b64 exec, exec, s[4:5]
	v_cmp_gt_u32_e32 vcc, 4, v0
	s_waitcnt lgkmcnt(0)
	s_barrier
	s_and_saveexec_b64 s[6:7], vcc
	s_cbranch_execz .LBB486_60
; %bb.59:
	ds_read_b32 v1, v3 offset:80
	v_and_b32_e32 v4, 3, v2
	v_cmp_ne_u32_e32 vcc, 3, v4
	s_add_i32 s8, s8, 63
	s_lshr_b32 s4, s8, 6
	v_addc_co_u32_e32 v2, vcc, 0, v2, vcc
	v_lshlrev_b32_e32 v2, 2, v2
	s_waitcnt lgkmcnt(0)
	ds_bpermute_b32 v2, v2, v1
	v_add_u32_e32 v5, 1, v4
	v_cmp_gt_u32_e32 vcc, s4, v5
	v_or_b32_e32 v3, 8, v3
	v_add_u32_e32 v4, 2, v4
	s_waitcnt lgkmcnt(0)
	v_add_f32_e32 v2, v1, v2
	v_cndmask_b32_e32 v2, v1, v2, vcc
	ds_bpermute_b32 v3, v3, v2
	v_cmp_gt_u32_e64 s[4:5], s4, v4
	s_waitcnt lgkmcnt(0)
	v_add_f32_e32 v3, v2, v3
	v_cndmask_b32_e64 v2, v2, v3, s[4:5]
	v_cndmask_b32_e32 v1, v1, v2, vcc
.LBB486_60:
	s_or_b64 exec, exec, s[6:7]
	v_cmp_eq_u32_e64 s[4:5], 0, v0
	s_and_b64 vcc, exec, s[34:35]
	s_cbranch_vccnz .LBB486_15
.LBB486_61:
	s_branch .LBB486_94
.LBB486_62:
	s_mov_b64 s[6:7], -1
                                        ; implicit-def: $vgpr1
.LBB486_63:
	s_and_b64 vcc, exec, s[6:7]
	s_cbranch_vccz .LBB486_85
; %bb.64:
	s_sub_i32 s20, s38, s4
	v_mov_b32_e32 v2, 0
	v_cmp_gt_u32_e32 vcc, s20, v0
	v_mov_b32_e32 v3, v2
	v_mov_b32_e32 v4, v2
	;; [unrolled: 1-line block ×7, first 2 shown]
	s_and_saveexec_b64 s[4:5], vcc
	s_cbranch_execz .LBB486_66
; %bb.65:
	v_lshlrev_b32_e32 v1, 3, v0
	global_load_dwordx2 v[10:11], v1, s[16:17]
	v_mov_b32_e32 v5, v2
	v_mov_b32_e32 v6, v2
	;; [unrolled: 1-line block ×5, first 2 shown]
	s_waitcnt vmcnt(0)
	v_xor_b32_e32 v1, v10, v11
	v_ffbh_i32_e32 v3, v11
	v_ashrrev_i32_e32 v1, 31, v1
	v_add_u32_e32 v3, -1, v3
	v_add_u32_e32 v1, 32, v1
	v_min_u32_e32 v1, v3, v1
	v_lshlrev_b64 v[10:11], v1, v[10:11]
	v_min_u32_e32 v3, 1, v10
	v_or_b32_e32 v3, v11, v3
	v_cvt_f32_i32_e32 v3, v3
	v_sub_u32_e32 v1, 32, v1
	v_mov_b32_e32 v10, v2
	v_mov_b32_e32 v11, v2
	v_ldexp_f32 v4, v3, v1
	v_mov_b64_e32 v[2:3], v[4:5]
	v_mov_b64_e32 v[4:5], v[6:7]
	;; [unrolled: 1-line block ×4, first 2 shown]
.LBB486_66:
	s_or_b64 exec, exec, s[4:5]
	v_or_b32_e32 v1, 0x100, v0
	v_cmp_gt_u32_e32 vcc, s20, v1
	s_and_saveexec_b64 s[4:5], vcc
	s_cbranch_execz .LBB486_68
; %bb.67:
	v_lshlrev_b32_e32 v1, 3, v0
	global_load_dwordx2 v[10:11], v1, s[16:17] offset:2048
	s_waitcnt vmcnt(0)
	v_xor_b32_e32 v1, v10, v11
	v_ffbh_i32_e32 v3, v11
	v_ashrrev_i32_e32 v1, 31, v1
	v_add_u32_e32 v1, 32, v1
	v_add_u32_e32 v3, -1, v3
	v_min_u32_e32 v1, v3, v1
	v_lshlrev_b64 v[10:11], v1, v[10:11]
	v_min_u32_e32 v3, 1, v10
	v_or_b32_e32 v3, v11, v3
	v_cvt_f32_i32_e32 v3, v3
	v_sub_u32_e32 v1, 32, v1
	v_ldexp_f32 v3, v3, v1
.LBB486_68:
	s_or_b64 exec, exec, s[4:5]
	v_or_b32_e32 v1, 0x200, v0
	v_cmp_gt_u32_e64 s[4:5], s20, v1
	s_and_saveexec_b64 s[6:7], s[4:5]
	s_cbranch_execz .LBB486_70
; %bb.69:
	v_lshlrev_b32_e32 v1, 3, v1
	global_load_dwordx2 v[10:11], v1, s[16:17]
	s_waitcnt vmcnt(0)
	v_xor_b32_e32 v1, v10, v11
	v_ffbh_i32_e32 v4, v11
	v_ashrrev_i32_e32 v1, 31, v1
	v_add_u32_e32 v1, 32, v1
	v_add_u32_e32 v4, -1, v4
	v_min_u32_e32 v1, v4, v1
	v_lshlrev_b64 v[10:11], v1, v[10:11]
	v_min_u32_e32 v4, 1, v10
	v_or_b32_e32 v4, v11, v4
	v_cvt_f32_i32_e32 v4, v4
	v_sub_u32_e32 v1, 32, v1
	v_ldexp_f32 v4, v4, v1
.LBB486_70:
	s_or_b64 exec, exec, s[6:7]
	v_or_b32_e32 v1, 0x300, v0
	v_cmp_gt_u32_e64 s[6:7], s20, v1
	s_and_saveexec_b64 s[8:9], s[6:7]
	s_cbranch_execz .LBB486_72
; %bb.71:
	v_lshlrev_b32_e32 v1, 3, v1
	global_load_dwordx2 v[10:11], v1, s[16:17]
	s_waitcnt vmcnt(0)
	v_xor_b32_e32 v1, v10, v11
	v_ffbh_i32_e32 v5, v11
	v_ashrrev_i32_e32 v1, 31, v1
	v_add_u32_e32 v1, 32, v1
	v_add_u32_e32 v5, -1, v5
	v_min_u32_e32 v1, v5, v1
	v_lshlrev_b64 v[10:11], v1, v[10:11]
	v_min_u32_e32 v5, 1, v10
	v_or_b32_e32 v5, v11, v5
	v_cvt_f32_i32_e32 v5, v5
	v_sub_u32_e32 v1, 32, v1
	v_ldexp_f32 v5, v5, v1
.LBB486_72:
	;; [unrolled: 22-line block ×6, first 2 shown]
	s_or_b64 exec, exec, s[18:19]
	v_add_f32_e32 v1, v2, v3
	v_cndmask_b32_e32 v1, v2, v1, vcc
	v_add_f32_e32 v2, v4, v1
	v_cndmask_b32_e64 v1, v1, v2, s[4:5]
	v_add_f32_e32 v2, v5, v1
	v_cndmask_b32_e64 v1, v1, v2, s[6:7]
	;; [unrolled: 2-line block ×6, first 2 shown]
	v_mbcnt_lo_u32_b32 v2, -1, 0
	v_mbcnt_hi_u32_b32 v2, -1, v2
	v_and_b32_e32 v4, 63, v2
	v_cmp_ne_u32_e32 vcc, 63, v4
	s_min_u32 s8, s20, 0x100
	v_and_b32_e32 v5, 0xc0, v0
	v_addc_co_u32_e32 v3, vcc, 0, v2, vcc
	v_lshlrev_b32_e32 v3, 2, v3
	ds_bpermute_b32 v3, v3, v1
	v_sub_u32_e64 v5, s8, v5 clamp
	v_add_u32_e32 v6, 1, v4
	v_cmp_gt_u32_e64 s[4:5], 62, v4
	v_cmp_lt_u32_e32 vcc, v6, v5
	s_waitcnt lgkmcnt(0)
	v_add_f32_e32 v3, v1, v3
	v_cndmask_b32_e64 v6, 0, 2, s[4:5]
	v_cndmask_b32_e32 v3, v1, v3, vcc
	v_add_lshl_u32 v6, v6, v2, 2
	ds_bpermute_b32 v6, v6, v3
	v_add_u32_e32 v7, 2, v4
	v_cmp_lt_u32_e64 s[4:5], v7, v5
	v_add_u32_e32 v7, 4, v4
	s_waitcnt lgkmcnt(0)
	v_add_f32_e32 v6, v3, v6
	v_cndmask_b32_e64 v3, v3, v6, s[4:5]
	v_cmp_gt_u32_e64 s[4:5], 60, v4
	s_nop 1
	v_cndmask_b32_e64 v6, 0, 4, s[4:5]
	v_add_lshl_u32 v6, v6, v2, 2
	ds_bpermute_b32 v6, v6, v3
	v_cmp_lt_u32_e64 s[4:5], v7, v5
	v_add_u32_e32 v7, 8, v4
	s_waitcnt lgkmcnt(0)
	v_add_f32_e32 v6, v3, v6
	v_cndmask_b32_e64 v3, v3, v6, s[4:5]
	v_cmp_gt_u32_e64 s[4:5], 56, v4
	s_nop 1
	v_cndmask_b32_e64 v6, 0, 8, s[4:5]
	v_add_lshl_u32 v6, v6, v2, 2
	ds_bpermute_b32 v6, v6, v3
	v_cmp_lt_u32_e64 s[4:5], v7, v5
	v_add_u32_e32 v7, 16, v4
	s_waitcnt lgkmcnt(0)
	v_add_f32_e32 v6, v3, v6
	v_cndmask_b32_e64 v3, v3, v6, s[4:5]
	v_cmp_gt_u32_e64 s[4:5], 48, v4
	v_add_u32_e32 v4, 32, v4
	s_nop 0
	v_cndmask_b32_e64 v6, 0, 16, s[4:5]
	v_add_lshl_u32 v6, v6, v2, 2
	ds_bpermute_b32 v6, v6, v3
	v_cmp_lt_u32_e64 s[4:5], v7, v5
	s_waitcnt lgkmcnt(0)
	v_add_f32_e32 v6, v3, v6
	v_cndmask_b32_e64 v6, v3, v6, s[4:5]
	v_lshlrev_b32_e32 v3, 2, v2
	v_or_b32_e32 v7, 0x80, v3
	ds_bpermute_b32 v7, v7, v6
	v_cmp_lt_u32_e64 s[4:5], v4, v5
	s_waitcnt lgkmcnt(0)
	v_add_f32_e32 v7, v6, v7
	v_cndmask_b32_e64 v4, v6, v7, s[4:5]
	v_cndmask_b32_e32 v1, v1, v4, vcc
	v_cmp_eq_u32_e32 vcc, 0, v2
	s_and_saveexec_b64 s[4:5], vcc
; %bb.81:
	v_lshrrev_b32_e32 v4, 4, v0
	v_and_b32_e32 v4, 12, v4
	ds_write_b32 v4, v1 offset:80
; %bb.82:
	s_or_b64 exec, exec, s[4:5]
	v_cmp_gt_u32_e32 vcc, 4, v0
	s_waitcnt lgkmcnt(0)
	s_barrier
	s_and_saveexec_b64 s[6:7], vcc
	s_cbranch_execz .LBB486_84
; %bb.83:
	ds_read_b32 v1, v3 offset:80
	v_and_b32_e32 v4, 3, v2
	v_cmp_ne_u32_e32 vcc, 3, v4
	s_add_i32 s8, s8, 63
	s_lshr_b32 s4, s8, 6
	v_addc_co_u32_e32 v2, vcc, 0, v2, vcc
	v_lshlrev_b32_e32 v2, 2, v2
	s_waitcnt lgkmcnt(0)
	ds_bpermute_b32 v2, v2, v1
	v_add_u32_e32 v5, 1, v4
	v_cmp_gt_u32_e32 vcc, s4, v5
	v_or_b32_e32 v3, 8, v3
	v_add_u32_e32 v4, 2, v4
	s_waitcnt lgkmcnt(0)
	v_add_f32_e32 v2, v1, v2
	v_cndmask_b32_e32 v2, v1, v2, vcc
	ds_bpermute_b32 v3, v3, v2
	v_cmp_gt_u32_e64 s[4:5], s4, v4
	s_waitcnt lgkmcnt(0)
	v_add_f32_e32 v3, v2, v3
	v_cndmask_b32_e64 v2, v2, v3, s[4:5]
	v_cndmask_b32_e32 v1, v1, v2, vcc
.LBB486_84:
	s_or_b64 exec, exec, s[6:7]
.LBB486_85:
	v_cmp_eq_u32_e64 s[4:5], 0, v0
	s_branch .LBB486_94
.LBB486_86:
	s_cmp_eq_u32 s33, 4
	s_cbranch_scc0 .LBB486_93
; %bb.87:
	s_mov_b32 s3, 0
	s_lshl_b32 s4, s2, 10
	s_mov_b32 s5, s3
	s_lshr_b64 s[6:7], s[38:39], 10
	s_lshl_b64 s[8:9], s[4:5], 3
	s_add_u32 s8, s36, s8
	s_addc_u32 s9, s37, s9
	s_cmp_lg_u64 s[6:7], s[2:3]
	s_cbranch_scc0 .LBB486_95
; %bb.88:
	v_lshlrev_b32_e32 v2, 3, v0
	v_mov_b32_e32 v3, 0
	global_load_dwordx2 v[4:5], v2, s[8:9]
	global_load_dwordx2 v[6:7], v2, s[8:9] offset:2048
	s_movk_i32 s5, 0x1000
	v_lshl_add_u64 v[2:3], s[8:9], 0, v[2:3]
	v_add_co_u32_e32 v2, vcc, s5, v2
	v_mbcnt_lo_u32_b32 v1, -1, 0
	s_nop 0
	v_addc_co_u32_e32 v3, vcc, 0, v3, vcc
	global_load_dwordx2 v[8:9], v[2:3], off
	global_load_dwordx2 v[10:11], v[2:3], off offset:2048
	v_mbcnt_hi_u32_b32 v2, -1, v1
	v_lshlrev_b32_e32 v3, 2, v2
	v_cmp_eq_u32_e32 vcc, 0, v2
	s_waitcnt vmcnt(3)
	v_xor_b32_e32 v1, v4, v5
	s_waitcnt vmcnt(2)
	v_xor_b32_e32 v13, v6, v7
	v_ffbh_i32_e32 v12, v5
	v_ffbh_i32_e32 v14, v7
	v_ashrrev_i32_e32 v1, 31, v1
	v_ashrrev_i32_e32 v13, 31, v13
	v_add_u32_e32 v12, -1, v12
	v_add_u32_e32 v14, -1, v14
	v_add_u32_e32 v1, 32, v1
	v_add_u32_e32 v13, 32, v13
	s_waitcnt vmcnt(1)
	v_xor_b32_e32 v15, v8, v9
	v_ffbh_i32_e32 v16, v9
	s_waitcnt vmcnt(0)
	v_xor_b32_e32 v17, v10, v11
	v_min_u32_e32 v1, v12, v1
	v_min_u32_e32 v12, v14, v13
	v_ashrrev_i32_e32 v13, 31, v15
	v_ffbh_i32_e32 v18, v11
	v_add_u32_e32 v14, -1, v16
	v_ashrrev_i32_e32 v15, 31, v17
	v_lshlrev_b64 v[4:5], v1, v[4:5]
	v_add_u32_e32 v13, 32, v13
	v_add_u32_e32 v16, -1, v18
	v_lshlrev_b64 v[6:7], v12, v[6:7]
	v_add_u32_e32 v15, 32, v15
	v_min_u32_e32 v4, 1, v4
	v_min_u32_e32 v13, v14, v13
	;; [unrolled: 1-line block ×4, first 2 shown]
	v_or_b32_e32 v15, v5, v4
	v_lshlrev_b64 v[4:5], v13, v[8:9]
	v_or_b32_e32 v16, v7, v6
	v_lshlrev_b64 v[6:7], v14, v[10:11]
	v_min_u32_e32 v4, 1, v4
	v_cvt_f32_i32_e32 v10, v15
	v_cvt_f32_i32_e32 v11, v16
	v_min_u32_e32 v6, 1, v6
	v_or_b32_e32 v4, v5, v4
	v_or_b32_e32 v5, v7, v6
	v_cvt_f32_i32_e32 v4, v4
	v_cvt_f32_i32_e32 v5, v5
	v_sub_u32_e32 v1, 32, v1
	v_sub_u32_e32 v12, 32, v12
	;; [unrolled: 1-line block ×3, first 2 shown]
	v_ldexp_f32 v1, v10, v1
	v_ldexp_f32 v6, v11, v12
	v_sub_u32_e32 v9, 32, v14
	v_add_f32_e32 v1, v1, v6
	v_ldexp_f32 v4, v4, v8
	v_ldexp_f32 v5, v5, v9
	v_add_f32_e32 v1, v1, v4
	v_add_f32_e32 v1, v1, v5
	v_or_b32_e32 v4, 0xfc, v3
	s_nop 0
	v_add_f32_dpp v1, v1, v1 quad_perm:[1,0,3,2] row_mask:0xf bank_mask:0xf bound_ctrl:1
	s_nop 1
	v_add_f32_dpp v1, v1, v1 quad_perm:[2,3,0,1] row_mask:0xf bank_mask:0xf bound_ctrl:1
	s_nop 1
	v_add_f32_dpp v1, v1, v1 row_ror:4 row_mask:0xf bank_mask:0xf bound_ctrl:1
	s_nop 1
	v_add_f32_dpp v1, v1, v1 row_ror:8 row_mask:0xf bank_mask:0xf bound_ctrl:1
	s_nop 1
	v_add_f32_dpp v1, v1, v1 row_bcast:15 row_mask:0xf bank_mask:0xf bound_ctrl:1
	s_nop 1
	v_add_f32_dpp v1, v1, v1 row_bcast:31 row_mask:0xf bank_mask:0xf bound_ctrl:1
	ds_bpermute_b32 v1, v4, v1
	s_and_saveexec_b64 s[6:7], vcc
	s_cbranch_execz .LBB486_90
; %bb.89:
	v_lshrrev_b32_e32 v4, 4, v0
	v_and_b32_e32 v4, 12, v4
	s_waitcnt lgkmcnt(0)
	ds_write_b32 v4, v1 offset:48
.LBB486_90:
	s_or_b64 exec, exec, s[6:7]
	v_cmp_gt_u32_e32 vcc, 64, v0
	s_waitcnt lgkmcnt(0)
	s_barrier
	s_and_saveexec_b64 s[6:7], vcc
	s_cbranch_execz .LBB486_92
; %bb.91:
	v_and_b32_e32 v1, 3, v2
	v_lshlrev_b32_e32 v4, 2, v1
	ds_read_b32 v4, v4 offset:48
	v_cmp_ne_u32_e32 vcc, 3, v1
	s_nop 1
	v_addc_co_u32_e32 v1, vcc, 0, v2, vcc
	v_lshlrev_b32_e32 v1, 2, v1
	s_waitcnt lgkmcnt(0)
	ds_bpermute_b32 v1, v1, v4
	v_or_b32_e32 v2, 8, v3
	s_waitcnt lgkmcnt(0)
	v_add_f32_e32 v1, v4, v1
	ds_bpermute_b32 v2, v2, v1
	s_waitcnt lgkmcnt(0)
	v_add_f32_e32 v1, v1, v2
.LBB486_92:
	s_or_b64 exec, exec, s[6:7]
	s_branch .LBB486_109
.LBB486_93:
                                        ; implicit-def: $vgpr1
.LBB486_94:
	s_branch .LBB486_140
.LBB486_95:
                                        ; implicit-def: $vgpr1
	s_cbranch_execz .LBB486_109
; %bb.96:
	s_sub_i32 s12, s38, s4
	v_mov_b32_e32 v2, 0
	v_cmp_gt_u32_e32 vcc, s12, v0
	v_mov_b32_e32 v3, v2
	v_mov_b32_e32 v4, v2
	;; [unrolled: 1-line block ×3, first 2 shown]
	s_and_saveexec_b64 s[4:5], vcc
	s_cbranch_execz .LBB486_98
; %bb.97:
	v_lshlrev_b32_e32 v1, 3, v0
	global_load_dwordx2 v[4:5], v1, s[8:9]
	v_mov_b32_e32 v6, v2
	v_mov_b32_e32 v7, v2
	s_waitcnt vmcnt(0)
	v_xor_b32_e32 v1, v4, v5
	v_ffbh_i32_e32 v3, v5
	v_ashrrev_i32_e32 v1, 31, v1
	v_add_u32_e32 v3, -1, v3
	v_add_u32_e32 v1, 32, v1
	v_min_u32_e32 v1, v3, v1
	v_lshlrev_b64 v[4:5], v1, v[4:5]
	v_min_u32_e32 v3, 1, v4
	v_or_b32_e32 v3, v5, v3
	v_cvt_f32_i32_e32 v3, v3
	v_sub_u32_e32 v1, 32, v1
	v_mov_b32_e32 v5, v2
	v_ldexp_f32 v4, v3, v1
	v_mov_b64_e32 v[2:3], v[4:5]
	v_mov_b64_e32 v[4:5], v[6:7]
.LBB486_98:
	s_or_b64 exec, exec, s[4:5]
	v_or_b32_e32 v1, 0x100, v0
	v_cmp_gt_u32_e32 vcc, s12, v1
	s_and_saveexec_b64 s[4:5], vcc
	s_cbranch_execz .LBB486_100
; %bb.99:
	v_lshlrev_b32_e32 v1, 3, v0
	global_load_dwordx2 v[6:7], v1, s[8:9] offset:2048
	s_waitcnt vmcnt(0)
	v_xor_b32_e32 v1, v6, v7
	v_ffbh_i32_e32 v3, v7
	v_ashrrev_i32_e32 v1, 31, v1
	v_add_u32_e32 v1, 32, v1
	v_add_u32_e32 v3, -1, v3
	v_min_u32_e32 v1, v3, v1
	v_lshlrev_b64 v[6:7], v1, v[6:7]
	v_min_u32_e32 v3, 1, v6
	v_or_b32_e32 v3, v7, v3
	v_cvt_f32_i32_e32 v3, v3
	v_sub_u32_e32 v1, 32, v1
	v_ldexp_f32 v3, v3, v1
.LBB486_100:
	s_or_b64 exec, exec, s[4:5]
	v_or_b32_e32 v1, 0x200, v0
	v_cmp_gt_u32_e64 s[4:5], s12, v1
	s_and_saveexec_b64 s[6:7], s[4:5]
	s_cbranch_execz .LBB486_102
; %bb.101:
	v_lshlrev_b32_e32 v1, 3, v1
	global_load_dwordx2 v[6:7], v1, s[8:9]
	s_waitcnt vmcnt(0)
	v_xor_b32_e32 v1, v6, v7
	v_ffbh_i32_e32 v4, v7
	v_ashrrev_i32_e32 v1, 31, v1
	v_add_u32_e32 v1, 32, v1
	v_add_u32_e32 v4, -1, v4
	v_min_u32_e32 v1, v4, v1
	v_lshlrev_b64 v[6:7], v1, v[6:7]
	v_min_u32_e32 v4, 1, v6
	v_or_b32_e32 v4, v7, v4
	v_cvt_f32_i32_e32 v4, v4
	v_sub_u32_e32 v1, 32, v1
	v_ldexp_f32 v4, v4, v1
.LBB486_102:
	s_or_b64 exec, exec, s[6:7]
	v_or_b32_e32 v1, 0x300, v0
	v_cmp_gt_u32_e64 s[6:7], s12, v1
	s_and_saveexec_b64 s[10:11], s[6:7]
	s_cbranch_execz .LBB486_104
; %bb.103:
	v_lshlrev_b32_e32 v1, 3, v1
	global_load_dwordx2 v[6:7], v1, s[8:9]
	s_waitcnt vmcnt(0)
	v_xor_b32_e32 v1, v6, v7
	v_ffbh_i32_e32 v5, v7
	v_ashrrev_i32_e32 v1, 31, v1
	v_add_u32_e32 v1, 32, v1
	v_add_u32_e32 v5, -1, v5
	v_min_u32_e32 v1, v5, v1
	v_lshlrev_b64 v[6:7], v1, v[6:7]
	v_min_u32_e32 v5, 1, v6
	v_or_b32_e32 v5, v7, v5
	v_cvt_f32_i32_e32 v5, v5
	v_sub_u32_e32 v1, 32, v1
	v_ldexp_f32 v5, v5, v1
.LBB486_104:
	s_or_b64 exec, exec, s[10:11]
	v_add_f32_e32 v1, v2, v3
	v_cndmask_b32_e32 v1, v2, v1, vcc
	v_add_f32_e32 v2, v4, v1
	v_cndmask_b32_e64 v1, v1, v2, s[4:5]
	v_add_f32_e32 v2, v5, v1
	v_cndmask_b32_e64 v1, v1, v2, s[6:7]
	v_mbcnt_lo_u32_b32 v2, -1, 0
	v_mbcnt_hi_u32_b32 v2, -1, v2
	v_and_b32_e32 v4, 63, v2
	v_cmp_ne_u32_e32 vcc, 63, v4
	s_min_u32 s8, s12, 0x100
	v_and_b32_e32 v5, 0xc0, v0
	v_addc_co_u32_e32 v3, vcc, 0, v2, vcc
	v_lshlrev_b32_e32 v3, 2, v3
	ds_bpermute_b32 v3, v3, v1
	v_sub_u32_e64 v5, s8, v5 clamp
	v_add_u32_e32 v6, 1, v4
	v_cmp_gt_u32_e64 s[4:5], 62, v4
	v_cmp_lt_u32_e32 vcc, v6, v5
	s_waitcnt lgkmcnt(0)
	v_add_f32_e32 v3, v1, v3
	v_cndmask_b32_e64 v6, 0, 2, s[4:5]
	v_cndmask_b32_e32 v3, v1, v3, vcc
	v_add_lshl_u32 v6, v6, v2, 2
	ds_bpermute_b32 v6, v6, v3
	v_add_u32_e32 v7, 2, v4
	v_cmp_lt_u32_e64 s[4:5], v7, v5
	v_add_u32_e32 v7, 4, v4
	s_waitcnt lgkmcnt(0)
	v_add_f32_e32 v6, v3, v6
	v_cndmask_b32_e64 v3, v3, v6, s[4:5]
	v_cmp_gt_u32_e64 s[4:5], 60, v4
	s_nop 1
	v_cndmask_b32_e64 v6, 0, 4, s[4:5]
	v_add_lshl_u32 v6, v6, v2, 2
	ds_bpermute_b32 v6, v6, v3
	v_cmp_lt_u32_e64 s[4:5], v7, v5
	v_add_u32_e32 v7, 8, v4
	s_waitcnt lgkmcnt(0)
	v_add_f32_e32 v6, v3, v6
	v_cndmask_b32_e64 v3, v3, v6, s[4:5]
	v_cmp_gt_u32_e64 s[4:5], 56, v4
	s_nop 1
	v_cndmask_b32_e64 v6, 0, 8, s[4:5]
	v_add_lshl_u32 v6, v6, v2, 2
	ds_bpermute_b32 v6, v6, v3
	v_cmp_lt_u32_e64 s[4:5], v7, v5
	v_add_u32_e32 v7, 16, v4
	s_waitcnt lgkmcnt(0)
	v_add_f32_e32 v6, v3, v6
	v_cndmask_b32_e64 v3, v3, v6, s[4:5]
	v_cmp_gt_u32_e64 s[4:5], 48, v4
	v_add_u32_e32 v4, 32, v4
	s_nop 0
	v_cndmask_b32_e64 v6, 0, 16, s[4:5]
	v_add_lshl_u32 v6, v6, v2, 2
	ds_bpermute_b32 v6, v6, v3
	v_cmp_lt_u32_e64 s[4:5], v7, v5
	s_waitcnt lgkmcnt(0)
	v_add_f32_e32 v6, v3, v6
	v_cndmask_b32_e64 v6, v3, v6, s[4:5]
	v_lshlrev_b32_e32 v3, 2, v2
	v_or_b32_e32 v7, 0x80, v3
	ds_bpermute_b32 v7, v7, v6
	v_cmp_lt_u32_e64 s[4:5], v4, v5
	s_waitcnt lgkmcnt(0)
	v_add_f32_e32 v7, v6, v7
	v_cndmask_b32_e64 v4, v6, v7, s[4:5]
	v_cndmask_b32_e32 v1, v1, v4, vcc
	v_cmp_eq_u32_e32 vcc, 0, v2
	s_and_saveexec_b64 s[4:5], vcc
; %bb.105:
	v_lshrrev_b32_e32 v4, 4, v0
	v_and_b32_e32 v4, 12, v4
	ds_write_b32 v4, v1 offset:80
; %bb.106:
	s_or_b64 exec, exec, s[4:5]
	v_cmp_gt_u32_e32 vcc, 4, v0
	s_waitcnt lgkmcnt(0)
	s_barrier
	s_and_saveexec_b64 s[6:7], vcc
	s_cbranch_execz .LBB486_108
; %bb.107:
	ds_read_b32 v1, v3 offset:80
	v_and_b32_e32 v4, 3, v2
	v_cmp_ne_u32_e32 vcc, 3, v4
	s_add_i32 s8, s8, 63
	s_lshr_b32 s4, s8, 6
	v_addc_co_u32_e32 v2, vcc, 0, v2, vcc
	v_lshlrev_b32_e32 v2, 2, v2
	s_waitcnt lgkmcnt(0)
	ds_bpermute_b32 v2, v2, v1
	v_add_u32_e32 v5, 1, v4
	v_cmp_gt_u32_e32 vcc, s4, v5
	v_or_b32_e32 v3, 8, v3
	v_add_u32_e32 v4, 2, v4
	s_waitcnt lgkmcnt(0)
	v_add_f32_e32 v2, v1, v2
	v_cndmask_b32_e32 v2, v1, v2, vcc
	ds_bpermute_b32 v3, v3, v2
	v_cmp_gt_u32_e64 s[4:5], s4, v4
	s_waitcnt lgkmcnt(0)
	v_add_f32_e32 v3, v2, v3
	v_cndmask_b32_e64 v2, v2, v3, s[4:5]
	v_cndmask_b32_e32 v1, v1, v2, vcc
.LBB486_108:
	s_or_b64 exec, exec, s[6:7]
.LBB486_109:
	v_cmp_eq_u32_e64 s[4:5], 0, v0
	s_branch .LBB486_140
.LBB486_110:
	s_cmp_gt_i32 s33, 1
	s_cbranch_scc0 .LBB486_118
; %bb.111:
	s_cmp_eq_u32 s33, 2
	s_cbranch_scc0 .LBB486_119
; %bb.112:
	s_mov_b32 s3, 0
	s_lshl_b32 s6, s2, 9
	s_mov_b32 s7, s3
	s_lshr_b64 s[8:9], s[38:39], 9
	s_lshl_b64 s[4:5], s[6:7], 3
	s_add_u32 s4, s36, s4
	s_addc_u32 s5, s37, s5
	s_cmp_lg_u64 s[8:9], s[2:3]
	s_cbranch_scc0 .LBB486_120
; %bb.113:
	v_lshlrev_b32_e32 v1, 3, v0
	global_load_dwordx2 v[4:5], v1, s[4:5]
	global_load_dwordx2 v[6:7], v1, s[4:5] offset:2048
	v_mbcnt_lo_u32_b32 v1, -1, 0
	v_mbcnt_hi_u32_b32 v2, -1, v1
	v_lshlrev_b32_e32 v3, 2, v2
	v_cmp_eq_u32_e32 vcc, 0, v2
	s_waitcnt vmcnt(1)
	v_xor_b32_e32 v1, v4, v5
	s_waitcnt vmcnt(0)
	v_xor_b32_e32 v9, v6, v7
	v_ffbh_i32_e32 v8, v5
	v_ffbh_i32_e32 v10, v7
	v_ashrrev_i32_e32 v1, 31, v1
	v_ashrrev_i32_e32 v9, 31, v9
	v_add_u32_e32 v8, -1, v8
	v_add_u32_e32 v10, -1, v10
	v_add_u32_e32 v1, 32, v1
	v_add_u32_e32 v9, 32, v9
	v_min_u32_e32 v1, v8, v1
	v_min_u32_e32 v8, v10, v9
	v_lshlrev_b64 v[4:5], v1, v[4:5]
	v_lshlrev_b64 v[6:7], v8, v[6:7]
	v_min_u32_e32 v4, 1, v4
	v_min_u32_e32 v6, 1, v6
	v_or_b32_e32 v4, v5, v4
	v_or_b32_e32 v5, v7, v6
	v_cvt_f32_i32_e32 v4, v4
	v_cvt_f32_i32_e32 v5, v5
	v_sub_u32_e32 v1, 32, v1
	v_sub_u32_e32 v6, 32, v8
	v_ldexp_f32 v1, v4, v1
	v_ldexp_f32 v4, v5, v6
	v_add_f32_e32 v1, v1, v4
	v_or_b32_e32 v4, 0xfc, v3
	s_nop 0
	v_add_f32_dpp v1, v1, v1 quad_perm:[1,0,3,2] row_mask:0xf bank_mask:0xf bound_ctrl:1
	s_nop 1
	v_add_f32_dpp v1, v1, v1 quad_perm:[2,3,0,1] row_mask:0xf bank_mask:0xf bound_ctrl:1
	s_nop 1
	v_add_f32_dpp v1, v1, v1 row_ror:4 row_mask:0xf bank_mask:0xf bound_ctrl:1
	s_nop 1
	v_add_f32_dpp v1, v1, v1 row_ror:8 row_mask:0xf bank_mask:0xf bound_ctrl:1
	s_nop 1
	v_add_f32_dpp v1, v1, v1 row_bcast:15 row_mask:0xf bank_mask:0xf bound_ctrl:1
	s_nop 1
	v_add_f32_dpp v1, v1, v1 row_bcast:31 row_mask:0xf bank_mask:0xf bound_ctrl:1
	ds_bpermute_b32 v1, v4, v1
	s_and_saveexec_b64 s[8:9], vcc
	s_cbranch_execz .LBB486_115
; %bb.114:
	v_lshrrev_b32_e32 v4, 4, v0
	v_and_b32_e32 v4, 12, v4
	s_waitcnt lgkmcnt(0)
	ds_write_b32 v4, v1 offset:32
.LBB486_115:
	s_or_b64 exec, exec, s[8:9]
	v_cmp_gt_u32_e32 vcc, 64, v0
	s_waitcnt lgkmcnt(0)
	s_barrier
	s_and_saveexec_b64 s[8:9], vcc
	s_cbranch_execz .LBB486_117
; %bb.116:
	v_and_b32_e32 v1, 3, v2
	v_lshlrev_b32_e32 v4, 2, v1
	ds_read_b32 v4, v4 offset:32
	v_cmp_ne_u32_e32 vcc, 3, v1
	s_nop 1
	v_addc_co_u32_e32 v1, vcc, 0, v2, vcc
	v_lshlrev_b32_e32 v1, 2, v1
	s_waitcnt lgkmcnt(0)
	ds_bpermute_b32 v1, v1, v4
	v_or_b32_e32 v2, 8, v3
	s_waitcnt lgkmcnt(0)
	v_add_f32_e32 v1, v4, v1
	ds_bpermute_b32 v2, v2, v1
	s_waitcnt lgkmcnt(0)
	v_add_f32_e32 v1, v1, v2
.LBB486_117:
	s_or_b64 exec, exec, s[8:9]
	s_branch .LBB486_130
.LBB486_118:
                                        ; implicit-def: $vgpr1
	s_cbranch_execnz .LBB486_131
	s_branch .LBB486_140
.LBB486_119:
                                        ; implicit-def: $vgpr1
	s_branch .LBB486_140
.LBB486_120:
                                        ; implicit-def: $vgpr1
	s_cbranch_execz .LBB486_130
; %bb.121:
	s_sub_i32 s8, s38, s6
	v_mov_b32_e32 v2, 0
	v_cmp_gt_u32_e32 vcc, s8, v0
	v_mov_b32_e32 v3, v2
	s_and_saveexec_b64 s[6:7], vcc
	s_cbranch_execz .LBB486_123
; %bb.122:
	v_lshlrev_b32_e32 v1, 3, v0
	global_load_dwordx2 v[4:5], v1, s[4:5]
	s_waitcnt vmcnt(0)
	v_xor_b32_e32 v1, v4, v5
	v_ffbh_i32_e32 v3, v5
	v_ashrrev_i32_e32 v1, 31, v1
	v_add_u32_e32 v3, -1, v3
	v_add_u32_e32 v1, 32, v1
	v_min_u32_e32 v1, v3, v1
	v_lshlrev_b64 v[4:5], v1, v[4:5]
	v_min_u32_e32 v3, 1, v4
	v_or_b32_e32 v3, v5, v3
	v_cvt_f32_i32_e32 v3, v3
	v_sub_u32_e32 v1, 32, v1
	v_mov_b32_e32 v5, v2
	v_ldexp_f32 v4, v3, v1
	v_mov_b64_e32 v[2:3], v[4:5]
.LBB486_123:
	s_or_b64 exec, exec, s[6:7]
	v_or_b32_e32 v1, 0x100, v0
	v_cmp_gt_u32_e32 vcc, s8, v1
	s_and_saveexec_b64 s[6:7], vcc
	s_cbranch_execz .LBB486_125
; %bb.124:
	v_lshlrev_b32_e32 v1, 3, v0
	global_load_dwordx2 v[4:5], v1, s[4:5] offset:2048
	s_waitcnt vmcnt(0)
	v_xor_b32_e32 v1, v4, v5
	v_ffbh_i32_e32 v3, v5
	v_ashrrev_i32_e32 v1, 31, v1
	v_add_u32_e32 v1, 32, v1
	v_add_u32_e32 v3, -1, v3
	v_min_u32_e32 v1, v3, v1
	v_lshlrev_b64 v[4:5], v1, v[4:5]
	v_min_u32_e32 v3, 1, v4
	v_or_b32_e32 v3, v5, v3
	v_cvt_f32_i32_e32 v3, v3
	v_sub_u32_e32 v1, 32, v1
	v_ldexp_f32 v3, v3, v1
.LBB486_125:
	s_or_b64 exec, exec, s[6:7]
	v_add_f32_e32 v1, v3, v2
	v_cndmask_b32_e32 v1, v2, v1, vcc
	v_mbcnt_lo_u32_b32 v2, -1, 0
	v_mbcnt_hi_u32_b32 v2, -1, v2
	v_and_b32_e32 v4, 63, v2
	v_cmp_ne_u32_e32 vcc, 63, v4
	s_min_u32 s8, s8, 0x100
	v_and_b32_e32 v5, 0xc0, v0
	v_addc_co_u32_e32 v3, vcc, 0, v2, vcc
	v_lshlrev_b32_e32 v3, 2, v3
	ds_bpermute_b32 v3, v3, v1
	v_sub_u32_e64 v5, s8, v5 clamp
	v_add_u32_e32 v6, 1, v4
	v_cmp_gt_u32_e64 s[4:5], 62, v4
	v_cmp_lt_u32_e32 vcc, v6, v5
	s_waitcnt lgkmcnt(0)
	v_add_f32_e32 v3, v1, v3
	v_cndmask_b32_e64 v6, 0, 2, s[4:5]
	v_cndmask_b32_e32 v3, v1, v3, vcc
	v_add_lshl_u32 v6, v6, v2, 2
	ds_bpermute_b32 v6, v6, v3
	v_add_u32_e32 v7, 2, v4
	v_cmp_lt_u32_e64 s[4:5], v7, v5
	v_add_u32_e32 v7, 4, v4
	s_waitcnt lgkmcnt(0)
	v_add_f32_e32 v6, v3, v6
	v_cndmask_b32_e64 v3, v3, v6, s[4:5]
	v_cmp_gt_u32_e64 s[4:5], 60, v4
	s_nop 1
	v_cndmask_b32_e64 v6, 0, 4, s[4:5]
	v_add_lshl_u32 v6, v6, v2, 2
	ds_bpermute_b32 v6, v6, v3
	v_cmp_lt_u32_e64 s[4:5], v7, v5
	v_add_u32_e32 v7, 8, v4
	s_waitcnt lgkmcnt(0)
	v_add_f32_e32 v6, v3, v6
	v_cndmask_b32_e64 v3, v3, v6, s[4:5]
	v_cmp_gt_u32_e64 s[4:5], 56, v4
	s_nop 1
	v_cndmask_b32_e64 v6, 0, 8, s[4:5]
	v_add_lshl_u32 v6, v6, v2, 2
	ds_bpermute_b32 v6, v6, v3
	v_cmp_lt_u32_e64 s[4:5], v7, v5
	v_add_u32_e32 v7, 16, v4
	s_waitcnt lgkmcnt(0)
	v_add_f32_e32 v6, v3, v6
	v_cndmask_b32_e64 v3, v3, v6, s[4:5]
	v_cmp_gt_u32_e64 s[4:5], 48, v4
	v_add_u32_e32 v4, 32, v4
	s_nop 0
	v_cndmask_b32_e64 v6, 0, 16, s[4:5]
	v_add_lshl_u32 v6, v6, v2, 2
	ds_bpermute_b32 v6, v6, v3
	v_cmp_lt_u32_e64 s[4:5], v7, v5
	s_waitcnt lgkmcnt(0)
	v_add_f32_e32 v6, v3, v6
	v_cndmask_b32_e64 v6, v3, v6, s[4:5]
	v_lshlrev_b32_e32 v3, 2, v2
	v_or_b32_e32 v7, 0x80, v3
	ds_bpermute_b32 v7, v7, v6
	v_cmp_lt_u32_e64 s[4:5], v4, v5
	s_waitcnt lgkmcnt(0)
	v_add_f32_e32 v7, v6, v7
	v_cndmask_b32_e64 v4, v6, v7, s[4:5]
	v_cndmask_b32_e32 v1, v1, v4, vcc
	v_cmp_eq_u32_e32 vcc, 0, v2
	s_and_saveexec_b64 s[4:5], vcc
; %bb.126:
	v_lshrrev_b32_e32 v4, 4, v0
	v_and_b32_e32 v4, 12, v4
	ds_write_b32 v4, v1 offset:80
; %bb.127:
	s_or_b64 exec, exec, s[4:5]
	v_cmp_gt_u32_e32 vcc, 4, v0
	s_waitcnt lgkmcnt(0)
	s_barrier
	s_and_saveexec_b64 s[6:7], vcc
	s_cbranch_execz .LBB486_129
; %bb.128:
	ds_read_b32 v1, v3 offset:80
	v_and_b32_e32 v4, 3, v2
	v_cmp_ne_u32_e32 vcc, 3, v4
	s_add_i32 s8, s8, 63
	s_lshr_b32 s4, s8, 6
	v_addc_co_u32_e32 v2, vcc, 0, v2, vcc
	v_lshlrev_b32_e32 v2, 2, v2
	s_waitcnt lgkmcnt(0)
	ds_bpermute_b32 v2, v2, v1
	v_add_u32_e32 v5, 1, v4
	v_cmp_gt_u32_e32 vcc, s4, v5
	v_or_b32_e32 v3, 8, v3
	v_add_u32_e32 v4, 2, v4
	s_waitcnt lgkmcnt(0)
	v_add_f32_e32 v2, v1, v2
	v_cndmask_b32_e32 v2, v1, v2, vcc
	ds_bpermute_b32 v3, v3, v2
	v_cmp_gt_u32_e64 s[4:5], s4, v4
	s_waitcnt lgkmcnt(0)
	v_add_f32_e32 v3, v2, v3
	v_cndmask_b32_e64 v2, v2, v3, s[4:5]
	v_cndmask_b32_e32 v1, v1, v2, vcc
.LBB486_129:
	s_or_b64 exec, exec, s[6:7]
.LBB486_130:
	v_cmp_eq_u32_e64 s[4:5], 0, v0
	s_branch .LBB486_140
.LBB486_131:
	s_cmp_eq_u32 s33, 1
	s_cbranch_scc0 .LBB486_139
; %bb.132:
	s_mov_b32 s5, 0
	s_lshl_b32 s4, s2, 8
	s_mov_b32 s3, s5
	s_lshr_b64 s[6:7], s[38:39], 8
	s_cmp_lg_u64 s[6:7], s[2:3]
	v_mbcnt_lo_u32_b32 v2, -1, 0
	s_cbranch_scc0 .LBB486_143
; %bb.133:
	s_lshl_b64 s[6:7], s[4:5], 3
	s_add_u32 s6, s36, s6
	s_addc_u32 s7, s37, s7
	v_lshlrev_b32_e32 v1, 3, v0
	global_load_dwordx2 v[4:5], v1, s[6:7]
	s_waitcnt vmcnt(0)
	v_xor_b32_e32 v1, v4, v5
	v_ffbh_i32_e32 v3, v5
	v_ashrrev_i32_e32 v1, 31, v1
	v_add_u32_e32 v3, -1, v3
	v_add_u32_e32 v1, 32, v1
	v_min_u32_e32 v1, v3, v1
	v_lshlrev_b64 v[4:5], v1, v[4:5]
	v_min_u32_e32 v3, 1, v4
	v_or_b32_e32 v3, v5, v3
	v_cvt_f32_i32_e32 v5, v3
	v_sub_u32_e32 v1, 32, v1
	v_mbcnt_hi_u32_b32 v3, -1, v2
	v_lshlrev_b32_e32 v4, 2, v3
	v_ldexp_f32 v1, v5, v1
	v_or_b32_e32 v5, 0xfc, v4
	v_cmp_eq_u32_e32 vcc, 0, v3
	v_add_f32_dpp v1, v1, v1 quad_perm:[1,0,3,2] row_mask:0xf bank_mask:0xf bound_ctrl:1
	s_nop 1
	v_add_f32_dpp v1, v1, v1 quad_perm:[2,3,0,1] row_mask:0xf bank_mask:0xf bound_ctrl:1
	s_nop 1
	v_add_f32_dpp v1, v1, v1 row_ror:4 row_mask:0xf bank_mask:0xf bound_ctrl:1
	s_nop 1
	v_add_f32_dpp v1, v1, v1 row_ror:8 row_mask:0xf bank_mask:0xf bound_ctrl:1
	s_nop 1
	v_add_f32_dpp v1, v1, v1 row_bcast:15 row_mask:0xf bank_mask:0xf bound_ctrl:1
	s_nop 1
	v_add_f32_dpp v1, v1, v1 row_bcast:31 row_mask:0xf bank_mask:0xf bound_ctrl:1
	ds_bpermute_b32 v1, v5, v1
	s_and_saveexec_b64 s[6:7], vcc
	s_cbranch_execz .LBB486_135
; %bb.134:
	v_lshrrev_b32_e32 v5, 4, v0
	v_and_b32_e32 v5, 12, v5
	s_waitcnt lgkmcnt(0)
	ds_write_b32 v5, v1 offset:16
.LBB486_135:
	s_or_b64 exec, exec, s[6:7]
	v_cmp_gt_u32_e32 vcc, 64, v0
	s_waitcnt lgkmcnt(0)
	s_barrier
	s_and_saveexec_b64 s[6:7], vcc
	s_cbranch_execz .LBB486_137
; %bb.136:
	v_and_b32_e32 v1, 3, v3
	v_lshlrev_b32_e32 v5, 2, v1
	ds_read_b32 v5, v5 offset:16
	v_cmp_ne_u32_e32 vcc, 3, v1
	s_nop 1
	v_addc_co_u32_e32 v1, vcc, 0, v3, vcc
	v_lshlrev_b32_e32 v1, 2, v1
	s_waitcnt lgkmcnt(0)
	ds_bpermute_b32 v1, v1, v5
	v_or_b32_e32 v3, 8, v4
	s_waitcnt lgkmcnt(0)
	v_add_f32_e32 v1, v5, v1
	ds_bpermute_b32 v3, v3, v1
	s_waitcnt lgkmcnt(0)
	v_add_f32_e32 v1, v1, v3
.LBB486_137:
	s_or_b64 exec, exec, s[6:7]
.LBB486_138:
	v_cmp_eq_u32_e64 s[4:5], 0, v0
	s_and_saveexec_b64 s[6:7], s[4:5]
	s_cbranch_execnz .LBB486_141
	s_branch .LBB486_142
.LBB486_139:
                                        ; implicit-def: $vgpr1
                                        ; implicit-def: $sgpr2_sgpr3
.LBB486_140:
	s_and_saveexec_b64 s[6:7], s[4:5]
	s_cbranch_execz .LBB486_142
.LBB486_141:
	s_load_dwordx2 s[4:5], s[0:1], 0x18
	s_load_dword s6, s[0:1], 0x20
	s_lshl_b64 s[0:1], s[2:3], 2
	v_mov_b32_e32 v0, 0
	s_waitcnt lgkmcnt(0)
	s_add_u32 s0, s4, s0
	s_addc_u32 s1, s5, s1
	s_cmp_eq_u64 s[38:39], 0
	v_add_f32_e32 v1, s6, v1
	v_mov_b32_e32 v2, s6
	s_cselect_b64 vcc, -1, 0
	v_cndmask_b32_e32 v1, v1, v2, vcc
	global_store_dword v0, v1, s[0:1]
.LBB486_142:
	s_endpgm
.LBB486_143:
                                        ; implicit-def: $vgpr1
	s_cbranch_execz .LBB486_138
; %bb.144:
	s_sub_i32 s8, s38, s4
	v_cmp_gt_u32_e32 vcc, s8, v0
                                        ; implicit-def: $vgpr1
	s_and_saveexec_b64 s[6:7], vcc
	s_cbranch_execz .LBB486_146
; %bb.145:
	s_lshl_b64 s[4:5], s[4:5], 3
	s_add_u32 s4, s36, s4
	s_addc_u32 s5, s37, s5
	v_lshlrev_b32_e32 v1, 3, v0
	global_load_dwordx2 v[4:5], v1, s[4:5]
	s_waitcnt vmcnt(0)
	v_xor_b32_e32 v1, v4, v5
	v_ffbh_i32_e32 v3, v5
	v_ashrrev_i32_e32 v1, 31, v1
	v_add_u32_e32 v1, 32, v1
	v_add_u32_e32 v3, -1, v3
	v_min_u32_e32 v1, v3, v1
	v_lshlrev_b64 v[4:5], v1, v[4:5]
	v_min_u32_e32 v3, 1, v4
	v_or_b32_e32 v3, v5, v3
	v_cvt_f32_i32_e32 v3, v3
	v_sub_u32_e32 v1, 32, v1
	v_ldexp_f32 v1, v3, v1
.LBB486_146:
	s_or_b64 exec, exec, s[6:7]
	v_mbcnt_hi_u32_b32 v2, -1, v2
	v_and_b32_e32 v4, 63, v2
	v_cmp_ne_u32_e32 vcc, 63, v4
	s_min_u32 s8, s8, 0x100
	v_and_b32_e32 v5, 0xc0, v0
	v_addc_co_u32_e32 v3, vcc, 0, v2, vcc
	v_lshlrev_b32_e32 v3, 2, v3
	ds_bpermute_b32 v3, v3, v1
	v_sub_u32_e64 v5, s8, v5 clamp
	v_add_u32_e32 v6, 1, v4
	v_cmp_gt_u32_e64 s[4:5], 62, v4
	v_cmp_lt_u32_e32 vcc, v6, v5
	s_waitcnt lgkmcnt(0)
	v_add_f32_e32 v3, v1, v3
	v_cndmask_b32_e64 v6, 0, 2, s[4:5]
	v_cndmask_b32_e32 v3, v1, v3, vcc
	v_add_lshl_u32 v6, v6, v2, 2
	ds_bpermute_b32 v6, v6, v3
	v_add_u32_e32 v7, 2, v4
	v_cmp_lt_u32_e64 s[4:5], v7, v5
	v_add_u32_e32 v7, 4, v4
	s_waitcnt lgkmcnt(0)
	v_add_f32_e32 v6, v3, v6
	v_cndmask_b32_e64 v3, v3, v6, s[4:5]
	v_cmp_gt_u32_e64 s[4:5], 60, v4
	s_nop 1
	v_cndmask_b32_e64 v6, 0, 4, s[4:5]
	v_add_lshl_u32 v6, v6, v2, 2
	ds_bpermute_b32 v6, v6, v3
	v_cmp_lt_u32_e64 s[4:5], v7, v5
	v_add_u32_e32 v7, 8, v4
	s_waitcnt lgkmcnt(0)
	v_add_f32_e32 v6, v3, v6
	v_cndmask_b32_e64 v3, v3, v6, s[4:5]
	v_cmp_gt_u32_e64 s[4:5], 56, v4
	s_nop 1
	v_cndmask_b32_e64 v6, 0, 8, s[4:5]
	v_add_lshl_u32 v6, v6, v2, 2
	ds_bpermute_b32 v6, v6, v3
	v_cmp_lt_u32_e64 s[4:5], v7, v5
	v_add_u32_e32 v7, 16, v4
	s_waitcnt lgkmcnt(0)
	v_add_f32_e32 v6, v3, v6
	v_cndmask_b32_e64 v3, v3, v6, s[4:5]
	v_cmp_gt_u32_e64 s[4:5], 48, v4
	v_add_u32_e32 v4, 32, v4
	s_nop 0
	v_cndmask_b32_e64 v6, 0, 16, s[4:5]
	v_add_lshl_u32 v6, v6, v2, 2
	ds_bpermute_b32 v6, v6, v3
	v_cmp_lt_u32_e64 s[4:5], v7, v5
	s_waitcnt lgkmcnt(0)
	v_add_f32_e32 v6, v3, v6
	v_cndmask_b32_e64 v6, v3, v6, s[4:5]
	v_lshlrev_b32_e32 v3, 2, v2
	v_or_b32_e32 v7, 0x80, v3
	ds_bpermute_b32 v7, v7, v6
	v_cmp_lt_u32_e64 s[4:5], v4, v5
	s_waitcnt lgkmcnt(0)
	v_add_f32_e32 v7, v6, v7
	v_cndmask_b32_e64 v4, v6, v7, s[4:5]
	v_cndmask_b32_e32 v1, v1, v4, vcc
	v_cmp_eq_u32_e32 vcc, 0, v2
	s_and_saveexec_b64 s[4:5], vcc
; %bb.147:
	v_lshrrev_b32_e32 v4, 4, v0
	v_and_b32_e32 v4, 12, v4
	ds_write_b32 v4, v1 offset:80
; %bb.148:
	s_or_b64 exec, exec, s[4:5]
	v_cmp_gt_u32_e32 vcc, 4, v0
	s_waitcnt lgkmcnt(0)
	s_barrier
	s_and_saveexec_b64 s[6:7], vcc
	s_cbranch_execz .LBB486_150
; %bb.149:
	ds_read_b32 v1, v3 offset:80
	v_and_b32_e32 v4, 3, v2
	v_cmp_ne_u32_e32 vcc, 3, v4
	s_add_i32 s8, s8, 63
	s_lshr_b32 s4, s8, 6
	v_addc_co_u32_e32 v2, vcc, 0, v2, vcc
	v_lshlrev_b32_e32 v2, 2, v2
	s_waitcnt lgkmcnt(0)
	ds_bpermute_b32 v2, v2, v1
	v_add_u32_e32 v5, 1, v4
	v_cmp_gt_u32_e32 vcc, s4, v5
	v_or_b32_e32 v3, 8, v3
	v_add_u32_e32 v4, 2, v4
	s_waitcnt lgkmcnt(0)
	v_add_f32_e32 v2, v1, v2
	v_cndmask_b32_e32 v2, v1, v2, vcc
	ds_bpermute_b32 v3, v3, v2
	v_cmp_gt_u32_e64 s[4:5], s4, v4
	s_waitcnt lgkmcnt(0)
	v_add_f32_e32 v3, v2, v3
	v_cndmask_b32_e64 v2, v2, v3, s[4:5]
	v_cndmask_b32_e32 v1, v1, v2, vcc
.LBB486_150:
	s_or_b64 exec, exec, s[6:7]
	v_cmp_eq_u32_e64 s[4:5], 0, v0
	s_and_saveexec_b64 s[6:7], s[4:5]
	s_cbranch_execnz .LBB486_141
	s_branch .LBB486_142
	.section	.rodata,"a",@progbits
	.p2align	6, 0x0
	.amdhsa_kernel _ZN7rocprim17ROCPRIM_400000_NS6detail17trampoline_kernelINS0_14default_configENS1_22reduce_config_selectorIxEEZNS1_11reduce_implILb1ES3_N6thrust23THRUST_200600_302600_NS6detail15normal_iteratorINS8_10device_ptrIxEEEEPffNS8_4plusIfEEEE10hipError_tPvRmT1_T2_T3_mT4_P12ihipStream_tbEUlT_E1_NS1_11comp_targetILNS1_3genE0ELNS1_11target_archE4294967295ELNS1_3gpuE0ELNS1_3repE0EEENS1_30default_config_static_selectorELNS0_4arch9wavefront6targetE1EEEvSK_
		.amdhsa_group_segment_fixed_size 96
		.amdhsa_private_segment_fixed_size 0
		.amdhsa_kernarg_size 40
		.amdhsa_user_sgpr_count 2
		.amdhsa_user_sgpr_dispatch_ptr 0
		.amdhsa_user_sgpr_queue_ptr 0
		.amdhsa_user_sgpr_kernarg_segment_ptr 1
		.amdhsa_user_sgpr_dispatch_id 0
		.amdhsa_user_sgpr_kernarg_preload_length 0
		.amdhsa_user_sgpr_kernarg_preload_offset 0
		.amdhsa_user_sgpr_private_segment_size 0
		.amdhsa_uses_dynamic_stack 0
		.amdhsa_enable_private_segment 0
		.amdhsa_system_sgpr_workgroup_id_x 1
		.amdhsa_system_sgpr_workgroup_id_y 0
		.amdhsa_system_sgpr_workgroup_id_z 0
		.amdhsa_system_sgpr_workgroup_info 0
		.amdhsa_system_vgpr_workitem_id 0
		.amdhsa_next_free_vgpr 38
		.amdhsa_next_free_sgpr 45
		.amdhsa_accum_offset 40
		.amdhsa_reserve_vcc 1
		.amdhsa_float_round_mode_32 0
		.amdhsa_float_round_mode_16_64 0
		.amdhsa_float_denorm_mode_32 3
		.amdhsa_float_denorm_mode_16_64 3
		.amdhsa_dx10_clamp 1
		.amdhsa_ieee_mode 1
		.amdhsa_fp16_overflow 0
		.amdhsa_tg_split 0
		.amdhsa_exception_fp_ieee_invalid_op 0
		.amdhsa_exception_fp_denorm_src 0
		.amdhsa_exception_fp_ieee_div_zero 0
		.amdhsa_exception_fp_ieee_overflow 0
		.amdhsa_exception_fp_ieee_underflow 0
		.amdhsa_exception_fp_ieee_inexact 0
		.amdhsa_exception_int_div_zero 0
	.end_amdhsa_kernel
	.section	.text._ZN7rocprim17ROCPRIM_400000_NS6detail17trampoline_kernelINS0_14default_configENS1_22reduce_config_selectorIxEEZNS1_11reduce_implILb1ES3_N6thrust23THRUST_200600_302600_NS6detail15normal_iteratorINS8_10device_ptrIxEEEEPffNS8_4plusIfEEEE10hipError_tPvRmT1_T2_T3_mT4_P12ihipStream_tbEUlT_E1_NS1_11comp_targetILNS1_3genE0ELNS1_11target_archE4294967295ELNS1_3gpuE0ELNS1_3repE0EEENS1_30default_config_static_selectorELNS0_4arch9wavefront6targetE1EEEvSK_,"axG",@progbits,_ZN7rocprim17ROCPRIM_400000_NS6detail17trampoline_kernelINS0_14default_configENS1_22reduce_config_selectorIxEEZNS1_11reduce_implILb1ES3_N6thrust23THRUST_200600_302600_NS6detail15normal_iteratorINS8_10device_ptrIxEEEEPffNS8_4plusIfEEEE10hipError_tPvRmT1_T2_T3_mT4_P12ihipStream_tbEUlT_E1_NS1_11comp_targetILNS1_3genE0ELNS1_11target_archE4294967295ELNS1_3gpuE0ELNS1_3repE0EEENS1_30default_config_static_selectorELNS0_4arch9wavefront6targetE1EEEvSK_,comdat
.Lfunc_end486:
	.size	_ZN7rocprim17ROCPRIM_400000_NS6detail17trampoline_kernelINS0_14default_configENS1_22reduce_config_selectorIxEEZNS1_11reduce_implILb1ES3_N6thrust23THRUST_200600_302600_NS6detail15normal_iteratorINS8_10device_ptrIxEEEEPffNS8_4plusIfEEEE10hipError_tPvRmT1_T2_T3_mT4_P12ihipStream_tbEUlT_E1_NS1_11comp_targetILNS1_3genE0ELNS1_11target_archE4294967295ELNS1_3gpuE0ELNS1_3repE0EEENS1_30default_config_static_selectorELNS0_4arch9wavefront6targetE1EEEvSK_, .Lfunc_end486-_ZN7rocprim17ROCPRIM_400000_NS6detail17trampoline_kernelINS0_14default_configENS1_22reduce_config_selectorIxEEZNS1_11reduce_implILb1ES3_N6thrust23THRUST_200600_302600_NS6detail15normal_iteratorINS8_10device_ptrIxEEEEPffNS8_4plusIfEEEE10hipError_tPvRmT1_T2_T3_mT4_P12ihipStream_tbEUlT_E1_NS1_11comp_targetILNS1_3genE0ELNS1_11target_archE4294967295ELNS1_3gpuE0ELNS1_3repE0EEENS1_30default_config_static_selectorELNS0_4arch9wavefront6targetE1EEEvSK_
                                        ; -- End function
	.set _ZN7rocprim17ROCPRIM_400000_NS6detail17trampoline_kernelINS0_14default_configENS1_22reduce_config_selectorIxEEZNS1_11reduce_implILb1ES3_N6thrust23THRUST_200600_302600_NS6detail15normal_iteratorINS8_10device_ptrIxEEEEPffNS8_4plusIfEEEE10hipError_tPvRmT1_T2_T3_mT4_P12ihipStream_tbEUlT_E1_NS1_11comp_targetILNS1_3genE0ELNS1_11target_archE4294967295ELNS1_3gpuE0ELNS1_3repE0EEENS1_30default_config_static_selectorELNS0_4arch9wavefront6targetE1EEEvSK_.num_vgpr, 38
	.set _ZN7rocprim17ROCPRIM_400000_NS6detail17trampoline_kernelINS0_14default_configENS1_22reduce_config_selectorIxEEZNS1_11reduce_implILb1ES3_N6thrust23THRUST_200600_302600_NS6detail15normal_iteratorINS8_10device_ptrIxEEEEPffNS8_4plusIfEEEE10hipError_tPvRmT1_T2_T3_mT4_P12ihipStream_tbEUlT_E1_NS1_11comp_targetILNS1_3genE0ELNS1_11target_archE4294967295ELNS1_3gpuE0ELNS1_3repE0EEENS1_30default_config_static_selectorELNS0_4arch9wavefront6targetE1EEEvSK_.num_agpr, 0
	.set _ZN7rocprim17ROCPRIM_400000_NS6detail17trampoline_kernelINS0_14default_configENS1_22reduce_config_selectorIxEEZNS1_11reduce_implILb1ES3_N6thrust23THRUST_200600_302600_NS6detail15normal_iteratorINS8_10device_ptrIxEEEEPffNS8_4plusIfEEEE10hipError_tPvRmT1_T2_T3_mT4_P12ihipStream_tbEUlT_E1_NS1_11comp_targetILNS1_3genE0ELNS1_11target_archE4294967295ELNS1_3gpuE0ELNS1_3repE0EEENS1_30default_config_static_selectorELNS0_4arch9wavefront6targetE1EEEvSK_.numbered_sgpr, 45
	.set _ZN7rocprim17ROCPRIM_400000_NS6detail17trampoline_kernelINS0_14default_configENS1_22reduce_config_selectorIxEEZNS1_11reduce_implILb1ES3_N6thrust23THRUST_200600_302600_NS6detail15normal_iteratorINS8_10device_ptrIxEEEEPffNS8_4plusIfEEEE10hipError_tPvRmT1_T2_T3_mT4_P12ihipStream_tbEUlT_E1_NS1_11comp_targetILNS1_3genE0ELNS1_11target_archE4294967295ELNS1_3gpuE0ELNS1_3repE0EEENS1_30default_config_static_selectorELNS0_4arch9wavefront6targetE1EEEvSK_.num_named_barrier, 0
	.set _ZN7rocprim17ROCPRIM_400000_NS6detail17trampoline_kernelINS0_14default_configENS1_22reduce_config_selectorIxEEZNS1_11reduce_implILb1ES3_N6thrust23THRUST_200600_302600_NS6detail15normal_iteratorINS8_10device_ptrIxEEEEPffNS8_4plusIfEEEE10hipError_tPvRmT1_T2_T3_mT4_P12ihipStream_tbEUlT_E1_NS1_11comp_targetILNS1_3genE0ELNS1_11target_archE4294967295ELNS1_3gpuE0ELNS1_3repE0EEENS1_30default_config_static_selectorELNS0_4arch9wavefront6targetE1EEEvSK_.private_seg_size, 0
	.set _ZN7rocprim17ROCPRIM_400000_NS6detail17trampoline_kernelINS0_14default_configENS1_22reduce_config_selectorIxEEZNS1_11reduce_implILb1ES3_N6thrust23THRUST_200600_302600_NS6detail15normal_iteratorINS8_10device_ptrIxEEEEPffNS8_4plusIfEEEE10hipError_tPvRmT1_T2_T3_mT4_P12ihipStream_tbEUlT_E1_NS1_11comp_targetILNS1_3genE0ELNS1_11target_archE4294967295ELNS1_3gpuE0ELNS1_3repE0EEENS1_30default_config_static_selectorELNS0_4arch9wavefront6targetE1EEEvSK_.uses_vcc, 1
	.set _ZN7rocprim17ROCPRIM_400000_NS6detail17trampoline_kernelINS0_14default_configENS1_22reduce_config_selectorIxEEZNS1_11reduce_implILb1ES3_N6thrust23THRUST_200600_302600_NS6detail15normal_iteratorINS8_10device_ptrIxEEEEPffNS8_4plusIfEEEE10hipError_tPvRmT1_T2_T3_mT4_P12ihipStream_tbEUlT_E1_NS1_11comp_targetILNS1_3genE0ELNS1_11target_archE4294967295ELNS1_3gpuE0ELNS1_3repE0EEENS1_30default_config_static_selectorELNS0_4arch9wavefront6targetE1EEEvSK_.uses_flat_scratch, 0
	.set _ZN7rocprim17ROCPRIM_400000_NS6detail17trampoline_kernelINS0_14default_configENS1_22reduce_config_selectorIxEEZNS1_11reduce_implILb1ES3_N6thrust23THRUST_200600_302600_NS6detail15normal_iteratorINS8_10device_ptrIxEEEEPffNS8_4plusIfEEEE10hipError_tPvRmT1_T2_T3_mT4_P12ihipStream_tbEUlT_E1_NS1_11comp_targetILNS1_3genE0ELNS1_11target_archE4294967295ELNS1_3gpuE0ELNS1_3repE0EEENS1_30default_config_static_selectorELNS0_4arch9wavefront6targetE1EEEvSK_.has_dyn_sized_stack, 0
	.set _ZN7rocprim17ROCPRIM_400000_NS6detail17trampoline_kernelINS0_14default_configENS1_22reduce_config_selectorIxEEZNS1_11reduce_implILb1ES3_N6thrust23THRUST_200600_302600_NS6detail15normal_iteratorINS8_10device_ptrIxEEEEPffNS8_4plusIfEEEE10hipError_tPvRmT1_T2_T3_mT4_P12ihipStream_tbEUlT_E1_NS1_11comp_targetILNS1_3genE0ELNS1_11target_archE4294967295ELNS1_3gpuE0ELNS1_3repE0EEENS1_30default_config_static_selectorELNS0_4arch9wavefront6targetE1EEEvSK_.has_recursion, 0
	.set _ZN7rocprim17ROCPRIM_400000_NS6detail17trampoline_kernelINS0_14default_configENS1_22reduce_config_selectorIxEEZNS1_11reduce_implILb1ES3_N6thrust23THRUST_200600_302600_NS6detail15normal_iteratorINS8_10device_ptrIxEEEEPffNS8_4plusIfEEEE10hipError_tPvRmT1_T2_T3_mT4_P12ihipStream_tbEUlT_E1_NS1_11comp_targetILNS1_3genE0ELNS1_11target_archE4294967295ELNS1_3gpuE0ELNS1_3repE0EEENS1_30default_config_static_selectorELNS0_4arch9wavefront6targetE1EEEvSK_.has_indirect_call, 0
	.section	.AMDGPU.csdata,"",@progbits
; Kernel info:
; codeLenInByte = 10524
; TotalNumSgprs: 51
; NumVgprs: 38
; NumAgprs: 0
; TotalNumVgprs: 38
; ScratchSize: 0
; MemoryBound: 0
; FloatMode: 240
; IeeeMode: 1
; LDSByteSize: 96 bytes/workgroup (compile time only)
; SGPRBlocks: 6
; VGPRBlocks: 4
; NumSGPRsForWavesPerEU: 51
; NumVGPRsForWavesPerEU: 38
; AccumOffset: 40
; Occupancy: 8
; WaveLimiterHint : 1
; COMPUTE_PGM_RSRC2:SCRATCH_EN: 0
; COMPUTE_PGM_RSRC2:USER_SGPR: 2
; COMPUTE_PGM_RSRC2:TRAP_HANDLER: 0
; COMPUTE_PGM_RSRC2:TGID_X_EN: 1
; COMPUTE_PGM_RSRC2:TGID_Y_EN: 0
; COMPUTE_PGM_RSRC2:TGID_Z_EN: 0
; COMPUTE_PGM_RSRC2:TIDIG_COMP_CNT: 0
; COMPUTE_PGM_RSRC3_GFX90A:ACCUM_OFFSET: 9
; COMPUTE_PGM_RSRC3_GFX90A:TG_SPLIT: 0
	.section	.text._ZN7rocprim17ROCPRIM_400000_NS6detail17trampoline_kernelINS0_14default_configENS1_22reduce_config_selectorIxEEZNS1_11reduce_implILb1ES3_N6thrust23THRUST_200600_302600_NS6detail15normal_iteratorINS8_10device_ptrIxEEEEPffNS8_4plusIfEEEE10hipError_tPvRmT1_T2_T3_mT4_P12ihipStream_tbEUlT_E1_NS1_11comp_targetILNS1_3genE5ELNS1_11target_archE942ELNS1_3gpuE9ELNS1_3repE0EEENS1_30default_config_static_selectorELNS0_4arch9wavefront6targetE1EEEvSK_,"axG",@progbits,_ZN7rocprim17ROCPRIM_400000_NS6detail17trampoline_kernelINS0_14default_configENS1_22reduce_config_selectorIxEEZNS1_11reduce_implILb1ES3_N6thrust23THRUST_200600_302600_NS6detail15normal_iteratorINS8_10device_ptrIxEEEEPffNS8_4plusIfEEEE10hipError_tPvRmT1_T2_T3_mT4_P12ihipStream_tbEUlT_E1_NS1_11comp_targetILNS1_3genE5ELNS1_11target_archE942ELNS1_3gpuE9ELNS1_3repE0EEENS1_30default_config_static_selectorELNS0_4arch9wavefront6targetE1EEEvSK_,comdat
	.protected	_ZN7rocprim17ROCPRIM_400000_NS6detail17trampoline_kernelINS0_14default_configENS1_22reduce_config_selectorIxEEZNS1_11reduce_implILb1ES3_N6thrust23THRUST_200600_302600_NS6detail15normal_iteratorINS8_10device_ptrIxEEEEPffNS8_4plusIfEEEE10hipError_tPvRmT1_T2_T3_mT4_P12ihipStream_tbEUlT_E1_NS1_11comp_targetILNS1_3genE5ELNS1_11target_archE942ELNS1_3gpuE9ELNS1_3repE0EEENS1_30default_config_static_selectorELNS0_4arch9wavefront6targetE1EEEvSK_ ; -- Begin function _ZN7rocprim17ROCPRIM_400000_NS6detail17trampoline_kernelINS0_14default_configENS1_22reduce_config_selectorIxEEZNS1_11reduce_implILb1ES3_N6thrust23THRUST_200600_302600_NS6detail15normal_iteratorINS8_10device_ptrIxEEEEPffNS8_4plusIfEEEE10hipError_tPvRmT1_T2_T3_mT4_P12ihipStream_tbEUlT_E1_NS1_11comp_targetILNS1_3genE5ELNS1_11target_archE942ELNS1_3gpuE9ELNS1_3repE0EEENS1_30default_config_static_selectorELNS0_4arch9wavefront6targetE1EEEvSK_
	.globl	_ZN7rocprim17ROCPRIM_400000_NS6detail17trampoline_kernelINS0_14default_configENS1_22reduce_config_selectorIxEEZNS1_11reduce_implILb1ES3_N6thrust23THRUST_200600_302600_NS6detail15normal_iteratorINS8_10device_ptrIxEEEEPffNS8_4plusIfEEEE10hipError_tPvRmT1_T2_T3_mT4_P12ihipStream_tbEUlT_E1_NS1_11comp_targetILNS1_3genE5ELNS1_11target_archE942ELNS1_3gpuE9ELNS1_3repE0EEENS1_30default_config_static_selectorELNS0_4arch9wavefront6targetE1EEEvSK_
	.p2align	8
	.type	_ZN7rocprim17ROCPRIM_400000_NS6detail17trampoline_kernelINS0_14default_configENS1_22reduce_config_selectorIxEEZNS1_11reduce_implILb1ES3_N6thrust23THRUST_200600_302600_NS6detail15normal_iteratorINS8_10device_ptrIxEEEEPffNS8_4plusIfEEEE10hipError_tPvRmT1_T2_T3_mT4_P12ihipStream_tbEUlT_E1_NS1_11comp_targetILNS1_3genE5ELNS1_11target_archE942ELNS1_3gpuE9ELNS1_3repE0EEENS1_30default_config_static_selectorELNS0_4arch9wavefront6targetE1EEEvSK_,@function
_ZN7rocprim17ROCPRIM_400000_NS6detail17trampoline_kernelINS0_14default_configENS1_22reduce_config_selectorIxEEZNS1_11reduce_implILb1ES3_N6thrust23THRUST_200600_302600_NS6detail15normal_iteratorINS8_10device_ptrIxEEEEPffNS8_4plusIfEEEE10hipError_tPvRmT1_T2_T3_mT4_P12ihipStream_tbEUlT_E1_NS1_11comp_targetILNS1_3genE5ELNS1_11target_archE942ELNS1_3gpuE9ELNS1_3repE0EEENS1_30default_config_static_selectorELNS0_4arch9wavefront6targetE1EEEvSK_: ; @_ZN7rocprim17ROCPRIM_400000_NS6detail17trampoline_kernelINS0_14default_configENS1_22reduce_config_selectorIxEEZNS1_11reduce_implILb1ES3_N6thrust23THRUST_200600_302600_NS6detail15normal_iteratorINS8_10device_ptrIxEEEEPffNS8_4plusIfEEEE10hipError_tPvRmT1_T2_T3_mT4_P12ihipStream_tbEUlT_E1_NS1_11comp_targetILNS1_3genE5ELNS1_11target_archE942ELNS1_3gpuE9ELNS1_3repE0EEENS1_30default_config_static_selectorELNS0_4arch9wavefront6targetE1EEEvSK_
; %bb.0:
	.section	.rodata,"a",@progbits
	.p2align	6, 0x0
	.amdhsa_kernel _ZN7rocprim17ROCPRIM_400000_NS6detail17trampoline_kernelINS0_14default_configENS1_22reduce_config_selectorIxEEZNS1_11reduce_implILb1ES3_N6thrust23THRUST_200600_302600_NS6detail15normal_iteratorINS8_10device_ptrIxEEEEPffNS8_4plusIfEEEE10hipError_tPvRmT1_T2_T3_mT4_P12ihipStream_tbEUlT_E1_NS1_11comp_targetILNS1_3genE5ELNS1_11target_archE942ELNS1_3gpuE9ELNS1_3repE0EEENS1_30default_config_static_selectorELNS0_4arch9wavefront6targetE1EEEvSK_
		.amdhsa_group_segment_fixed_size 0
		.amdhsa_private_segment_fixed_size 0
		.amdhsa_kernarg_size 40
		.amdhsa_user_sgpr_count 2
		.amdhsa_user_sgpr_dispatch_ptr 0
		.amdhsa_user_sgpr_queue_ptr 0
		.amdhsa_user_sgpr_kernarg_segment_ptr 1
		.amdhsa_user_sgpr_dispatch_id 0
		.amdhsa_user_sgpr_kernarg_preload_length 0
		.amdhsa_user_sgpr_kernarg_preload_offset 0
		.amdhsa_user_sgpr_private_segment_size 0
		.amdhsa_uses_dynamic_stack 0
		.amdhsa_enable_private_segment 0
		.amdhsa_system_sgpr_workgroup_id_x 1
		.amdhsa_system_sgpr_workgroup_id_y 0
		.amdhsa_system_sgpr_workgroup_id_z 0
		.amdhsa_system_sgpr_workgroup_info 0
		.amdhsa_system_vgpr_workitem_id 0
		.amdhsa_next_free_vgpr 1
		.amdhsa_next_free_sgpr 0
		.amdhsa_accum_offset 4
		.amdhsa_reserve_vcc 0
		.amdhsa_float_round_mode_32 0
		.amdhsa_float_round_mode_16_64 0
		.amdhsa_float_denorm_mode_32 3
		.amdhsa_float_denorm_mode_16_64 3
		.amdhsa_dx10_clamp 1
		.amdhsa_ieee_mode 1
		.amdhsa_fp16_overflow 0
		.amdhsa_tg_split 0
		.amdhsa_exception_fp_ieee_invalid_op 0
		.amdhsa_exception_fp_denorm_src 0
		.amdhsa_exception_fp_ieee_div_zero 0
		.amdhsa_exception_fp_ieee_overflow 0
		.amdhsa_exception_fp_ieee_underflow 0
		.amdhsa_exception_fp_ieee_inexact 0
		.amdhsa_exception_int_div_zero 0
	.end_amdhsa_kernel
	.section	.text._ZN7rocprim17ROCPRIM_400000_NS6detail17trampoline_kernelINS0_14default_configENS1_22reduce_config_selectorIxEEZNS1_11reduce_implILb1ES3_N6thrust23THRUST_200600_302600_NS6detail15normal_iteratorINS8_10device_ptrIxEEEEPffNS8_4plusIfEEEE10hipError_tPvRmT1_T2_T3_mT4_P12ihipStream_tbEUlT_E1_NS1_11comp_targetILNS1_3genE5ELNS1_11target_archE942ELNS1_3gpuE9ELNS1_3repE0EEENS1_30default_config_static_selectorELNS0_4arch9wavefront6targetE1EEEvSK_,"axG",@progbits,_ZN7rocprim17ROCPRIM_400000_NS6detail17trampoline_kernelINS0_14default_configENS1_22reduce_config_selectorIxEEZNS1_11reduce_implILb1ES3_N6thrust23THRUST_200600_302600_NS6detail15normal_iteratorINS8_10device_ptrIxEEEEPffNS8_4plusIfEEEE10hipError_tPvRmT1_T2_T3_mT4_P12ihipStream_tbEUlT_E1_NS1_11comp_targetILNS1_3genE5ELNS1_11target_archE942ELNS1_3gpuE9ELNS1_3repE0EEENS1_30default_config_static_selectorELNS0_4arch9wavefront6targetE1EEEvSK_,comdat
.Lfunc_end487:
	.size	_ZN7rocprim17ROCPRIM_400000_NS6detail17trampoline_kernelINS0_14default_configENS1_22reduce_config_selectorIxEEZNS1_11reduce_implILb1ES3_N6thrust23THRUST_200600_302600_NS6detail15normal_iteratorINS8_10device_ptrIxEEEEPffNS8_4plusIfEEEE10hipError_tPvRmT1_T2_T3_mT4_P12ihipStream_tbEUlT_E1_NS1_11comp_targetILNS1_3genE5ELNS1_11target_archE942ELNS1_3gpuE9ELNS1_3repE0EEENS1_30default_config_static_selectorELNS0_4arch9wavefront6targetE1EEEvSK_, .Lfunc_end487-_ZN7rocprim17ROCPRIM_400000_NS6detail17trampoline_kernelINS0_14default_configENS1_22reduce_config_selectorIxEEZNS1_11reduce_implILb1ES3_N6thrust23THRUST_200600_302600_NS6detail15normal_iteratorINS8_10device_ptrIxEEEEPffNS8_4plusIfEEEE10hipError_tPvRmT1_T2_T3_mT4_P12ihipStream_tbEUlT_E1_NS1_11comp_targetILNS1_3genE5ELNS1_11target_archE942ELNS1_3gpuE9ELNS1_3repE0EEENS1_30default_config_static_selectorELNS0_4arch9wavefront6targetE1EEEvSK_
                                        ; -- End function
	.set _ZN7rocprim17ROCPRIM_400000_NS6detail17trampoline_kernelINS0_14default_configENS1_22reduce_config_selectorIxEEZNS1_11reduce_implILb1ES3_N6thrust23THRUST_200600_302600_NS6detail15normal_iteratorINS8_10device_ptrIxEEEEPffNS8_4plusIfEEEE10hipError_tPvRmT1_T2_T3_mT4_P12ihipStream_tbEUlT_E1_NS1_11comp_targetILNS1_3genE5ELNS1_11target_archE942ELNS1_3gpuE9ELNS1_3repE0EEENS1_30default_config_static_selectorELNS0_4arch9wavefront6targetE1EEEvSK_.num_vgpr, 0
	.set _ZN7rocprim17ROCPRIM_400000_NS6detail17trampoline_kernelINS0_14default_configENS1_22reduce_config_selectorIxEEZNS1_11reduce_implILb1ES3_N6thrust23THRUST_200600_302600_NS6detail15normal_iteratorINS8_10device_ptrIxEEEEPffNS8_4plusIfEEEE10hipError_tPvRmT1_T2_T3_mT4_P12ihipStream_tbEUlT_E1_NS1_11comp_targetILNS1_3genE5ELNS1_11target_archE942ELNS1_3gpuE9ELNS1_3repE0EEENS1_30default_config_static_selectorELNS0_4arch9wavefront6targetE1EEEvSK_.num_agpr, 0
	.set _ZN7rocprim17ROCPRIM_400000_NS6detail17trampoline_kernelINS0_14default_configENS1_22reduce_config_selectorIxEEZNS1_11reduce_implILb1ES3_N6thrust23THRUST_200600_302600_NS6detail15normal_iteratorINS8_10device_ptrIxEEEEPffNS8_4plusIfEEEE10hipError_tPvRmT1_T2_T3_mT4_P12ihipStream_tbEUlT_E1_NS1_11comp_targetILNS1_3genE5ELNS1_11target_archE942ELNS1_3gpuE9ELNS1_3repE0EEENS1_30default_config_static_selectorELNS0_4arch9wavefront6targetE1EEEvSK_.numbered_sgpr, 0
	.set _ZN7rocprim17ROCPRIM_400000_NS6detail17trampoline_kernelINS0_14default_configENS1_22reduce_config_selectorIxEEZNS1_11reduce_implILb1ES3_N6thrust23THRUST_200600_302600_NS6detail15normal_iteratorINS8_10device_ptrIxEEEEPffNS8_4plusIfEEEE10hipError_tPvRmT1_T2_T3_mT4_P12ihipStream_tbEUlT_E1_NS1_11comp_targetILNS1_3genE5ELNS1_11target_archE942ELNS1_3gpuE9ELNS1_3repE0EEENS1_30default_config_static_selectorELNS0_4arch9wavefront6targetE1EEEvSK_.num_named_barrier, 0
	.set _ZN7rocprim17ROCPRIM_400000_NS6detail17trampoline_kernelINS0_14default_configENS1_22reduce_config_selectorIxEEZNS1_11reduce_implILb1ES3_N6thrust23THRUST_200600_302600_NS6detail15normal_iteratorINS8_10device_ptrIxEEEEPffNS8_4plusIfEEEE10hipError_tPvRmT1_T2_T3_mT4_P12ihipStream_tbEUlT_E1_NS1_11comp_targetILNS1_3genE5ELNS1_11target_archE942ELNS1_3gpuE9ELNS1_3repE0EEENS1_30default_config_static_selectorELNS0_4arch9wavefront6targetE1EEEvSK_.private_seg_size, 0
	.set _ZN7rocprim17ROCPRIM_400000_NS6detail17trampoline_kernelINS0_14default_configENS1_22reduce_config_selectorIxEEZNS1_11reduce_implILb1ES3_N6thrust23THRUST_200600_302600_NS6detail15normal_iteratorINS8_10device_ptrIxEEEEPffNS8_4plusIfEEEE10hipError_tPvRmT1_T2_T3_mT4_P12ihipStream_tbEUlT_E1_NS1_11comp_targetILNS1_3genE5ELNS1_11target_archE942ELNS1_3gpuE9ELNS1_3repE0EEENS1_30default_config_static_selectorELNS0_4arch9wavefront6targetE1EEEvSK_.uses_vcc, 0
	.set _ZN7rocprim17ROCPRIM_400000_NS6detail17trampoline_kernelINS0_14default_configENS1_22reduce_config_selectorIxEEZNS1_11reduce_implILb1ES3_N6thrust23THRUST_200600_302600_NS6detail15normal_iteratorINS8_10device_ptrIxEEEEPffNS8_4plusIfEEEE10hipError_tPvRmT1_T2_T3_mT4_P12ihipStream_tbEUlT_E1_NS1_11comp_targetILNS1_3genE5ELNS1_11target_archE942ELNS1_3gpuE9ELNS1_3repE0EEENS1_30default_config_static_selectorELNS0_4arch9wavefront6targetE1EEEvSK_.uses_flat_scratch, 0
	.set _ZN7rocprim17ROCPRIM_400000_NS6detail17trampoline_kernelINS0_14default_configENS1_22reduce_config_selectorIxEEZNS1_11reduce_implILb1ES3_N6thrust23THRUST_200600_302600_NS6detail15normal_iteratorINS8_10device_ptrIxEEEEPffNS8_4plusIfEEEE10hipError_tPvRmT1_T2_T3_mT4_P12ihipStream_tbEUlT_E1_NS1_11comp_targetILNS1_3genE5ELNS1_11target_archE942ELNS1_3gpuE9ELNS1_3repE0EEENS1_30default_config_static_selectorELNS0_4arch9wavefront6targetE1EEEvSK_.has_dyn_sized_stack, 0
	.set _ZN7rocprim17ROCPRIM_400000_NS6detail17trampoline_kernelINS0_14default_configENS1_22reduce_config_selectorIxEEZNS1_11reduce_implILb1ES3_N6thrust23THRUST_200600_302600_NS6detail15normal_iteratorINS8_10device_ptrIxEEEEPffNS8_4plusIfEEEE10hipError_tPvRmT1_T2_T3_mT4_P12ihipStream_tbEUlT_E1_NS1_11comp_targetILNS1_3genE5ELNS1_11target_archE942ELNS1_3gpuE9ELNS1_3repE0EEENS1_30default_config_static_selectorELNS0_4arch9wavefront6targetE1EEEvSK_.has_recursion, 0
	.set _ZN7rocprim17ROCPRIM_400000_NS6detail17trampoline_kernelINS0_14default_configENS1_22reduce_config_selectorIxEEZNS1_11reduce_implILb1ES3_N6thrust23THRUST_200600_302600_NS6detail15normal_iteratorINS8_10device_ptrIxEEEEPffNS8_4plusIfEEEE10hipError_tPvRmT1_T2_T3_mT4_P12ihipStream_tbEUlT_E1_NS1_11comp_targetILNS1_3genE5ELNS1_11target_archE942ELNS1_3gpuE9ELNS1_3repE0EEENS1_30default_config_static_selectorELNS0_4arch9wavefront6targetE1EEEvSK_.has_indirect_call, 0
	.section	.AMDGPU.csdata,"",@progbits
; Kernel info:
; codeLenInByte = 0
; TotalNumSgprs: 6
; NumVgprs: 0
; NumAgprs: 0
; TotalNumVgprs: 0
; ScratchSize: 0
; MemoryBound: 0
; FloatMode: 240
; IeeeMode: 1
; LDSByteSize: 0 bytes/workgroup (compile time only)
; SGPRBlocks: 0
; VGPRBlocks: 0
; NumSGPRsForWavesPerEU: 6
; NumVGPRsForWavesPerEU: 1
; AccumOffset: 4
; Occupancy: 8
; WaveLimiterHint : 0
; COMPUTE_PGM_RSRC2:SCRATCH_EN: 0
; COMPUTE_PGM_RSRC2:USER_SGPR: 2
; COMPUTE_PGM_RSRC2:TRAP_HANDLER: 0
; COMPUTE_PGM_RSRC2:TGID_X_EN: 1
; COMPUTE_PGM_RSRC2:TGID_Y_EN: 0
; COMPUTE_PGM_RSRC2:TGID_Z_EN: 0
; COMPUTE_PGM_RSRC2:TIDIG_COMP_CNT: 0
; COMPUTE_PGM_RSRC3_GFX90A:ACCUM_OFFSET: 0
; COMPUTE_PGM_RSRC3_GFX90A:TG_SPLIT: 0
	.section	.text._ZN7rocprim17ROCPRIM_400000_NS6detail17trampoline_kernelINS0_14default_configENS1_22reduce_config_selectorIxEEZNS1_11reduce_implILb1ES3_N6thrust23THRUST_200600_302600_NS6detail15normal_iteratorINS8_10device_ptrIxEEEEPffNS8_4plusIfEEEE10hipError_tPvRmT1_T2_T3_mT4_P12ihipStream_tbEUlT_E1_NS1_11comp_targetILNS1_3genE4ELNS1_11target_archE910ELNS1_3gpuE8ELNS1_3repE0EEENS1_30default_config_static_selectorELNS0_4arch9wavefront6targetE1EEEvSK_,"axG",@progbits,_ZN7rocprim17ROCPRIM_400000_NS6detail17trampoline_kernelINS0_14default_configENS1_22reduce_config_selectorIxEEZNS1_11reduce_implILb1ES3_N6thrust23THRUST_200600_302600_NS6detail15normal_iteratorINS8_10device_ptrIxEEEEPffNS8_4plusIfEEEE10hipError_tPvRmT1_T2_T3_mT4_P12ihipStream_tbEUlT_E1_NS1_11comp_targetILNS1_3genE4ELNS1_11target_archE910ELNS1_3gpuE8ELNS1_3repE0EEENS1_30default_config_static_selectorELNS0_4arch9wavefront6targetE1EEEvSK_,comdat
	.protected	_ZN7rocprim17ROCPRIM_400000_NS6detail17trampoline_kernelINS0_14default_configENS1_22reduce_config_selectorIxEEZNS1_11reduce_implILb1ES3_N6thrust23THRUST_200600_302600_NS6detail15normal_iteratorINS8_10device_ptrIxEEEEPffNS8_4plusIfEEEE10hipError_tPvRmT1_T2_T3_mT4_P12ihipStream_tbEUlT_E1_NS1_11comp_targetILNS1_3genE4ELNS1_11target_archE910ELNS1_3gpuE8ELNS1_3repE0EEENS1_30default_config_static_selectorELNS0_4arch9wavefront6targetE1EEEvSK_ ; -- Begin function _ZN7rocprim17ROCPRIM_400000_NS6detail17trampoline_kernelINS0_14default_configENS1_22reduce_config_selectorIxEEZNS1_11reduce_implILb1ES3_N6thrust23THRUST_200600_302600_NS6detail15normal_iteratorINS8_10device_ptrIxEEEEPffNS8_4plusIfEEEE10hipError_tPvRmT1_T2_T3_mT4_P12ihipStream_tbEUlT_E1_NS1_11comp_targetILNS1_3genE4ELNS1_11target_archE910ELNS1_3gpuE8ELNS1_3repE0EEENS1_30default_config_static_selectorELNS0_4arch9wavefront6targetE1EEEvSK_
	.globl	_ZN7rocprim17ROCPRIM_400000_NS6detail17trampoline_kernelINS0_14default_configENS1_22reduce_config_selectorIxEEZNS1_11reduce_implILb1ES3_N6thrust23THRUST_200600_302600_NS6detail15normal_iteratorINS8_10device_ptrIxEEEEPffNS8_4plusIfEEEE10hipError_tPvRmT1_T2_T3_mT4_P12ihipStream_tbEUlT_E1_NS1_11comp_targetILNS1_3genE4ELNS1_11target_archE910ELNS1_3gpuE8ELNS1_3repE0EEENS1_30default_config_static_selectorELNS0_4arch9wavefront6targetE1EEEvSK_
	.p2align	8
	.type	_ZN7rocprim17ROCPRIM_400000_NS6detail17trampoline_kernelINS0_14default_configENS1_22reduce_config_selectorIxEEZNS1_11reduce_implILb1ES3_N6thrust23THRUST_200600_302600_NS6detail15normal_iteratorINS8_10device_ptrIxEEEEPffNS8_4plusIfEEEE10hipError_tPvRmT1_T2_T3_mT4_P12ihipStream_tbEUlT_E1_NS1_11comp_targetILNS1_3genE4ELNS1_11target_archE910ELNS1_3gpuE8ELNS1_3repE0EEENS1_30default_config_static_selectorELNS0_4arch9wavefront6targetE1EEEvSK_,@function
_ZN7rocprim17ROCPRIM_400000_NS6detail17trampoline_kernelINS0_14default_configENS1_22reduce_config_selectorIxEEZNS1_11reduce_implILb1ES3_N6thrust23THRUST_200600_302600_NS6detail15normal_iteratorINS8_10device_ptrIxEEEEPffNS8_4plusIfEEEE10hipError_tPvRmT1_T2_T3_mT4_P12ihipStream_tbEUlT_E1_NS1_11comp_targetILNS1_3genE4ELNS1_11target_archE910ELNS1_3gpuE8ELNS1_3repE0EEENS1_30default_config_static_selectorELNS0_4arch9wavefront6targetE1EEEvSK_: ; @_ZN7rocprim17ROCPRIM_400000_NS6detail17trampoline_kernelINS0_14default_configENS1_22reduce_config_selectorIxEEZNS1_11reduce_implILb1ES3_N6thrust23THRUST_200600_302600_NS6detail15normal_iteratorINS8_10device_ptrIxEEEEPffNS8_4plusIfEEEE10hipError_tPvRmT1_T2_T3_mT4_P12ihipStream_tbEUlT_E1_NS1_11comp_targetILNS1_3genE4ELNS1_11target_archE910ELNS1_3gpuE8ELNS1_3repE0EEENS1_30default_config_static_selectorELNS0_4arch9wavefront6targetE1EEEvSK_
; %bb.0:
	.section	.rodata,"a",@progbits
	.p2align	6, 0x0
	.amdhsa_kernel _ZN7rocprim17ROCPRIM_400000_NS6detail17trampoline_kernelINS0_14default_configENS1_22reduce_config_selectorIxEEZNS1_11reduce_implILb1ES3_N6thrust23THRUST_200600_302600_NS6detail15normal_iteratorINS8_10device_ptrIxEEEEPffNS8_4plusIfEEEE10hipError_tPvRmT1_T2_T3_mT4_P12ihipStream_tbEUlT_E1_NS1_11comp_targetILNS1_3genE4ELNS1_11target_archE910ELNS1_3gpuE8ELNS1_3repE0EEENS1_30default_config_static_selectorELNS0_4arch9wavefront6targetE1EEEvSK_
		.amdhsa_group_segment_fixed_size 0
		.amdhsa_private_segment_fixed_size 0
		.amdhsa_kernarg_size 40
		.amdhsa_user_sgpr_count 2
		.amdhsa_user_sgpr_dispatch_ptr 0
		.amdhsa_user_sgpr_queue_ptr 0
		.amdhsa_user_sgpr_kernarg_segment_ptr 1
		.amdhsa_user_sgpr_dispatch_id 0
		.amdhsa_user_sgpr_kernarg_preload_length 0
		.amdhsa_user_sgpr_kernarg_preload_offset 0
		.amdhsa_user_sgpr_private_segment_size 0
		.amdhsa_uses_dynamic_stack 0
		.amdhsa_enable_private_segment 0
		.amdhsa_system_sgpr_workgroup_id_x 1
		.amdhsa_system_sgpr_workgroup_id_y 0
		.amdhsa_system_sgpr_workgroup_id_z 0
		.amdhsa_system_sgpr_workgroup_info 0
		.amdhsa_system_vgpr_workitem_id 0
		.amdhsa_next_free_vgpr 1
		.amdhsa_next_free_sgpr 0
		.amdhsa_accum_offset 4
		.amdhsa_reserve_vcc 0
		.amdhsa_float_round_mode_32 0
		.amdhsa_float_round_mode_16_64 0
		.amdhsa_float_denorm_mode_32 3
		.amdhsa_float_denorm_mode_16_64 3
		.amdhsa_dx10_clamp 1
		.amdhsa_ieee_mode 1
		.amdhsa_fp16_overflow 0
		.amdhsa_tg_split 0
		.amdhsa_exception_fp_ieee_invalid_op 0
		.amdhsa_exception_fp_denorm_src 0
		.amdhsa_exception_fp_ieee_div_zero 0
		.amdhsa_exception_fp_ieee_overflow 0
		.amdhsa_exception_fp_ieee_underflow 0
		.amdhsa_exception_fp_ieee_inexact 0
		.amdhsa_exception_int_div_zero 0
	.end_amdhsa_kernel
	.section	.text._ZN7rocprim17ROCPRIM_400000_NS6detail17trampoline_kernelINS0_14default_configENS1_22reduce_config_selectorIxEEZNS1_11reduce_implILb1ES3_N6thrust23THRUST_200600_302600_NS6detail15normal_iteratorINS8_10device_ptrIxEEEEPffNS8_4plusIfEEEE10hipError_tPvRmT1_T2_T3_mT4_P12ihipStream_tbEUlT_E1_NS1_11comp_targetILNS1_3genE4ELNS1_11target_archE910ELNS1_3gpuE8ELNS1_3repE0EEENS1_30default_config_static_selectorELNS0_4arch9wavefront6targetE1EEEvSK_,"axG",@progbits,_ZN7rocprim17ROCPRIM_400000_NS6detail17trampoline_kernelINS0_14default_configENS1_22reduce_config_selectorIxEEZNS1_11reduce_implILb1ES3_N6thrust23THRUST_200600_302600_NS6detail15normal_iteratorINS8_10device_ptrIxEEEEPffNS8_4plusIfEEEE10hipError_tPvRmT1_T2_T3_mT4_P12ihipStream_tbEUlT_E1_NS1_11comp_targetILNS1_3genE4ELNS1_11target_archE910ELNS1_3gpuE8ELNS1_3repE0EEENS1_30default_config_static_selectorELNS0_4arch9wavefront6targetE1EEEvSK_,comdat
.Lfunc_end488:
	.size	_ZN7rocprim17ROCPRIM_400000_NS6detail17trampoline_kernelINS0_14default_configENS1_22reduce_config_selectorIxEEZNS1_11reduce_implILb1ES3_N6thrust23THRUST_200600_302600_NS6detail15normal_iteratorINS8_10device_ptrIxEEEEPffNS8_4plusIfEEEE10hipError_tPvRmT1_T2_T3_mT4_P12ihipStream_tbEUlT_E1_NS1_11comp_targetILNS1_3genE4ELNS1_11target_archE910ELNS1_3gpuE8ELNS1_3repE0EEENS1_30default_config_static_selectorELNS0_4arch9wavefront6targetE1EEEvSK_, .Lfunc_end488-_ZN7rocprim17ROCPRIM_400000_NS6detail17trampoline_kernelINS0_14default_configENS1_22reduce_config_selectorIxEEZNS1_11reduce_implILb1ES3_N6thrust23THRUST_200600_302600_NS6detail15normal_iteratorINS8_10device_ptrIxEEEEPffNS8_4plusIfEEEE10hipError_tPvRmT1_T2_T3_mT4_P12ihipStream_tbEUlT_E1_NS1_11comp_targetILNS1_3genE4ELNS1_11target_archE910ELNS1_3gpuE8ELNS1_3repE0EEENS1_30default_config_static_selectorELNS0_4arch9wavefront6targetE1EEEvSK_
                                        ; -- End function
	.set _ZN7rocprim17ROCPRIM_400000_NS6detail17trampoline_kernelINS0_14default_configENS1_22reduce_config_selectorIxEEZNS1_11reduce_implILb1ES3_N6thrust23THRUST_200600_302600_NS6detail15normal_iteratorINS8_10device_ptrIxEEEEPffNS8_4plusIfEEEE10hipError_tPvRmT1_T2_T3_mT4_P12ihipStream_tbEUlT_E1_NS1_11comp_targetILNS1_3genE4ELNS1_11target_archE910ELNS1_3gpuE8ELNS1_3repE0EEENS1_30default_config_static_selectorELNS0_4arch9wavefront6targetE1EEEvSK_.num_vgpr, 0
	.set _ZN7rocprim17ROCPRIM_400000_NS6detail17trampoline_kernelINS0_14default_configENS1_22reduce_config_selectorIxEEZNS1_11reduce_implILb1ES3_N6thrust23THRUST_200600_302600_NS6detail15normal_iteratorINS8_10device_ptrIxEEEEPffNS8_4plusIfEEEE10hipError_tPvRmT1_T2_T3_mT4_P12ihipStream_tbEUlT_E1_NS1_11comp_targetILNS1_3genE4ELNS1_11target_archE910ELNS1_3gpuE8ELNS1_3repE0EEENS1_30default_config_static_selectorELNS0_4arch9wavefront6targetE1EEEvSK_.num_agpr, 0
	.set _ZN7rocprim17ROCPRIM_400000_NS6detail17trampoline_kernelINS0_14default_configENS1_22reduce_config_selectorIxEEZNS1_11reduce_implILb1ES3_N6thrust23THRUST_200600_302600_NS6detail15normal_iteratorINS8_10device_ptrIxEEEEPffNS8_4plusIfEEEE10hipError_tPvRmT1_T2_T3_mT4_P12ihipStream_tbEUlT_E1_NS1_11comp_targetILNS1_3genE4ELNS1_11target_archE910ELNS1_3gpuE8ELNS1_3repE0EEENS1_30default_config_static_selectorELNS0_4arch9wavefront6targetE1EEEvSK_.numbered_sgpr, 0
	.set _ZN7rocprim17ROCPRIM_400000_NS6detail17trampoline_kernelINS0_14default_configENS1_22reduce_config_selectorIxEEZNS1_11reduce_implILb1ES3_N6thrust23THRUST_200600_302600_NS6detail15normal_iteratorINS8_10device_ptrIxEEEEPffNS8_4plusIfEEEE10hipError_tPvRmT1_T2_T3_mT4_P12ihipStream_tbEUlT_E1_NS1_11comp_targetILNS1_3genE4ELNS1_11target_archE910ELNS1_3gpuE8ELNS1_3repE0EEENS1_30default_config_static_selectorELNS0_4arch9wavefront6targetE1EEEvSK_.num_named_barrier, 0
	.set _ZN7rocprim17ROCPRIM_400000_NS6detail17trampoline_kernelINS0_14default_configENS1_22reduce_config_selectorIxEEZNS1_11reduce_implILb1ES3_N6thrust23THRUST_200600_302600_NS6detail15normal_iteratorINS8_10device_ptrIxEEEEPffNS8_4plusIfEEEE10hipError_tPvRmT1_T2_T3_mT4_P12ihipStream_tbEUlT_E1_NS1_11comp_targetILNS1_3genE4ELNS1_11target_archE910ELNS1_3gpuE8ELNS1_3repE0EEENS1_30default_config_static_selectorELNS0_4arch9wavefront6targetE1EEEvSK_.private_seg_size, 0
	.set _ZN7rocprim17ROCPRIM_400000_NS6detail17trampoline_kernelINS0_14default_configENS1_22reduce_config_selectorIxEEZNS1_11reduce_implILb1ES3_N6thrust23THRUST_200600_302600_NS6detail15normal_iteratorINS8_10device_ptrIxEEEEPffNS8_4plusIfEEEE10hipError_tPvRmT1_T2_T3_mT4_P12ihipStream_tbEUlT_E1_NS1_11comp_targetILNS1_3genE4ELNS1_11target_archE910ELNS1_3gpuE8ELNS1_3repE0EEENS1_30default_config_static_selectorELNS0_4arch9wavefront6targetE1EEEvSK_.uses_vcc, 0
	.set _ZN7rocprim17ROCPRIM_400000_NS6detail17trampoline_kernelINS0_14default_configENS1_22reduce_config_selectorIxEEZNS1_11reduce_implILb1ES3_N6thrust23THRUST_200600_302600_NS6detail15normal_iteratorINS8_10device_ptrIxEEEEPffNS8_4plusIfEEEE10hipError_tPvRmT1_T2_T3_mT4_P12ihipStream_tbEUlT_E1_NS1_11comp_targetILNS1_3genE4ELNS1_11target_archE910ELNS1_3gpuE8ELNS1_3repE0EEENS1_30default_config_static_selectorELNS0_4arch9wavefront6targetE1EEEvSK_.uses_flat_scratch, 0
	.set _ZN7rocprim17ROCPRIM_400000_NS6detail17trampoline_kernelINS0_14default_configENS1_22reduce_config_selectorIxEEZNS1_11reduce_implILb1ES3_N6thrust23THRUST_200600_302600_NS6detail15normal_iteratorINS8_10device_ptrIxEEEEPffNS8_4plusIfEEEE10hipError_tPvRmT1_T2_T3_mT4_P12ihipStream_tbEUlT_E1_NS1_11comp_targetILNS1_3genE4ELNS1_11target_archE910ELNS1_3gpuE8ELNS1_3repE0EEENS1_30default_config_static_selectorELNS0_4arch9wavefront6targetE1EEEvSK_.has_dyn_sized_stack, 0
	.set _ZN7rocprim17ROCPRIM_400000_NS6detail17trampoline_kernelINS0_14default_configENS1_22reduce_config_selectorIxEEZNS1_11reduce_implILb1ES3_N6thrust23THRUST_200600_302600_NS6detail15normal_iteratorINS8_10device_ptrIxEEEEPffNS8_4plusIfEEEE10hipError_tPvRmT1_T2_T3_mT4_P12ihipStream_tbEUlT_E1_NS1_11comp_targetILNS1_3genE4ELNS1_11target_archE910ELNS1_3gpuE8ELNS1_3repE0EEENS1_30default_config_static_selectorELNS0_4arch9wavefront6targetE1EEEvSK_.has_recursion, 0
	.set _ZN7rocprim17ROCPRIM_400000_NS6detail17trampoline_kernelINS0_14default_configENS1_22reduce_config_selectorIxEEZNS1_11reduce_implILb1ES3_N6thrust23THRUST_200600_302600_NS6detail15normal_iteratorINS8_10device_ptrIxEEEEPffNS8_4plusIfEEEE10hipError_tPvRmT1_T2_T3_mT4_P12ihipStream_tbEUlT_E1_NS1_11comp_targetILNS1_3genE4ELNS1_11target_archE910ELNS1_3gpuE8ELNS1_3repE0EEENS1_30default_config_static_selectorELNS0_4arch9wavefront6targetE1EEEvSK_.has_indirect_call, 0
	.section	.AMDGPU.csdata,"",@progbits
; Kernel info:
; codeLenInByte = 0
; TotalNumSgprs: 6
; NumVgprs: 0
; NumAgprs: 0
; TotalNumVgprs: 0
; ScratchSize: 0
; MemoryBound: 0
; FloatMode: 240
; IeeeMode: 1
; LDSByteSize: 0 bytes/workgroup (compile time only)
; SGPRBlocks: 0
; VGPRBlocks: 0
; NumSGPRsForWavesPerEU: 6
; NumVGPRsForWavesPerEU: 1
; AccumOffset: 4
; Occupancy: 8
; WaveLimiterHint : 0
; COMPUTE_PGM_RSRC2:SCRATCH_EN: 0
; COMPUTE_PGM_RSRC2:USER_SGPR: 2
; COMPUTE_PGM_RSRC2:TRAP_HANDLER: 0
; COMPUTE_PGM_RSRC2:TGID_X_EN: 1
; COMPUTE_PGM_RSRC2:TGID_Y_EN: 0
; COMPUTE_PGM_RSRC2:TGID_Z_EN: 0
; COMPUTE_PGM_RSRC2:TIDIG_COMP_CNT: 0
; COMPUTE_PGM_RSRC3_GFX90A:ACCUM_OFFSET: 0
; COMPUTE_PGM_RSRC3_GFX90A:TG_SPLIT: 0
	.section	.text._ZN7rocprim17ROCPRIM_400000_NS6detail17trampoline_kernelINS0_14default_configENS1_22reduce_config_selectorIxEEZNS1_11reduce_implILb1ES3_N6thrust23THRUST_200600_302600_NS6detail15normal_iteratorINS8_10device_ptrIxEEEEPffNS8_4plusIfEEEE10hipError_tPvRmT1_T2_T3_mT4_P12ihipStream_tbEUlT_E1_NS1_11comp_targetILNS1_3genE3ELNS1_11target_archE908ELNS1_3gpuE7ELNS1_3repE0EEENS1_30default_config_static_selectorELNS0_4arch9wavefront6targetE1EEEvSK_,"axG",@progbits,_ZN7rocprim17ROCPRIM_400000_NS6detail17trampoline_kernelINS0_14default_configENS1_22reduce_config_selectorIxEEZNS1_11reduce_implILb1ES3_N6thrust23THRUST_200600_302600_NS6detail15normal_iteratorINS8_10device_ptrIxEEEEPffNS8_4plusIfEEEE10hipError_tPvRmT1_T2_T3_mT4_P12ihipStream_tbEUlT_E1_NS1_11comp_targetILNS1_3genE3ELNS1_11target_archE908ELNS1_3gpuE7ELNS1_3repE0EEENS1_30default_config_static_selectorELNS0_4arch9wavefront6targetE1EEEvSK_,comdat
	.protected	_ZN7rocprim17ROCPRIM_400000_NS6detail17trampoline_kernelINS0_14default_configENS1_22reduce_config_selectorIxEEZNS1_11reduce_implILb1ES3_N6thrust23THRUST_200600_302600_NS6detail15normal_iteratorINS8_10device_ptrIxEEEEPffNS8_4plusIfEEEE10hipError_tPvRmT1_T2_T3_mT4_P12ihipStream_tbEUlT_E1_NS1_11comp_targetILNS1_3genE3ELNS1_11target_archE908ELNS1_3gpuE7ELNS1_3repE0EEENS1_30default_config_static_selectorELNS0_4arch9wavefront6targetE1EEEvSK_ ; -- Begin function _ZN7rocprim17ROCPRIM_400000_NS6detail17trampoline_kernelINS0_14default_configENS1_22reduce_config_selectorIxEEZNS1_11reduce_implILb1ES3_N6thrust23THRUST_200600_302600_NS6detail15normal_iteratorINS8_10device_ptrIxEEEEPffNS8_4plusIfEEEE10hipError_tPvRmT1_T2_T3_mT4_P12ihipStream_tbEUlT_E1_NS1_11comp_targetILNS1_3genE3ELNS1_11target_archE908ELNS1_3gpuE7ELNS1_3repE0EEENS1_30default_config_static_selectorELNS0_4arch9wavefront6targetE1EEEvSK_
	.globl	_ZN7rocprim17ROCPRIM_400000_NS6detail17trampoline_kernelINS0_14default_configENS1_22reduce_config_selectorIxEEZNS1_11reduce_implILb1ES3_N6thrust23THRUST_200600_302600_NS6detail15normal_iteratorINS8_10device_ptrIxEEEEPffNS8_4plusIfEEEE10hipError_tPvRmT1_T2_T3_mT4_P12ihipStream_tbEUlT_E1_NS1_11comp_targetILNS1_3genE3ELNS1_11target_archE908ELNS1_3gpuE7ELNS1_3repE0EEENS1_30default_config_static_selectorELNS0_4arch9wavefront6targetE1EEEvSK_
	.p2align	8
	.type	_ZN7rocprim17ROCPRIM_400000_NS6detail17trampoline_kernelINS0_14default_configENS1_22reduce_config_selectorIxEEZNS1_11reduce_implILb1ES3_N6thrust23THRUST_200600_302600_NS6detail15normal_iteratorINS8_10device_ptrIxEEEEPffNS8_4plusIfEEEE10hipError_tPvRmT1_T2_T3_mT4_P12ihipStream_tbEUlT_E1_NS1_11comp_targetILNS1_3genE3ELNS1_11target_archE908ELNS1_3gpuE7ELNS1_3repE0EEENS1_30default_config_static_selectorELNS0_4arch9wavefront6targetE1EEEvSK_,@function
_ZN7rocprim17ROCPRIM_400000_NS6detail17trampoline_kernelINS0_14default_configENS1_22reduce_config_selectorIxEEZNS1_11reduce_implILb1ES3_N6thrust23THRUST_200600_302600_NS6detail15normal_iteratorINS8_10device_ptrIxEEEEPffNS8_4plusIfEEEE10hipError_tPvRmT1_T2_T3_mT4_P12ihipStream_tbEUlT_E1_NS1_11comp_targetILNS1_3genE3ELNS1_11target_archE908ELNS1_3gpuE7ELNS1_3repE0EEENS1_30default_config_static_selectorELNS0_4arch9wavefront6targetE1EEEvSK_: ; @_ZN7rocprim17ROCPRIM_400000_NS6detail17trampoline_kernelINS0_14default_configENS1_22reduce_config_selectorIxEEZNS1_11reduce_implILb1ES3_N6thrust23THRUST_200600_302600_NS6detail15normal_iteratorINS8_10device_ptrIxEEEEPffNS8_4plusIfEEEE10hipError_tPvRmT1_T2_T3_mT4_P12ihipStream_tbEUlT_E1_NS1_11comp_targetILNS1_3genE3ELNS1_11target_archE908ELNS1_3gpuE7ELNS1_3repE0EEENS1_30default_config_static_selectorELNS0_4arch9wavefront6targetE1EEEvSK_
; %bb.0:
	.section	.rodata,"a",@progbits
	.p2align	6, 0x0
	.amdhsa_kernel _ZN7rocprim17ROCPRIM_400000_NS6detail17trampoline_kernelINS0_14default_configENS1_22reduce_config_selectorIxEEZNS1_11reduce_implILb1ES3_N6thrust23THRUST_200600_302600_NS6detail15normal_iteratorINS8_10device_ptrIxEEEEPffNS8_4plusIfEEEE10hipError_tPvRmT1_T2_T3_mT4_P12ihipStream_tbEUlT_E1_NS1_11comp_targetILNS1_3genE3ELNS1_11target_archE908ELNS1_3gpuE7ELNS1_3repE0EEENS1_30default_config_static_selectorELNS0_4arch9wavefront6targetE1EEEvSK_
		.amdhsa_group_segment_fixed_size 0
		.amdhsa_private_segment_fixed_size 0
		.amdhsa_kernarg_size 40
		.amdhsa_user_sgpr_count 2
		.amdhsa_user_sgpr_dispatch_ptr 0
		.amdhsa_user_sgpr_queue_ptr 0
		.amdhsa_user_sgpr_kernarg_segment_ptr 1
		.amdhsa_user_sgpr_dispatch_id 0
		.amdhsa_user_sgpr_kernarg_preload_length 0
		.amdhsa_user_sgpr_kernarg_preload_offset 0
		.amdhsa_user_sgpr_private_segment_size 0
		.amdhsa_uses_dynamic_stack 0
		.amdhsa_enable_private_segment 0
		.amdhsa_system_sgpr_workgroup_id_x 1
		.amdhsa_system_sgpr_workgroup_id_y 0
		.amdhsa_system_sgpr_workgroup_id_z 0
		.amdhsa_system_sgpr_workgroup_info 0
		.amdhsa_system_vgpr_workitem_id 0
		.amdhsa_next_free_vgpr 1
		.amdhsa_next_free_sgpr 0
		.amdhsa_accum_offset 4
		.amdhsa_reserve_vcc 0
		.amdhsa_float_round_mode_32 0
		.amdhsa_float_round_mode_16_64 0
		.amdhsa_float_denorm_mode_32 3
		.amdhsa_float_denorm_mode_16_64 3
		.amdhsa_dx10_clamp 1
		.amdhsa_ieee_mode 1
		.amdhsa_fp16_overflow 0
		.amdhsa_tg_split 0
		.amdhsa_exception_fp_ieee_invalid_op 0
		.amdhsa_exception_fp_denorm_src 0
		.amdhsa_exception_fp_ieee_div_zero 0
		.amdhsa_exception_fp_ieee_overflow 0
		.amdhsa_exception_fp_ieee_underflow 0
		.amdhsa_exception_fp_ieee_inexact 0
		.amdhsa_exception_int_div_zero 0
	.end_amdhsa_kernel
	.section	.text._ZN7rocprim17ROCPRIM_400000_NS6detail17trampoline_kernelINS0_14default_configENS1_22reduce_config_selectorIxEEZNS1_11reduce_implILb1ES3_N6thrust23THRUST_200600_302600_NS6detail15normal_iteratorINS8_10device_ptrIxEEEEPffNS8_4plusIfEEEE10hipError_tPvRmT1_T2_T3_mT4_P12ihipStream_tbEUlT_E1_NS1_11comp_targetILNS1_3genE3ELNS1_11target_archE908ELNS1_3gpuE7ELNS1_3repE0EEENS1_30default_config_static_selectorELNS0_4arch9wavefront6targetE1EEEvSK_,"axG",@progbits,_ZN7rocprim17ROCPRIM_400000_NS6detail17trampoline_kernelINS0_14default_configENS1_22reduce_config_selectorIxEEZNS1_11reduce_implILb1ES3_N6thrust23THRUST_200600_302600_NS6detail15normal_iteratorINS8_10device_ptrIxEEEEPffNS8_4plusIfEEEE10hipError_tPvRmT1_T2_T3_mT4_P12ihipStream_tbEUlT_E1_NS1_11comp_targetILNS1_3genE3ELNS1_11target_archE908ELNS1_3gpuE7ELNS1_3repE0EEENS1_30default_config_static_selectorELNS0_4arch9wavefront6targetE1EEEvSK_,comdat
.Lfunc_end489:
	.size	_ZN7rocprim17ROCPRIM_400000_NS6detail17trampoline_kernelINS0_14default_configENS1_22reduce_config_selectorIxEEZNS1_11reduce_implILb1ES3_N6thrust23THRUST_200600_302600_NS6detail15normal_iteratorINS8_10device_ptrIxEEEEPffNS8_4plusIfEEEE10hipError_tPvRmT1_T2_T3_mT4_P12ihipStream_tbEUlT_E1_NS1_11comp_targetILNS1_3genE3ELNS1_11target_archE908ELNS1_3gpuE7ELNS1_3repE0EEENS1_30default_config_static_selectorELNS0_4arch9wavefront6targetE1EEEvSK_, .Lfunc_end489-_ZN7rocprim17ROCPRIM_400000_NS6detail17trampoline_kernelINS0_14default_configENS1_22reduce_config_selectorIxEEZNS1_11reduce_implILb1ES3_N6thrust23THRUST_200600_302600_NS6detail15normal_iteratorINS8_10device_ptrIxEEEEPffNS8_4plusIfEEEE10hipError_tPvRmT1_T2_T3_mT4_P12ihipStream_tbEUlT_E1_NS1_11comp_targetILNS1_3genE3ELNS1_11target_archE908ELNS1_3gpuE7ELNS1_3repE0EEENS1_30default_config_static_selectorELNS0_4arch9wavefront6targetE1EEEvSK_
                                        ; -- End function
	.set _ZN7rocprim17ROCPRIM_400000_NS6detail17trampoline_kernelINS0_14default_configENS1_22reduce_config_selectorIxEEZNS1_11reduce_implILb1ES3_N6thrust23THRUST_200600_302600_NS6detail15normal_iteratorINS8_10device_ptrIxEEEEPffNS8_4plusIfEEEE10hipError_tPvRmT1_T2_T3_mT4_P12ihipStream_tbEUlT_E1_NS1_11comp_targetILNS1_3genE3ELNS1_11target_archE908ELNS1_3gpuE7ELNS1_3repE0EEENS1_30default_config_static_selectorELNS0_4arch9wavefront6targetE1EEEvSK_.num_vgpr, 0
	.set _ZN7rocprim17ROCPRIM_400000_NS6detail17trampoline_kernelINS0_14default_configENS1_22reduce_config_selectorIxEEZNS1_11reduce_implILb1ES3_N6thrust23THRUST_200600_302600_NS6detail15normal_iteratorINS8_10device_ptrIxEEEEPffNS8_4plusIfEEEE10hipError_tPvRmT1_T2_T3_mT4_P12ihipStream_tbEUlT_E1_NS1_11comp_targetILNS1_3genE3ELNS1_11target_archE908ELNS1_3gpuE7ELNS1_3repE0EEENS1_30default_config_static_selectorELNS0_4arch9wavefront6targetE1EEEvSK_.num_agpr, 0
	.set _ZN7rocprim17ROCPRIM_400000_NS6detail17trampoline_kernelINS0_14default_configENS1_22reduce_config_selectorIxEEZNS1_11reduce_implILb1ES3_N6thrust23THRUST_200600_302600_NS6detail15normal_iteratorINS8_10device_ptrIxEEEEPffNS8_4plusIfEEEE10hipError_tPvRmT1_T2_T3_mT4_P12ihipStream_tbEUlT_E1_NS1_11comp_targetILNS1_3genE3ELNS1_11target_archE908ELNS1_3gpuE7ELNS1_3repE0EEENS1_30default_config_static_selectorELNS0_4arch9wavefront6targetE1EEEvSK_.numbered_sgpr, 0
	.set _ZN7rocprim17ROCPRIM_400000_NS6detail17trampoline_kernelINS0_14default_configENS1_22reduce_config_selectorIxEEZNS1_11reduce_implILb1ES3_N6thrust23THRUST_200600_302600_NS6detail15normal_iteratorINS8_10device_ptrIxEEEEPffNS8_4plusIfEEEE10hipError_tPvRmT1_T2_T3_mT4_P12ihipStream_tbEUlT_E1_NS1_11comp_targetILNS1_3genE3ELNS1_11target_archE908ELNS1_3gpuE7ELNS1_3repE0EEENS1_30default_config_static_selectorELNS0_4arch9wavefront6targetE1EEEvSK_.num_named_barrier, 0
	.set _ZN7rocprim17ROCPRIM_400000_NS6detail17trampoline_kernelINS0_14default_configENS1_22reduce_config_selectorIxEEZNS1_11reduce_implILb1ES3_N6thrust23THRUST_200600_302600_NS6detail15normal_iteratorINS8_10device_ptrIxEEEEPffNS8_4plusIfEEEE10hipError_tPvRmT1_T2_T3_mT4_P12ihipStream_tbEUlT_E1_NS1_11comp_targetILNS1_3genE3ELNS1_11target_archE908ELNS1_3gpuE7ELNS1_3repE0EEENS1_30default_config_static_selectorELNS0_4arch9wavefront6targetE1EEEvSK_.private_seg_size, 0
	.set _ZN7rocprim17ROCPRIM_400000_NS6detail17trampoline_kernelINS0_14default_configENS1_22reduce_config_selectorIxEEZNS1_11reduce_implILb1ES3_N6thrust23THRUST_200600_302600_NS6detail15normal_iteratorINS8_10device_ptrIxEEEEPffNS8_4plusIfEEEE10hipError_tPvRmT1_T2_T3_mT4_P12ihipStream_tbEUlT_E1_NS1_11comp_targetILNS1_3genE3ELNS1_11target_archE908ELNS1_3gpuE7ELNS1_3repE0EEENS1_30default_config_static_selectorELNS0_4arch9wavefront6targetE1EEEvSK_.uses_vcc, 0
	.set _ZN7rocprim17ROCPRIM_400000_NS6detail17trampoline_kernelINS0_14default_configENS1_22reduce_config_selectorIxEEZNS1_11reduce_implILb1ES3_N6thrust23THRUST_200600_302600_NS6detail15normal_iteratorINS8_10device_ptrIxEEEEPffNS8_4plusIfEEEE10hipError_tPvRmT1_T2_T3_mT4_P12ihipStream_tbEUlT_E1_NS1_11comp_targetILNS1_3genE3ELNS1_11target_archE908ELNS1_3gpuE7ELNS1_3repE0EEENS1_30default_config_static_selectorELNS0_4arch9wavefront6targetE1EEEvSK_.uses_flat_scratch, 0
	.set _ZN7rocprim17ROCPRIM_400000_NS6detail17trampoline_kernelINS0_14default_configENS1_22reduce_config_selectorIxEEZNS1_11reduce_implILb1ES3_N6thrust23THRUST_200600_302600_NS6detail15normal_iteratorINS8_10device_ptrIxEEEEPffNS8_4plusIfEEEE10hipError_tPvRmT1_T2_T3_mT4_P12ihipStream_tbEUlT_E1_NS1_11comp_targetILNS1_3genE3ELNS1_11target_archE908ELNS1_3gpuE7ELNS1_3repE0EEENS1_30default_config_static_selectorELNS0_4arch9wavefront6targetE1EEEvSK_.has_dyn_sized_stack, 0
	.set _ZN7rocprim17ROCPRIM_400000_NS6detail17trampoline_kernelINS0_14default_configENS1_22reduce_config_selectorIxEEZNS1_11reduce_implILb1ES3_N6thrust23THRUST_200600_302600_NS6detail15normal_iteratorINS8_10device_ptrIxEEEEPffNS8_4plusIfEEEE10hipError_tPvRmT1_T2_T3_mT4_P12ihipStream_tbEUlT_E1_NS1_11comp_targetILNS1_3genE3ELNS1_11target_archE908ELNS1_3gpuE7ELNS1_3repE0EEENS1_30default_config_static_selectorELNS0_4arch9wavefront6targetE1EEEvSK_.has_recursion, 0
	.set _ZN7rocprim17ROCPRIM_400000_NS6detail17trampoline_kernelINS0_14default_configENS1_22reduce_config_selectorIxEEZNS1_11reduce_implILb1ES3_N6thrust23THRUST_200600_302600_NS6detail15normal_iteratorINS8_10device_ptrIxEEEEPffNS8_4plusIfEEEE10hipError_tPvRmT1_T2_T3_mT4_P12ihipStream_tbEUlT_E1_NS1_11comp_targetILNS1_3genE3ELNS1_11target_archE908ELNS1_3gpuE7ELNS1_3repE0EEENS1_30default_config_static_selectorELNS0_4arch9wavefront6targetE1EEEvSK_.has_indirect_call, 0
	.section	.AMDGPU.csdata,"",@progbits
; Kernel info:
; codeLenInByte = 0
; TotalNumSgprs: 6
; NumVgprs: 0
; NumAgprs: 0
; TotalNumVgprs: 0
; ScratchSize: 0
; MemoryBound: 0
; FloatMode: 240
; IeeeMode: 1
; LDSByteSize: 0 bytes/workgroup (compile time only)
; SGPRBlocks: 0
; VGPRBlocks: 0
; NumSGPRsForWavesPerEU: 6
; NumVGPRsForWavesPerEU: 1
; AccumOffset: 4
; Occupancy: 8
; WaveLimiterHint : 0
; COMPUTE_PGM_RSRC2:SCRATCH_EN: 0
; COMPUTE_PGM_RSRC2:USER_SGPR: 2
; COMPUTE_PGM_RSRC2:TRAP_HANDLER: 0
; COMPUTE_PGM_RSRC2:TGID_X_EN: 1
; COMPUTE_PGM_RSRC2:TGID_Y_EN: 0
; COMPUTE_PGM_RSRC2:TGID_Z_EN: 0
; COMPUTE_PGM_RSRC2:TIDIG_COMP_CNT: 0
; COMPUTE_PGM_RSRC3_GFX90A:ACCUM_OFFSET: 0
; COMPUTE_PGM_RSRC3_GFX90A:TG_SPLIT: 0
	.section	.text._ZN7rocprim17ROCPRIM_400000_NS6detail17trampoline_kernelINS0_14default_configENS1_22reduce_config_selectorIxEEZNS1_11reduce_implILb1ES3_N6thrust23THRUST_200600_302600_NS6detail15normal_iteratorINS8_10device_ptrIxEEEEPffNS8_4plusIfEEEE10hipError_tPvRmT1_T2_T3_mT4_P12ihipStream_tbEUlT_E1_NS1_11comp_targetILNS1_3genE2ELNS1_11target_archE906ELNS1_3gpuE6ELNS1_3repE0EEENS1_30default_config_static_selectorELNS0_4arch9wavefront6targetE1EEEvSK_,"axG",@progbits,_ZN7rocprim17ROCPRIM_400000_NS6detail17trampoline_kernelINS0_14default_configENS1_22reduce_config_selectorIxEEZNS1_11reduce_implILb1ES3_N6thrust23THRUST_200600_302600_NS6detail15normal_iteratorINS8_10device_ptrIxEEEEPffNS8_4plusIfEEEE10hipError_tPvRmT1_T2_T3_mT4_P12ihipStream_tbEUlT_E1_NS1_11comp_targetILNS1_3genE2ELNS1_11target_archE906ELNS1_3gpuE6ELNS1_3repE0EEENS1_30default_config_static_selectorELNS0_4arch9wavefront6targetE1EEEvSK_,comdat
	.protected	_ZN7rocprim17ROCPRIM_400000_NS6detail17trampoline_kernelINS0_14default_configENS1_22reduce_config_selectorIxEEZNS1_11reduce_implILb1ES3_N6thrust23THRUST_200600_302600_NS6detail15normal_iteratorINS8_10device_ptrIxEEEEPffNS8_4plusIfEEEE10hipError_tPvRmT1_T2_T3_mT4_P12ihipStream_tbEUlT_E1_NS1_11comp_targetILNS1_3genE2ELNS1_11target_archE906ELNS1_3gpuE6ELNS1_3repE0EEENS1_30default_config_static_selectorELNS0_4arch9wavefront6targetE1EEEvSK_ ; -- Begin function _ZN7rocprim17ROCPRIM_400000_NS6detail17trampoline_kernelINS0_14default_configENS1_22reduce_config_selectorIxEEZNS1_11reduce_implILb1ES3_N6thrust23THRUST_200600_302600_NS6detail15normal_iteratorINS8_10device_ptrIxEEEEPffNS8_4plusIfEEEE10hipError_tPvRmT1_T2_T3_mT4_P12ihipStream_tbEUlT_E1_NS1_11comp_targetILNS1_3genE2ELNS1_11target_archE906ELNS1_3gpuE6ELNS1_3repE0EEENS1_30default_config_static_selectorELNS0_4arch9wavefront6targetE1EEEvSK_
	.globl	_ZN7rocprim17ROCPRIM_400000_NS6detail17trampoline_kernelINS0_14default_configENS1_22reduce_config_selectorIxEEZNS1_11reduce_implILb1ES3_N6thrust23THRUST_200600_302600_NS6detail15normal_iteratorINS8_10device_ptrIxEEEEPffNS8_4plusIfEEEE10hipError_tPvRmT1_T2_T3_mT4_P12ihipStream_tbEUlT_E1_NS1_11comp_targetILNS1_3genE2ELNS1_11target_archE906ELNS1_3gpuE6ELNS1_3repE0EEENS1_30default_config_static_selectorELNS0_4arch9wavefront6targetE1EEEvSK_
	.p2align	8
	.type	_ZN7rocprim17ROCPRIM_400000_NS6detail17trampoline_kernelINS0_14default_configENS1_22reduce_config_selectorIxEEZNS1_11reduce_implILb1ES3_N6thrust23THRUST_200600_302600_NS6detail15normal_iteratorINS8_10device_ptrIxEEEEPffNS8_4plusIfEEEE10hipError_tPvRmT1_T2_T3_mT4_P12ihipStream_tbEUlT_E1_NS1_11comp_targetILNS1_3genE2ELNS1_11target_archE906ELNS1_3gpuE6ELNS1_3repE0EEENS1_30default_config_static_selectorELNS0_4arch9wavefront6targetE1EEEvSK_,@function
_ZN7rocprim17ROCPRIM_400000_NS6detail17trampoline_kernelINS0_14default_configENS1_22reduce_config_selectorIxEEZNS1_11reduce_implILb1ES3_N6thrust23THRUST_200600_302600_NS6detail15normal_iteratorINS8_10device_ptrIxEEEEPffNS8_4plusIfEEEE10hipError_tPvRmT1_T2_T3_mT4_P12ihipStream_tbEUlT_E1_NS1_11comp_targetILNS1_3genE2ELNS1_11target_archE906ELNS1_3gpuE6ELNS1_3repE0EEENS1_30default_config_static_selectorELNS0_4arch9wavefront6targetE1EEEvSK_: ; @_ZN7rocprim17ROCPRIM_400000_NS6detail17trampoline_kernelINS0_14default_configENS1_22reduce_config_selectorIxEEZNS1_11reduce_implILb1ES3_N6thrust23THRUST_200600_302600_NS6detail15normal_iteratorINS8_10device_ptrIxEEEEPffNS8_4plusIfEEEE10hipError_tPvRmT1_T2_T3_mT4_P12ihipStream_tbEUlT_E1_NS1_11comp_targetILNS1_3genE2ELNS1_11target_archE906ELNS1_3gpuE6ELNS1_3repE0EEENS1_30default_config_static_selectorELNS0_4arch9wavefront6targetE1EEEvSK_
; %bb.0:
	.section	.rodata,"a",@progbits
	.p2align	6, 0x0
	.amdhsa_kernel _ZN7rocprim17ROCPRIM_400000_NS6detail17trampoline_kernelINS0_14default_configENS1_22reduce_config_selectorIxEEZNS1_11reduce_implILb1ES3_N6thrust23THRUST_200600_302600_NS6detail15normal_iteratorINS8_10device_ptrIxEEEEPffNS8_4plusIfEEEE10hipError_tPvRmT1_T2_T3_mT4_P12ihipStream_tbEUlT_E1_NS1_11comp_targetILNS1_3genE2ELNS1_11target_archE906ELNS1_3gpuE6ELNS1_3repE0EEENS1_30default_config_static_selectorELNS0_4arch9wavefront6targetE1EEEvSK_
		.amdhsa_group_segment_fixed_size 0
		.amdhsa_private_segment_fixed_size 0
		.amdhsa_kernarg_size 40
		.amdhsa_user_sgpr_count 2
		.amdhsa_user_sgpr_dispatch_ptr 0
		.amdhsa_user_sgpr_queue_ptr 0
		.amdhsa_user_sgpr_kernarg_segment_ptr 1
		.amdhsa_user_sgpr_dispatch_id 0
		.amdhsa_user_sgpr_kernarg_preload_length 0
		.amdhsa_user_sgpr_kernarg_preload_offset 0
		.amdhsa_user_sgpr_private_segment_size 0
		.amdhsa_uses_dynamic_stack 0
		.amdhsa_enable_private_segment 0
		.amdhsa_system_sgpr_workgroup_id_x 1
		.amdhsa_system_sgpr_workgroup_id_y 0
		.amdhsa_system_sgpr_workgroup_id_z 0
		.amdhsa_system_sgpr_workgroup_info 0
		.amdhsa_system_vgpr_workitem_id 0
		.amdhsa_next_free_vgpr 1
		.amdhsa_next_free_sgpr 0
		.amdhsa_accum_offset 4
		.amdhsa_reserve_vcc 0
		.amdhsa_float_round_mode_32 0
		.amdhsa_float_round_mode_16_64 0
		.amdhsa_float_denorm_mode_32 3
		.amdhsa_float_denorm_mode_16_64 3
		.amdhsa_dx10_clamp 1
		.amdhsa_ieee_mode 1
		.amdhsa_fp16_overflow 0
		.amdhsa_tg_split 0
		.amdhsa_exception_fp_ieee_invalid_op 0
		.amdhsa_exception_fp_denorm_src 0
		.amdhsa_exception_fp_ieee_div_zero 0
		.amdhsa_exception_fp_ieee_overflow 0
		.amdhsa_exception_fp_ieee_underflow 0
		.amdhsa_exception_fp_ieee_inexact 0
		.amdhsa_exception_int_div_zero 0
	.end_amdhsa_kernel
	.section	.text._ZN7rocprim17ROCPRIM_400000_NS6detail17trampoline_kernelINS0_14default_configENS1_22reduce_config_selectorIxEEZNS1_11reduce_implILb1ES3_N6thrust23THRUST_200600_302600_NS6detail15normal_iteratorINS8_10device_ptrIxEEEEPffNS8_4plusIfEEEE10hipError_tPvRmT1_T2_T3_mT4_P12ihipStream_tbEUlT_E1_NS1_11comp_targetILNS1_3genE2ELNS1_11target_archE906ELNS1_3gpuE6ELNS1_3repE0EEENS1_30default_config_static_selectorELNS0_4arch9wavefront6targetE1EEEvSK_,"axG",@progbits,_ZN7rocprim17ROCPRIM_400000_NS6detail17trampoline_kernelINS0_14default_configENS1_22reduce_config_selectorIxEEZNS1_11reduce_implILb1ES3_N6thrust23THRUST_200600_302600_NS6detail15normal_iteratorINS8_10device_ptrIxEEEEPffNS8_4plusIfEEEE10hipError_tPvRmT1_T2_T3_mT4_P12ihipStream_tbEUlT_E1_NS1_11comp_targetILNS1_3genE2ELNS1_11target_archE906ELNS1_3gpuE6ELNS1_3repE0EEENS1_30default_config_static_selectorELNS0_4arch9wavefront6targetE1EEEvSK_,comdat
.Lfunc_end490:
	.size	_ZN7rocprim17ROCPRIM_400000_NS6detail17trampoline_kernelINS0_14default_configENS1_22reduce_config_selectorIxEEZNS1_11reduce_implILb1ES3_N6thrust23THRUST_200600_302600_NS6detail15normal_iteratorINS8_10device_ptrIxEEEEPffNS8_4plusIfEEEE10hipError_tPvRmT1_T2_T3_mT4_P12ihipStream_tbEUlT_E1_NS1_11comp_targetILNS1_3genE2ELNS1_11target_archE906ELNS1_3gpuE6ELNS1_3repE0EEENS1_30default_config_static_selectorELNS0_4arch9wavefront6targetE1EEEvSK_, .Lfunc_end490-_ZN7rocprim17ROCPRIM_400000_NS6detail17trampoline_kernelINS0_14default_configENS1_22reduce_config_selectorIxEEZNS1_11reduce_implILb1ES3_N6thrust23THRUST_200600_302600_NS6detail15normal_iteratorINS8_10device_ptrIxEEEEPffNS8_4plusIfEEEE10hipError_tPvRmT1_T2_T3_mT4_P12ihipStream_tbEUlT_E1_NS1_11comp_targetILNS1_3genE2ELNS1_11target_archE906ELNS1_3gpuE6ELNS1_3repE0EEENS1_30default_config_static_selectorELNS0_4arch9wavefront6targetE1EEEvSK_
                                        ; -- End function
	.set _ZN7rocprim17ROCPRIM_400000_NS6detail17trampoline_kernelINS0_14default_configENS1_22reduce_config_selectorIxEEZNS1_11reduce_implILb1ES3_N6thrust23THRUST_200600_302600_NS6detail15normal_iteratorINS8_10device_ptrIxEEEEPffNS8_4plusIfEEEE10hipError_tPvRmT1_T2_T3_mT4_P12ihipStream_tbEUlT_E1_NS1_11comp_targetILNS1_3genE2ELNS1_11target_archE906ELNS1_3gpuE6ELNS1_3repE0EEENS1_30default_config_static_selectorELNS0_4arch9wavefront6targetE1EEEvSK_.num_vgpr, 0
	.set _ZN7rocprim17ROCPRIM_400000_NS6detail17trampoline_kernelINS0_14default_configENS1_22reduce_config_selectorIxEEZNS1_11reduce_implILb1ES3_N6thrust23THRUST_200600_302600_NS6detail15normal_iteratorINS8_10device_ptrIxEEEEPffNS8_4plusIfEEEE10hipError_tPvRmT1_T2_T3_mT4_P12ihipStream_tbEUlT_E1_NS1_11comp_targetILNS1_3genE2ELNS1_11target_archE906ELNS1_3gpuE6ELNS1_3repE0EEENS1_30default_config_static_selectorELNS0_4arch9wavefront6targetE1EEEvSK_.num_agpr, 0
	.set _ZN7rocprim17ROCPRIM_400000_NS6detail17trampoline_kernelINS0_14default_configENS1_22reduce_config_selectorIxEEZNS1_11reduce_implILb1ES3_N6thrust23THRUST_200600_302600_NS6detail15normal_iteratorINS8_10device_ptrIxEEEEPffNS8_4plusIfEEEE10hipError_tPvRmT1_T2_T3_mT4_P12ihipStream_tbEUlT_E1_NS1_11comp_targetILNS1_3genE2ELNS1_11target_archE906ELNS1_3gpuE6ELNS1_3repE0EEENS1_30default_config_static_selectorELNS0_4arch9wavefront6targetE1EEEvSK_.numbered_sgpr, 0
	.set _ZN7rocprim17ROCPRIM_400000_NS6detail17trampoline_kernelINS0_14default_configENS1_22reduce_config_selectorIxEEZNS1_11reduce_implILb1ES3_N6thrust23THRUST_200600_302600_NS6detail15normal_iteratorINS8_10device_ptrIxEEEEPffNS8_4plusIfEEEE10hipError_tPvRmT1_T2_T3_mT4_P12ihipStream_tbEUlT_E1_NS1_11comp_targetILNS1_3genE2ELNS1_11target_archE906ELNS1_3gpuE6ELNS1_3repE0EEENS1_30default_config_static_selectorELNS0_4arch9wavefront6targetE1EEEvSK_.num_named_barrier, 0
	.set _ZN7rocprim17ROCPRIM_400000_NS6detail17trampoline_kernelINS0_14default_configENS1_22reduce_config_selectorIxEEZNS1_11reduce_implILb1ES3_N6thrust23THRUST_200600_302600_NS6detail15normal_iteratorINS8_10device_ptrIxEEEEPffNS8_4plusIfEEEE10hipError_tPvRmT1_T2_T3_mT4_P12ihipStream_tbEUlT_E1_NS1_11comp_targetILNS1_3genE2ELNS1_11target_archE906ELNS1_3gpuE6ELNS1_3repE0EEENS1_30default_config_static_selectorELNS0_4arch9wavefront6targetE1EEEvSK_.private_seg_size, 0
	.set _ZN7rocprim17ROCPRIM_400000_NS6detail17trampoline_kernelINS0_14default_configENS1_22reduce_config_selectorIxEEZNS1_11reduce_implILb1ES3_N6thrust23THRUST_200600_302600_NS6detail15normal_iteratorINS8_10device_ptrIxEEEEPffNS8_4plusIfEEEE10hipError_tPvRmT1_T2_T3_mT4_P12ihipStream_tbEUlT_E1_NS1_11comp_targetILNS1_3genE2ELNS1_11target_archE906ELNS1_3gpuE6ELNS1_3repE0EEENS1_30default_config_static_selectorELNS0_4arch9wavefront6targetE1EEEvSK_.uses_vcc, 0
	.set _ZN7rocprim17ROCPRIM_400000_NS6detail17trampoline_kernelINS0_14default_configENS1_22reduce_config_selectorIxEEZNS1_11reduce_implILb1ES3_N6thrust23THRUST_200600_302600_NS6detail15normal_iteratorINS8_10device_ptrIxEEEEPffNS8_4plusIfEEEE10hipError_tPvRmT1_T2_T3_mT4_P12ihipStream_tbEUlT_E1_NS1_11comp_targetILNS1_3genE2ELNS1_11target_archE906ELNS1_3gpuE6ELNS1_3repE0EEENS1_30default_config_static_selectorELNS0_4arch9wavefront6targetE1EEEvSK_.uses_flat_scratch, 0
	.set _ZN7rocprim17ROCPRIM_400000_NS6detail17trampoline_kernelINS0_14default_configENS1_22reduce_config_selectorIxEEZNS1_11reduce_implILb1ES3_N6thrust23THRUST_200600_302600_NS6detail15normal_iteratorINS8_10device_ptrIxEEEEPffNS8_4plusIfEEEE10hipError_tPvRmT1_T2_T3_mT4_P12ihipStream_tbEUlT_E1_NS1_11comp_targetILNS1_3genE2ELNS1_11target_archE906ELNS1_3gpuE6ELNS1_3repE0EEENS1_30default_config_static_selectorELNS0_4arch9wavefront6targetE1EEEvSK_.has_dyn_sized_stack, 0
	.set _ZN7rocprim17ROCPRIM_400000_NS6detail17trampoline_kernelINS0_14default_configENS1_22reduce_config_selectorIxEEZNS1_11reduce_implILb1ES3_N6thrust23THRUST_200600_302600_NS6detail15normal_iteratorINS8_10device_ptrIxEEEEPffNS8_4plusIfEEEE10hipError_tPvRmT1_T2_T3_mT4_P12ihipStream_tbEUlT_E1_NS1_11comp_targetILNS1_3genE2ELNS1_11target_archE906ELNS1_3gpuE6ELNS1_3repE0EEENS1_30default_config_static_selectorELNS0_4arch9wavefront6targetE1EEEvSK_.has_recursion, 0
	.set _ZN7rocprim17ROCPRIM_400000_NS6detail17trampoline_kernelINS0_14default_configENS1_22reduce_config_selectorIxEEZNS1_11reduce_implILb1ES3_N6thrust23THRUST_200600_302600_NS6detail15normal_iteratorINS8_10device_ptrIxEEEEPffNS8_4plusIfEEEE10hipError_tPvRmT1_T2_T3_mT4_P12ihipStream_tbEUlT_E1_NS1_11comp_targetILNS1_3genE2ELNS1_11target_archE906ELNS1_3gpuE6ELNS1_3repE0EEENS1_30default_config_static_selectorELNS0_4arch9wavefront6targetE1EEEvSK_.has_indirect_call, 0
	.section	.AMDGPU.csdata,"",@progbits
; Kernel info:
; codeLenInByte = 0
; TotalNumSgprs: 6
; NumVgprs: 0
; NumAgprs: 0
; TotalNumVgprs: 0
; ScratchSize: 0
; MemoryBound: 0
; FloatMode: 240
; IeeeMode: 1
; LDSByteSize: 0 bytes/workgroup (compile time only)
; SGPRBlocks: 0
; VGPRBlocks: 0
; NumSGPRsForWavesPerEU: 6
; NumVGPRsForWavesPerEU: 1
; AccumOffset: 4
; Occupancy: 8
; WaveLimiterHint : 0
; COMPUTE_PGM_RSRC2:SCRATCH_EN: 0
; COMPUTE_PGM_RSRC2:USER_SGPR: 2
; COMPUTE_PGM_RSRC2:TRAP_HANDLER: 0
; COMPUTE_PGM_RSRC2:TGID_X_EN: 1
; COMPUTE_PGM_RSRC2:TGID_Y_EN: 0
; COMPUTE_PGM_RSRC2:TGID_Z_EN: 0
; COMPUTE_PGM_RSRC2:TIDIG_COMP_CNT: 0
; COMPUTE_PGM_RSRC3_GFX90A:ACCUM_OFFSET: 0
; COMPUTE_PGM_RSRC3_GFX90A:TG_SPLIT: 0
	.section	.text._ZN7rocprim17ROCPRIM_400000_NS6detail17trampoline_kernelINS0_14default_configENS1_22reduce_config_selectorIxEEZNS1_11reduce_implILb1ES3_N6thrust23THRUST_200600_302600_NS6detail15normal_iteratorINS8_10device_ptrIxEEEEPffNS8_4plusIfEEEE10hipError_tPvRmT1_T2_T3_mT4_P12ihipStream_tbEUlT_E1_NS1_11comp_targetILNS1_3genE10ELNS1_11target_archE1201ELNS1_3gpuE5ELNS1_3repE0EEENS1_30default_config_static_selectorELNS0_4arch9wavefront6targetE1EEEvSK_,"axG",@progbits,_ZN7rocprim17ROCPRIM_400000_NS6detail17trampoline_kernelINS0_14default_configENS1_22reduce_config_selectorIxEEZNS1_11reduce_implILb1ES3_N6thrust23THRUST_200600_302600_NS6detail15normal_iteratorINS8_10device_ptrIxEEEEPffNS8_4plusIfEEEE10hipError_tPvRmT1_T2_T3_mT4_P12ihipStream_tbEUlT_E1_NS1_11comp_targetILNS1_3genE10ELNS1_11target_archE1201ELNS1_3gpuE5ELNS1_3repE0EEENS1_30default_config_static_selectorELNS0_4arch9wavefront6targetE1EEEvSK_,comdat
	.protected	_ZN7rocprim17ROCPRIM_400000_NS6detail17trampoline_kernelINS0_14default_configENS1_22reduce_config_selectorIxEEZNS1_11reduce_implILb1ES3_N6thrust23THRUST_200600_302600_NS6detail15normal_iteratorINS8_10device_ptrIxEEEEPffNS8_4plusIfEEEE10hipError_tPvRmT1_T2_T3_mT4_P12ihipStream_tbEUlT_E1_NS1_11comp_targetILNS1_3genE10ELNS1_11target_archE1201ELNS1_3gpuE5ELNS1_3repE0EEENS1_30default_config_static_selectorELNS0_4arch9wavefront6targetE1EEEvSK_ ; -- Begin function _ZN7rocprim17ROCPRIM_400000_NS6detail17trampoline_kernelINS0_14default_configENS1_22reduce_config_selectorIxEEZNS1_11reduce_implILb1ES3_N6thrust23THRUST_200600_302600_NS6detail15normal_iteratorINS8_10device_ptrIxEEEEPffNS8_4plusIfEEEE10hipError_tPvRmT1_T2_T3_mT4_P12ihipStream_tbEUlT_E1_NS1_11comp_targetILNS1_3genE10ELNS1_11target_archE1201ELNS1_3gpuE5ELNS1_3repE0EEENS1_30default_config_static_selectorELNS0_4arch9wavefront6targetE1EEEvSK_
	.globl	_ZN7rocprim17ROCPRIM_400000_NS6detail17trampoline_kernelINS0_14default_configENS1_22reduce_config_selectorIxEEZNS1_11reduce_implILb1ES3_N6thrust23THRUST_200600_302600_NS6detail15normal_iteratorINS8_10device_ptrIxEEEEPffNS8_4plusIfEEEE10hipError_tPvRmT1_T2_T3_mT4_P12ihipStream_tbEUlT_E1_NS1_11comp_targetILNS1_3genE10ELNS1_11target_archE1201ELNS1_3gpuE5ELNS1_3repE0EEENS1_30default_config_static_selectorELNS0_4arch9wavefront6targetE1EEEvSK_
	.p2align	8
	.type	_ZN7rocprim17ROCPRIM_400000_NS6detail17trampoline_kernelINS0_14default_configENS1_22reduce_config_selectorIxEEZNS1_11reduce_implILb1ES3_N6thrust23THRUST_200600_302600_NS6detail15normal_iteratorINS8_10device_ptrIxEEEEPffNS8_4plusIfEEEE10hipError_tPvRmT1_T2_T3_mT4_P12ihipStream_tbEUlT_E1_NS1_11comp_targetILNS1_3genE10ELNS1_11target_archE1201ELNS1_3gpuE5ELNS1_3repE0EEENS1_30default_config_static_selectorELNS0_4arch9wavefront6targetE1EEEvSK_,@function
_ZN7rocprim17ROCPRIM_400000_NS6detail17trampoline_kernelINS0_14default_configENS1_22reduce_config_selectorIxEEZNS1_11reduce_implILb1ES3_N6thrust23THRUST_200600_302600_NS6detail15normal_iteratorINS8_10device_ptrIxEEEEPffNS8_4plusIfEEEE10hipError_tPvRmT1_T2_T3_mT4_P12ihipStream_tbEUlT_E1_NS1_11comp_targetILNS1_3genE10ELNS1_11target_archE1201ELNS1_3gpuE5ELNS1_3repE0EEENS1_30default_config_static_selectorELNS0_4arch9wavefront6targetE1EEEvSK_: ; @_ZN7rocprim17ROCPRIM_400000_NS6detail17trampoline_kernelINS0_14default_configENS1_22reduce_config_selectorIxEEZNS1_11reduce_implILb1ES3_N6thrust23THRUST_200600_302600_NS6detail15normal_iteratorINS8_10device_ptrIxEEEEPffNS8_4plusIfEEEE10hipError_tPvRmT1_T2_T3_mT4_P12ihipStream_tbEUlT_E1_NS1_11comp_targetILNS1_3genE10ELNS1_11target_archE1201ELNS1_3gpuE5ELNS1_3repE0EEENS1_30default_config_static_selectorELNS0_4arch9wavefront6targetE1EEEvSK_
; %bb.0:
	.section	.rodata,"a",@progbits
	.p2align	6, 0x0
	.amdhsa_kernel _ZN7rocprim17ROCPRIM_400000_NS6detail17trampoline_kernelINS0_14default_configENS1_22reduce_config_selectorIxEEZNS1_11reduce_implILb1ES3_N6thrust23THRUST_200600_302600_NS6detail15normal_iteratorINS8_10device_ptrIxEEEEPffNS8_4plusIfEEEE10hipError_tPvRmT1_T2_T3_mT4_P12ihipStream_tbEUlT_E1_NS1_11comp_targetILNS1_3genE10ELNS1_11target_archE1201ELNS1_3gpuE5ELNS1_3repE0EEENS1_30default_config_static_selectorELNS0_4arch9wavefront6targetE1EEEvSK_
		.amdhsa_group_segment_fixed_size 0
		.amdhsa_private_segment_fixed_size 0
		.amdhsa_kernarg_size 40
		.amdhsa_user_sgpr_count 2
		.amdhsa_user_sgpr_dispatch_ptr 0
		.amdhsa_user_sgpr_queue_ptr 0
		.amdhsa_user_sgpr_kernarg_segment_ptr 1
		.amdhsa_user_sgpr_dispatch_id 0
		.amdhsa_user_sgpr_kernarg_preload_length 0
		.amdhsa_user_sgpr_kernarg_preload_offset 0
		.amdhsa_user_sgpr_private_segment_size 0
		.amdhsa_uses_dynamic_stack 0
		.amdhsa_enable_private_segment 0
		.amdhsa_system_sgpr_workgroup_id_x 1
		.amdhsa_system_sgpr_workgroup_id_y 0
		.amdhsa_system_sgpr_workgroup_id_z 0
		.amdhsa_system_sgpr_workgroup_info 0
		.amdhsa_system_vgpr_workitem_id 0
		.amdhsa_next_free_vgpr 1
		.amdhsa_next_free_sgpr 0
		.amdhsa_accum_offset 4
		.amdhsa_reserve_vcc 0
		.amdhsa_float_round_mode_32 0
		.amdhsa_float_round_mode_16_64 0
		.amdhsa_float_denorm_mode_32 3
		.amdhsa_float_denorm_mode_16_64 3
		.amdhsa_dx10_clamp 1
		.amdhsa_ieee_mode 1
		.amdhsa_fp16_overflow 0
		.amdhsa_tg_split 0
		.amdhsa_exception_fp_ieee_invalid_op 0
		.amdhsa_exception_fp_denorm_src 0
		.amdhsa_exception_fp_ieee_div_zero 0
		.amdhsa_exception_fp_ieee_overflow 0
		.amdhsa_exception_fp_ieee_underflow 0
		.amdhsa_exception_fp_ieee_inexact 0
		.amdhsa_exception_int_div_zero 0
	.end_amdhsa_kernel
	.section	.text._ZN7rocprim17ROCPRIM_400000_NS6detail17trampoline_kernelINS0_14default_configENS1_22reduce_config_selectorIxEEZNS1_11reduce_implILb1ES3_N6thrust23THRUST_200600_302600_NS6detail15normal_iteratorINS8_10device_ptrIxEEEEPffNS8_4plusIfEEEE10hipError_tPvRmT1_T2_T3_mT4_P12ihipStream_tbEUlT_E1_NS1_11comp_targetILNS1_3genE10ELNS1_11target_archE1201ELNS1_3gpuE5ELNS1_3repE0EEENS1_30default_config_static_selectorELNS0_4arch9wavefront6targetE1EEEvSK_,"axG",@progbits,_ZN7rocprim17ROCPRIM_400000_NS6detail17trampoline_kernelINS0_14default_configENS1_22reduce_config_selectorIxEEZNS1_11reduce_implILb1ES3_N6thrust23THRUST_200600_302600_NS6detail15normal_iteratorINS8_10device_ptrIxEEEEPffNS8_4plusIfEEEE10hipError_tPvRmT1_T2_T3_mT4_P12ihipStream_tbEUlT_E1_NS1_11comp_targetILNS1_3genE10ELNS1_11target_archE1201ELNS1_3gpuE5ELNS1_3repE0EEENS1_30default_config_static_selectorELNS0_4arch9wavefront6targetE1EEEvSK_,comdat
.Lfunc_end491:
	.size	_ZN7rocprim17ROCPRIM_400000_NS6detail17trampoline_kernelINS0_14default_configENS1_22reduce_config_selectorIxEEZNS1_11reduce_implILb1ES3_N6thrust23THRUST_200600_302600_NS6detail15normal_iteratorINS8_10device_ptrIxEEEEPffNS8_4plusIfEEEE10hipError_tPvRmT1_T2_T3_mT4_P12ihipStream_tbEUlT_E1_NS1_11comp_targetILNS1_3genE10ELNS1_11target_archE1201ELNS1_3gpuE5ELNS1_3repE0EEENS1_30default_config_static_selectorELNS0_4arch9wavefront6targetE1EEEvSK_, .Lfunc_end491-_ZN7rocprim17ROCPRIM_400000_NS6detail17trampoline_kernelINS0_14default_configENS1_22reduce_config_selectorIxEEZNS1_11reduce_implILb1ES3_N6thrust23THRUST_200600_302600_NS6detail15normal_iteratorINS8_10device_ptrIxEEEEPffNS8_4plusIfEEEE10hipError_tPvRmT1_T2_T3_mT4_P12ihipStream_tbEUlT_E1_NS1_11comp_targetILNS1_3genE10ELNS1_11target_archE1201ELNS1_3gpuE5ELNS1_3repE0EEENS1_30default_config_static_selectorELNS0_4arch9wavefront6targetE1EEEvSK_
                                        ; -- End function
	.set _ZN7rocprim17ROCPRIM_400000_NS6detail17trampoline_kernelINS0_14default_configENS1_22reduce_config_selectorIxEEZNS1_11reduce_implILb1ES3_N6thrust23THRUST_200600_302600_NS6detail15normal_iteratorINS8_10device_ptrIxEEEEPffNS8_4plusIfEEEE10hipError_tPvRmT1_T2_T3_mT4_P12ihipStream_tbEUlT_E1_NS1_11comp_targetILNS1_3genE10ELNS1_11target_archE1201ELNS1_3gpuE5ELNS1_3repE0EEENS1_30default_config_static_selectorELNS0_4arch9wavefront6targetE1EEEvSK_.num_vgpr, 0
	.set _ZN7rocprim17ROCPRIM_400000_NS6detail17trampoline_kernelINS0_14default_configENS1_22reduce_config_selectorIxEEZNS1_11reduce_implILb1ES3_N6thrust23THRUST_200600_302600_NS6detail15normal_iteratorINS8_10device_ptrIxEEEEPffNS8_4plusIfEEEE10hipError_tPvRmT1_T2_T3_mT4_P12ihipStream_tbEUlT_E1_NS1_11comp_targetILNS1_3genE10ELNS1_11target_archE1201ELNS1_3gpuE5ELNS1_3repE0EEENS1_30default_config_static_selectorELNS0_4arch9wavefront6targetE1EEEvSK_.num_agpr, 0
	.set _ZN7rocprim17ROCPRIM_400000_NS6detail17trampoline_kernelINS0_14default_configENS1_22reduce_config_selectorIxEEZNS1_11reduce_implILb1ES3_N6thrust23THRUST_200600_302600_NS6detail15normal_iteratorINS8_10device_ptrIxEEEEPffNS8_4plusIfEEEE10hipError_tPvRmT1_T2_T3_mT4_P12ihipStream_tbEUlT_E1_NS1_11comp_targetILNS1_3genE10ELNS1_11target_archE1201ELNS1_3gpuE5ELNS1_3repE0EEENS1_30default_config_static_selectorELNS0_4arch9wavefront6targetE1EEEvSK_.numbered_sgpr, 0
	.set _ZN7rocprim17ROCPRIM_400000_NS6detail17trampoline_kernelINS0_14default_configENS1_22reduce_config_selectorIxEEZNS1_11reduce_implILb1ES3_N6thrust23THRUST_200600_302600_NS6detail15normal_iteratorINS8_10device_ptrIxEEEEPffNS8_4plusIfEEEE10hipError_tPvRmT1_T2_T3_mT4_P12ihipStream_tbEUlT_E1_NS1_11comp_targetILNS1_3genE10ELNS1_11target_archE1201ELNS1_3gpuE5ELNS1_3repE0EEENS1_30default_config_static_selectorELNS0_4arch9wavefront6targetE1EEEvSK_.num_named_barrier, 0
	.set _ZN7rocprim17ROCPRIM_400000_NS6detail17trampoline_kernelINS0_14default_configENS1_22reduce_config_selectorIxEEZNS1_11reduce_implILb1ES3_N6thrust23THRUST_200600_302600_NS6detail15normal_iteratorINS8_10device_ptrIxEEEEPffNS8_4plusIfEEEE10hipError_tPvRmT1_T2_T3_mT4_P12ihipStream_tbEUlT_E1_NS1_11comp_targetILNS1_3genE10ELNS1_11target_archE1201ELNS1_3gpuE5ELNS1_3repE0EEENS1_30default_config_static_selectorELNS0_4arch9wavefront6targetE1EEEvSK_.private_seg_size, 0
	.set _ZN7rocprim17ROCPRIM_400000_NS6detail17trampoline_kernelINS0_14default_configENS1_22reduce_config_selectorIxEEZNS1_11reduce_implILb1ES3_N6thrust23THRUST_200600_302600_NS6detail15normal_iteratorINS8_10device_ptrIxEEEEPffNS8_4plusIfEEEE10hipError_tPvRmT1_T2_T3_mT4_P12ihipStream_tbEUlT_E1_NS1_11comp_targetILNS1_3genE10ELNS1_11target_archE1201ELNS1_3gpuE5ELNS1_3repE0EEENS1_30default_config_static_selectorELNS0_4arch9wavefront6targetE1EEEvSK_.uses_vcc, 0
	.set _ZN7rocprim17ROCPRIM_400000_NS6detail17trampoline_kernelINS0_14default_configENS1_22reduce_config_selectorIxEEZNS1_11reduce_implILb1ES3_N6thrust23THRUST_200600_302600_NS6detail15normal_iteratorINS8_10device_ptrIxEEEEPffNS8_4plusIfEEEE10hipError_tPvRmT1_T2_T3_mT4_P12ihipStream_tbEUlT_E1_NS1_11comp_targetILNS1_3genE10ELNS1_11target_archE1201ELNS1_3gpuE5ELNS1_3repE0EEENS1_30default_config_static_selectorELNS0_4arch9wavefront6targetE1EEEvSK_.uses_flat_scratch, 0
	.set _ZN7rocprim17ROCPRIM_400000_NS6detail17trampoline_kernelINS0_14default_configENS1_22reduce_config_selectorIxEEZNS1_11reduce_implILb1ES3_N6thrust23THRUST_200600_302600_NS6detail15normal_iteratorINS8_10device_ptrIxEEEEPffNS8_4plusIfEEEE10hipError_tPvRmT1_T2_T3_mT4_P12ihipStream_tbEUlT_E1_NS1_11comp_targetILNS1_3genE10ELNS1_11target_archE1201ELNS1_3gpuE5ELNS1_3repE0EEENS1_30default_config_static_selectorELNS0_4arch9wavefront6targetE1EEEvSK_.has_dyn_sized_stack, 0
	.set _ZN7rocprim17ROCPRIM_400000_NS6detail17trampoline_kernelINS0_14default_configENS1_22reduce_config_selectorIxEEZNS1_11reduce_implILb1ES3_N6thrust23THRUST_200600_302600_NS6detail15normal_iteratorINS8_10device_ptrIxEEEEPffNS8_4plusIfEEEE10hipError_tPvRmT1_T2_T3_mT4_P12ihipStream_tbEUlT_E1_NS1_11comp_targetILNS1_3genE10ELNS1_11target_archE1201ELNS1_3gpuE5ELNS1_3repE0EEENS1_30default_config_static_selectorELNS0_4arch9wavefront6targetE1EEEvSK_.has_recursion, 0
	.set _ZN7rocprim17ROCPRIM_400000_NS6detail17trampoline_kernelINS0_14default_configENS1_22reduce_config_selectorIxEEZNS1_11reduce_implILb1ES3_N6thrust23THRUST_200600_302600_NS6detail15normal_iteratorINS8_10device_ptrIxEEEEPffNS8_4plusIfEEEE10hipError_tPvRmT1_T2_T3_mT4_P12ihipStream_tbEUlT_E1_NS1_11comp_targetILNS1_3genE10ELNS1_11target_archE1201ELNS1_3gpuE5ELNS1_3repE0EEENS1_30default_config_static_selectorELNS0_4arch9wavefront6targetE1EEEvSK_.has_indirect_call, 0
	.section	.AMDGPU.csdata,"",@progbits
; Kernel info:
; codeLenInByte = 0
; TotalNumSgprs: 6
; NumVgprs: 0
; NumAgprs: 0
; TotalNumVgprs: 0
; ScratchSize: 0
; MemoryBound: 0
; FloatMode: 240
; IeeeMode: 1
; LDSByteSize: 0 bytes/workgroup (compile time only)
; SGPRBlocks: 0
; VGPRBlocks: 0
; NumSGPRsForWavesPerEU: 6
; NumVGPRsForWavesPerEU: 1
; AccumOffset: 4
; Occupancy: 8
; WaveLimiterHint : 0
; COMPUTE_PGM_RSRC2:SCRATCH_EN: 0
; COMPUTE_PGM_RSRC2:USER_SGPR: 2
; COMPUTE_PGM_RSRC2:TRAP_HANDLER: 0
; COMPUTE_PGM_RSRC2:TGID_X_EN: 1
; COMPUTE_PGM_RSRC2:TGID_Y_EN: 0
; COMPUTE_PGM_RSRC2:TGID_Z_EN: 0
; COMPUTE_PGM_RSRC2:TIDIG_COMP_CNT: 0
; COMPUTE_PGM_RSRC3_GFX90A:ACCUM_OFFSET: 0
; COMPUTE_PGM_RSRC3_GFX90A:TG_SPLIT: 0
	.section	.text._ZN7rocprim17ROCPRIM_400000_NS6detail17trampoline_kernelINS0_14default_configENS1_22reduce_config_selectorIxEEZNS1_11reduce_implILb1ES3_N6thrust23THRUST_200600_302600_NS6detail15normal_iteratorINS8_10device_ptrIxEEEEPffNS8_4plusIfEEEE10hipError_tPvRmT1_T2_T3_mT4_P12ihipStream_tbEUlT_E1_NS1_11comp_targetILNS1_3genE10ELNS1_11target_archE1200ELNS1_3gpuE4ELNS1_3repE0EEENS1_30default_config_static_selectorELNS0_4arch9wavefront6targetE1EEEvSK_,"axG",@progbits,_ZN7rocprim17ROCPRIM_400000_NS6detail17trampoline_kernelINS0_14default_configENS1_22reduce_config_selectorIxEEZNS1_11reduce_implILb1ES3_N6thrust23THRUST_200600_302600_NS6detail15normal_iteratorINS8_10device_ptrIxEEEEPffNS8_4plusIfEEEE10hipError_tPvRmT1_T2_T3_mT4_P12ihipStream_tbEUlT_E1_NS1_11comp_targetILNS1_3genE10ELNS1_11target_archE1200ELNS1_3gpuE4ELNS1_3repE0EEENS1_30default_config_static_selectorELNS0_4arch9wavefront6targetE1EEEvSK_,comdat
	.protected	_ZN7rocprim17ROCPRIM_400000_NS6detail17trampoline_kernelINS0_14default_configENS1_22reduce_config_selectorIxEEZNS1_11reduce_implILb1ES3_N6thrust23THRUST_200600_302600_NS6detail15normal_iteratorINS8_10device_ptrIxEEEEPffNS8_4plusIfEEEE10hipError_tPvRmT1_T2_T3_mT4_P12ihipStream_tbEUlT_E1_NS1_11comp_targetILNS1_3genE10ELNS1_11target_archE1200ELNS1_3gpuE4ELNS1_3repE0EEENS1_30default_config_static_selectorELNS0_4arch9wavefront6targetE1EEEvSK_ ; -- Begin function _ZN7rocprim17ROCPRIM_400000_NS6detail17trampoline_kernelINS0_14default_configENS1_22reduce_config_selectorIxEEZNS1_11reduce_implILb1ES3_N6thrust23THRUST_200600_302600_NS6detail15normal_iteratorINS8_10device_ptrIxEEEEPffNS8_4plusIfEEEE10hipError_tPvRmT1_T2_T3_mT4_P12ihipStream_tbEUlT_E1_NS1_11comp_targetILNS1_3genE10ELNS1_11target_archE1200ELNS1_3gpuE4ELNS1_3repE0EEENS1_30default_config_static_selectorELNS0_4arch9wavefront6targetE1EEEvSK_
	.globl	_ZN7rocprim17ROCPRIM_400000_NS6detail17trampoline_kernelINS0_14default_configENS1_22reduce_config_selectorIxEEZNS1_11reduce_implILb1ES3_N6thrust23THRUST_200600_302600_NS6detail15normal_iteratorINS8_10device_ptrIxEEEEPffNS8_4plusIfEEEE10hipError_tPvRmT1_T2_T3_mT4_P12ihipStream_tbEUlT_E1_NS1_11comp_targetILNS1_3genE10ELNS1_11target_archE1200ELNS1_3gpuE4ELNS1_3repE0EEENS1_30default_config_static_selectorELNS0_4arch9wavefront6targetE1EEEvSK_
	.p2align	8
	.type	_ZN7rocprim17ROCPRIM_400000_NS6detail17trampoline_kernelINS0_14default_configENS1_22reduce_config_selectorIxEEZNS1_11reduce_implILb1ES3_N6thrust23THRUST_200600_302600_NS6detail15normal_iteratorINS8_10device_ptrIxEEEEPffNS8_4plusIfEEEE10hipError_tPvRmT1_T2_T3_mT4_P12ihipStream_tbEUlT_E1_NS1_11comp_targetILNS1_3genE10ELNS1_11target_archE1200ELNS1_3gpuE4ELNS1_3repE0EEENS1_30default_config_static_selectorELNS0_4arch9wavefront6targetE1EEEvSK_,@function
_ZN7rocprim17ROCPRIM_400000_NS6detail17trampoline_kernelINS0_14default_configENS1_22reduce_config_selectorIxEEZNS1_11reduce_implILb1ES3_N6thrust23THRUST_200600_302600_NS6detail15normal_iteratorINS8_10device_ptrIxEEEEPffNS8_4plusIfEEEE10hipError_tPvRmT1_T2_T3_mT4_P12ihipStream_tbEUlT_E1_NS1_11comp_targetILNS1_3genE10ELNS1_11target_archE1200ELNS1_3gpuE4ELNS1_3repE0EEENS1_30default_config_static_selectorELNS0_4arch9wavefront6targetE1EEEvSK_: ; @_ZN7rocprim17ROCPRIM_400000_NS6detail17trampoline_kernelINS0_14default_configENS1_22reduce_config_selectorIxEEZNS1_11reduce_implILb1ES3_N6thrust23THRUST_200600_302600_NS6detail15normal_iteratorINS8_10device_ptrIxEEEEPffNS8_4plusIfEEEE10hipError_tPvRmT1_T2_T3_mT4_P12ihipStream_tbEUlT_E1_NS1_11comp_targetILNS1_3genE10ELNS1_11target_archE1200ELNS1_3gpuE4ELNS1_3repE0EEENS1_30default_config_static_selectorELNS0_4arch9wavefront6targetE1EEEvSK_
; %bb.0:
	.section	.rodata,"a",@progbits
	.p2align	6, 0x0
	.amdhsa_kernel _ZN7rocprim17ROCPRIM_400000_NS6detail17trampoline_kernelINS0_14default_configENS1_22reduce_config_selectorIxEEZNS1_11reduce_implILb1ES3_N6thrust23THRUST_200600_302600_NS6detail15normal_iteratorINS8_10device_ptrIxEEEEPffNS8_4plusIfEEEE10hipError_tPvRmT1_T2_T3_mT4_P12ihipStream_tbEUlT_E1_NS1_11comp_targetILNS1_3genE10ELNS1_11target_archE1200ELNS1_3gpuE4ELNS1_3repE0EEENS1_30default_config_static_selectorELNS0_4arch9wavefront6targetE1EEEvSK_
		.amdhsa_group_segment_fixed_size 0
		.amdhsa_private_segment_fixed_size 0
		.amdhsa_kernarg_size 40
		.amdhsa_user_sgpr_count 2
		.amdhsa_user_sgpr_dispatch_ptr 0
		.amdhsa_user_sgpr_queue_ptr 0
		.amdhsa_user_sgpr_kernarg_segment_ptr 1
		.amdhsa_user_sgpr_dispatch_id 0
		.amdhsa_user_sgpr_kernarg_preload_length 0
		.amdhsa_user_sgpr_kernarg_preload_offset 0
		.amdhsa_user_sgpr_private_segment_size 0
		.amdhsa_uses_dynamic_stack 0
		.amdhsa_enable_private_segment 0
		.amdhsa_system_sgpr_workgroup_id_x 1
		.amdhsa_system_sgpr_workgroup_id_y 0
		.amdhsa_system_sgpr_workgroup_id_z 0
		.amdhsa_system_sgpr_workgroup_info 0
		.amdhsa_system_vgpr_workitem_id 0
		.amdhsa_next_free_vgpr 1
		.amdhsa_next_free_sgpr 0
		.amdhsa_accum_offset 4
		.amdhsa_reserve_vcc 0
		.amdhsa_float_round_mode_32 0
		.amdhsa_float_round_mode_16_64 0
		.amdhsa_float_denorm_mode_32 3
		.amdhsa_float_denorm_mode_16_64 3
		.amdhsa_dx10_clamp 1
		.amdhsa_ieee_mode 1
		.amdhsa_fp16_overflow 0
		.amdhsa_tg_split 0
		.amdhsa_exception_fp_ieee_invalid_op 0
		.amdhsa_exception_fp_denorm_src 0
		.amdhsa_exception_fp_ieee_div_zero 0
		.amdhsa_exception_fp_ieee_overflow 0
		.amdhsa_exception_fp_ieee_underflow 0
		.amdhsa_exception_fp_ieee_inexact 0
		.amdhsa_exception_int_div_zero 0
	.end_amdhsa_kernel
	.section	.text._ZN7rocprim17ROCPRIM_400000_NS6detail17trampoline_kernelINS0_14default_configENS1_22reduce_config_selectorIxEEZNS1_11reduce_implILb1ES3_N6thrust23THRUST_200600_302600_NS6detail15normal_iteratorINS8_10device_ptrIxEEEEPffNS8_4plusIfEEEE10hipError_tPvRmT1_T2_T3_mT4_P12ihipStream_tbEUlT_E1_NS1_11comp_targetILNS1_3genE10ELNS1_11target_archE1200ELNS1_3gpuE4ELNS1_3repE0EEENS1_30default_config_static_selectorELNS0_4arch9wavefront6targetE1EEEvSK_,"axG",@progbits,_ZN7rocprim17ROCPRIM_400000_NS6detail17trampoline_kernelINS0_14default_configENS1_22reduce_config_selectorIxEEZNS1_11reduce_implILb1ES3_N6thrust23THRUST_200600_302600_NS6detail15normal_iteratorINS8_10device_ptrIxEEEEPffNS8_4plusIfEEEE10hipError_tPvRmT1_T2_T3_mT4_P12ihipStream_tbEUlT_E1_NS1_11comp_targetILNS1_3genE10ELNS1_11target_archE1200ELNS1_3gpuE4ELNS1_3repE0EEENS1_30default_config_static_selectorELNS0_4arch9wavefront6targetE1EEEvSK_,comdat
.Lfunc_end492:
	.size	_ZN7rocprim17ROCPRIM_400000_NS6detail17trampoline_kernelINS0_14default_configENS1_22reduce_config_selectorIxEEZNS1_11reduce_implILb1ES3_N6thrust23THRUST_200600_302600_NS6detail15normal_iteratorINS8_10device_ptrIxEEEEPffNS8_4plusIfEEEE10hipError_tPvRmT1_T2_T3_mT4_P12ihipStream_tbEUlT_E1_NS1_11comp_targetILNS1_3genE10ELNS1_11target_archE1200ELNS1_3gpuE4ELNS1_3repE0EEENS1_30default_config_static_selectorELNS0_4arch9wavefront6targetE1EEEvSK_, .Lfunc_end492-_ZN7rocprim17ROCPRIM_400000_NS6detail17trampoline_kernelINS0_14default_configENS1_22reduce_config_selectorIxEEZNS1_11reduce_implILb1ES3_N6thrust23THRUST_200600_302600_NS6detail15normal_iteratorINS8_10device_ptrIxEEEEPffNS8_4plusIfEEEE10hipError_tPvRmT1_T2_T3_mT4_P12ihipStream_tbEUlT_E1_NS1_11comp_targetILNS1_3genE10ELNS1_11target_archE1200ELNS1_3gpuE4ELNS1_3repE0EEENS1_30default_config_static_selectorELNS0_4arch9wavefront6targetE1EEEvSK_
                                        ; -- End function
	.set _ZN7rocprim17ROCPRIM_400000_NS6detail17trampoline_kernelINS0_14default_configENS1_22reduce_config_selectorIxEEZNS1_11reduce_implILb1ES3_N6thrust23THRUST_200600_302600_NS6detail15normal_iteratorINS8_10device_ptrIxEEEEPffNS8_4plusIfEEEE10hipError_tPvRmT1_T2_T3_mT4_P12ihipStream_tbEUlT_E1_NS1_11comp_targetILNS1_3genE10ELNS1_11target_archE1200ELNS1_3gpuE4ELNS1_3repE0EEENS1_30default_config_static_selectorELNS0_4arch9wavefront6targetE1EEEvSK_.num_vgpr, 0
	.set _ZN7rocprim17ROCPRIM_400000_NS6detail17trampoline_kernelINS0_14default_configENS1_22reduce_config_selectorIxEEZNS1_11reduce_implILb1ES3_N6thrust23THRUST_200600_302600_NS6detail15normal_iteratorINS8_10device_ptrIxEEEEPffNS8_4plusIfEEEE10hipError_tPvRmT1_T2_T3_mT4_P12ihipStream_tbEUlT_E1_NS1_11comp_targetILNS1_3genE10ELNS1_11target_archE1200ELNS1_3gpuE4ELNS1_3repE0EEENS1_30default_config_static_selectorELNS0_4arch9wavefront6targetE1EEEvSK_.num_agpr, 0
	.set _ZN7rocprim17ROCPRIM_400000_NS6detail17trampoline_kernelINS0_14default_configENS1_22reduce_config_selectorIxEEZNS1_11reduce_implILb1ES3_N6thrust23THRUST_200600_302600_NS6detail15normal_iteratorINS8_10device_ptrIxEEEEPffNS8_4plusIfEEEE10hipError_tPvRmT1_T2_T3_mT4_P12ihipStream_tbEUlT_E1_NS1_11comp_targetILNS1_3genE10ELNS1_11target_archE1200ELNS1_3gpuE4ELNS1_3repE0EEENS1_30default_config_static_selectorELNS0_4arch9wavefront6targetE1EEEvSK_.numbered_sgpr, 0
	.set _ZN7rocprim17ROCPRIM_400000_NS6detail17trampoline_kernelINS0_14default_configENS1_22reduce_config_selectorIxEEZNS1_11reduce_implILb1ES3_N6thrust23THRUST_200600_302600_NS6detail15normal_iteratorINS8_10device_ptrIxEEEEPffNS8_4plusIfEEEE10hipError_tPvRmT1_T2_T3_mT4_P12ihipStream_tbEUlT_E1_NS1_11comp_targetILNS1_3genE10ELNS1_11target_archE1200ELNS1_3gpuE4ELNS1_3repE0EEENS1_30default_config_static_selectorELNS0_4arch9wavefront6targetE1EEEvSK_.num_named_barrier, 0
	.set _ZN7rocprim17ROCPRIM_400000_NS6detail17trampoline_kernelINS0_14default_configENS1_22reduce_config_selectorIxEEZNS1_11reduce_implILb1ES3_N6thrust23THRUST_200600_302600_NS6detail15normal_iteratorINS8_10device_ptrIxEEEEPffNS8_4plusIfEEEE10hipError_tPvRmT1_T2_T3_mT4_P12ihipStream_tbEUlT_E1_NS1_11comp_targetILNS1_3genE10ELNS1_11target_archE1200ELNS1_3gpuE4ELNS1_3repE0EEENS1_30default_config_static_selectorELNS0_4arch9wavefront6targetE1EEEvSK_.private_seg_size, 0
	.set _ZN7rocprim17ROCPRIM_400000_NS6detail17trampoline_kernelINS0_14default_configENS1_22reduce_config_selectorIxEEZNS1_11reduce_implILb1ES3_N6thrust23THRUST_200600_302600_NS6detail15normal_iteratorINS8_10device_ptrIxEEEEPffNS8_4plusIfEEEE10hipError_tPvRmT1_T2_T3_mT4_P12ihipStream_tbEUlT_E1_NS1_11comp_targetILNS1_3genE10ELNS1_11target_archE1200ELNS1_3gpuE4ELNS1_3repE0EEENS1_30default_config_static_selectorELNS0_4arch9wavefront6targetE1EEEvSK_.uses_vcc, 0
	.set _ZN7rocprim17ROCPRIM_400000_NS6detail17trampoline_kernelINS0_14default_configENS1_22reduce_config_selectorIxEEZNS1_11reduce_implILb1ES3_N6thrust23THRUST_200600_302600_NS6detail15normal_iteratorINS8_10device_ptrIxEEEEPffNS8_4plusIfEEEE10hipError_tPvRmT1_T2_T3_mT4_P12ihipStream_tbEUlT_E1_NS1_11comp_targetILNS1_3genE10ELNS1_11target_archE1200ELNS1_3gpuE4ELNS1_3repE0EEENS1_30default_config_static_selectorELNS0_4arch9wavefront6targetE1EEEvSK_.uses_flat_scratch, 0
	.set _ZN7rocprim17ROCPRIM_400000_NS6detail17trampoline_kernelINS0_14default_configENS1_22reduce_config_selectorIxEEZNS1_11reduce_implILb1ES3_N6thrust23THRUST_200600_302600_NS6detail15normal_iteratorINS8_10device_ptrIxEEEEPffNS8_4plusIfEEEE10hipError_tPvRmT1_T2_T3_mT4_P12ihipStream_tbEUlT_E1_NS1_11comp_targetILNS1_3genE10ELNS1_11target_archE1200ELNS1_3gpuE4ELNS1_3repE0EEENS1_30default_config_static_selectorELNS0_4arch9wavefront6targetE1EEEvSK_.has_dyn_sized_stack, 0
	.set _ZN7rocprim17ROCPRIM_400000_NS6detail17trampoline_kernelINS0_14default_configENS1_22reduce_config_selectorIxEEZNS1_11reduce_implILb1ES3_N6thrust23THRUST_200600_302600_NS6detail15normal_iteratorINS8_10device_ptrIxEEEEPffNS8_4plusIfEEEE10hipError_tPvRmT1_T2_T3_mT4_P12ihipStream_tbEUlT_E1_NS1_11comp_targetILNS1_3genE10ELNS1_11target_archE1200ELNS1_3gpuE4ELNS1_3repE0EEENS1_30default_config_static_selectorELNS0_4arch9wavefront6targetE1EEEvSK_.has_recursion, 0
	.set _ZN7rocprim17ROCPRIM_400000_NS6detail17trampoline_kernelINS0_14default_configENS1_22reduce_config_selectorIxEEZNS1_11reduce_implILb1ES3_N6thrust23THRUST_200600_302600_NS6detail15normal_iteratorINS8_10device_ptrIxEEEEPffNS8_4plusIfEEEE10hipError_tPvRmT1_T2_T3_mT4_P12ihipStream_tbEUlT_E1_NS1_11comp_targetILNS1_3genE10ELNS1_11target_archE1200ELNS1_3gpuE4ELNS1_3repE0EEENS1_30default_config_static_selectorELNS0_4arch9wavefront6targetE1EEEvSK_.has_indirect_call, 0
	.section	.AMDGPU.csdata,"",@progbits
; Kernel info:
; codeLenInByte = 0
; TotalNumSgprs: 6
; NumVgprs: 0
; NumAgprs: 0
; TotalNumVgprs: 0
; ScratchSize: 0
; MemoryBound: 0
; FloatMode: 240
; IeeeMode: 1
; LDSByteSize: 0 bytes/workgroup (compile time only)
; SGPRBlocks: 0
; VGPRBlocks: 0
; NumSGPRsForWavesPerEU: 6
; NumVGPRsForWavesPerEU: 1
; AccumOffset: 4
; Occupancy: 8
; WaveLimiterHint : 0
; COMPUTE_PGM_RSRC2:SCRATCH_EN: 0
; COMPUTE_PGM_RSRC2:USER_SGPR: 2
; COMPUTE_PGM_RSRC2:TRAP_HANDLER: 0
; COMPUTE_PGM_RSRC2:TGID_X_EN: 1
; COMPUTE_PGM_RSRC2:TGID_Y_EN: 0
; COMPUTE_PGM_RSRC2:TGID_Z_EN: 0
; COMPUTE_PGM_RSRC2:TIDIG_COMP_CNT: 0
; COMPUTE_PGM_RSRC3_GFX90A:ACCUM_OFFSET: 0
; COMPUTE_PGM_RSRC3_GFX90A:TG_SPLIT: 0
	.section	.text._ZN7rocprim17ROCPRIM_400000_NS6detail17trampoline_kernelINS0_14default_configENS1_22reduce_config_selectorIxEEZNS1_11reduce_implILb1ES3_N6thrust23THRUST_200600_302600_NS6detail15normal_iteratorINS8_10device_ptrIxEEEEPffNS8_4plusIfEEEE10hipError_tPvRmT1_T2_T3_mT4_P12ihipStream_tbEUlT_E1_NS1_11comp_targetILNS1_3genE9ELNS1_11target_archE1100ELNS1_3gpuE3ELNS1_3repE0EEENS1_30default_config_static_selectorELNS0_4arch9wavefront6targetE1EEEvSK_,"axG",@progbits,_ZN7rocprim17ROCPRIM_400000_NS6detail17trampoline_kernelINS0_14default_configENS1_22reduce_config_selectorIxEEZNS1_11reduce_implILb1ES3_N6thrust23THRUST_200600_302600_NS6detail15normal_iteratorINS8_10device_ptrIxEEEEPffNS8_4plusIfEEEE10hipError_tPvRmT1_T2_T3_mT4_P12ihipStream_tbEUlT_E1_NS1_11comp_targetILNS1_3genE9ELNS1_11target_archE1100ELNS1_3gpuE3ELNS1_3repE0EEENS1_30default_config_static_selectorELNS0_4arch9wavefront6targetE1EEEvSK_,comdat
	.protected	_ZN7rocprim17ROCPRIM_400000_NS6detail17trampoline_kernelINS0_14default_configENS1_22reduce_config_selectorIxEEZNS1_11reduce_implILb1ES3_N6thrust23THRUST_200600_302600_NS6detail15normal_iteratorINS8_10device_ptrIxEEEEPffNS8_4plusIfEEEE10hipError_tPvRmT1_T2_T3_mT4_P12ihipStream_tbEUlT_E1_NS1_11comp_targetILNS1_3genE9ELNS1_11target_archE1100ELNS1_3gpuE3ELNS1_3repE0EEENS1_30default_config_static_selectorELNS0_4arch9wavefront6targetE1EEEvSK_ ; -- Begin function _ZN7rocprim17ROCPRIM_400000_NS6detail17trampoline_kernelINS0_14default_configENS1_22reduce_config_selectorIxEEZNS1_11reduce_implILb1ES3_N6thrust23THRUST_200600_302600_NS6detail15normal_iteratorINS8_10device_ptrIxEEEEPffNS8_4plusIfEEEE10hipError_tPvRmT1_T2_T3_mT4_P12ihipStream_tbEUlT_E1_NS1_11comp_targetILNS1_3genE9ELNS1_11target_archE1100ELNS1_3gpuE3ELNS1_3repE0EEENS1_30default_config_static_selectorELNS0_4arch9wavefront6targetE1EEEvSK_
	.globl	_ZN7rocprim17ROCPRIM_400000_NS6detail17trampoline_kernelINS0_14default_configENS1_22reduce_config_selectorIxEEZNS1_11reduce_implILb1ES3_N6thrust23THRUST_200600_302600_NS6detail15normal_iteratorINS8_10device_ptrIxEEEEPffNS8_4plusIfEEEE10hipError_tPvRmT1_T2_T3_mT4_P12ihipStream_tbEUlT_E1_NS1_11comp_targetILNS1_3genE9ELNS1_11target_archE1100ELNS1_3gpuE3ELNS1_3repE0EEENS1_30default_config_static_selectorELNS0_4arch9wavefront6targetE1EEEvSK_
	.p2align	8
	.type	_ZN7rocprim17ROCPRIM_400000_NS6detail17trampoline_kernelINS0_14default_configENS1_22reduce_config_selectorIxEEZNS1_11reduce_implILb1ES3_N6thrust23THRUST_200600_302600_NS6detail15normal_iteratorINS8_10device_ptrIxEEEEPffNS8_4plusIfEEEE10hipError_tPvRmT1_T2_T3_mT4_P12ihipStream_tbEUlT_E1_NS1_11comp_targetILNS1_3genE9ELNS1_11target_archE1100ELNS1_3gpuE3ELNS1_3repE0EEENS1_30default_config_static_selectorELNS0_4arch9wavefront6targetE1EEEvSK_,@function
_ZN7rocprim17ROCPRIM_400000_NS6detail17trampoline_kernelINS0_14default_configENS1_22reduce_config_selectorIxEEZNS1_11reduce_implILb1ES3_N6thrust23THRUST_200600_302600_NS6detail15normal_iteratorINS8_10device_ptrIxEEEEPffNS8_4plusIfEEEE10hipError_tPvRmT1_T2_T3_mT4_P12ihipStream_tbEUlT_E1_NS1_11comp_targetILNS1_3genE9ELNS1_11target_archE1100ELNS1_3gpuE3ELNS1_3repE0EEENS1_30default_config_static_selectorELNS0_4arch9wavefront6targetE1EEEvSK_: ; @_ZN7rocprim17ROCPRIM_400000_NS6detail17trampoline_kernelINS0_14default_configENS1_22reduce_config_selectorIxEEZNS1_11reduce_implILb1ES3_N6thrust23THRUST_200600_302600_NS6detail15normal_iteratorINS8_10device_ptrIxEEEEPffNS8_4plusIfEEEE10hipError_tPvRmT1_T2_T3_mT4_P12ihipStream_tbEUlT_E1_NS1_11comp_targetILNS1_3genE9ELNS1_11target_archE1100ELNS1_3gpuE3ELNS1_3repE0EEENS1_30default_config_static_selectorELNS0_4arch9wavefront6targetE1EEEvSK_
; %bb.0:
	.section	.rodata,"a",@progbits
	.p2align	6, 0x0
	.amdhsa_kernel _ZN7rocprim17ROCPRIM_400000_NS6detail17trampoline_kernelINS0_14default_configENS1_22reduce_config_selectorIxEEZNS1_11reduce_implILb1ES3_N6thrust23THRUST_200600_302600_NS6detail15normal_iteratorINS8_10device_ptrIxEEEEPffNS8_4plusIfEEEE10hipError_tPvRmT1_T2_T3_mT4_P12ihipStream_tbEUlT_E1_NS1_11comp_targetILNS1_3genE9ELNS1_11target_archE1100ELNS1_3gpuE3ELNS1_3repE0EEENS1_30default_config_static_selectorELNS0_4arch9wavefront6targetE1EEEvSK_
		.amdhsa_group_segment_fixed_size 0
		.amdhsa_private_segment_fixed_size 0
		.amdhsa_kernarg_size 40
		.amdhsa_user_sgpr_count 2
		.amdhsa_user_sgpr_dispatch_ptr 0
		.amdhsa_user_sgpr_queue_ptr 0
		.amdhsa_user_sgpr_kernarg_segment_ptr 1
		.amdhsa_user_sgpr_dispatch_id 0
		.amdhsa_user_sgpr_kernarg_preload_length 0
		.amdhsa_user_sgpr_kernarg_preload_offset 0
		.amdhsa_user_sgpr_private_segment_size 0
		.amdhsa_uses_dynamic_stack 0
		.amdhsa_enable_private_segment 0
		.amdhsa_system_sgpr_workgroup_id_x 1
		.amdhsa_system_sgpr_workgroup_id_y 0
		.amdhsa_system_sgpr_workgroup_id_z 0
		.amdhsa_system_sgpr_workgroup_info 0
		.amdhsa_system_vgpr_workitem_id 0
		.amdhsa_next_free_vgpr 1
		.amdhsa_next_free_sgpr 0
		.amdhsa_accum_offset 4
		.amdhsa_reserve_vcc 0
		.amdhsa_float_round_mode_32 0
		.amdhsa_float_round_mode_16_64 0
		.amdhsa_float_denorm_mode_32 3
		.amdhsa_float_denorm_mode_16_64 3
		.amdhsa_dx10_clamp 1
		.amdhsa_ieee_mode 1
		.amdhsa_fp16_overflow 0
		.amdhsa_tg_split 0
		.amdhsa_exception_fp_ieee_invalid_op 0
		.amdhsa_exception_fp_denorm_src 0
		.amdhsa_exception_fp_ieee_div_zero 0
		.amdhsa_exception_fp_ieee_overflow 0
		.amdhsa_exception_fp_ieee_underflow 0
		.amdhsa_exception_fp_ieee_inexact 0
		.amdhsa_exception_int_div_zero 0
	.end_amdhsa_kernel
	.section	.text._ZN7rocprim17ROCPRIM_400000_NS6detail17trampoline_kernelINS0_14default_configENS1_22reduce_config_selectorIxEEZNS1_11reduce_implILb1ES3_N6thrust23THRUST_200600_302600_NS6detail15normal_iteratorINS8_10device_ptrIxEEEEPffNS8_4plusIfEEEE10hipError_tPvRmT1_T2_T3_mT4_P12ihipStream_tbEUlT_E1_NS1_11comp_targetILNS1_3genE9ELNS1_11target_archE1100ELNS1_3gpuE3ELNS1_3repE0EEENS1_30default_config_static_selectorELNS0_4arch9wavefront6targetE1EEEvSK_,"axG",@progbits,_ZN7rocprim17ROCPRIM_400000_NS6detail17trampoline_kernelINS0_14default_configENS1_22reduce_config_selectorIxEEZNS1_11reduce_implILb1ES3_N6thrust23THRUST_200600_302600_NS6detail15normal_iteratorINS8_10device_ptrIxEEEEPffNS8_4plusIfEEEE10hipError_tPvRmT1_T2_T3_mT4_P12ihipStream_tbEUlT_E1_NS1_11comp_targetILNS1_3genE9ELNS1_11target_archE1100ELNS1_3gpuE3ELNS1_3repE0EEENS1_30default_config_static_selectorELNS0_4arch9wavefront6targetE1EEEvSK_,comdat
.Lfunc_end493:
	.size	_ZN7rocprim17ROCPRIM_400000_NS6detail17trampoline_kernelINS0_14default_configENS1_22reduce_config_selectorIxEEZNS1_11reduce_implILb1ES3_N6thrust23THRUST_200600_302600_NS6detail15normal_iteratorINS8_10device_ptrIxEEEEPffNS8_4plusIfEEEE10hipError_tPvRmT1_T2_T3_mT4_P12ihipStream_tbEUlT_E1_NS1_11comp_targetILNS1_3genE9ELNS1_11target_archE1100ELNS1_3gpuE3ELNS1_3repE0EEENS1_30default_config_static_selectorELNS0_4arch9wavefront6targetE1EEEvSK_, .Lfunc_end493-_ZN7rocprim17ROCPRIM_400000_NS6detail17trampoline_kernelINS0_14default_configENS1_22reduce_config_selectorIxEEZNS1_11reduce_implILb1ES3_N6thrust23THRUST_200600_302600_NS6detail15normal_iteratorINS8_10device_ptrIxEEEEPffNS8_4plusIfEEEE10hipError_tPvRmT1_T2_T3_mT4_P12ihipStream_tbEUlT_E1_NS1_11comp_targetILNS1_3genE9ELNS1_11target_archE1100ELNS1_3gpuE3ELNS1_3repE0EEENS1_30default_config_static_selectorELNS0_4arch9wavefront6targetE1EEEvSK_
                                        ; -- End function
	.set _ZN7rocprim17ROCPRIM_400000_NS6detail17trampoline_kernelINS0_14default_configENS1_22reduce_config_selectorIxEEZNS1_11reduce_implILb1ES3_N6thrust23THRUST_200600_302600_NS6detail15normal_iteratorINS8_10device_ptrIxEEEEPffNS8_4plusIfEEEE10hipError_tPvRmT1_T2_T3_mT4_P12ihipStream_tbEUlT_E1_NS1_11comp_targetILNS1_3genE9ELNS1_11target_archE1100ELNS1_3gpuE3ELNS1_3repE0EEENS1_30default_config_static_selectorELNS0_4arch9wavefront6targetE1EEEvSK_.num_vgpr, 0
	.set _ZN7rocprim17ROCPRIM_400000_NS6detail17trampoline_kernelINS0_14default_configENS1_22reduce_config_selectorIxEEZNS1_11reduce_implILb1ES3_N6thrust23THRUST_200600_302600_NS6detail15normal_iteratorINS8_10device_ptrIxEEEEPffNS8_4plusIfEEEE10hipError_tPvRmT1_T2_T3_mT4_P12ihipStream_tbEUlT_E1_NS1_11comp_targetILNS1_3genE9ELNS1_11target_archE1100ELNS1_3gpuE3ELNS1_3repE0EEENS1_30default_config_static_selectorELNS0_4arch9wavefront6targetE1EEEvSK_.num_agpr, 0
	.set _ZN7rocprim17ROCPRIM_400000_NS6detail17trampoline_kernelINS0_14default_configENS1_22reduce_config_selectorIxEEZNS1_11reduce_implILb1ES3_N6thrust23THRUST_200600_302600_NS6detail15normal_iteratorINS8_10device_ptrIxEEEEPffNS8_4plusIfEEEE10hipError_tPvRmT1_T2_T3_mT4_P12ihipStream_tbEUlT_E1_NS1_11comp_targetILNS1_3genE9ELNS1_11target_archE1100ELNS1_3gpuE3ELNS1_3repE0EEENS1_30default_config_static_selectorELNS0_4arch9wavefront6targetE1EEEvSK_.numbered_sgpr, 0
	.set _ZN7rocprim17ROCPRIM_400000_NS6detail17trampoline_kernelINS0_14default_configENS1_22reduce_config_selectorIxEEZNS1_11reduce_implILb1ES3_N6thrust23THRUST_200600_302600_NS6detail15normal_iteratorINS8_10device_ptrIxEEEEPffNS8_4plusIfEEEE10hipError_tPvRmT1_T2_T3_mT4_P12ihipStream_tbEUlT_E1_NS1_11comp_targetILNS1_3genE9ELNS1_11target_archE1100ELNS1_3gpuE3ELNS1_3repE0EEENS1_30default_config_static_selectorELNS0_4arch9wavefront6targetE1EEEvSK_.num_named_barrier, 0
	.set _ZN7rocprim17ROCPRIM_400000_NS6detail17trampoline_kernelINS0_14default_configENS1_22reduce_config_selectorIxEEZNS1_11reduce_implILb1ES3_N6thrust23THRUST_200600_302600_NS6detail15normal_iteratorINS8_10device_ptrIxEEEEPffNS8_4plusIfEEEE10hipError_tPvRmT1_T2_T3_mT4_P12ihipStream_tbEUlT_E1_NS1_11comp_targetILNS1_3genE9ELNS1_11target_archE1100ELNS1_3gpuE3ELNS1_3repE0EEENS1_30default_config_static_selectorELNS0_4arch9wavefront6targetE1EEEvSK_.private_seg_size, 0
	.set _ZN7rocprim17ROCPRIM_400000_NS6detail17trampoline_kernelINS0_14default_configENS1_22reduce_config_selectorIxEEZNS1_11reduce_implILb1ES3_N6thrust23THRUST_200600_302600_NS6detail15normal_iteratorINS8_10device_ptrIxEEEEPffNS8_4plusIfEEEE10hipError_tPvRmT1_T2_T3_mT4_P12ihipStream_tbEUlT_E1_NS1_11comp_targetILNS1_3genE9ELNS1_11target_archE1100ELNS1_3gpuE3ELNS1_3repE0EEENS1_30default_config_static_selectorELNS0_4arch9wavefront6targetE1EEEvSK_.uses_vcc, 0
	.set _ZN7rocprim17ROCPRIM_400000_NS6detail17trampoline_kernelINS0_14default_configENS1_22reduce_config_selectorIxEEZNS1_11reduce_implILb1ES3_N6thrust23THRUST_200600_302600_NS6detail15normal_iteratorINS8_10device_ptrIxEEEEPffNS8_4plusIfEEEE10hipError_tPvRmT1_T2_T3_mT4_P12ihipStream_tbEUlT_E1_NS1_11comp_targetILNS1_3genE9ELNS1_11target_archE1100ELNS1_3gpuE3ELNS1_3repE0EEENS1_30default_config_static_selectorELNS0_4arch9wavefront6targetE1EEEvSK_.uses_flat_scratch, 0
	.set _ZN7rocprim17ROCPRIM_400000_NS6detail17trampoline_kernelINS0_14default_configENS1_22reduce_config_selectorIxEEZNS1_11reduce_implILb1ES3_N6thrust23THRUST_200600_302600_NS6detail15normal_iteratorINS8_10device_ptrIxEEEEPffNS8_4plusIfEEEE10hipError_tPvRmT1_T2_T3_mT4_P12ihipStream_tbEUlT_E1_NS1_11comp_targetILNS1_3genE9ELNS1_11target_archE1100ELNS1_3gpuE3ELNS1_3repE0EEENS1_30default_config_static_selectorELNS0_4arch9wavefront6targetE1EEEvSK_.has_dyn_sized_stack, 0
	.set _ZN7rocprim17ROCPRIM_400000_NS6detail17trampoline_kernelINS0_14default_configENS1_22reduce_config_selectorIxEEZNS1_11reduce_implILb1ES3_N6thrust23THRUST_200600_302600_NS6detail15normal_iteratorINS8_10device_ptrIxEEEEPffNS8_4plusIfEEEE10hipError_tPvRmT1_T2_T3_mT4_P12ihipStream_tbEUlT_E1_NS1_11comp_targetILNS1_3genE9ELNS1_11target_archE1100ELNS1_3gpuE3ELNS1_3repE0EEENS1_30default_config_static_selectorELNS0_4arch9wavefront6targetE1EEEvSK_.has_recursion, 0
	.set _ZN7rocprim17ROCPRIM_400000_NS6detail17trampoline_kernelINS0_14default_configENS1_22reduce_config_selectorIxEEZNS1_11reduce_implILb1ES3_N6thrust23THRUST_200600_302600_NS6detail15normal_iteratorINS8_10device_ptrIxEEEEPffNS8_4plusIfEEEE10hipError_tPvRmT1_T2_T3_mT4_P12ihipStream_tbEUlT_E1_NS1_11comp_targetILNS1_3genE9ELNS1_11target_archE1100ELNS1_3gpuE3ELNS1_3repE0EEENS1_30default_config_static_selectorELNS0_4arch9wavefront6targetE1EEEvSK_.has_indirect_call, 0
	.section	.AMDGPU.csdata,"",@progbits
; Kernel info:
; codeLenInByte = 0
; TotalNumSgprs: 6
; NumVgprs: 0
; NumAgprs: 0
; TotalNumVgprs: 0
; ScratchSize: 0
; MemoryBound: 0
; FloatMode: 240
; IeeeMode: 1
; LDSByteSize: 0 bytes/workgroup (compile time only)
; SGPRBlocks: 0
; VGPRBlocks: 0
; NumSGPRsForWavesPerEU: 6
; NumVGPRsForWavesPerEU: 1
; AccumOffset: 4
; Occupancy: 8
; WaveLimiterHint : 0
; COMPUTE_PGM_RSRC2:SCRATCH_EN: 0
; COMPUTE_PGM_RSRC2:USER_SGPR: 2
; COMPUTE_PGM_RSRC2:TRAP_HANDLER: 0
; COMPUTE_PGM_RSRC2:TGID_X_EN: 1
; COMPUTE_PGM_RSRC2:TGID_Y_EN: 0
; COMPUTE_PGM_RSRC2:TGID_Z_EN: 0
; COMPUTE_PGM_RSRC2:TIDIG_COMP_CNT: 0
; COMPUTE_PGM_RSRC3_GFX90A:ACCUM_OFFSET: 0
; COMPUTE_PGM_RSRC3_GFX90A:TG_SPLIT: 0
	.section	.text._ZN7rocprim17ROCPRIM_400000_NS6detail17trampoline_kernelINS0_14default_configENS1_22reduce_config_selectorIxEEZNS1_11reduce_implILb1ES3_N6thrust23THRUST_200600_302600_NS6detail15normal_iteratorINS8_10device_ptrIxEEEEPffNS8_4plusIfEEEE10hipError_tPvRmT1_T2_T3_mT4_P12ihipStream_tbEUlT_E1_NS1_11comp_targetILNS1_3genE8ELNS1_11target_archE1030ELNS1_3gpuE2ELNS1_3repE0EEENS1_30default_config_static_selectorELNS0_4arch9wavefront6targetE1EEEvSK_,"axG",@progbits,_ZN7rocprim17ROCPRIM_400000_NS6detail17trampoline_kernelINS0_14default_configENS1_22reduce_config_selectorIxEEZNS1_11reduce_implILb1ES3_N6thrust23THRUST_200600_302600_NS6detail15normal_iteratorINS8_10device_ptrIxEEEEPffNS8_4plusIfEEEE10hipError_tPvRmT1_T2_T3_mT4_P12ihipStream_tbEUlT_E1_NS1_11comp_targetILNS1_3genE8ELNS1_11target_archE1030ELNS1_3gpuE2ELNS1_3repE0EEENS1_30default_config_static_selectorELNS0_4arch9wavefront6targetE1EEEvSK_,comdat
	.protected	_ZN7rocprim17ROCPRIM_400000_NS6detail17trampoline_kernelINS0_14default_configENS1_22reduce_config_selectorIxEEZNS1_11reduce_implILb1ES3_N6thrust23THRUST_200600_302600_NS6detail15normal_iteratorINS8_10device_ptrIxEEEEPffNS8_4plusIfEEEE10hipError_tPvRmT1_T2_T3_mT4_P12ihipStream_tbEUlT_E1_NS1_11comp_targetILNS1_3genE8ELNS1_11target_archE1030ELNS1_3gpuE2ELNS1_3repE0EEENS1_30default_config_static_selectorELNS0_4arch9wavefront6targetE1EEEvSK_ ; -- Begin function _ZN7rocprim17ROCPRIM_400000_NS6detail17trampoline_kernelINS0_14default_configENS1_22reduce_config_selectorIxEEZNS1_11reduce_implILb1ES3_N6thrust23THRUST_200600_302600_NS6detail15normal_iteratorINS8_10device_ptrIxEEEEPffNS8_4plusIfEEEE10hipError_tPvRmT1_T2_T3_mT4_P12ihipStream_tbEUlT_E1_NS1_11comp_targetILNS1_3genE8ELNS1_11target_archE1030ELNS1_3gpuE2ELNS1_3repE0EEENS1_30default_config_static_selectorELNS0_4arch9wavefront6targetE1EEEvSK_
	.globl	_ZN7rocprim17ROCPRIM_400000_NS6detail17trampoline_kernelINS0_14default_configENS1_22reduce_config_selectorIxEEZNS1_11reduce_implILb1ES3_N6thrust23THRUST_200600_302600_NS6detail15normal_iteratorINS8_10device_ptrIxEEEEPffNS8_4plusIfEEEE10hipError_tPvRmT1_T2_T3_mT4_P12ihipStream_tbEUlT_E1_NS1_11comp_targetILNS1_3genE8ELNS1_11target_archE1030ELNS1_3gpuE2ELNS1_3repE0EEENS1_30default_config_static_selectorELNS0_4arch9wavefront6targetE1EEEvSK_
	.p2align	8
	.type	_ZN7rocprim17ROCPRIM_400000_NS6detail17trampoline_kernelINS0_14default_configENS1_22reduce_config_selectorIxEEZNS1_11reduce_implILb1ES3_N6thrust23THRUST_200600_302600_NS6detail15normal_iteratorINS8_10device_ptrIxEEEEPffNS8_4plusIfEEEE10hipError_tPvRmT1_T2_T3_mT4_P12ihipStream_tbEUlT_E1_NS1_11comp_targetILNS1_3genE8ELNS1_11target_archE1030ELNS1_3gpuE2ELNS1_3repE0EEENS1_30default_config_static_selectorELNS0_4arch9wavefront6targetE1EEEvSK_,@function
_ZN7rocprim17ROCPRIM_400000_NS6detail17trampoline_kernelINS0_14default_configENS1_22reduce_config_selectorIxEEZNS1_11reduce_implILb1ES3_N6thrust23THRUST_200600_302600_NS6detail15normal_iteratorINS8_10device_ptrIxEEEEPffNS8_4plusIfEEEE10hipError_tPvRmT1_T2_T3_mT4_P12ihipStream_tbEUlT_E1_NS1_11comp_targetILNS1_3genE8ELNS1_11target_archE1030ELNS1_3gpuE2ELNS1_3repE0EEENS1_30default_config_static_selectorELNS0_4arch9wavefront6targetE1EEEvSK_: ; @_ZN7rocprim17ROCPRIM_400000_NS6detail17trampoline_kernelINS0_14default_configENS1_22reduce_config_selectorIxEEZNS1_11reduce_implILb1ES3_N6thrust23THRUST_200600_302600_NS6detail15normal_iteratorINS8_10device_ptrIxEEEEPffNS8_4plusIfEEEE10hipError_tPvRmT1_T2_T3_mT4_P12ihipStream_tbEUlT_E1_NS1_11comp_targetILNS1_3genE8ELNS1_11target_archE1030ELNS1_3gpuE2ELNS1_3repE0EEENS1_30default_config_static_selectorELNS0_4arch9wavefront6targetE1EEEvSK_
; %bb.0:
	.section	.rodata,"a",@progbits
	.p2align	6, 0x0
	.amdhsa_kernel _ZN7rocprim17ROCPRIM_400000_NS6detail17trampoline_kernelINS0_14default_configENS1_22reduce_config_selectorIxEEZNS1_11reduce_implILb1ES3_N6thrust23THRUST_200600_302600_NS6detail15normal_iteratorINS8_10device_ptrIxEEEEPffNS8_4plusIfEEEE10hipError_tPvRmT1_T2_T3_mT4_P12ihipStream_tbEUlT_E1_NS1_11comp_targetILNS1_3genE8ELNS1_11target_archE1030ELNS1_3gpuE2ELNS1_3repE0EEENS1_30default_config_static_selectorELNS0_4arch9wavefront6targetE1EEEvSK_
		.amdhsa_group_segment_fixed_size 0
		.amdhsa_private_segment_fixed_size 0
		.amdhsa_kernarg_size 40
		.amdhsa_user_sgpr_count 2
		.amdhsa_user_sgpr_dispatch_ptr 0
		.amdhsa_user_sgpr_queue_ptr 0
		.amdhsa_user_sgpr_kernarg_segment_ptr 1
		.amdhsa_user_sgpr_dispatch_id 0
		.amdhsa_user_sgpr_kernarg_preload_length 0
		.amdhsa_user_sgpr_kernarg_preload_offset 0
		.amdhsa_user_sgpr_private_segment_size 0
		.amdhsa_uses_dynamic_stack 0
		.amdhsa_enable_private_segment 0
		.amdhsa_system_sgpr_workgroup_id_x 1
		.amdhsa_system_sgpr_workgroup_id_y 0
		.amdhsa_system_sgpr_workgroup_id_z 0
		.amdhsa_system_sgpr_workgroup_info 0
		.amdhsa_system_vgpr_workitem_id 0
		.amdhsa_next_free_vgpr 1
		.amdhsa_next_free_sgpr 0
		.amdhsa_accum_offset 4
		.amdhsa_reserve_vcc 0
		.amdhsa_float_round_mode_32 0
		.amdhsa_float_round_mode_16_64 0
		.amdhsa_float_denorm_mode_32 3
		.amdhsa_float_denorm_mode_16_64 3
		.amdhsa_dx10_clamp 1
		.amdhsa_ieee_mode 1
		.amdhsa_fp16_overflow 0
		.amdhsa_tg_split 0
		.amdhsa_exception_fp_ieee_invalid_op 0
		.amdhsa_exception_fp_denorm_src 0
		.amdhsa_exception_fp_ieee_div_zero 0
		.amdhsa_exception_fp_ieee_overflow 0
		.amdhsa_exception_fp_ieee_underflow 0
		.amdhsa_exception_fp_ieee_inexact 0
		.amdhsa_exception_int_div_zero 0
	.end_amdhsa_kernel
	.section	.text._ZN7rocprim17ROCPRIM_400000_NS6detail17trampoline_kernelINS0_14default_configENS1_22reduce_config_selectorIxEEZNS1_11reduce_implILb1ES3_N6thrust23THRUST_200600_302600_NS6detail15normal_iteratorINS8_10device_ptrIxEEEEPffNS8_4plusIfEEEE10hipError_tPvRmT1_T2_T3_mT4_P12ihipStream_tbEUlT_E1_NS1_11comp_targetILNS1_3genE8ELNS1_11target_archE1030ELNS1_3gpuE2ELNS1_3repE0EEENS1_30default_config_static_selectorELNS0_4arch9wavefront6targetE1EEEvSK_,"axG",@progbits,_ZN7rocprim17ROCPRIM_400000_NS6detail17trampoline_kernelINS0_14default_configENS1_22reduce_config_selectorIxEEZNS1_11reduce_implILb1ES3_N6thrust23THRUST_200600_302600_NS6detail15normal_iteratorINS8_10device_ptrIxEEEEPffNS8_4plusIfEEEE10hipError_tPvRmT1_T2_T3_mT4_P12ihipStream_tbEUlT_E1_NS1_11comp_targetILNS1_3genE8ELNS1_11target_archE1030ELNS1_3gpuE2ELNS1_3repE0EEENS1_30default_config_static_selectorELNS0_4arch9wavefront6targetE1EEEvSK_,comdat
.Lfunc_end494:
	.size	_ZN7rocprim17ROCPRIM_400000_NS6detail17trampoline_kernelINS0_14default_configENS1_22reduce_config_selectorIxEEZNS1_11reduce_implILb1ES3_N6thrust23THRUST_200600_302600_NS6detail15normal_iteratorINS8_10device_ptrIxEEEEPffNS8_4plusIfEEEE10hipError_tPvRmT1_T2_T3_mT4_P12ihipStream_tbEUlT_E1_NS1_11comp_targetILNS1_3genE8ELNS1_11target_archE1030ELNS1_3gpuE2ELNS1_3repE0EEENS1_30default_config_static_selectorELNS0_4arch9wavefront6targetE1EEEvSK_, .Lfunc_end494-_ZN7rocprim17ROCPRIM_400000_NS6detail17trampoline_kernelINS0_14default_configENS1_22reduce_config_selectorIxEEZNS1_11reduce_implILb1ES3_N6thrust23THRUST_200600_302600_NS6detail15normal_iteratorINS8_10device_ptrIxEEEEPffNS8_4plusIfEEEE10hipError_tPvRmT1_T2_T3_mT4_P12ihipStream_tbEUlT_E1_NS1_11comp_targetILNS1_3genE8ELNS1_11target_archE1030ELNS1_3gpuE2ELNS1_3repE0EEENS1_30default_config_static_selectorELNS0_4arch9wavefront6targetE1EEEvSK_
                                        ; -- End function
	.set _ZN7rocprim17ROCPRIM_400000_NS6detail17trampoline_kernelINS0_14default_configENS1_22reduce_config_selectorIxEEZNS1_11reduce_implILb1ES3_N6thrust23THRUST_200600_302600_NS6detail15normal_iteratorINS8_10device_ptrIxEEEEPffNS8_4plusIfEEEE10hipError_tPvRmT1_T2_T3_mT4_P12ihipStream_tbEUlT_E1_NS1_11comp_targetILNS1_3genE8ELNS1_11target_archE1030ELNS1_3gpuE2ELNS1_3repE0EEENS1_30default_config_static_selectorELNS0_4arch9wavefront6targetE1EEEvSK_.num_vgpr, 0
	.set _ZN7rocprim17ROCPRIM_400000_NS6detail17trampoline_kernelINS0_14default_configENS1_22reduce_config_selectorIxEEZNS1_11reduce_implILb1ES3_N6thrust23THRUST_200600_302600_NS6detail15normal_iteratorINS8_10device_ptrIxEEEEPffNS8_4plusIfEEEE10hipError_tPvRmT1_T2_T3_mT4_P12ihipStream_tbEUlT_E1_NS1_11comp_targetILNS1_3genE8ELNS1_11target_archE1030ELNS1_3gpuE2ELNS1_3repE0EEENS1_30default_config_static_selectorELNS0_4arch9wavefront6targetE1EEEvSK_.num_agpr, 0
	.set _ZN7rocprim17ROCPRIM_400000_NS6detail17trampoline_kernelINS0_14default_configENS1_22reduce_config_selectorIxEEZNS1_11reduce_implILb1ES3_N6thrust23THRUST_200600_302600_NS6detail15normal_iteratorINS8_10device_ptrIxEEEEPffNS8_4plusIfEEEE10hipError_tPvRmT1_T2_T3_mT4_P12ihipStream_tbEUlT_E1_NS1_11comp_targetILNS1_3genE8ELNS1_11target_archE1030ELNS1_3gpuE2ELNS1_3repE0EEENS1_30default_config_static_selectorELNS0_4arch9wavefront6targetE1EEEvSK_.numbered_sgpr, 0
	.set _ZN7rocprim17ROCPRIM_400000_NS6detail17trampoline_kernelINS0_14default_configENS1_22reduce_config_selectorIxEEZNS1_11reduce_implILb1ES3_N6thrust23THRUST_200600_302600_NS6detail15normal_iteratorINS8_10device_ptrIxEEEEPffNS8_4plusIfEEEE10hipError_tPvRmT1_T2_T3_mT4_P12ihipStream_tbEUlT_E1_NS1_11comp_targetILNS1_3genE8ELNS1_11target_archE1030ELNS1_3gpuE2ELNS1_3repE0EEENS1_30default_config_static_selectorELNS0_4arch9wavefront6targetE1EEEvSK_.num_named_barrier, 0
	.set _ZN7rocprim17ROCPRIM_400000_NS6detail17trampoline_kernelINS0_14default_configENS1_22reduce_config_selectorIxEEZNS1_11reduce_implILb1ES3_N6thrust23THRUST_200600_302600_NS6detail15normal_iteratorINS8_10device_ptrIxEEEEPffNS8_4plusIfEEEE10hipError_tPvRmT1_T2_T3_mT4_P12ihipStream_tbEUlT_E1_NS1_11comp_targetILNS1_3genE8ELNS1_11target_archE1030ELNS1_3gpuE2ELNS1_3repE0EEENS1_30default_config_static_selectorELNS0_4arch9wavefront6targetE1EEEvSK_.private_seg_size, 0
	.set _ZN7rocprim17ROCPRIM_400000_NS6detail17trampoline_kernelINS0_14default_configENS1_22reduce_config_selectorIxEEZNS1_11reduce_implILb1ES3_N6thrust23THRUST_200600_302600_NS6detail15normal_iteratorINS8_10device_ptrIxEEEEPffNS8_4plusIfEEEE10hipError_tPvRmT1_T2_T3_mT4_P12ihipStream_tbEUlT_E1_NS1_11comp_targetILNS1_3genE8ELNS1_11target_archE1030ELNS1_3gpuE2ELNS1_3repE0EEENS1_30default_config_static_selectorELNS0_4arch9wavefront6targetE1EEEvSK_.uses_vcc, 0
	.set _ZN7rocprim17ROCPRIM_400000_NS6detail17trampoline_kernelINS0_14default_configENS1_22reduce_config_selectorIxEEZNS1_11reduce_implILb1ES3_N6thrust23THRUST_200600_302600_NS6detail15normal_iteratorINS8_10device_ptrIxEEEEPffNS8_4plusIfEEEE10hipError_tPvRmT1_T2_T3_mT4_P12ihipStream_tbEUlT_E1_NS1_11comp_targetILNS1_3genE8ELNS1_11target_archE1030ELNS1_3gpuE2ELNS1_3repE0EEENS1_30default_config_static_selectorELNS0_4arch9wavefront6targetE1EEEvSK_.uses_flat_scratch, 0
	.set _ZN7rocprim17ROCPRIM_400000_NS6detail17trampoline_kernelINS0_14default_configENS1_22reduce_config_selectorIxEEZNS1_11reduce_implILb1ES3_N6thrust23THRUST_200600_302600_NS6detail15normal_iteratorINS8_10device_ptrIxEEEEPffNS8_4plusIfEEEE10hipError_tPvRmT1_T2_T3_mT4_P12ihipStream_tbEUlT_E1_NS1_11comp_targetILNS1_3genE8ELNS1_11target_archE1030ELNS1_3gpuE2ELNS1_3repE0EEENS1_30default_config_static_selectorELNS0_4arch9wavefront6targetE1EEEvSK_.has_dyn_sized_stack, 0
	.set _ZN7rocprim17ROCPRIM_400000_NS6detail17trampoline_kernelINS0_14default_configENS1_22reduce_config_selectorIxEEZNS1_11reduce_implILb1ES3_N6thrust23THRUST_200600_302600_NS6detail15normal_iteratorINS8_10device_ptrIxEEEEPffNS8_4plusIfEEEE10hipError_tPvRmT1_T2_T3_mT4_P12ihipStream_tbEUlT_E1_NS1_11comp_targetILNS1_3genE8ELNS1_11target_archE1030ELNS1_3gpuE2ELNS1_3repE0EEENS1_30default_config_static_selectorELNS0_4arch9wavefront6targetE1EEEvSK_.has_recursion, 0
	.set _ZN7rocprim17ROCPRIM_400000_NS6detail17trampoline_kernelINS0_14default_configENS1_22reduce_config_selectorIxEEZNS1_11reduce_implILb1ES3_N6thrust23THRUST_200600_302600_NS6detail15normal_iteratorINS8_10device_ptrIxEEEEPffNS8_4plusIfEEEE10hipError_tPvRmT1_T2_T3_mT4_P12ihipStream_tbEUlT_E1_NS1_11comp_targetILNS1_3genE8ELNS1_11target_archE1030ELNS1_3gpuE2ELNS1_3repE0EEENS1_30default_config_static_selectorELNS0_4arch9wavefront6targetE1EEEvSK_.has_indirect_call, 0
	.section	.AMDGPU.csdata,"",@progbits
; Kernel info:
; codeLenInByte = 0
; TotalNumSgprs: 6
; NumVgprs: 0
; NumAgprs: 0
; TotalNumVgprs: 0
; ScratchSize: 0
; MemoryBound: 0
; FloatMode: 240
; IeeeMode: 1
; LDSByteSize: 0 bytes/workgroup (compile time only)
; SGPRBlocks: 0
; VGPRBlocks: 0
; NumSGPRsForWavesPerEU: 6
; NumVGPRsForWavesPerEU: 1
; AccumOffset: 4
; Occupancy: 8
; WaveLimiterHint : 0
; COMPUTE_PGM_RSRC2:SCRATCH_EN: 0
; COMPUTE_PGM_RSRC2:USER_SGPR: 2
; COMPUTE_PGM_RSRC2:TRAP_HANDLER: 0
; COMPUTE_PGM_RSRC2:TGID_X_EN: 1
; COMPUTE_PGM_RSRC2:TGID_Y_EN: 0
; COMPUTE_PGM_RSRC2:TGID_Z_EN: 0
; COMPUTE_PGM_RSRC2:TIDIG_COMP_CNT: 0
; COMPUTE_PGM_RSRC3_GFX90A:ACCUM_OFFSET: 0
; COMPUTE_PGM_RSRC3_GFX90A:TG_SPLIT: 0
	.section	.text._ZN7rocprim17ROCPRIM_400000_NS6detail17trampoline_kernelINS0_14default_configENS1_22reduce_config_selectorIiEEZNS1_11reduce_implILb1ES3_N6thrust23THRUST_200600_302600_NS6detail15normal_iteratorINS8_10device_ptrIiEEEEPffNS8_4plusIfEEEE10hipError_tPvRmT1_T2_T3_mT4_P12ihipStream_tbEUlT_E0_NS1_11comp_targetILNS1_3genE0ELNS1_11target_archE4294967295ELNS1_3gpuE0ELNS1_3repE0EEENS1_30default_config_static_selectorELNS0_4arch9wavefront6targetE1EEEvSK_,"axG",@progbits,_ZN7rocprim17ROCPRIM_400000_NS6detail17trampoline_kernelINS0_14default_configENS1_22reduce_config_selectorIiEEZNS1_11reduce_implILb1ES3_N6thrust23THRUST_200600_302600_NS6detail15normal_iteratorINS8_10device_ptrIiEEEEPffNS8_4plusIfEEEE10hipError_tPvRmT1_T2_T3_mT4_P12ihipStream_tbEUlT_E0_NS1_11comp_targetILNS1_3genE0ELNS1_11target_archE4294967295ELNS1_3gpuE0ELNS1_3repE0EEENS1_30default_config_static_selectorELNS0_4arch9wavefront6targetE1EEEvSK_,comdat
	.protected	_ZN7rocprim17ROCPRIM_400000_NS6detail17trampoline_kernelINS0_14default_configENS1_22reduce_config_selectorIiEEZNS1_11reduce_implILb1ES3_N6thrust23THRUST_200600_302600_NS6detail15normal_iteratorINS8_10device_ptrIiEEEEPffNS8_4plusIfEEEE10hipError_tPvRmT1_T2_T3_mT4_P12ihipStream_tbEUlT_E0_NS1_11comp_targetILNS1_3genE0ELNS1_11target_archE4294967295ELNS1_3gpuE0ELNS1_3repE0EEENS1_30default_config_static_selectorELNS0_4arch9wavefront6targetE1EEEvSK_ ; -- Begin function _ZN7rocprim17ROCPRIM_400000_NS6detail17trampoline_kernelINS0_14default_configENS1_22reduce_config_selectorIiEEZNS1_11reduce_implILb1ES3_N6thrust23THRUST_200600_302600_NS6detail15normal_iteratorINS8_10device_ptrIiEEEEPffNS8_4plusIfEEEE10hipError_tPvRmT1_T2_T3_mT4_P12ihipStream_tbEUlT_E0_NS1_11comp_targetILNS1_3genE0ELNS1_11target_archE4294967295ELNS1_3gpuE0ELNS1_3repE0EEENS1_30default_config_static_selectorELNS0_4arch9wavefront6targetE1EEEvSK_
	.globl	_ZN7rocprim17ROCPRIM_400000_NS6detail17trampoline_kernelINS0_14default_configENS1_22reduce_config_selectorIiEEZNS1_11reduce_implILb1ES3_N6thrust23THRUST_200600_302600_NS6detail15normal_iteratorINS8_10device_ptrIiEEEEPffNS8_4plusIfEEEE10hipError_tPvRmT1_T2_T3_mT4_P12ihipStream_tbEUlT_E0_NS1_11comp_targetILNS1_3genE0ELNS1_11target_archE4294967295ELNS1_3gpuE0ELNS1_3repE0EEENS1_30default_config_static_selectorELNS0_4arch9wavefront6targetE1EEEvSK_
	.p2align	8
	.type	_ZN7rocprim17ROCPRIM_400000_NS6detail17trampoline_kernelINS0_14default_configENS1_22reduce_config_selectorIiEEZNS1_11reduce_implILb1ES3_N6thrust23THRUST_200600_302600_NS6detail15normal_iteratorINS8_10device_ptrIiEEEEPffNS8_4plusIfEEEE10hipError_tPvRmT1_T2_T3_mT4_P12ihipStream_tbEUlT_E0_NS1_11comp_targetILNS1_3genE0ELNS1_11target_archE4294967295ELNS1_3gpuE0ELNS1_3repE0EEENS1_30default_config_static_selectorELNS0_4arch9wavefront6targetE1EEEvSK_,@function
_ZN7rocprim17ROCPRIM_400000_NS6detail17trampoline_kernelINS0_14default_configENS1_22reduce_config_selectorIiEEZNS1_11reduce_implILb1ES3_N6thrust23THRUST_200600_302600_NS6detail15normal_iteratorINS8_10device_ptrIiEEEEPffNS8_4plusIfEEEE10hipError_tPvRmT1_T2_T3_mT4_P12ihipStream_tbEUlT_E0_NS1_11comp_targetILNS1_3genE0ELNS1_11target_archE4294967295ELNS1_3gpuE0ELNS1_3repE0EEENS1_30default_config_static_selectorELNS0_4arch9wavefront6targetE1EEEvSK_: ; @_ZN7rocprim17ROCPRIM_400000_NS6detail17trampoline_kernelINS0_14default_configENS1_22reduce_config_selectorIiEEZNS1_11reduce_implILb1ES3_N6thrust23THRUST_200600_302600_NS6detail15normal_iteratorINS8_10device_ptrIiEEEEPffNS8_4plusIfEEEE10hipError_tPvRmT1_T2_T3_mT4_P12ihipStream_tbEUlT_E0_NS1_11comp_targetILNS1_3genE0ELNS1_11target_archE4294967295ELNS1_3gpuE0ELNS1_3repE0EEENS1_30default_config_static_selectorELNS0_4arch9wavefront6targetE1EEEvSK_
; %bb.0:
	s_load_dwordx8 s[4:11], s[0:1], 0x0
	s_load_dwordx4 s[12:15], s[0:1], 0x20
	v_lshlrev_b32_e32 v6, 2, v0
	v_mbcnt_lo_u32_b32 v1, -1, 0
	s_waitcnt lgkmcnt(0)
	s_lshl_b64 s[6:7], s[6:7], 2
	s_add_u32 s18, s4, s6
	s_addc_u32 s19, s5, s7
	s_lshl_b32 s4, s2, 10
	s_mov_b32 s5, 0
	s_lshr_b64 s[16:17], s[8:9], 10
	s_lshl_b64 s[6:7], s[4:5], 2
	s_add_u32 s6, s18, s6
	s_mov_b32 s3, s5
	s_addc_u32 s7, s19, s7
	s_cmp_lg_u64 s[16:17], s[2:3]
	s_cbranch_scc0 .LBB495_6
; %bb.1:
	v_mov_b32_e32 v7, 0
	v_lshl_add_u64 v[2:3], s[6:7], 0, v[6:7]
	flat_load_dword v4, v[2:3]
	flat_load_dword v5, v[2:3] offset:1024
	flat_load_dword v7, v[2:3] offset:2048
	flat_load_dword v8, v[2:3] offset:3072
	v_mbcnt_hi_u32_b32 v3, -1, v1
	v_cmp_eq_u32_e32 vcc, 0, v3
	s_waitcnt vmcnt(0) lgkmcnt(0)
	v_cvt_f32_i32_e32 v2, v4
	v_cvt_f32_i32_e32 v5, v5
	;; [unrolled: 1-line block ×4, first 2 shown]
	v_lshlrev_b32_e32 v4, 2, v3
	v_add_f32_e32 v2, v2, v5
	v_add_f32_e32 v2, v2, v7
	;; [unrolled: 1-line block ×3, first 2 shown]
	v_or_b32_e32 v5, 0xfc, v4
	s_nop 0
	v_add_f32_dpp v2, v2, v2 quad_perm:[1,0,3,2] row_mask:0xf bank_mask:0xf bound_ctrl:1
	s_nop 1
	v_add_f32_dpp v2, v2, v2 quad_perm:[2,3,0,1] row_mask:0xf bank_mask:0xf bound_ctrl:1
	s_nop 1
	v_add_f32_dpp v2, v2, v2 row_ror:4 row_mask:0xf bank_mask:0xf bound_ctrl:1
	s_nop 1
	v_add_f32_dpp v2, v2, v2 row_ror:8 row_mask:0xf bank_mask:0xf bound_ctrl:1
	s_nop 1
	v_add_f32_dpp v2, v2, v2 row_bcast:15 row_mask:0xf bank_mask:0xf bound_ctrl:1
	s_nop 1
	v_add_f32_dpp v2, v2, v2 row_bcast:31 row_mask:0xf bank_mask:0xf bound_ctrl:1
	ds_bpermute_b32 v2, v5, v2
	s_and_saveexec_b64 s[16:17], vcc
	s_cbranch_execz .LBB495_3
; %bb.2:
	v_lshrrev_b32_e32 v5, 4, v0
	v_and_b32_e32 v5, 12, v5
	s_waitcnt lgkmcnt(0)
	ds_write_b32 v5, v2
.LBB495_3:
	s_or_b64 exec, exec, s[16:17]
	v_cmp_gt_u32_e32 vcc, 64, v0
	s_waitcnt lgkmcnt(0)
	s_barrier
	s_and_saveexec_b64 s[16:17], vcc
	s_cbranch_execz .LBB495_5
; %bb.4:
	v_and_b32_e32 v2, 3, v3
	v_lshlrev_b32_e32 v5, 2, v2
	ds_read_b32 v5, v5
	v_cmp_ne_u32_e32 vcc, 3, v2
	s_nop 1
	v_addc_co_u32_e32 v2, vcc, 0, v3, vcc
	v_lshlrev_b32_e32 v2, 2, v2
	s_waitcnt lgkmcnt(0)
	ds_bpermute_b32 v2, v2, v5
	v_or_b32_e32 v3, 8, v4
	s_waitcnt lgkmcnt(0)
	v_add_f32_e32 v2, v5, v2
	ds_bpermute_b32 v3, v3, v2
	s_waitcnt lgkmcnt(0)
	v_add_f32_e32 v2, v2, v3
.LBB495_5:
	s_or_b64 exec, exec, s[16:17]
	s_load_dword s18, s[0:1], 0x30
	s_branch .LBB495_20
.LBB495_6:
                                        ; implicit-def: $vgpr2
	s_load_dword s18, s[0:1], 0x30
	s_cbranch_execz .LBB495_20
; %bb.7:
	s_sub_i32 s19, s8, s4
	v_mov_b32_e32 v2, 0
	v_cmp_gt_u32_e32 vcc, s19, v0
	v_mov_b32_e32 v3, v2
	v_mov_b32_e32 v4, v2
	;; [unrolled: 1-line block ×3, first 2 shown]
	s_and_saveexec_b64 s[0:1], vcc
	s_cbranch_execz .LBB495_9
; %bb.8:
	v_mov_b32_e32 v7, v2
	v_lshl_add_u64 v[4:5], s[6:7], 0, v[6:7]
	flat_load_dword v3, v[4:5]
	v_mov_b32_e32 v9, v2
	v_mov_b32_e32 v10, v2
	;; [unrolled: 1-line block ×3, first 2 shown]
	s_waitcnt vmcnt(0) lgkmcnt(0)
	v_cvt_f32_i32_e32 v8, v3
	v_mov_b64_e32 v[2:3], v[8:9]
	v_mov_b64_e32 v[4:5], v[10:11]
.LBB495_9:
	s_or_b64 exec, exec, s[0:1]
	v_or_b32_e32 v7, 0x100, v0
	v_cmp_gt_u32_e32 vcc, s19, v7
	s_and_saveexec_b64 s[0:1], vcc
	s_cbranch_execz .LBB495_11
; %bb.10:
	v_mov_b32_e32 v7, 0
	v_lshl_add_u64 v[8:9], s[6:7], 0, v[6:7]
	flat_load_dword v3, v[8:9] offset:1024
	s_waitcnt vmcnt(0) lgkmcnt(0)
	v_cvt_f32_i32_e32 v3, v3
.LBB495_11:
	s_or_b64 exec, exec, s[0:1]
	v_or_b32_e32 v7, 0x200, v0
	v_cmp_gt_u32_e64 s[0:1], s19, v7
	s_and_saveexec_b64 s[4:5], s[0:1]
	s_cbranch_execz .LBB495_13
; %bb.12:
	v_mov_b32_e32 v7, 0
	v_lshl_add_u64 v[8:9], s[6:7], 0, v[6:7]
	flat_load_dword v4, v[8:9] offset:2048
	s_waitcnt vmcnt(0) lgkmcnt(0)
	v_cvt_f32_i32_e32 v4, v4
.LBB495_13:
	s_or_b64 exec, exec, s[4:5]
	v_or_b32_e32 v7, 0x300, v0
	v_cmp_gt_u32_e64 s[4:5], s19, v7
	s_and_saveexec_b64 s[16:17], s[4:5]
	s_cbranch_execz .LBB495_15
; %bb.14:
	v_mov_b32_e32 v7, 0
	v_lshl_add_u64 v[6:7], s[6:7], 0, v[6:7]
	flat_load_dword v5, v[6:7] offset:3072
	s_waitcnt vmcnt(0) lgkmcnt(0)
	v_cvt_f32_i32_e32 v5, v5
.LBB495_15:
	s_or_b64 exec, exec, s[16:17]
	v_add_f32_e32 v3, v2, v3
	v_cndmask_b32_e32 v2, v2, v3, vcc
	v_add_f32_e32 v3, v4, v2
	v_mbcnt_hi_u32_b32 v1, -1, v1
	v_cndmask_b32_e64 v2, v2, v3, s[0:1]
	v_and_b32_e32 v4, 63, v1
	v_add_f32_e32 v3, v5, v2
	v_cmp_ne_u32_e32 vcc, 63, v4
	v_cndmask_b32_e64 v2, v2, v3, s[4:5]
	s_min_u32 s6, s19, 0x100
	v_addc_co_u32_e32 v3, vcc, 0, v1, vcc
	v_lshlrev_b32_e32 v3, 2, v3
	ds_bpermute_b32 v3, v3, v2
	v_and_b32_e32 v5, 0xc0, v0
	v_sub_u32_e64 v5, s6, v5 clamp
	v_add_u32_e32 v6, 1, v4
	v_cmp_gt_u32_e64 s[0:1], 62, v4
	s_waitcnt lgkmcnt(0)
	v_add_f32_e32 v3, v2, v3
	v_cmp_lt_u32_e32 vcc, v6, v5
	v_cndmask_b32_e64 v6, 0, 2, s[0:1]
	v_add_lshl_u32 v6, v6, v1, 2
	v_cndmask_b32_e32 v3, v2, v3, vcc
	ds_bpermute_b32 v6, v6, v3
	v_add_u32_e32 v7, 2, v4
	v_cmp_lt_u32_e64 s[0:1], v7, v5
	v_add_u32_e32 v7, 4, v4
	s_waitcnt lgkmcnt(0)
	v_add_f32_e32 v6, v3, v6
	v_cndmask_b32_e64 v3, v3, v6, s[0:1]
	v_cmp_gt_u32_e64 s[0:1], 60, v4
	s_nop 1
	v_cndmask_b32_e64 v6, 0, 4, s[0:1]
	v_add_lshl_u32 v6, v6, v1, 2
	ds_bpermute_b32 v6, v6, v3
	v_cmp_lt_u32_e64 s[0:1], v7, v5
	v_add_u32_e32 v7, 8, v4
	s_waitcnt lgkmcnt(0)
	v_add_f32_e32 v6, v3, v6
	v_cndmask_b32_e64 v3, v3, v6, s[0:1]
	v_cmp_gt_u32_e64 s[0:1], 56, v4
	s_nop 1
	v_cndmask_b32_e64 v6, 0, 8, s[0:1]
	v_add_lshl_u32 v6, v6, v1, 2
	ds_bpermute_b32 v6, v6, v3
	v_cmp_lt_u32_e64 s[0:1], v7, v5
	v_add_u32_e32 v7, 16, v4
	s_waitcnt lgkmcnt(0)
	v_add_f32_e32 v6, v3, v6
	v_cndmask_b32_e64 v3, v3, v6, s[0:1]
	v_cmp_gt_u32_e64 s[0:1], 48, v4
	v_add_u32_e32 v4, 32, v4
	s_nop 0
	v_cndmask_b32_e64 v6, 0, 16, s[0:1]
	v_add_lshl_u32 v6, v6, v1, 2
	ds_bpermute_b32 v6, v6, v3
	v_cmp_lt_u32_e64 s[0:1], v7, v5
	s_waitcnt lgkmcnt(0)
	v_add_f32_e32 v6, v3, v6
	v_cndmask_b32_e64 v6, v3, v6, s[0:1]
	v_lshlrev_b32_e32 v3, 2, v1
	v_or_b32_e32 v7, 0x80, v3
	ds_bpermute_b32 v7, v7, v6
	v_cmp_lt_u32_e64 s[0:1], v4, v5
	s_waitcnt lgkmcnt(0)
	v_add_f32_e32 v7, v6, v7
	v_cndmask_b32_e64 v4, v6, v7, s[0:1]
	v_cndmask_b32_e32 v2, v2, v4, vcc
	v_cmp_eq_u32_e32 vcc, 0, v1
	s_and_saveexec_b64 s[0:1], vcc
; %bb.16:
	v_lshrrev_b32_e32 v4, 4, v0
	v_and_b32_e32 v4, 12, v4
	ds_write_b32 v4, v2 offset:16
; %bb.17:
	s_or_b64 exec, exec, s[0:1]
	v_cmp_gt_u32_e32 vcc, 4, v0
	s_waitcnt lgkmcnt(0)
	s_barrier
	s_and_saveexec_b64 s[4:5], vcc
	s_cbranch_execz .LBB495_19
; %bb.18:
	ds_read_b32 v2, v3 offset:16
	v_and_b32_e32 v4, 3, v1
	v_cmp_ne_u32_e32 vcc, 3, v4
	s_add_i32 s6, s6, 63
	s_lshr_b32 s0, s6, 6
	v_addc_co_u32_e32 v1, vcc, 0, v1, vcc
	v_lshlrev_b32_e32 v1, 2, v1
	s_waitcnt lgkmcnt(0)
	ds_bpermute_b32 v1, v1, v2
	v_add_u32_e32 v5, 1, v4
	v_cmp_gt_u32_e32 vcc, s0, v5
	v_or_b32_e32 v3, 8, v3
	v_add_u32_e32 v4, 2, v4
	s_waitcnt lgkmcnt(0)
	v_add_f32_e32 v1, v2, v1
	v_cndmask_b32_e32 v1, v2, v1, vcc
	ds_bpermute_b32 v3, v3, v1
	v_cmp_gt_u32_e64 s[0:1], s0, v4
	s_waitcnt lgkmcnt(0)
	v_add_f32_e32 v3, v1, v3
	v_cndmask_b32_e64 v1, v1, v3, s[0:1]
	v_cndmask_b32_e32 v2, v2, v1, vcc
.LBB495_19:
	s_or_b64 exec, exec, s[4:5]
.LBB495_20:
	v_cmp_eq_u32_e32 vcc, 0, v0
	s_and_saveexec_b64 s[0:1], vcc
	s_cbranch_execnz .LBB495_22
; %bb.21:
	s_endpgm
.LBB495_22:
	s_mul_i32 s0, s14, s13
	s_mul_hi_u32 s1, s14, s12
	s_add_i32 s0, s1, s0
	s_mul_i32 s1, s15, s12
	s_add_i32 s1, s0, s1
	s_mul_i32 s0, s14, s12
	s_lshl_b64 s[0:1], s[0:1], 2
	s_add_u32 s4, s10, s0
	s_addc_u32 s5, s11, s1
	s_cmp_eq_u64 s[8:9], 0
	s_cselect_b64 vcc, -1, 0
	s_lshl_b64 s[0:1], s[2:3], 2
	s_waitcnt lgkmcnt(0)
	v_mov_b32_e32 v0, s18
	s_add_u32 s0, s4, s0
	v_cndmask_b32_e32 v0, v2, v0, vcc
	s_addc_u32 s1, s5, s1
	v_mov_b32_e32 v1, 0
	global_store_dword v1, v0, s[0:1]
	s_endpgm
	.section	.rodata,"a",@progbits
	.p2align	6, 0x0
	.amdhsa_kernel _ZN7rocprim17ROCPRIM_400000_NS6detail17trampoline_kernelINS0_14default_configENS1_22reduce_config_selectorIiEEZNS1_11reduce_implILb1ES3_N6thrust23THRUST_200600_302600_NS6detail15normal_iteratorINS8_10device_ptrIiEEEEPffNS8_4plusIfEEEE10hipError_tPvRmT1_T2_T3_mT4_P12ihipStream_tbEUlT_E0_NS1_11comp_targetILNS1_3genE0ELNS1_11target_archE4294967295ELNS1_3gpuE0ELNS1_3repE0EEENS1_30default_config_static_selectorELNS0_4arch9wavefront6targetE1EEEvSK_
		.amdhsa_group_segment_fixed_size 32
		.amdhsa_private_segment_fixed_size 0
		.amdhsa_kernarg_size 56
		.amdhsa_user_sgpr_count 2
		.amdhsa_user_sgpr_dispatch_ptr 0
		.amdhsa_user_sgpr_queue_ptr 0
		.amdhsa_user_sgpr_kernarg_segment_ptr 1
		.amdhsa_user_sgpr_dispatch_id 0
		.amdhsa_user_sgpr_kernarg_preload_length 0
		.amdhsa_user_sgpr_kernarg_preload_offset 0
		.amdhsa_user_sgpr_private_segment_size 0
		.amdhsa_uses_dynamic_stack 0
		.amdhsa_enable_private_segment 0
		.amdhsa_system_sgpr_workgroup_id_x 1
		.amdhsa_system_sgpr_workgroup_id_y 0
		.amdhsa_system_sgpr_workgroup_id_z 0
		.amdhsa_system_sgpr_workgroup_info 0
		.amdhsa_system_vgpr_workitem_id 0
		.amdhsa_next_free_vgpr 12
		.amdhsa_next_free_sgpr 20
		.amdhsa_accum_offset 12
		.amdhsa_reserve_vcc 1
		.amdhsa_float_round_mode_32 0
		.amdhsa_float_round_mode_16_64 0
		.amdhsa_float_denorm_mode_32 3
		.amdhsa_float_denorm_mode_16_64 3
		.amdhsa_dx10_clamp 1
		.amdhsa_ieee_mode 1
		.amdhsa_fp16_overflow 0
		.amdhsa_tg_split 0
		.amdhsa_exception_fp_ieee_invalid_op 0
		.amdhsa_exception_fp_denorm_src 0
		.amdhsa_exception_fp_ieee_div_zero 0
		.amdhsa_exception_fp_ieee_overflow 0
		.amdhsa_exception_fp_ieee_underflow 0
		.amdhsa_exception_fp_ieee_inexact 0
		.amdhsa_exception_int_div_zero 0
	.end_amdhsa_kernel
	.section	.text._ZN7rocprim17ROCPRIM_400000_NS6detail17trampoline_kernelINS0_14default_configENS1_22reduce_config_selectorIiEEZNS1_11reduce_implILb1ES3_N6thrust23THRUST_200600_302600_NS6detail15normal_iteratorINS8_10device_ptrIiEEEEPffNS8_4plusIfEEEE10hipError_tPvRmT1_T2_T3_mT4_P12ihipStream_tbEUlT_E0_NS1_11comp_targetILNS1_3genE0ELNS1_11target_archE4294967295ELNS1_3gpuE0ELNS1_3repE0EEENS1_30default_config_static_selectorELNS0_4arch9wavefront6targetE1EEEvSK_,"axG",@progbits,_ZN7rocprim17ROCPRIM_400000_NS6detail17trampoline_kernelINS0_14default_configENS1_22reduce_config_selectorIiEEZNS1_11reduce_implILb1ES3_N6thrust23THRUST_200600_302600_NS6detail15normal_iteratorINS8_10device_ptrIiEEEEPffNS8_4plusIfEEEE10hipError_tPvRmT1_T2_T3_mT4_P12ihipStream_tbEUlT_E0_NS1_11comp_targetILNS1_3genE0ELNS1_11target_archE4294967295ELNS1_3gpuE0ELNS1_3repE0EEENS1_30default_config_static_selectorELNS0_4arch9wavefront6targetE1EEEvSK_,comdat
.Lfunc_end495:
	.size	_ZN7rocprim17ROCPRIM_400000_NS6detail17trampoline_kernelINS0_14default_configENS1_22reduce_config_selectorIiEEZNS1_11reduce_implILb1ES3_N6thrust23THRUST_200600_302600_NS6detail15normal_iteratorINS8_10device_ptrIiEEEEPffNS8_4plusIfEEEE10hipError_tPvRmT1_T2_T3_mT4_P12ihipStream_tbEUlT_E0_NS1_11comp_targetILNS1_3genE0ELNS1_11target_archE4294967295ELNS1_3gpuE0ELNS1_3repE0EEENS1_30default_config_static_selectorELNS0_4arch9wavefront6targetE1EEEvSK_, .Lfunc_end495-_ZN7rocprim17ROCPRIM_400000_NS6detail17trampoline_kernelINS0_14default_configENS1_22reduce_config_selectorIiEEZNS1_11reduce_implILb1ES3_N6thrust23THRUST_200600_302600_NS6detail15normal_iteratorINS8_10device_ptrIiEEEEPffNS8_4plusIfEEEE10hipError_tPvRmT1_T2_T3_mT4_P12ihipStream_tbEUlT_E0_NS1_11comp_targetILNS1_3genE0ELNS1_11target_archE4294967295ELNS1_3gpuE0ELNS1_3repE0EEENS1_30default_config_static_selectorELNS0_4arch9wavefront6targetE1EEEvSK_
                                        ; -- End function
	.set _ZN7rocprim17ROCPRIM_400000_NS6detail17trampoline_kernelINS0_14default_configENS1_22reduce_config_selectorIiEEZNS1_11reduce_implILb1ES3_N6thrust23THRUST_200600_302600_NS6detail15normal_iteratorINS8_10device_ptrIiEEEEPffNS8_4plusIfEEEE10hipError_tPvRmT1_T2_T3_mT4_P12ihipStream_tbEUlT_E0_NS1_11comp_targetILNS1_3genE0ELNS1_11target_archE4294967295ELNS1_3gpuE0ELNS1_3repE0EEENS1_30default_config_static_selectorELNS0_4arch9wavefront6targetE1EEEvSK_.num_vgpr, 12
	.set _ZN7rocprim17ROCPRIM_400000_NS6detail17trampoline_kernelINS0_14default_configENS1_22reduce_config_selectorIiEEZNS1_11reduce_implILb1ES3_N6thrust23THRUST_200600_302600_NS6detail15normal_iteratorINS8_10device_ptrIiEEEEPffNS8_4plusIfEEEE10hipError_tPvRmT1_T2_T3_mT4_P12ihipStream_tbEUlT_E0_NS1_11comp_targetILNS1_3genE0ELNS1_11target_archE4294967295ELNS1_3gpuE0ELNS1_3repE0EEENS1_30default_config_static_selectorELNS0_4arch9wavefront6targetE1EEEvSK_.num_agpr, 0
	.set _ZN7rocprim17ROCPRIM_400000_NS6detail17trampoline_kernelINS0_14default_configENS1_22reduce_config_selectorIiEEZNS1_11reduce_implILb1ES3_N6thrust23THRUST_200600_302600_NS6detail15normal_iteratorINS8_10device_ptrIiEEEEPffNS8_4plusIfEEEE10hipError_tPvRmT1_T2_T3_mT4_P12ihipStream_tbEUlT_E0_NS1_11comp_targetILNS1_3genE0ELNS1_11target_archE4294967295ELNS1_3gpuE0ELNS1_3repE0EEENS1_30default_config_static_selectorELNS0_4arch9wavefront6targetE1EEEvSK_.numbered_sgpr, 20
	.set _ZN7rocprim17ROCPRIM_400000_NS6detail17trampoline_kernelINS0_14default_configENS1_22reduce_config_selectorIiEEZNS1_11reduce_implILb1ES3_N6thrust23THRUST_200600_302600_NS6detail15normal_iteratorINS8_10device_ptrIiEEEEPffNS8_4plusIfEEEE10hipError_tPvRmT1_T2_T3_mT4_P12ihipStream_tbEUlT_E0_NS1_11comp_targetILNS1_3genE0ELNS1_11target_archE4294967295ELNS1_3gpuE0ELNS1_3repE0EEENS1_30default_config_static_selectorELNS0_4arch9wavefront6targetE1EEEvSK_.num_named_barrier, 0
	.set _ZN7rocprim17ROCPRIM_400000_NS6detail17trampoline_kernelINS0_14default_configENS1_22reduce_config_selectorIiEEZNS1_11reduce_implILb1ES3_N6thrust23THRUST_200600_302600_NS6detail15normal_iteratorINS8_10device_ptrIiEEEEPffNS8_4plusIfEEEE10hipError_tPvRmT1_T2_T3_mT4_P12ihipStream_tbEUlT_E0_NS1_11comp_targetILNS1_3genE0ELNS1_11target_archE4294967295ELNS1_3gpuE0ELNS1_3repE0EEENS1_30default_config_static_selectorELNS0_4arch9wavefront6targetE1EEEvSK_.private_seg_size, 0
	.set _ZN7rocprim17ROCPRIM_400000_NS6detail17trampoline_kernelINS0_14default_configENS1_22reduce_config_selectorIiEEZNS1_11reduce_implILb1ES3_N6thrust23THRUST_200600_302600_NS6detail15normal_iteratorINS8_10device_ptrIiEEEEPffNS8_4plusIfEEEE10hipError_tPvRmT1_T2_T3_mT4_P12ihipStream_tbEUlT_E0_NS1_11comp_targetILNS1_3genE0ELNS1_11target_archE4294967295ELNS1_3gpuE0ELNS1_3repE0EEENS1_30default_config_static_selectorELNS0_4arch9wavefront6targetE1EEEvSK_.uses_vcc, 1
	.set _ZN7rocprim17ROCPRIM_400000_NS6detail17trampoline_kernelINS0_14default_configENS1_22reduce_config_selectorIiEEZNS1_11reduce_implILb1ES3_N6thrust23THRUST_200600_302600_NS6detail15normal_iteratorINS8_10device_ptrIiEEEEPffNS8_4plusIfEEEE10hipError_tPvRmT1_T2_T3_mT4_P12ihipStream_tbEUlT_E0_NS1_11comp_targetILNS1_3genE0ELNS1_11target_archE4294967295ELNS1_3gpuE0ELNS1_3repE0EEENS1_30default_config_static_selectorELNS0_4arch9wavefront6targetE1EEEvSK_.uses_flat_scratch, 0
	.set _ZN7rocprim17ROCPRIM_400000_NS6detail17trampoline_kernelINS0_14default_configENS1_22reduce_config_selectorIiEEZNS1_11reduce_implILb1ES3_N6thrust23THRUST_200600_302600_NS6detail15normal_iteratorINS8_10device_ptrIiEEEEPffNS8_4plusIfEEEE10hipError_tPvRmT1_T2_T3_mT4_P12ihipStream_tbEUlT_E0_NS1_11comp_targetILNS1_3genE0ELNS1_11target_archE4294967295ELNS1_3gpuE0ELNS1_3repE0EEENS1_30default_config_static_selectorELNS0_4arch9wavefront6targetE1EEEvSK_.has_dyn_sized_stack, 0
	.set _ZN7rocprim17ROCPRIM_400000_NS6detail17trampoline_kernelINS0_14default_configENS1_22reduce_config_selectorIiEEZNS1_11reduce_implILb1ES3_N6thrust23THRUST_200600_302600_NS6detail15normal_iteratorINS8_10device_ptrIiEEEEPffNS8_4plusIfEEEE10hipError_tPvRmT1_T2_T3_mT4_P12ihipStream_tbEUlT_E0_NS1_11comp_targetILNS1_3genE0ELNS1_11target_archE4294967295ELNS1_3gpuE0ELNS1_3repE0EEENS1_30default_config_static_selectorELNS0_4arch9wavefront6targetE1EEEvSK_.has_recursion, 0
	.set _ZN7rocprim17ROCPRIM_400000_NS6detail17trampoline_kernelINS0_14default_configENS1_22reduce_config_selectorIiEEZNS1_11reduce_implILb1ES3_N6thrust23THRUST_200600_302600_NS6detail15normal_iteratorINS8_10device_ptrIiEEEEPffNS8_4plusIfEEEE10hipError_tPvRmT1_T2_T3_mT4_P12ihipStream_tbEUlT_E0_NS1_11comp_targetILNS1_3genE0ELNS1_11target_archE4294967295ELNS1_3gpuE0ELNS1_3repE0EEENS1_30default_config_static_selectorELNS0_4arch9wavefront6targetE1EEEvSK_.has_indirect_call, 0
	.section	.AMDGPU.csdata,"",@progbits
; Kernel info:
; codeLenInByte = 1332
; TotalNumSgprs: 26
; NumVgprs: 12
; NumAgprs: 0
; TotalNumVgprs: 12
; ScratchSize: 0
; MemoryBound: 0
; FloatMode: 240
; IeeeMode: 1
; LDSByteSize: 32 bytes/workgroup (compile time only)
; SGPRBlocks: 3
; VGPRBlocks: 1
; NumSGPRsForWavesPerEU: 26
; NumVGPRsForWavesPerEU: 12
; AccumOffset: 12
; Occupancy: 8
; WaveLimiterHint : 1
; COMPUTE_PGM_RSRC2:SCRATCH_EN: 0
; COMPUTE_PGM_RSRC2:USER_SGPR: 2
; COMPUTE_PGM_RSRC2:TRAP_HANDLER: 0
; COMPUTE_PGM_RSRC2:TGID_X_EN: 1
; COMPUTE_PGM_RSRC2:TGID_Y_EN: 0
; COMPUTE_PGM_RSRC2:TGID_Z_EN: 0
; COMPUTE_PGM_RSRC2:TIDIG_COMP_CNT: 0
; COMPUTE_PGM_RSRC3_GFX90A:ACCUM_OFFSET: 2
; COMPUTE_PGM_RSRC3_GFX90A:TG_SPLIT: 0
	.section	.text._ZN7rocprim17ROCPRIM_400000_NS6detail17trampoline_kernelINS0_14default_configENS1_22reduce_config_selectorIiEEZNS1_11reduce_implILb1ES3_N6thrust23THRUST_200600_302600_NS6detail15normal_iteratorINS8_10device_ptrIiEEEEPffNS8_4plusIfEEEE10hipError_tPvRmT1_T2_T3_mT4_P12ihipStream_tbEUlT_E0_NS1_11comp_targetILNS1_3genE5ELNS1_11target_archE942ELNS1_3gpuE9ELNS1_3repE0EEENS1_30default_config_static_selectorELNS0_4arch9wavefront6targetE1EEEvSK_,"axG",@progbits,_ZN7rocprim17ROCPRIM_400000_NS6detail17trampoline_kernelINS0_14default_configENS1_22reduce_config_selectorIiEEZNS1_11reduce_implILb1ES3_N6thrust23THRUST_200600_302600_NS6detail15normal_iteratorINS8_10device_ptrIiEEEEPffNS8_4plusIfEEEE10hipError_tPvRmT1_T2_T3_mT4_P12ihipStream_tbEUlT_E0_NS1_11comp_targetILNS1_3genE5ELNS1_11target_archE942ELNS1_3gpuE9ELNS1_3repE0EEENS1_30default_config_static_selectorELNS0_4arch9wavefront6targetE1EEEvSK_,comdat
	.protected	_ZN7rocprim17ROCPRIM_400000_NS6detail17trampoline_kernelINS0_14default_configENS1_22reduce_config_selectorIiEEZNS1_11reduce_implILb1ES3_N6thrust23THRUST_200600_302600_NS6detail15normal_iteratorINS8_10device_ptrIiEEEEPffNS8_4plusIfEEEE10hipError_tPvRmT1_T2_T3_mT4_P12ihipStream_tbEUlT_E0_NS1_11comp_targetILNS1_3genE5ELNS1_11target_archE942ELNS1_3gpuE9ELNS1_3repE0EEENS1_30default_config_static_selectorELNS0_4arch9wavefront6targetE1EEEvSK_ ; -- Begin function _ZN7rocprim17ROCPRIM_400000_NS6detail17trampoline_kernelINS0_14default_configENS1_22reduce_config_selectorIiEEZNS1_11reduce_implILb1ES3_N6thrust23THRUST_200600_302600_NS6detail15normal_iteratorINS8_10device_ptrIiEEEEPffNS8_4plusIfEEEE10hipError_tPvRmT1_T2_T3_mT4_P12ihipStream_tbEUlT_E0_NS1_11comp_targetILNS1_3genE5ELNS1_11target_archE942ELNS1_3gpuE9ELNS1_3repE0EEENS1_30default_config_static_selectorELNS0_4arch9wavefront6targetE1EEEvSK_
	.globl	_ZN7rocprim17ROCPRIM_400000_NS6detail17trampoline_kernelINS0_14default_configENS1_22reduce_config_selectorIiEEZNS1_11reduce_implILb1ES3_N6thrust23THRUST_200600_302600_NS6detail15normal_iteratorINS8_10device_ptrIiEEEEPffNS8_4plusIfEEEE10hipError_tPvRmT1_T2_T3_mT4_P12ihipStream_tbEUlT_E0_NS1_11comp_targetILNS1_3genE5ELNS1_11target_archE942ELNS1_3gpuE9ELNS1_3repE0EEENS1_30default_config_static_selectorELNS0_4arch9wavefront6targetE1EEEvSK_
	.p2align	8
	.type	_ZN7rocprim17ROCPRIM_400000_NS6detail17trampoline_kernelINS0_14default_configENS1_22reduce_config_selectorIiEEZNS1_11reduce_implILb1ES3_N6thrust23THRUST_200600_302600_NS6detail15normal_iteratorINS8_10device_ptrIiEEEEPffNS8_4plusIfEEEE10hipError_tPvRmT1_T2_T3_mT4_P12ihipStream_tbEUlT_E0_NS1_11comp_targetILNS1_3genE5ELNS1_11target_archE942ELNS1_3gpuE9ELNS1_3repE0EEENS1_30default_config_static_selectorELNS0_4arch9wavefront6targetE1EEEvSK_,@function
_ZN7rocprim17ROCPRIM_400000_NS6detail17trampoline_kernelINS0_14default_configENS1_22reduce_config_selectorIiEEZNS1_11reduce_implILb1ES3_N6thrust23THRUST_200600_302600_NS6detail15normal_iteratorINS8_10device_ptrIiEEEEPffNS8_4plusIfEEEE10hipError_tPvRmT1_T2_T3_mT4_P12ihipStream_tbEUlT_E0_NS1_11comp_targetILNS1_3genE5ELNS1_11target_archE942ELNS1_3gpuE9ELNS1_3repE0EEENS1_30default_config_static_selectorELNS0_4arch9wavefront6targetE1EEEvSK_: ; @_ZN7rocprim17ROCPRIM_400000_NS6detail17trampoline_kernelINS0_14default_configENS1_22reduce_config_selectorIiEEZNS1_11reduce_implILb1ES3_N6thrust23THRUST_200600_302600_NS6detail15normal_iteratorINS8_10device_ptrIiEEEEPffNS8_4plusIfEEEE10hipError_tPvRmT1_T2_T3_mT4_P12ihipStream_tbEUlT_E0_NS1_11comp_targetILNS1_3genE5ELNS1_11target_archE942ELNS1_3gpuE9ELNS1_3repE0EEENS1_30default_config_static_selectorELNS0_4arch9wavefront6targetE1EEEvSK_
; %bb.0:
	.section	.rodata,"a",@progbits
	.p2align	6, 0x0
	.amdhsa_kernel _ZN7rocprim17ROCPRIM_400000_NS6detail17trampoline_kernelINS0_14default_configENS1_22reduce_config_selectorIiEEZNS1_11reduce_implILb1ES3_N6thrust23THRUST_200600_302600_NS6detail15normal_iteratorINS8_10device_ptrIiEEEEPffNS8_4plusIfEEEE10hipError_tPvRmT1_T2_T3_mT4_P12ihipStream_tbEUlT_E0_NS1_11comp_targetILNS1_3genE5ELNS1_11target_archE942ELNS1_3gpuE9ELNS1_3repE0EEENS1_30default_config_static_selectorELNS0_4arch9wavefront6targetE1EEEvSK_
		.amdhsa_group_segment_fixed_size 0
		.amdhsa_private_segment_fixed_size 0
		.amdhsa_kernarg_size 56
		.amdhsa_user_sgpr_count 2
		.amdhsa_user_sgpr_dispatch_ptr 0
		.amdhsa_user_sgpr_queue_ptr 0
		.amdhsa_user_sgpr_kernarg_segment_ptr 1
		.amdhsa_user_sgpr_dispatch_id 0
		.amdhsa_user_sgpr_kernarg_preload_length 0
		.amdhsa_user_sgpr_kernarg_preload_offset 0
		.amdhsa_user_sgpr_private_segment_size 0
		.amdhsa_uses_dynamic_stack 0
		.amdhsa_enable_private_segment 0
		.amdhsa_system_sgpr_workgroup_id_x 1
		.amdhsa_system_sgpr_workgroup_id_y 0
		.amdhsa_system_sgpr_workgroup_id_z 0
		.amdhsa_system_sgpr_workgroup_info 0
		.amdhsa_system_vgpr_workitem_id 0
		.amdhsa_next_free_vgpr 1
		.amdhsa_next_free_sgpr 0
		.amdhsa_accum_offset 4
		.amdhsa_reserve_vcc 0
		.amdhsa_float_round_mode_32 0
		.amdhsa_float_round_mode_16_64 0
		.amdhsa_float_denorm_mode_32 3
		.amdhsa_float_denorm_mode_16_64 3
		.amdhsa_dx10_clamp 1
		.amdhsa_ieee_mode 1
		.amdhsa_fp16_overflow 0
		.amdhsa_tg_split 0
		.amdhsa_exception_fp_ieee_invalid_op 0
		.amdhsa_exception_fp_denorm_src 0
		.amdhsa_exception_fp_ieee_div_zero 0
		.amdhsa_exception_fp_ieee_overflow 0
		.amdhsa_exception_fp_ieee_underflow 0
		.amdhsa_exception_fp_ieee_inexact 0
		.amdhsa_exception_int_div_zero 0
	.end_amdhsa_kernel
	.section	.text._ZN7rocprim17ROCPRIM_400000_NS6detail17trampoline_kernelINS0_14default_configENS1_22reduce_config_selectorIiEEZNS1_11reduce_implILb1ES3_N6thrust23THRUST_200600_302600_NS6detail15normal_iteratorINS8_10device_ptrIiEEEEPffNS8_4plusIfEEEE10hipError_tPvRmT1_T2_T3_mT4_P12ihipStream_tbEUlT_E0_NS1_11comp_targetILNS1_3genE5ELNS1_11target_archE942ELNS1_3gpuE9ELNS1_3repE0EEENS1_30default_config_static_selectorELNS0_4arch9wavefront6targetE1EEEvSK_,"axG",@progbits,_ZN7rocprim17ROCPRIM_400000_NS6detail17trampoline_kernelINS0_14default_configENS1_22reduce_config_selectorIiEEZNS1_11reduce_implILb1ES3_N6thrust23THRUST_200600_302600_NS6detail15normal_iteratorINS8_10device_ptrIiEEEEPffNS8_4plusIfEEEE10hipError_tPvRmT1_T2_T3_mT4_P12ihipStream_tbEUlT_E0_NS1_11comp_targetILNS1_3genE5ELNS1_11target_archE942ELNS1_3gpuE9ELNS1_3repE0EEENS1_30default_config_static_selectorELNS0_4arch9wavefront6targetE1EEEvSK_,comdat
.Lfunc_end496:
	.size	_ZN7rocprim17ROCPRIM_400000_NS6detail17trampoline_kernelINS0_14default_configENS1_22reduce_config_selectorIiEEZNS1_11reduce_implILb1ES3_N6thrust23THRUST_200600_302600_NS6detail15normal_iteratorINS8_10device_ptrIiEEEEPffNS8_4plusIfEEEE10hipError_tPvRmT1_T2_T3_mT4_P12ihipStream_tbEUlT_E0_NS1_11comp_targetILNS1_3genE5ELNS1_11target_archE942ELNS1_3gpuE9ELNS1_3repE0EEENS1_30default_config_static_selectorELNS0_4arch9wavefront6targetE1EEEvSK_, .Lfunc_end496-_ZN7rocprim17ROCPRIM_400000_NS6detail17trampoline_kernelINS0_14default_configENS1_22reduce_config_selectorIiEEZNS1_11reduce_implILb1ES3_N6thrust23THRUST_200600_302600_NS6detail15normal_iteratorINS8_10device_ptrIiEEEEPffNS8_4plusIfEEEE10hipError_tPvRmT1_T2_T3_mT4_P12ihipStream_tbEUlT_E0_NS1_11comp_targetILNS1_3genE5ELNS1_11target_archE942ELNS1_3gpuE9ELNS1_3repE0EEENS1_30default_config_static_selectorELNS0_4arch9wavefront6targetE1EEEvSK_
                                        ; -- End function
	.set _ZN7rocprim17ROCPRIM_400000_NS6detail17trampoline_kernelINS0_14default_configENS1_22reduce_config_selectorIiEEZNS1_11reduce_implILb1ES3_N6thrust23THRUST_200600_302600_NS6detail15normal_iteratorINS8_10device_ptrIiEEEEPffNS8_4plusIfEEEE10hipError_tPvRmT1_T2_T3_mT4_P12ihipStream_tbEUlT_E0_NS1_11comp_targetILNS1_3genE5ELNS1_11target_archE942ELNS1_3gpuE9ELNS1_3repE0EEENS1_30default_config_static_selectorELNS0_4arch9wavefront6targetE1EEEvSK_.num_vgpr, 0
	.set _ZN7rocprim17ROCPRIM_400000_NS6detail17trampoline_kernelINS0_14default_configENS1_22reduce_config_selectorIiEEZNS1_11reduce_implILb1ES3_N6thrust23THRUST_200600_302600_NS6detail15normal_iteratorINS8_10device_ptrIiEEEEPffNS8_4plusIfEEEE10hipError_tPvRmT1_T2_T3_mT4_P12ihipStream_tbEUlT_E0_NS1_11comp_targetILNS1_3genE5ELNS1_11target_archE942ELNS1_3gpuE9ELNS1_3repE0EEENS1_30default_config_static_selectorELNS0_4arch9wavefront6targetE1EEEvSK_.num_agpr, 0
	.set _ZN7rocprim17ROCPRIM_400000_NS6detail17trampoline_kernelINS0_14default_configENS1_22reduce_config_selectorIiEEZNS1_11reduce_implILb1ES3_N6thrust23THRUST_200600_302600_NS6detail15normal_iteratorINS8_10device_ptrIiEEEEPffNS8_4plusIfEEEE10hipError_tPvRmT1_T2_T3_mT4_P12ihipStream_tbEUlT_E0_NS1_11comp_targetILNS1_3genE5ELNS1_11target_archE942ELNS1_3gpuE9ELNS1_3repE0EEENS1_30default_config_static_selectorELNS0_4arch9wavefront6targetE1EEEvSK_.numbered_sgpr, 0
	.set _ZN7rocprim17ROCPRIM_400000_NS6detail17trampoline_kernelINS0_14default_configENS1_22reduce_config_selectorIiEEZNS1_11reduce_implILb1ES3_N6thrust23THRUST_200600_302600_NS6detail15normal_iteratorINS8_10device_ptrIiEEEEPffNS8_4plusIfEEEE10hipError_tPvRmT1_T2_T3_mT4_P12ihipStream_tbEUlT_E0_NS1_11comp_targetILNS1_3genE5ELNS1_11target_archE942ELNS1_3gpuE9ELNS1_3repE0EEENS1_30default_config_static_selectorELNS0_4arch9wavefront6targetE1EEEvSK_.num_named_barrier, 0
	.set _ZN7rocprim17ROCPRIM_400000_NS6detail17trampoline_kernelINS0_14default_configENS1_22reduce_config_selectorIiEEZNS1_11reduce_implILb1ES3_N6thrust23THRUST_200600_302600_NS6detail15normal_iteratorINS8_10device_ptrIiEEEEPffNS8_4plusIfEEEE10hipError_tPvRmT1_T2_T3_mT4_P12ihipStream_tbEUlT_E0_NS1_11comp_targetILNS1_3genE5ELNS1_11target_archE942ELNS1_3gpuE9ELNS1_3repE0EEENS1_30default_config_static_selectorELNS0_4arch9wavefront6targetE1EEEvSK_.private_seg_size, 0
	.set _ZN7rocprim17ROCPRIM_400000_NS6detail17trampoline_kernelINS0_14default_configENS1_22reduce_config_selectorIiEEZNS1_11reduce_implILb1ES3_N6thrust23THRUST_200600_302600_NS6detail15normal_iteratorINS8_10device_ptrIiEEEEPffNS8_4plusIfEEEE10hipError_tPvRmT1_T2_T3_mT4_P12ihipStream_tbEUlT_E0_NS1_11comp_targetILNS1_3genE5ELNS1_11target_archE942ELNS1_3gpuE9ELNS1_3repE0EEENS1_30default_config_static_selectorELNS0_4arch9wavefront6targetE1EEEvSK_.uses_vcc, 0
	.set _ZN7rocprim17ROCPRIM_400000_NS6detail17trampoline_kernelINS0_14default_configENS1_22reduce_config_selectorIiEEZNS1_11reduce_implILb1ES3_N6thrust23THRUST_200600_302600_NS6detail15normal_iteratorINS8_10device_ptrIiEEEEPffNS8_4plusIfEEEE10hipError_tPvRmT1_T2_T3_mT4_P12ihipStream_tbEUlT_E0_NS1_11comp_targetILNS1_3genE5ELNS1_11target_archE942ELNS1_3gpuE9ELNS1_3repE0EEENS1_30default_config_static_selectorELNS0_4arch9wavefront6targetE1EEEvSK_.uses_flat_scratch, 0
	.set _ZN7rocprim17ROCPRIM_400000_NS6detail17trampoline_kernelINS0_14default_configENS1_22reduce_config_selectorIiEEZNS1_11reduce_implILb1ES3_N6thrust23THRUST_200600_302600_NS6detail15normal_iteratorINS8_10device_ptrIiEEEEPffNS8_4plusIfEEEE10hipError_tPvRmT1_T2_T3_mT4_P12ihipStream_tbEUlT_E0_NS1_11comp_targetILNS1_3genE5ELNS1_11target_archE942ELNS1_3gpuE9ELNS1_3repE0EEENS1_30default_config_static_selectorELNS0_4arch9wavefront6targetE1EEEvSK_.has_dyn_sized_stack, 0
	.set _ZN7rocprim17ROCPRIM_400000_NS6detail17trampoline_kernelINS0_14default_configENS1_22reduce_config_selectorIiEEZNS1_11reduce_implILb1ES3_N6thrust23THRUST_200600_302600_NS6detail15normal_iteratorINS8_10device_ptrIiEEEEPffNS8_4plusIfEEEE10hipError_tPvRmT1_T2_T3_mT4_P12ihipStream_tbEUlT_E0_NS1_11comp_targetILNS1_3genE5ELNS1_11target_archE942ELNS1_3gpuE9ELNS1_3repE0EEENS1_30default_config_static_selectorELNS0_4arch9wavefront6targetE1EEEvSK_.has_recursion, 0
	.set _ZN7rocprim17ROCPRIM_400000_NS6detail17trampoline_kernelINS0_14default_configENS1_22reduce_config_selectorIiEEZNS1_11reduce_implILb1ES3_N6thrust23THRUST_200600_302600_NS6detail15normal_iteratorINS8_10device_ptrIiEEEEPffNS8_4plusIfEEEE10hipError_tPvRmT1_T2_T3_mT4_P12ihipStream_tbEUlT_E0_NS1_11comp_targetILNS1_3genE5ELNS1_11target_archE942ELNS1_3gpuE9ELNS1_3repE0EEENS1_30default_config_static_selectorELNS0_4arch9wavefront6targetE1EEEvSK_.has_indirect_call, 0
	.section	.AMDGPU.csdata,"",@progbits
; Kernel info:
; codeLenInByte = 0
; TotalNumSgprs: 6
; NumVgprs: 0
; NumAgprs: 0
; TotalNumVgprs: 0
; ScratchSize: 0
; MemoryBound: 0
; FloatMode: 240
; IeeeMode: 1
; LDSByteSize: 0 bytes/workgroup (compile time only)
; SGPRBlocks: 0
; VGPRBlocks: 0
; NumSGPRsForWavesPerEU: 6
; NumVGPRsForWavesPerEU: 1
; AccumOffset: 4
; Occupancy: 8
; WaveLimiterHint : 0
; COMPUTE_PGM_RSRC2:SCRATCH_EN: 0
; COMPUTE_PGM_RSRC2:USER_SGPR: 2
; COMPUTE_PGM_RSRC2:TRAP_HANDLER: 0
; COMPUTE_PGM_RSRC2:TGID_X_EN: 1
; COMPUTE_PGM_RSRC2:TGID_Y_EN: 0
; COMPUTE_PGM_RSRC2:TGID_Z_EN: 0
; COMPUTE_PGM_RSRC2:TIDIG_COMP_CNT: 0
; COMPUTE_PGM_RSRC3_GFX90A:ACCUM_OFFSET: 0
; COMPUTE_PGM_RSRC3_GFX90A:TG_SPLIT: 0
	.section	.text._ZN7rocprim17ROCPRIM_400000_NS6detail17trampoline_kernelINS0_14default_configENS1_22reduce_config_selectorIiEEZNS1_11reduce_implILb1ES3_N6thrust23THRUST_200600_302600_NS6detail15normal_iteratorINS8_10device_ptrIiEEEEPffNS8_4plusIfEEEE10hipError_tPvRmT1_T2_T3_mT4_P12ihipStream_tbEUlT_E0_NS1_11comp_targetILNS1_3genE4ELNS1_11target_archE910ELNS1_3gpuE8ELNS1_3repE0EEENS1_30default_config_static_selectorELNS0_4arch9wavefront6targetE1EEEvSK_,"axG",@progbits,_ZN7rocprim17ROCPRIM_400000_NS6detail17trampoline_kernelINS0_14default_configENS1_22reduce_config_selectorIiEEZNS1_11reduce_implILb1ES3_N6thrust23THRUST_200600_302600_NS6detail15normal_iteratorINS8_10device_ptrIiEEEEPffNS8_4plusIfEEEE10hipError_tPvRmT1_T2_T3_mT4_P12ihipStream_tbEUlT_E0_NS1_11comp_targetILNS1_3genE4ELNS1_11target_archE910ELNS1_3gpuE8ELNS1_3repE0EEENS1_30default_config_static_selectorELNS0_4arch9wavefront6targetE1EEEvSK_,comdat
	.protected	_ZN7rocprim17ROCPRIM_400000_NS6detail17trampoline_kernelINS0_14default_configENS1_22reduce_config_selectorIiEEZNS1_11reduce_implILb1ES3_N6thrust23THRUST_200600_302600_NS6detail15normal_iteratorINS8_10device_ptrIiEEEEPffNS8_4plusIfEEEE10hipError_tPvRmT1_T2_T3_mT4_P12ihipStream_tbEUlT_E0_NS1_11comp_targetILNS1_3genE4ELNS1_11target_archE910ELNS1_3gpuE8ELNS1_3repE0EEENS1_30default_config_static_selectorELNS0_4arch9wavefront6targetE1EEEvSK_ ; -- Begin function _ZN7rocprim17ROCPRIM_400000_NS6detail17trampoline_kernelINS0_14default_configENS1_22reduce_config_selectorIiEEZNS1_11reduce_implILb1ES3_N6thrust23THRUST_200600_302600_NS6detail15normal_iteratorINS8_10device_ptrIiEEEEPffNS8_4plusIfEEEE10hipError_tPvRmT1_T2_T3_mT4_P12ihipStream_tbEUlT_E0_NS1_11comp_targetILNS1_3genE4ELNS1_11target_archE910ELNS1_3gpuE8ELNS1_3repE0EEENS1_30default_config_static_selectorELNS0_4arch9wavefront6targetE1EEEvSK_
	.globl	_ZN7rocprim17ROCPRIM_400000_NS6detail17trampoline_kernelINS0_14default_configENS1_22reduce_config_selectorIiEEZNS1_11reduce_implILb1ES3_N6thrust23THRUST_200600_302600_NS6detail15normal_iteratorINS8_10device_ptrIiEEEEPffNS8_4plusIfEEEE10hipError_tPvRmT1_T2_T3_mT4_P12ihipStream_tbEUlT_E0_NS1_11comp_targetILNS1_3genE4ELNS1_11target_archE910ELNS1_3gpuE8ELNS1_3repE0EEENS1_30default_config_static_selectorELNS0_4arch9wavefront6targetE1EEEvSK_
	.p2align	8
	.type	_ZN7rocprim17ROCPRIM_400000_NS6detail17trampoline_kernelINS0_14default_configENS1_22reduce_config_selectorIiEEZNS1_11reduce_implILb1ES3_N6thrust23THRUST_200600_302600_NS6detail15normal_iteratorINS8_10device_ptrIiEEEEPffNS8_4plusIfEEEE10hipError_tPvRmT1_T2_T3_mT4_P12ihipStream_tbEUlT_E0_NS1_11comp_targetILNS1_3genE4ELNS1_11target_archE910ELNS1_3gpuE8ELNS1_3repE0EEENS1_30default_config_static_selectorELNS0_4arch9wavefront6targetE1EEEvSK_,@function
_ZN7rocprim17ROCPRIM_400000_NS6detail17trampoline_kernelINS0_14default_configENS1_22reduce_config_selectorIiEEZNS1_11reduce_implILb1ES3_N6thrust23THRUST_200600_302600_NS6detail15normal_iteratorINS8_10device_ptrIiEEEEPffNS8_4plusIfEEEE10hipError_tPvRmT1_T2_T3_mT4_P12ihipStream_tbEUlT_E0_NS1_11comp_targetILNS1_3genE4ELNS1_11target_archE910ELNS1_3gpuE8ELNS1_3repE0EEENS1_30default_config_static_selectorELNS0_4arch9wavefront6targetE1EEEvSK_: ; @_ZN7rocprim17ROCPRIM_400000_NS6detail17trampoline_kernelINS0_14default_configENS1_22reduce_config_selectorIiEEZNS1_11reduce_implILb1ES3_N6thrust23THRUST_200600_302600_NS6detail15normal_iteratorINS8_10device_ptrIiEEEEPffNS8_4plusIfEEEE10hipError_tPvRmT1_T2_T3_mT4_P12ihipStream_tbEUlT_E0_NS1_11comp_targetILNS1_3genE4ELNS1_11target_archE910ELNS1_3gpuE8ELNS1_3repE0EEENS1_30default_config_static_selectorELNS0_4arch9wavefront6targetE1EEEvSK_
; %bb.0:
	.section	.rodata,"a",@progbits
	.p2align	6, 0x0
	.amdhsa_kernel _ZN7rocprim17ROCPRIM_400000_NS6detail17trampoline_kernelINS0_14default_configENS1_22reduce_config_selectorIiEEZNS1_11reduce_implILb1ES3_N6thrust23THRUST_200600_302600_NS6detail15normal_iteratorINS8_10device_ptrIiEEEEPffNS8_4plusIfEEEE10hipError_tPvRmT1_T2_T3_mT4_P12ihipStream_tbEUlT_E0_NS1_11comp_targetILNS1_3genE4ELNS1_11target_archE910ELNS1_3gpuE8ELNS1_3repE0EEENS1_30default_config_static_selectorELNS0_4arch9wavefront6targetE1EEEvSK_
		.amdhsa_group_segment_fixed_size 0
		.amdhsa_private_segment_fixed_size 0
		.amdhsa_kernarg_size 56
		.amdhsa_user_sgpr_count 2
		.amdhsa_user_sgpr_dispatch_ptr 0
		.amdhsa_user_sgpr_queue_ptr 0
		.amdhsa_user_sgpr_kernarg_segment_ptr 1
		.amdhsa_user_sgpr_dispatch_id 0
		.amdhsa_user_sgpr_kernarg_preload_length 0
		.amdhsa_user_sgpr_kernarg_preload_offset 0
		.amdhsa_user_sgpr_private_segment_size 0
		.amdhsa_uses_dynamic_stack 0
		.amdhsa_enable_private_segment 0
		.amdhsa_system_sgpr_workgroup_id_x 1
		.amdhsa_system_sgpr_workgroup_id_y 0
		.amdhsa_system_sgpr_workgroup_id_z 0
		.amdhsa_system_sgpr_workgroup_info 0
		.amdhsa_system_vgpr_workitem_id 0
		.amdhsa_next_free_vgpr 1
		.amdhsa_next_free_sgpr 0
		.amdhsa_accum_offset 4
		.amdhsa_reserve_vcc 0
		.amdhsa_float_round_mode_32 0
		.amdhsa_float_round_mode_16_64 0
		.amdhsa_float_denorm_mode_32 3
		.amdhsa_float_denorm_mode_16_64 3
		.amdhsa_dx10_clamp 1
		.amdhsa_ieee_mode 1
		.amdhsa_fp16_overflow 0
		.amdhsa_tg_split 0
		.amdhsa_exception_fp_ieee_invalid_op 0
		.amdhsa_exception_fp_denorm_src 0
		.amdhsa_exception_fp_ieee_div_zero 0
		.amdhsa_exception_fp_ieee_overflow 0
		.amdhsa_exception_fp_ieee_underflow 0
		.amdhsa_exception_fp_ieee_inexact 0
		.amdhsa_exception_int_div_zero 0
	.end_amdhsa_kernel
	.section	.text._ZN7rocprim17ROCPRIM_400000_NS6detail17trampoline_kernelINS0_14default_configENS1_22reduce_config_selectorIiEEZNS1_11reduce_implILb1ES3_N6thrust23THRUST_200600_302600_NS6detail15normal_iteratorINS8_10device_ptrIiEEEEPffNS8_4plusIfEEEE10hipError_tPvRmT1_T2_T3_mT4_P12ihipStream_tbEUlT_E0_NS1_11comp_targetILNS1_3genE4ELNS1_11target_archE910ELNS1_3gpuE8ELNS1_3repE0EEENS1_30default_config_static_selectorELNS0_4arch9wavefront6targetE1EEEvSK_,"axG",@progbits,_ZN7rocprim17ROCPRIM_400000_NS6detail17trampoline_kernelINS0_14default_configENS1_22reduce_config_selectorIiEEZNS1_11reduce_implILb1ES3_N6thrust23THRUST_200600_302600_NS6detail15normal_iteratorINS8_10device_ptrIiEEEEPffNS8_4plusIfEEEE10hipError_tPvRmT1_T2_T3_mT4_P12ihipStream_tbEUlT_E0_NS1_11comp_targetILNS1_3genE4ELNS1_11target_archE910ELNS1_3gpuE8ELNS1_3repE0EEENS1_30default_config_static_selectorELNS0_4arch9wavefront6targetE1EEEvSK_,comdat
.Lfunc_end497:
	.size	_ZN7rocprim17ROCPRIM_400000_NS6detail17trampoline_kernelINS0_14default_configENS1_22reduce_config_selectorIiEEZNS1_11reduce_implILb1ES3_N6thrust23THRUST_200600_302600_NS6detail15normal_iteratorINS8_10device_ptrIiEEEEPffNS8_4plusIfEEEE10hipError_tPvRmT1_T2_T3_mT4_P12ihipStream_tbEUlT_E0_NS1_11comp_targetILNS1_3genE4ELNS1_11target_archE910ELNS1_3gpuE8ELNS1_3repE0EEENS1_30default_config_static_selectorELNS0_4arch9wavefront6targetE1EEEvSK_, .Lfunc_end497-_ZN7rocprim17ROCPRIM_400000_NS6detail17trampoline_kernelINS0_14default_configENS1_22reduce_config_selectorIiEEZNS1_11reduce_implILb1ES3_N6thrust23THRUST_200600_302600_NS6detail15normal_iteratorINS8_10device_ptrIiEEEEPffNS8_4plusIfEEEE10hipError_tPvRmT1_T2_T3_mT4_P12ihipStream_tbEUlT_E0_NS1_11comp_targetILNS1_3genE4ELNS1_11target_archE910ELNS1_3gpuE8ELNS1_3repE0EEENS1_30default_config_static_selectorELNS0_4arch9wavefront6targetE1EEEvSK_
                                        ; -- End function
	.set _ZN7rocprim17ROCPRIM_400000_NS6detail17trampoline_kernelINS0_14default_configENS1_22reduce_config_selectorIiEEZNS1_11reduce_implILb1ES3_N6thrust23THRUST_200600_302600_NS6detail15normal_iteratorINS8_10device_ptrIiEEEEPffNS8_4plusIfEEEE10hipError_tPvRmT1_T2_T3_mT4_P12ihipStream_tbEUlT_E0_NS1_11comp_targetILNS1_3genE4ELNS1_11target_archE910ELNS1_3gpuE8ELNS1_3repE0EEENS1_30default_config_static_selectorELNS0_4arch9wavefront6targetE1EEEvSK_.num_vgpr, 0
	.set _ZN7rocprim17ROCPRIM_400000_NS6detail17trampoline_kernelINS0_14default_configENS1_22reduce_config_selectorIiEEZNS1_11reduce_implILb1ES3_N6thrust23THRUST_200600_302600_NS6detail15normal_iteratorINS8_10device_ptrIiEEEEPffNS8_4plusIfEEEE10hipError_tPvRmT1_T2_T3_mT4_P12ihipStream_tbEUlT_E0_NS1_11comp_targetILNS1_3genE4ELNS1_11target_archE910ELNS1_3gpuE8ELNS1_3repE0EEENS1_30default_config_static_selectorELNS0_4arch9wavefront6targetE1EEEvSK_.num_agpr, 0
	.set _ZN7rocprim17ROCPRIM_400000_NS6detail17trampoline_kernelINS0_14default_configENS1_22reduce_config_selectorIiEEZNS1_11reduce_implILb1ES3_N6thrust23THRUST_200600_302600_NS6detail15normal_iteratorINS8_10device_ptrIiEEEEPffNS8_4plusIfEEEE10hipError_tPvRmT1_T2_T3_mT4_P12ihipStream_tbEUlT_E0_NS1_11comp_targetILNS1_3genE4ELNS1_11target_archE910ELNS1_3gpuE8ELNS1_3repE0EEENS1_30default_config_static_selectorELNS0_4arch9wavefront6targetE1EEEvSK_.numbered_sgpr, 0
	.set _ZN7rocprim17ROCPRIM_400000_NS6detail17trampoline_kernelINS0_14default_configENS1_22reduce_config_selectorIiEEZNS1_11reduce_implILb1ES3_N6thrust23THRUST_200600_302600_NS6detail15normal_iteratorINS8_10device_ptrIiEEEEPffNS8_4plusIfEEEE10hipError_tPvRmT1_T2_T3_mT4_P12ihipStream_tbEUlT_E0_NS1_11comp_targetILNS1_3genE4ELNS1_11target_archE910ELNS1_3gpuE8ELNS1_3repE0EEENS1_30default_config_static_selectorELNS0_4arch9wavefront6targetE1EEEvSK_.num_named_barrier, 0
	.set _ZN7rocprim17ROCPRIM_400000_NS6detail17trampoline_kernelINS0_14default_configENS1_22reduce_config_selectorIiEEZNS1_11reduce_implILb1ES3_N6thrust23THRUST_200600_302600_NS6detail15normal_iteratorINS8_10device_ptrIiEEEEPffNS8_4plusIfEEEE10hipError_tPvRmT1_T2_T3_mT4_P12ihipStream_tbEUlT_E0_NS1_11comp_targetILNS1_3genE4ELNS1_11target_archE910ELNS1_3gpuE8ELNS1_3repE0EEENS1_30default_config_static_selectorELNS0_4arch9wavefront6targetE1EEEvSK_.private_seg_size, 0
	.set _ZN7rocprim17ROCPRIM_400000_NS6detail17trampoline_kernelINS0_14default_configENS1_22reduce_config_selectorIiEEZNS1_11reduce_implILb1ES3_N6thrust23THRUST_200600_302600_NS6detail15normal_iteratorINS8_10device_ptrIiEEEEPffNS8_4plusIfEEEE10hipError_tPvRmT1_T2_T3_mT4_P12ihipStream_tbEUlT_E0_NS1_11comp_targetILNS1_3genE4ELNS1_11target_archE910ELNS1_3gpuE8ELNS1_3repE0EEENS1_30default_config_static_selectorELNS0_4arch9wavefront6targetE1EEEvSK_.uses_vcc, 0
	.set _ZN7rocprim17ROCPRIM_400000_NS6detail17trampoline_kernelINS0_14default_configENS1_22reduce_config_selectorIiEEZNS1_11reduce_implILb1ES3_N6thrust23THRUST_200600_302600_NS6detail15normal_iteratorINS8_10device_ptrIiEEEEPffNS8_4plusIfEEEE10hipError_tPvRmT1_T2_T3_mT4_P12ihipStream_tbEUlT_E0_NS1_11comp_targetILNS1_3genE4ELNS1_11target_archE910ELNS1_3gpuE8ELNS1_3repE0EEENS1_30default_config_static_selectorELNS0_4arch9wavefront6targetE1EEEvSK_.uses_flat_scratch, 0
	.set _ZN7rocprim17ROCPRIM_400000_NS6detail17trampoline_kernelINS0_14default_configENS1_22reduce_config_selectorIiEEZNS1_11reduce_implILb1ES3_N6thrust23THRUST_200600_302600_NS6detail15normal_iteratorINS8_10device_ptrIiEEEEPffNS8_4plusIfEEEE10hipError_tPvRmT1_T2_T3_mT4_P12ihipStream_tbEUlT_E0_NS1_11comp_targetILNS1_3genE4ELNS1_11target_archE910ELNS1_3gpuE8ELNS1_3repE0EEENS1_30default_config_static_selectorELNS0_4arch9wavefront6targetE1EEEvSK_.has_dyn_sized_stack, 0
	.set _ZN7rocprim17ROCPRIM_400000_NS6detail17trampoline_kernelINS0_14default_configENS1_22reduce_config_selectorIiEEZNS1_11reduce_implILb1ES3_N6thrust23THRUST_200600_302600_NS6detail15normal_iteratorINS8_10device_ptrIiEEEEPffNS8_4plusIfEEEE10hipError_tPvRmT1_T2_T3_mT4_P12ihipStream_tbEUlT_E0_NS1_11comp_targetILNS1_3genE4ELNS1_11target_archE910ELNS1_3gpuE8ELNS1_3repE0EEENS1_30default_config_static_selectorELNS0_4arch9wavefront6targetE1EEEvSK_.has_recursion, 0
	.set _ZN7rocprim17ROCPRIM_400000_NS6detail17trampoline_kernelINS0_14default_configENS1_22reduce_config_selectorIiEEZNS1_11reduce_implILb1ES3_N6thrust23THRUST_200600_302600_NS6detail15normal_iteratorINS8_10device_ptrIiEEEEPffNS8_4plusIfEEEE10hipError_tPvRmT1_T2_T3_mT4_P12ihipStream_tbEUlT_E0_NS1_11comp_targetILNS1_3genE4ELNS1_11target_archE910ELNS1_3gpuE8ELNS1_3repE0EEENS1_30default_config_static_selectorELNS0_4arch9wavefront6targetE1EEEvSK_.has_indirect_call, 0
	.section	.AMDGPU.csdata,"",@progbits
; Kernel info:
; codeLenInByte = 0
; TotalNumSgprs: 6
; NumVgprs: 0
; NumAgprs: 0
; TotalNumVgprs: 0
; ScratchSize: 0
; MemoryBound: 0
; FloatMode: 240
; IeeeMode: 1
; LDSByteSize: 0 bytes/workgroup (compile time only)
; SGPRBlocks: 0
; VGPRBlocks: 0
; NumSGPRsForWavesPerEU: 6
; NumVGPRsForWavesPerEU: 1
; AccumOffset: 4
; Occupancy: 8
; WaveLimiterHint : 0
; COMPUTE_PGM_RSRC2:SCRATCH_EN: 0
; COMPUTE_PGM_RSRC2:USER_SGPR: 2
; COMPUTE_PGM_RSRC2:TRAP_HANDLER: 0
; COMPUTE_PGM_RSRC2:TGID_X_EN: 1
; COMPUTE_PGM_RSRC2:TGID_Y_EN: 0
; COMPUTE_PGM_RSRC2:TGID_Z_EN: 0
; COMPUTE_PGM_RSRC2:TIDIG_COMP_CNT: 0
; COMPUTE_PGM_RSRC3_GFX90A:ACCUM_OFFSET: 0
; COMPUTE_PGM_RSRC3_GFX90A:TG_SPLIT: 0
	.section	.text._ZN7rocprim17ROCPRIM_400000_NS6detail17trampoline_kernelINS0_14default_configENS1_22reduce_config_selectorIiEEZNS1_11reduce_implILb1ES3_N6thrust23THRUST_200600_302600_NS6detail15normal_iteratorINS8_10device_ptrIiEEEEPffNS8_4plusIfEEEE10hipError_tPvRmT1_T2_T3_mT4_P12ihipStream_tbEUlT_E0_NS1_11comp_targetILNS1_3genE3ELNS1_11target_archE908ELNS1_3gpuE7ELNS1_3repE0EEENS1_30default_config_static_selectorELNS0_4arch9wavefront6targetE1EEEvSK_,"axG",@progbits,_ZN7rocprim17ROCPRIM_400000_NS6detail17trampoline_kernelINS0_14default_configENS1_22reduce_config_selectorIiEEZNS1_11reduce_implILb1ES3_N6thrust23THRUST_200600_302600_NS6detail15normal_iteratorINS8_10device_ptrIiEEEEPffNS8_4plusIfEEEE10hipError_tPvRmT1_T2_T3_mT4_P12ihipStream_tbEUlT_E0_NS1_11comp_targetILNS1_3genE3ELNS1_11target_archE908ELNS1_3gpuE7ELNS1_3repE0EEENS1_30default_config_static_selectorELNS0_4arch9wavefront6targetE1EEEvSK_,comdat
	.protected	_ZN7rocprim17ROCPRIM_400000_NS6detail17trampoline_kernelINS0_14default_configENS1_22reduce_config_selectorIiEEZNS1_11reduce_implILb1ES3_N6thrust23THRUST_200600_302600_NS6detail15normal_iteratorINS8_10device_ptrIiEEEEPffNS8_4plusIfEEEE10hipError_tPvRmT1_T2_T3_mT4_P12ihipStream_tbEUlT_E0_NS1_11comp_targetILNS1_3genE3ELNS1_11target_archE908ELNS1_3gpuE7ELNS1_3repE0EEENS1_30default_config_static_selectorELNS0_4arch9wavefront6targetE1EEEvSK_ ; -- Begin function _ZN7rocprim17ROCPRIM_400000_NS6detail17trampoline_kernelINS0_14default_configENS1_22reduce_config_selectorIiEEZNS1_11reduce_implILb1ES3_N6thrust23THRUST_200600_302600_NS6detail15normal_iteratorINS8_10device_ptrIiEEEEPffNS8_4plusIfEEEE10hipError_tPvRmT1_T2_T3_mT4_P12ihipStream_tbEUlT_E0_NS1_11comp_targetILNS1_3genE3ELNS1_11target_archE908ELNS1_3gpuE7ELNS1_3repE0EEENS1_30default_config_static_selectorELNS0_4arch9wavefront6targetE1EEEvSK_
	.globl	_ZN7rocprim17ROCPRIM_400000_NS6detail17trampoline_kernelINS0_14default_configENS1_22reduce_config_selectorIiEEZNS1_11reduce_implILb1ES3_N6thrust23THRUST_200600_302600_NS6detail15normal_iteratorINS8_10device_ptrIiEEEEPffNS8_4plusIfEEEE10hipError_tPvRmT1_T2_T3_mT4_P12ihipStream_tbEUlT_E0_NS1_11comp_targetILNS1_3genE3ELNS1_11target_archE908ELNS1_3gpuE7ELNS1_3repE0EEENS1_30default_config_static_selectorELNS0_4arch9wavefront6targetE1EEEvSK_
	.p2align	8
	.type	_ZN7rocprim17ROCPRIM_400000_NS6detail17trampoline_kernelINS0_14default_configENS1_22reduce_config_selectorIiEEZNS1_11reduce_implILb1ES3_N6thrust23THRUST_200600_302600_NS6detail15normal_iteratorINS8_10device_ptrIiEEEEPffNS8_4plusIfEEEE10hipError_tPvRmT1_T2_T3_mT4_P12ihipStream_tbEUlT_E0_NS1_11comp_targetILNS1_3genE3ELNS1_11target_archE908ELNS1_3gpuE7ELNS1_3repE0EEENS1_30default_config_static_selectorELNS0_4arch9wavefront6targetE1EEEvSK_,@function
_ZN7rocprim17ROCPRIM_400000_NS6detail17trampoline_kernelINS0_14default_configENS1_22reduce_config_selectorIiEEZNS1_11reduce_implILb1ES3_N6thrust23THRUST_200600_302600_NS6detail15normal_iteratorINS8_10device_ptrIiEEEEPffNS8_4plusIfEEEE10hipError_tPvRmT1_T2_T3_mT4_P12ihipStream_tbEUlT_E0_NS1_11comp_targetILNS1_3genE3ELNS1_11target_archE908ELNS1_3gpuE7ELNS1_3repE0EEENS1_30default_config_static_selectorELNS0_4arch9wavefront6targetE1EEEvSK_: ; @_ZN7rocprim17ROCPRIM_400000_NS6detail17trampoline_kernelINS0_14default_configENS1_22reduce_config_selectorIiEEZNS1_11reduce_implILb1ES3_N6thrust23THRUST_200600_302600_NS6detail15normal_iteratorINS8_10device_ptrIiEEEEPffNS8_4plusIfEEEE10hipError_tPvRmT1_T2_T3_mT4_P12ihipStream_tbEUlT_E0_NS1_11comp_targetILNS1_3genE3ELNS1_11target_archE908ELNS1_3gpuE7ELNS1_3repE0EEENS1_30default_config_static_selectorELNS0_4arch9wavefront6targetE1EEEvSK_
; %bb.0:
	.section	.rodata,"a",@progbits
	.p2align	6, 0x0
	.amdhsa_kernel _ZN7rocprim17ROCPRIM_400000_NS6detail17trampoline_kernelINS0_14default_configENS1_22reduce_config_selectorIiEEZNS1_11reduce_implILb1ES3_N6thrust23THRUST_200600_302600_NS6detail15normal_iteratorINS8_10device_ptrIiEEEEPffNS8_4plusIfEEEE10hipError_tPvRmT1_T2_T3_mT4_P12ihipStream_tbEUlT_E0_NS1_11comp_targetILNS1_3genE3ELNS1_11target_archE908ELNS1_3gpuE7ELNS1_3repE0EEENS1_30default_config_static_selectorELNS0_4arch9wavefront6targetE1EEEvSK_
		.amdhsa_group_segment_fixed_size 0
		.amdhsa_private_segment_fixed_size 0
		.amdhsa_kernarg_size 56
		.amdhsa_user_sgpr_count 2
		.amdhsa_user_sgpr_dispatch_ptr 0
		.amdhsa_user_sgpr_queue_ptr 0
		.amdhsa_user_sgpr_kernarg_segment_ptr 1
		.amdhsa_user_sgpr_dispatch_id 0
		.amdhsa_user_sgpr_kernarg_preload_length 0
		.amdhsa_user_sgpr_kernarg_preload_offset 0
		.amdhsa_user_sgpr_private_segment_size 0
		.amdhsa_uses_dynamic_stack 0
		.amdhsa_enable_private_segment 0
		.amdhsa_system_sgpr_workgroup_id_x 1
		.amdhsa_system_sgpr_workgroup_id_y 0
		.amdhsa_system_sgpr_workgroup_id_z 0
		.amdhsa_system_sgpr_workgroup_info 0
		.amdhsa_system_vgpr_workitem_id 0
		.amdhsa_next_free_vgpr 1
		.amdhsa_next_free_sgpr 0
		.amdhsa_accum_offset 4
		.amdhsa_reserve_vcc 0
		.amdhsa_float_round_mode_32 0
		.amdhsa_float_round_mode_16_64 0
		.amdhsa_float_denorm_mode_32 3
		.amdhsa_float_denorm_mode_16_64 3
		.amdhsa_dx10_clamp 1
		.amdhsa_ieee_mode 1
		.amdhsa_fp16_overflow 0
		.amdhsa_tg_split 0
		.amdhsa_exception_fp_ieee_invalid_op 0
		.amdhsa_exception_fp_denorm_src 0
		.amdhsa_exception_fp_ieee_div_zero 0
		.amdhsa_exception_fp_ieee_overflow 0
		.amdhsa_exception_fp_ieee_underflow 0
		.amdhsa_exception_fp_ieee_inexact 0
		.amdhsa_exception_int_div_zero 0
	.end_amdhsa_kernel
	.section	.text._ZN7rocprim17ROCPRIM_400000_NS6detail17trampoline_kernelINS0_14default_configENS1_22reduce_config_selectorIiEEZNS1_11reduce_implILb1ES3_N6thrust23THRUST_200600_302600_NS6detail15normal_iteratorINS8_10device_ptrIiEEEEPffNS8_4plusIfEEEE10hipError_tPvRmT1_T2_T3_mT4_P12ihipStream_tbEUlT_E0_NS1_11comp_targetILNS1_3genE3ELNS1_11target_archE908ELNS1_3gpuE7ELNS1_3repE0EEENS1_30default_config_static_selectorELNS0_4arch9wavefront6targetE1EEEvSK_,"axG",@progbits,_ZN7rocprim17ROCPRIM_400000_NS6detail17trampoline_kernelINS0_14default_configENS1_22reduce_config_selectorIiEEZNS1_11reduce_implILb1ES3_N6thrust23THRUST_200600_302600_NS6detail15normal_iteratorINS8_10device_ptrIiEEEEPffNS8_4plusIfEEEE10hipError_tPvRmT1_T2_T3_mT4_P12ihipStream_tbEUlT_E0_NS1_11comp_targetILNS1_3genE3ELNS1_11target_archE908ELNS1_3gpuE7ELNS1_3repE0EEENS1_30default_config_static_selectorELNS0_4arch9wavefront6targetE1EEEvSK_,comdat
.Lfunc_end498:
	.size	_ZN7rocprim17ROCPRIM_400000_NS6detail17trampoline_kernelINS0_14default_configENS1_22reduce_config_selectorIiEEZNS1_11reduce_implILb1ES3_N6thrust23THRUST_200600_302600_NS6detail15normal_iteratorINS8_10device_ptrIiEEEEPffNS8_4plusIfEEEE10hipError_tPvRmT1_T2_T3_mT4_P12ihipStream_tbEUlT_E0_NS1_11comp_targetILNS1_3genE3ELNS1_11target_archE908ELNS1_3gpuE7ELNS1_3repE0EEENS1_30default_config_static_selectorELNS0_4arch9wavefront6targetE1EEEvSK_, .Lfunc_end498-_ZN7rocprim17ROCPRIM_400000_NS6detail17trampoline_kernelINS0_14default_configENS1_22reduce_config_selectorIiEEZNS1_11reduce_implILb1ES3_N6thrust23THRUST_200600_302600_NS6detail15normal_iteratorINS8_10device_ptrIiEEEEPffNS8_4plusIfEEEE10hipError_tPvRmT1_T2_T3_mT4_P12ihipStream_tbEUlT_E0_NS1_11comp_targetILNS1_3genE3ELNS1_11target_archE908ELNS1_3gpuE7ELNS1_3repE0EEENS1_30default_config_static_selectorELNS0_4arch9wavefront6targetE1EEEvSK_
                                        ; -- End function
	.set _ZN7rocprim17ROCPRIM_400000_NS6detail17trampoline_kernelINS0_14default_configENS1_22reduce_config_selectorIiEEZNS1_11reduce_implILb1ES3_N6thrust23THRUST_200600_302600_NS6detail15normal_iteratorINS8_10device_ptrIiEEEEPffNS8_4plusIfEEEE10hipError_tPvRmT1_T2_T3_mT4_P12ihipStream_tbEUlT_E0_NS1_11comp_targetILNS1_3genE3ELNS1_11target_archE908ELNS1_3gpuE7ELNS1_3repE0EEENS1_30default_config_static_selectorELNS0_4arch9wavefront6targetE1EEEvSK_.num_vgpr, 0
	.set _ZN7rocprim17ROCPRIM_400000_NS6detail17trampoline_kernelINS0_14default_configENS1_22reduce_config_selectorIiEEZNS1_11reduce_implILb1ES3_N6thrust23THRUST_200600_302600_NS6detail15normal_iteratorINS8_10device_ptrIiEEEEPffNS8_4plusIfEEEE10hipError_tPvRmT1_T2_T3_mT4_P12ihipStream_tbEUlT_E0_NS1_11comp_targetILNS1_3genE3ELNS1_11target_archE908ELNS1_3gpuE7ELNS1_3repE0EEENS1_30default_config_static_selectorELNS0_4arch9wavefront6targetE1EEEvSK_.num_agpr, 0
	.set _ZN7rocprim17ROCPRIM_400000_NS6detail17trampoline_kernelINS0_14default_configENS1_22reduce_config_selectorIiEEZNS1_11reduce_implILb1ES3_N6thrust23THRUST_200600_302600_NS6detail15normal_iteratorINS8_10device_ptrIiEEEEPffNS8_4plusIfEEEE10hipError_tPvRmT1_T2_T3_mT4_P12ihipStream_tbEUlT_E0_NS1_11comp_targetILNS1_3genE3ELNS1_11target_archE908ELNS1_3gpuE7ELNS1_3repE0EEENS1_30default_config_static_selectorELNS0_4arch9wavefront6targetE1EEEvSK_.numbered_sgpr, 0
	.set _ZN7rocprim17ROCPRIM_400000_NS6detail17trampoline_kernelINS0_14default_configENS1_22reduce_config_selectorIiEEZNS1_11reduce_implILb1ES3_N6thrust23THRUST_200600_302600_NS6detail15normal_iteratorINS8_10device_ptrIiEEEEPffNS8_4plusIfEEEE10hipError_tPvRmT1_T2_T3_mT4_P12ihipStream_tbEUlT_E0_NS1_11comp_targetILNS1_3genE3ELNS1_11target_archE908ELNS1_3gpuE7ELNS1_3repE0EEENS1_30default_config_static_selectorELNS0_4arch9wavefront6targetE1EEEvSK_.num_named_barrier, 0
	.set _ZN7rocprim17ROCPRIM_400000_NS6detail17trampoline_kernelINS0_14default_configENS1_22reduce_config_selectorIiEEZNS1_11reduce_implILb1ES3_N6thrust23THRUST_200600_302600_NS6detail15normal_iteratorINS8_10device_ptrIiEEEEPffNS8_4plusIfEEEE10hipError_tPvRmT1_T2_T3_mT4_P12ihipStream_tbEUlT_E0_NS1_11comp_targetILNS1_3genE3ELNS1_11target_archE908ELNS1_3gpuE7ELNS1_3repE0EEENS1_30default_config_static_selectorELNS0_4arch9wavefront6targetE1EEEvSK_.private_seg_size, 0
	.set _ZN7rocprim17ROCPRIM_400000_NS6detail17trampoline_kernelINS0_14default_configENS1_22reduce_config_selectorIiEEZNS1_11reduce_implILb1ES3_N6thrust23THRUST_200600_302600_NS6detail15normal_iteratorINS8_10device_ptrIiEEEEPffNS8_4plusIfEEEE10hipError_tPvRmT1_T2_T3_mT4_P12ihipStream_tbEUlT_E0_NS1_11comp_targetILNS1_3genE3ELNS1_11target_archE908ELNS1_3gpuE7ELNS1_3repE0EEENS1_30default_config_static_selectorELNS0_4arch9wavefront6targetE1EEEvSK_.uses_vcc, 0
	.set _ZN7rocprim17ROCPRIM_400000_NS6detail17trampoline_kernelINS0_14default_configENS1_22reduce_config_selectorIiEEZNS1_11reduce_implILb1ES3_N6thrust23THRUST_200600_302600_NS6detail15normal_iteratorINS8_10device_ptrIiEEEEPffNS8_4plusIfEEEE10hipError_tPvRmT1_T2_T3_mT4_P12ihipStream_tbEUlT_E0_NS1_11comp_targetILNS1_3genE3ELNS1_11target_archE908ELNS1_3gpuE7ELNS1_3repE0EEENS1_30default_config_static_selectorELNS0_4arch9wavefront6targetE1EEEvSK_.uses_flat_scratch, 0
	.set _ZN7rocprim17ROCPRIM_400000_NS6detail17trampoline_kernelINS0_14default_configENS1_22reduce_config_selectorIiEEZNS1_11reduce_implILb1ES3_N6thrust23THRUST_200600_302600_NS6detail15normal_iteratorINS8_10device_ptrIiEEEEPffNS8_4plusIfEEEE10hipError_tPvRmT1_T2_T3_mT4_P12ihipStream_tbEUlT_E0_NS1_11comp_targetILNS1_3genE3ELNS1_11target_archE908ELNS1_3gpuE7ELNS1_3repE0EEENS1_30default_config_static_selectorELNS0_4arch9wavefront6targetE1EEEvSK_.has_dyn_sized_stack, 0
	.set _ZN7rocprim17ROCPRIM_400000_NS6detail17trampoline_kernelINS0_14default_configENS1_22reduce_config_selectorIiEEZNS1_11reduce_implILb1ES3_N6thrust23THRUST_200600_302600_NS6detail15normal_iteratorINS8_10device_ptrIiEEEEPffNS8_4plusIfEEEE10hipError_tPvRmT1_T2_T3_mT4_P12ihipStream_tbEUlT_E0_NS1_11comp_targetILNS1_3genE3ELNS1_11target_archE908ELNS1_3gpuE7ELNS1_3repE0EEENS1_30default_config_static_selectorELNS0_4arch9wavefront6targetE1EEEvSK_.has_recursion, 0
	.set _ZN7rocprim17ROCPRIM_400000_NS6detail17trampoline_kernelINS0_14default_configENS1_22reduce_config_selectorIiEEZNS1_11reduce_implILb1ES3_N6thrust23THRUST_200600_302600_NS6detail15normal_iteratorINS8_10device_ptrIiEEEEPffNS8_4plusIfEEEE10hipError_tPvRmT1_T2_T3_mT4_P12ihipStream_tbEUlT_E0_NS1_11comp_targetILNS1_3genE3ELNS1_11target_archE908ELNS1_3gpuE7ELNS1_3repE0EEENS1_30default_config_static_selectorELNS0_4arch9wavefront6targetE1EEEvSK_.has_indirect_call, 0
	.section	.AMDGPU.csdata,"",@progbits
; Kernel info:
; codeLenInByte = 0
; TotalNumSgprs: 6
; NumVgprs: 0
; NumAgprs: 0
; TotalNumVgprs: 0
; ScratchSize: 0
; MemoryBound: 0
; FloatMode: 240
; IeeeMode: 1
; LDSByteSize: 0 bytes/workgroup (compile time only)
; SGPRBlocks: 0
; VGPRBlocks: 0
; NumSGPRsForWavesPerEU: 6
; NumVGPRsForWavesPerEU: 1
; AccumOffset: 4
; Occupancy: 8
; WaveLimiterHint : 0
; COMPUTE_PGM_RSRC2:SCRATCH_EN: 0
; COMPUTE_PGM_RSRC2:USER_SGPR: 2
; COMPUTE_PGM_RSRC2:TRAP_HANDLER: 0
; COMPUTE_PGM_RSRC2:TGID_X_EN: 1
; COMPUTE_PGM_RSRC2:TGID_Y_EN: 0
; COMPUTE_PGM_RSRC2:TGID_Z_EN: 0
; COMPUTE_PGM_RSRC2:TIDIG_COMP_CNT: 0
; COMPUTE_PGM_RSRC3_GFX90A:ACCUM_OFFSET: 0
; COMPUTE_PGM_RSRC3_GFX90A:TG_SPLIT: 0
	.section	.text._ZN7rocprim17ROCPRIM_400000_NS6detail17trampoline_kernelINS0_14default_configENS1_22reduce_config_selectorIiEEZNS1_11reduce_implILb1ES3_N6thrust23THRUST_200600_302600_NS6detail15normal_iteratorINS8_10device_ptrIiEEEEPffNS8_4plusIfEEEE10hipError_tPvRmT1_T2_T3_mT4_P12ihipStream_tbEUlT_E0_NS1_11comp_targetILNS1_3genE2ELNS1_11target_archE906ELNS1_3gpuE6ELNS1_3repE0EEENS1_30default_config_static_selectorELNS0_4arch9wavefront6targetE1EEEvSK_,"axG",@progbits,_ZN7rocprim17ROCPRIM_400000_NS6detail17trampoline_kernelINS0_14default_configENS1_22reduce_config_selectorIiEEZNS1_11reduce_implILb1ES3_N6thrust23THRUST_200600_302600_NS6detail15normal_iteratorINS8_10device_ptrIiEEEEPffNS8_4plusIfEEEE10hipError_tPvRmT1_T2_T3_mT4_P12ihipStream_tbEUlT_E0_NS1_11comp_targetILNS1_3genE2ELNS1_11target_archE906ELNS1_3gpuE6ELNS1_3repE0EEENS1_30default_config_static_selectorELNS0_4arch9wavefront6targetE1EEEvSK_,comdat
	.protected	_ZN7rocprim17ROCPRIM_400000_NS6detail17trampoline_kernelINS0_14default_configENS1_22reduce_config_selectorIiEEZNS1_11reduce_implILb1ES3_N6thrust23THRUST_200600_302600_NS6detail15normal_iteratorINS8_10device_ptrIiEEEEPffNS8_4plusIfEEEE10hipError_tPvRmT1_T2_T3_mT4_P12ihipStream_tbEUlT_E0_NS1_11comp_targetILNS1_3genE2ELNS1_11target_archE906ELNS1_3gpuE6ELNS1_3repE0EEENS1_30default_config_static_selectorELNS0_4arch9wavefront6targetE1EEEvSK_ ; -- Begin function _ZN7rocprim17ROCPRIM_400000_NS6detail17trampoline_kernelINS0_14default_configENS1_22reduce_config_selectorIiEEZNS1_11reduce_implILb1ES3_N6thrust23THRUST_200600_302600_NS6detail15normal_iteratorINS8_10device_ptrIiEEEEPffNS8_4plusIfEEEE10hipError_tPvRmT1_T2_T3_mT4_P12ihipStream_tbEUlT_E0_NS1_11comp_targetILNS1_3genE2ELNS1_11target_archE906ELNS1_3gpuE6ELNS1_3repE0EEENS1_30default_config_static_selectorELNS0_4arch9wavefront6targetE1EEEvSK_
	.globl	_ZN7rocprim17ROCPRIM_400000_NS6detail17trampoline_kernelINS0_14default_configENS1_22reduce_config_selectorIiEEZNS1_11reduce_implILb1ES3_N6thrust23THRUST_200600_302600_NS6detail15normal_iteratorINS8_10device_ptrIiEEEEPffNS8_4plusIfEEEE10hipError_tPvRmT1_T2_T3_mT4_P12ihipStream_tbEUlT_E0_NS1_11comp_targetILNS1_3genE2ELNS1_11target_archE906ELNS1_3gpuE6ELNS1_3repE0EEENS1_30default_config_static_selectorELNS0_4arch9wavefront6targetE1EEEvSK_
	.p2align	8
	.type	_ZN7rocprim17ROCPRIM_400000_NS6detail17trampoline_kernelINS0_14default_configENS1_22reduce_config_selectorIiEEZNS1_11reduce_implILb1ES3_N6thrust23THRUST_200600_302600_NS6detail15normal_iteratorINS8_10device_ptrIiEEEEPffNS8_4plusIfEEEE10hipError_tPvRmT1_T2_T3_mT4_P12ihipStream_tbEUlT_E0_NS1_11comp_targetILNS1_3genE2ELNS1_11target_archE906ELNS1_3gpuE6ELNS1_3repE0EEENS1_30default_config_static_selectorELNS0_4arch9wavefront6targetE1EEEvSK_,@function
_ZN7rocprim17ROCPRIM_400000_NS6detail17trampoline_kernelINS0_14default_configENS1_22reduce_config_selectorIiEEZNS1_11reduce_implILb1ES3_N6thrust23THRUST_200600_302600_NS6detail15normal_iteratorINS8_10device_ptrIiEEEEPffNS8_4plusIfEEEE10hipError_tPvRmT1_T2_T3_mT4_P12ihipStream_tbEUlT_E0_NS1_11comp_targetILNS1_3genE2ELNS1_11target_archE906ELNS1_3gpuE6ELNS1_3repE0EEENS1_30default_config_static_selectorELNS0_4arch9wavefront6targetE1EEEvSK_: ; @_ZN7rocprim17ROCPRIM_400000_NS6detail17trampoline_kernelINS0_14default_configENS1_22reduce_config_selectorIiEEZNS1_11reduce_implILb1ES3_N6thrust23THRUST_200600_302600_NS6detail15normal_iteratorINS8_10device_ptrIiEEEEPffNS8_4plusIfEEEE10hipError_tPvRmT1_T2_T3_mT4_P12ihipStream_tbEUlT_E0_NS1_11comp_targetILNS1_3genE2ELNS1_11target_archE906ELNS1_3gpuE6ELNS1_3repE0EEENS1_30default_config_static_selectorELNS0_4arch9wavefront6targetE1EEEvSK_
; %bb.0:
	.section	.rodata,"a",@progbits
	.p2align	6, 0x0
	.amdhsa_kernel _ZN7rocprim17ROCPRIM_400000_NS6detail17trampoline_kernelINS0_14default_configENS1_22reduce_config_selectorIiEEZNS1_11reduce_implILb1ES3_N6thrust23THRUST_200600_302600_NS6detail15normal_iteratorINS8_10device_ptrIiEEEEPffNS8_4plusIfEEEE10hipError_tPvRmT1_T2_T3_mT4_P12ihipStream_tbEUlT_E0_NS1_11comp_targetILNS1_3genE2ELNS1_11target_archE906ELNS1_3gpuE6ELNS1_3repE0EEENS1_30default_config_static_selectorELNS0_4arch9wavefront6targetE1EEEvSK_
		.amdhsa_group_segment_fixed_size 0
		.amdhsa_private_segment_fixed_size 0
		.amdhsa_kernarg_size 56
		.amdhsa_user_sgpr_count 2
		.amdhsa_user_sgpr_dispatch_ptr 0
		.amdhsa_user_sgpr_queue_ptr 0
		.amdhsa_user_sgpr_kernarg_segment_ptr 1
		.amdhsa_user_sgpr_dispatch_id 0
		.amdhsa_user_sgpr_kernarg_preload_length 0
		.amdhsa_user_sgpr_kernarg_preload_offset 0
		.amdhsa_user_sgpr_private_segment_size 0
		.amdhsa_uses_dynamic_stack 0
		.amdhsa_enable_private_segment 0
		.amdhsa_system_sgpr_workgroup_id_x 1
		.amdhsa_system_sgpr_workgroup_id_y 0
		.amdhsa_system_sgpr_workgroup_id_z 0
		.amdhsa_system_sgpr_workgroup_info 0
		.amdhsa_system_vgpr_workitem_id 0
		.amdhsa_next_free_vgpr 1
		.amdhsa_next_free_sgpr 0
		.amdhsa_accum_offset 4
		.amdhsa_reserve_vcc 0
		.amdhsa_float_round_mode_32 0
		.amdhsa_float_round_mode_16_64 0
		.amdhsa_float_denorm_mode_32 3
		.amdhsa_float_denorm_mode_16_64 3
		.amdhsa_dx10_clamp 1
		.amdhsa_ieee_mode 1
		.amdhsa_fp16_overflow 0
		.amdhsa_tg_split 0
		.amdhsa_exception_fp_ieee_invalid_op 0
		.amdhsa_exception_fp_denorm_src 0
		.amdhsa_exception_fp_ieee_div_zero 0
		.amdhsa_exception_fp_ieee_overflow 0
		.amdhsa_exception_fp_ieee_underflow 0
		.amdhsa_exception_fp_ieee_inexact 0
		.amdhsa_exception_int_div_zero 0
	.end_amdhsa_kernel
	.section	.text._ZN7rocprim17ROCPRIM_400000_NS6detail17trampoline_kernelINS0_14default_configENS1_22reduce_config_selectorIiEEZNS1_11reduce_implILb1ES3_N6thrust23THRUST_200600_302600_NS6detail15normal_iteratorINS8_10device_ptrIiEEEEPffNS8_4plusIfEEEE10hipError_tPvRmT1_T2_T3_mT4_P12ihipStream_tbEUlT_E0_NS1_11comp_targetILNS1_3genE2ELNS1_11target_archE906ELNS1_3gpuE6ELNS1_3repE0EEENS1_30default_config_static_selectorELNS0_4arch9wavefront6targetE1EEEvSK_,"axG",@progbits,_ZN7rocprim17ROCPRIM_400000_NS6detail17trampoline_kernelINS0_14default_configENS1_22reduce_config_selectorIiEEZNS1_11reduce_implILb1ES3_N6thrust23THRUST_200600_302600_NS6detail15normal_iteratorINS8_10device_ptrIiEEEEPffNS8_4plusIfEEEE10hipError_tPvRmT1_T2_T3_mT4_P12ihipStream_tbEUlT_E0_NS1_11comp_targetILNS1_3genE2ELNS1_11target_archE906ELNS1_3gpuE6ELNS1_3repE0EEENS1_30default_config_static_selectorELNS0_4arch9wavefront6targetE1EEEvSK_,comdat
.Lfunc_end499:
	.size	_ZN7rocprim17ROCPRIM_400000_NS6detail17trampoline_kernelINS0_14default_configENS1_22reduce_config_selectorIiEEZNS1_11reduce_implILb1ES3_N6thrust23THRUST_200600_302600_NS6detail15normal_iteratorINS8_10device_ptrIiEEEEPffNS8_4plusIfEEEE10hipError_tPvRmT1_T2_T3_mT4_P12ihipStream_tbEUlT_E0_NS1_11comp_targetILNS1_3genE2ELNS1_11target_archE906ELNS1_3gpuE6ELNS1_3repE0EEENS1_30default_config_static_selectorELNS0_4arch9wavefront6targetE1EEEvSK_, .Lfunc_end499-_ZN7rocprim17ROCPRIM_400000_NS6detail17trampoline_kernelINS0_14default_configENS1_22reduce_config_selectorIiEEZNS1_11reduce_implILb1ES3_N6thrust23THRUST_200600_302600_NS6detail15normal_iteratorINS8_10device_ptrIiEEEEPffNS8_4plusIfEEEE10hipError_tPvRmT1_T2_T3_mT4_P12ihipStream_tbEUlT_E0_NS1_11comp_targetILNS1_3genE2ELNS1_11target_archE906ELNS1_3gpuE6ELNS1_3repE0EEENS1_30default_config_static_selectorELNS0_4arch9wavefront6targetE1EEEvSK_
                                        ; -- End function
	.set _ZN7rocprim17ROCPRIM_400000_NS6detail17trampoline_kernelINS0_14default_configENS1_22reduce_config_selectorIiEEZNS1_11reduce_implILb1ES3_N6thrust23THRUST_200600_302600_NS6detail15normal_iteratorINS8_10device_ptrIiEEEEPffNS8_4plusIfEEEE10hipError_tPvRmT1_T2_T3_mT4_P12ihipStream_tbEUlT_E0_NS1_11comp_targetILNS1_3genE2ELNS1_11target_archE906ELNS1_3gpuE6ELNS1_3repE0EEENS1_30default_config_static_selectorELNS0_4arch9wavefront6targetE1EEEvSK_.num_vgpr, 0
	.set _ZN7rocprim17ROCPRIM_400000_NS6detail17trampoline_kernelINS0_14default_configENS1_22reduce_config_selectorIiEEZNS1_11reduce_implILb1ES3_N6thrust23THRUST_200600_302600_NS6detail15normal_iteratorINS8_10device_ptrIiEEEEPffNS8_4plusIfEEEE10hipError_tPvRmT1_T2_T3_mT4_P12ihipStream_tbEUlT_E0_NS1_11comp_targetILNS1_3genE2ELNS1_11target_archE906ELNS1_3gpuE6ELNS1_3repE0EEENS1_30default_config_static_selectorELNS0_4arch9wavefront6targetE1EEEvSK_.num_agpr, 0
	.set _ZN7rocprim17ROCPRIM_400000_NS6detail17trampoline_kernelINS0_14default_configENS1_22reduce_config_selectorIiEEZNS1_11reduce_implILb1ES3_N6thrust23THRUST_200600_302600_NS6detail15normal_iteratorINS8_10device_ptrIiEEEEPffNS8_4plusIfEEEE10hipError_tPvRmT1_T2_T3_mT4_P12ihipStream_tbEUlT_E0_NS1_11comp_targetILNS1_3genE2ELNS1_11target_archE906ELNS1_3gpuE6ELNS1_3repE0EEENS1_30default_config_static_selectorELNS0_4arch9wavefront6targetE1EEEvSK_.numbered_sgpr, 0
	.set _ZN7rocprim17ROCPRIM_400000_NS6detail17trampoline_kernelINS0_14default_configENS1_22reduce_config_selectorIiEEZNS1_11reduce_implILb1ES3_N6thrust23THRUST_200600_302600_NS6detail15normal_iteratorINS8_10device_ptrIiEEEEPffNS8_4plusIfEEEE10hipError_tPvRmT1_T2_T3_mT4_P12ihipStream_tbEUlT_E0_NS1_11comp_targetILNS1_3genE2ELNS1_11target_archE906ELNS1_3gpuE6ELNS1_3repE0EEENS1_30default_config_static_selectorELNS0_4arch9wavefront6targetE1EEEvSK_.num_named_barrier, 0
	.set _ZN7rocprim17ROCPRIM_400000_NS6detail17trampoline_kernelINS0_14default_configENS1_22reduce_config_selectorIiEEZNS1_11reduce_implILb1ES3_N6thrust23THRUST_200600_302600_NS6detail15normal_iteratorINS8_10device_ptrIiEEEEPffNS8_4plusIfEEEE10hipError_tPvRmT1_T2_T3_mT4_P12ihipStream_tbEUlT_E0_NS1_11comp_targetILNS1_3genE2ELNS1_11target_archE906ELNS1_3gpuE6ELNS1_3repE0EEENS1_30default_config_static_selectorELNS0_4arch9wavefront6targetE1EEEvSK_.private_seg_size, 0
	.set _ZN7rocprim17ROCPRIM_400000_NS6detail17trampoline_kernelINS0_14default_configENS1_22reduce_config_selectorIiEEZNS1_11reduce_implILb1ES3_N6thrust23THRUST_200600_302600_NS6detail15normal_iteratorINS8_10device_ptrIiEEEEPffNS8_4plusIfEEEE10hipError_tPvRmT1_T2_T3_mT4_P12ihipStream_tbEUlT_E0_NS1_11comp_targetILNS1_3genE2ELNS1_11target_archE906ELNS1_3gpuE6ELNS1_3repE0EEENS1_30default_config_static_selectorELNS0_4arch9wavefront6targetE1EEEvSK_.uses_vcc, 0
	.set _ZN7rocprim17ROCPRIM_400000_NS6detail17trampoline_kernelINS0_14default_configENS1_22reduce_config_selectorIiEEZNS1_11reduce_implILb1ES3_N6thrust23THRUST_200600_302600_NS6detail15normal_iteratorINS8_10device_ptrIiEEEEPffNS8_4plusIfEEEE10hipError_tPvRmT1_T2_T3_mT4_P12ihipStream_tbEUlT_E0_NS1_11comp_targetILNS1_3genE2ELNS1_11target_archE906ELNS1_3gpuE6ELNS1_3repE0EEENS1_30default_config_static_selectorELNS0_4arch9wavefront6targetE1EEEvSK_.uses_flat_scratch, 0
	.set _ZN7rocprim17ROCPRIM_400000_NS6detail17trampoline_kernelINS0_14default_configENS1_22reduce_config_selectorIiEEZNS1_11reduce_implILb1ES3_N6thrust23THRUST_200600_302600_NS6detail15normal_iteratorINS8_10device_ptrIiEEEEPffNS8_4plusIfEEEE10hipError_tPvRmT1_T2_T3_mT4_P12ihipStream_tbEUlT_E0_NS1_11comp_targetILNS1_3genE2ELNS1_11target_archE906ELNS1_3gpuE6ELNS1_3repE0EEENS1_30default_config_static_selectorELNS0_4arch9wavefront6targetE1EEEvSK_.has_dyn_sized_stack, 0
	.set _ZN7rocprim17ROCPRIM_400000_NS6detail17trampoline_kernelINS0_14default_configENS1_22reduce_config_selectorIiEEZNS1_11reduce_implILb1ES3_N6thrust23THRUST_200600_302600_NS6detail15normal_iteratorINS8_10device_ptrIiEEEEPffNS8_4plusIfEEEE10hipError_tPvRmT1_T2_T3_mT4_P12ihipStream_tbEUlT_E0_NS1_11comp_targetILNS1_3genE2ELNS1_11target_archE906ELNS1_3gpuE6ELNS1_3repE0EEENS1_30default_config_static_selectorELNS0_4arch9wavefront6targetE1EEEvSK_.has_recursion, 0
	.set _ZN7rocprim17ROCPRIM_400000_NS6detail17trampoline_kernelINS0_14default_configENS1_22reduce_config_selectorIiEEZNS1_11reduce_implILb1ES3_N6thrust23THRUST_200600_302600_NS6detail15normal_iteratorINS8_10device_ptrIiEEEEPffNS8_4plusIfEEEE10hipError_tPvRmT1_T2_T3_mT4_P12ihipStream_tbEUlT_E0_NS1_11comp_targetILNS1_3genE2ELNS1_11target_archE906ELNS1_3gpuE6ELNS1_3repE0EEENS1_30default_config_static_selectorELNS0_4arch9wavefront6targetE1EEEvSK_.has_indirect_call, 0
	.section	.AMDGPU.csdata,"",@progbits
; Kernel info:
; codeLenInByte = 0
; TotalNumSgprs: 6
; NumVgprs: 0
; NumAgprs: 0
; TotalNumVgprs: 0
; ScratchSize: 0
; MemoryBound: 0
; FloatMode: 240
; IeeeMode: 1
; LDSByteSize: 0 bytes/workgroup (compile time only)
; SGPRBlocks: 0
; VGPRBlocks: 0
; NumSGPRsForWavesPerEU: 6
; NumVGPRsForWavesPerEU: 1
; AccumOffset: 4
; Occupancy: 8
; WaveLimiterHint : 0
; COMPUTE_PGM_RSRC2:SCRATCH_EN: 0
; COMPUTE_PGM_RSRC2:USER_SGPR: 2
; COMPUTE_PGM_RSRC2:TRAP_HANDLER: 0
; COMPUTE_PGM_RSRC2:TGID_X_EN: 1
; COMPUTE_PGM_RSRC2:TGID_Y_EN: 0
; COMPUTE_PGM_RSRC2:TGID_Z_EN: 0
; COMPUTE_PGM_RSRC2:TIDIG_COMP_CNT: 0
; COMPUTE_PGM_RSRC3_GFX90A:ACCUM_OFFSET: 0
; COMPUTE_PGM_RSRC3_GFX90A:TG_SPLIT: 0
	.section	.text._ZN7rocprim17ROCPRIM_400000_NS6detail17trampoline_kernelINS0_14default_configENS1_22reduce_config_selectorIiEEZNS1_11reduce_implILb1ES3_N6thrust23THRUST_200600_302600_NS6detail15normal_iteratorINS8_10device_ptrIiEEEEPffNS8_4plusIfEEEE10hipError_tPvRmT1_T2_T3_mT4_P12ihipStream_tbEUlT_E0_NS1_11comp_targetILNS1_3genE10ELNS1_11target_archE1201ELNS1_3gpuE5ELNS1_3repE0EEENS1_30default_config_static_selectorELNS0_4arch9wavefront6targetE1EEEvSK_,"axG",@progbits,_ZN7rocprim17ROCPRIM_400000_NS6detail17trampoline_kernelINS0_14default_configENS1_22reduce_config_selectorIiEEZNS1_11reduce_implILb1ES3_N6thrust23THRUST_200600_302600_NS6detail15normal_iteratorINS8_10device_ptrIiEEEEPffNS8_4plusIfEEEE10hipError_tPvRmT1_T2_T3_mT4_P12ihipStream_tbEUlT_E0_NS1_11comp_targetILNS1_3genE10ELNS1_11target_archE1201ELNS1_3gpuE5ELNS1_3repE0EEENS1_30default_config_static_selectorELNS0_4arch9wavefront6targetE1EEEvSK_,comdat
	.protected	_ZN7rocprim17ROCPRIM_400000_NS6detail17trampoline_kernelINS0_14default_configENS1_22reduce_config_selectorIiEEZNS1_11reduce_implILb1ES3_N6thrust23THRUST_200600_302600_NS6detail15normal_iteratorINS8_10device_ptrIiEEEEPffNS8_4plusIfEEEE10hipError_tPvRmT1_T2_T3_mT4_P12ihipStream_tbEUlT_E0_NS1_11comp_targetILNS1_3genE10ELNS1_11target_archE1201ELNS1_3gpuE5ELNS1_3repE0EEENS1_30default_config_static_selectorELNS0_4arch9wavefront6targetE1EEEvSK_ ; -- Begin function _ZN7rocprim17ROCPRIM_400000_NS6detail17trampoline_kernelINS0_14default_configENS1_22reduce_config_selectorIiEEZNS1_11reduce_implILb1ES3_N6thrust23THRUST_200600_302600_NS6detail15normal_iteratorINS8_10device_ptrIiEEEEPffNS8_4plusIfEEEE10hipError_tPvRmT1_T2_T3_mT4_P12ihipStream_tbEUlT_E0_NS1_11comp_targetILNS1_3genE10ELNS1_11target_archE1201ELNS1_3gpuE5ELNS1_3repE0EEENS1_30default_config_static_selectorELNS0_4arch9wavefront6targetE1EEEvSK_
	.globl	_ZN7rocprim17ROCPRIM_400000_NS6detail17trampoline_kernelINS0_14default_configENS1_22reduce_config_selectorIiEEZNS1_11reduce_implILb1ES3_N6thrust23THRUST_200600_302600_NS6detail15normal_iteratorINS8_10device_ptrIiEEEEPffNS8_4plusIfEEEE10hipError_tPvRmT1_T2_T3_mT4_P12ihipStream_tbEUlT_E0_NS1_11comp_targetILNS1_3genE10ELNS1_11target_archE1201ELNS1_3gpuE5ELNS1_3repE0EEENS1_30default_config_static_selectorELNS0_4arch9wavefront6targetE1EEEvSK_
	.p2align	8
	.type	_ZN7rocprim17ROCPRIM_400000_NS6detail17trampoline_kernelINS0_14default_configENS1_22reduce_config_selectorIiEEZNS1_11reduce_implILb1ES3_N6thrust23THRUST_200600_302600_NS6detail15normal_iteratorINS8_10device_ptrIiEEEEPffNS8_4plusIfEEEE10hipError_tPvRmT1_T2_T3_mT4_P12ihipStream_tbEUlT_E0_NS1_11comp_targetILNS1_3genE10ELNS1_11target_archE1201ELNS1_3gpuE5ELNS1_3repE0EEENS1_30default_config_static_selectorELNS0_4arch9wavefront6targetE1EEEvSK_,@function
_ZN7rocprim17ROCPRIM_400000_NS6detail17trampoline_kernelINS0_14default_configENS1_22reduce_config_selectorIiEEZNS1_11reduce_implILb1ES3_N6thrust23THRUST_200600_302600_NS6detail15normal_iteratorINS8_10device_ptrIiEEEEPffNS8_4plusIfEEEE10hipError_tPvRmT1_T2_T3_mT4_P12ihipStream_tbEUlT_E0_NS1_11comp_targetILNS1_3genE10ELNS1_11target_archE1201ELNS1_3gpuE5ELNS1_3repE0EEENS1_30default_config_static_selectorELNS0_4arch9wavefront6targetE1EEEvSK_: ; @_ZN7rocprim17ROCPRIM_400000_NS6detail17trampoline_kernelINS0_14default_configENS1_22reduce_config_selectorIiEEZNS1_11reduce_implILb1ES3_N6thrust23THRUST_200600_302600_NS6detail15normal_iteratorINS8_10device_ptrIiEEEEPffNS8_4plusIfEEEE10hipError_tPvRmT1_T2_T3_mT4_P12ihipStream_tbEUlT_E0_NS1_11comp_targetILNS1_3genE10ELNS1_11target_archE1201ELNS1_3gpuE5ELNS1_3repE0EEENS1_30default_config_static_selectorELNS0_4arch9wavefront6targetE1EEEvSK_
; %bb.0:
	.section	.rodata,"a",@progbits
	.p2align	6, 0x0
	.amdhsa_kernel _ZN7rocprim17ROCPRIM_400000_NS6detail17trampoline_kernelINS0_14default_configENS1_22reduce_config_selectorIiEEZNS1_11reduce_implILb1ES3_N6thrust23THRUST_200600_302600_NS6detail15normal_iteratorINS8_10device_ptrIiEEEEPffNS8_4plusIfEEEE10hipError_tPvRmT1_T2_T3_mT4_P12ihipStream_tbEUlT_E0_NS1_11comp_targetILNS1_3genE10ELNS1_11target_archE1201ELNS1_3gpuE5ELNS1_3repE0EEENS1_30default_config_static_selectorELNS0_4arch9wavefront6targetE1EEEvSK_
		.amdhsa_group_segment_fixed_size 0
		.amdhsa_private_segment_fixed_size 0
		.amdhsa_kernarg_size 56
		.amdhsa_user_sgpr_count 2
		.amdhsa_user_sgpr_dispatch_ptr 0
		.amdhsa_user_sgpr_queue_ptr 0
		.amdhsa_user_sgpr_kernarg_segment_ptr 1
		.amdhsa_user_sgpr_dispatch_id 0
		.amdhsa_user_sgpr_kernarg_preload_length 0
		.amdhsa_user_sgpr_kernarg_preload_offset 0
		.amdhsa_user_sgpr_private_segment_size 0
		.amdhsa_uses_dynamic_stack 0
		.amdhsa_enable_private_segment 0
		.amdhsa_system_sgpr_workgroup_id_x 1
		.amdhsa_system_sgpr_workgroup_id_y 0
		.amdhsa_system_sgpr_workgroup_id_z 0
		.amdhsa_system_sgpr_workgroup_info 0
		.amdhsa_system_vgpr_workitem_id 0
		.amdhsa_next_free_vgpr 1
		.amdhsa_next_free_sgpr 0
		.amdhsa_accum_offset 4
		.amdhsa_reserve_vcc 0
		.amdhsa_float_round_mode_32 0
		.amdhsa_float_round_mode_16_64 0
		.amdhsa_float_denorm_mode_32 3
		.amdhsa_float_denorm_mode_16_64 3
		.amdhsa_dx10_clamp 1
		.amdhsa_ieee_mode 1
		.amdhsa_fp16_overflow 0
		.amdhsa_tg_split 0
		.amdhsa_exception_fp_ieee_invalid_op 0
		.amdhsa_exception_fp_denorm_src 0
		.amdhsa_exception_fp_ieee_div_zero 0
		.amdhsa_exception_fp_ieee_overflow 0
		.amdhsa_exception_fp_ieee_underflow 0
		.amdhsa_exception_fp_ieee_inexact 0
		.amdhsa_exception_int_div_zero 0
	.end_amdhsa_kernel
	.section	.text._ZN7rocprim17ROCPRIM_400000_NS6detail17trampoline_kernelINS0_14default_configENS1_22reduce_config_selectorIiEEZNS1_11reduce_implILb1ES3_N6thrust23THRUST_200600_302600_NS6detail15normal_iteratorINS8_10device_ptrIiEEEEPffNS8_4plusIfEEEE10hipError_tPvRmT1_T2_T3_mT4_P12ihipStream_tbEUlT_E0_NS1_11comp_targetILNS1_3genE10ELNS1_11target_archE1201ELNS1_3gpuE5ELNS1_3repE0EEENS1_30default_config_static_selectorELNS0_4arch9wavefront6targetE1EEEvSK_,"axG",@progbits,_ZN7rocprim17ROCPRIM_400000_NS6detail17trampoline_kernelINS0_14default_configENS1_22reduce_config_selectorIiEEZNS1_11reduce_implILb1ES3_N6thrust23THRUST_200600_302600_NS6detail15normal_iteratorINS8_10device_ptrIiEEEEPffNS8_4plusIfEEEE10hipError_tPvRmT1_T2_T3_mT4_P12ihipStream_tbEUlT_E0_NS1_11comp_targetILNS1_3genE10ELNS1_11target_archE1201ELNS1_3gpuE5ELNS1_3repE0EEENS1_30default_config_static_selectorELNS0_4arch9wavefront6targetE1EEEvSK_,comdat
.Lfunc_end500:
	.size	_ZN7rocprim17ROCPRIM_400000_NS6detail17trampoline_kernelINS0_14default_configENS1_22reduce_config_selectorIiEEZNS1_11reduce_implILb1ES3_N6thrust23THRUST_200600_302600_NS6detail15normal_iteratorINS8_10device_ptrIiEEEEPffNS8_4plusIfEEEE10hipError_tPvRmT1_T2_T3_mT4_P12ihipStream_tbEUlT_E0_NS1_11comp_targetILNS1_3genE10ELNS1_11target_archE1201ELNS1_3gpuE5ELNS1_3repE0EEENS1_30default_config_static_selectorELNS0_4arch9wavefront6targetE1EEEvSK_, .Lfunc_end500-_ZN7rocprim17ROCPRIM_400000_NS6detail17trampoline_kernelINS0_14default_configENS1_22reduce_config_selectorIiEEZNS1_11reduce_implILb1ES3_N6thrust23THRUST_200600_302600_NS6detail15normal_iteratorINS8_10device_ptrIiEEEEPffNS8_4plusIfEEEE10hipError_tPvRmT1_T2_T3_mT4_P12ihipStream_tbEUlT_E0_NS1_11comp_targetILNS1_3genE10ELNS1_11target_archE1201ELNS1_3gpuE5ELNS1_3repE0EEENS1_30default_config_static_selectorELNS0_4arch9wavefront6targetE1EEEvSK_
                                        ; -- End function
	.set _ZN7rocprim17ROCPRIM_400000_NS6detail17trampoline_kernelINS0_14default_configENS1_22reduce_config_selectorIiEEZNS1_11reduce_implILb1ES3_N6thrust23THRUST_200600_302600_NS6detail15normal_iteratorINS8_10device_ptrIiEEEEPffNS8_4plusIfEEEE10hipError_tPvRmT1_T2_T3_mT4_P12ihipStream_tbEUlT_E0_NS1_11comp_targetILNS1_3genE10ELNS1_11target_archE1201ELNS1_3gpuE5ELNS1_3repE0EEENS1_30default_config_static_selectorELNS0_4arch9wavefront6targetE1EEEvSK_.num_vgpr, 0
	.set _ZN7rocprim17ROCPRIM_400000_NS6detail17trampoline_kernelINS0_14default_configENS1_22reduce_config_selectorIiEEZNS1_11reduce_implILb1ES3_N6thrust23THRUST_200600_302600_NS6detail15normal_iteratorINS8_10device_ptrIiEEEEPffNS8_4plusIfEEEE10hipError_tPvRmT1_T2_T3_mT4_P12ihipStream_tbEUlT_E0_NS1_11comp_targetILNS1_3genE10ELNS1_11target_archE1201ELNS1_3gpuE5ELNS1_3repE0EEENS1_30default_config_static_selectorELNS0_4arch9wavefront6targetE1EEEvSK_.num_agpr, 0
	.set _ZN7rocprim17ROCPRIM_400000_NS6detail17trampoline_kernelINS0_14default_configENS1_22reduce_config_selectorIiEEZNS1_11reduce_implILb1ES3_N6thrust23THRUST_200600_302600_NS6detail15normal_iteratorINS8_10device_ptrIiEEEEPffNS8_4plusIfEEEE10hipError_tPvRmT1_T2_T3_mT4_P12ihipStream_tbEUlT_E0_NS1_11comp_targetILNS1_3genE10ELNS1_11target_archE1201ELNS1_3gpuE5ELNS1_3repE0EEENS1_30default_config_static_selectorELNS0_4arch9wavefront6targetE1EEEvSK_.numbered_sgpr, 0
	.set _ZN7rocprim17ROCPRIM_400000_NS6detail17trampoline_kernelINS0_14default_configENS1_22reduce_config_selectorIiEEZNS1_11reduce_implILb1ES3_N6thrust23THRUST_200600_302600_NS6detail15normal_iteratorINS8_10device_ptrIiEEEEPffNS8_4plusIfEEEE10hipError_tPvRmT1_T2_T3_mT4_P12ihipStream_tbEUlT_E0_NS1_11comp_targetILNS1_3genE10ELNS1_11target_archE1201ELNS1_3gpuE5ELNS1_3repE0EEENS1_30default_config_static_selectorELNS0_4arch9wavefront6targetE1EEEvSK_.num_named_barrier, 0
	.set _ZN7rocprim17ROCPRIM_400000_NS6detail17trampoline_kernelINS0_14default_configENS1_22reduce_config_selectorIiEEZNS1_11reduce_implILb1ES3_N6thrust23THRUST_200600_302600_NS6detail15normal_iteratorINS8_10device_ptrIiEEEEPffNS8_4plusIfEEEE10hipError_tPvRmT1_T2_T3_mT4_P12ihipStream_tbEUlT_E0_NS1_11comp_targetILNS1_3genE10ELNS1_11target_archE1201ELNS1_3gpuE5ELNS1_3repE0EEENS1_30default_config_static_selectorELNS0_4arch9wavefront6targetE1EEEvSK_.private_seg_size, 0
	.set _ZN7rocprim17ROCPRIM_400000_NS6detail17trampoline_kernelINS0_14default_configENS1_22reduce_config_selectorIiEEZNS1_11reduce_implILb1ES3_N6thrust23THRUST_200600_302600_NS6detail15normal_iteratorINS8_10device_ptrIiEEEEPffNS8_4plusIfEEEE10hipError_tPvRmT1_T2_T3_mT4_P12ihipStream_tbEUlT_E0_NS1_11comp_targetILNS1_3genE10ELNS1_11target_archE1201ELNS1_3gpuE5ELNS1_3repE0EEENS1_30default_config_static_selectorELNS0_4arch9wavefront6targetE1EEEvSK_.uses_vcc, 0
	.set _ZN7rocprim17ROCPRIM_400000_NS6detail17trampoline_kernelINS0_14default_configENS1_22reduce_config_selectorIiEEZNS1_11reduce_implILb1ES3_N6thrust23THRUST_200600_302600_NS6detail15normal_iteratorINS8_10device_ptrIiEEEEPffNS8_4plusIfEEEE10hipError_tPvRmT1_T2_T3_mT4_P12ihipStream_tbEUlT_E0_NS1_11comp_targetILNS1_3genE10ELNS1_11target_archE1201ELNS1_3gpuE5ELNS1_3repE0EEENS1_30default_config_static_selectorELNS0_4arch9wavefront6targetE1EEEvSK_.uses_flat_scratch, 0
	.set _ZN7rocprim17ROCPRIM_400000_NS6detail17trampoline_kernelINS0_14default_configENS1_22reduce_config_selectorIiEEZNS1_11reduce_implILb1ES3_N6thrust23THRUST_200600_302600_NS6detail15normal_iteratorINS8_10device_ptrIiEEEEPffNS8_4plusIfEEEE10hipError_tPvRmT1_T2_T3_mT4_P12ihipStream_tbEUlT_E0_NS1_11comp_targetILNS1_3genE10ELNS1_11target_archE1201ELNS1_3gpuE5ELNS1_3repE0EEENS1_30default_config_static_selectorELNS0_4arch9wavefront6targetE1EEEvSK_.has_dyn_sized_stack, 0
	.set _ZN7rocprim17ROCPRIM_400000_NS6detail17trampoline_kernelINS0_14default_configENS1_22reduce_config_selectorIiEEZNS1_11reduce_implILb1ES3_N6thrust23THRUST_200600_302600_NS6detail15normal_iteratorINS8_10device_ptrIiEEEEPffNS8_4plusIfEEEE10hipError_tPvRmT1_T2_T3_mT4_P12ihipStream_tbEUlT_E0_NS1_11comp_targetILNS1_3genE10ELNS1_11target_archE1201ELNS1_3gpuE5ELNS1_3repE0EEENS1_30default_config_static_selectorELNS0_4arch9wavefront6targetE1EEEvSK_.has_recursion, 0
	.set _ZN7rocprim17ROCPRIM_400000_NS6detail17trampoline_kernelINS0_14default_configENS1_22reduce_config_selectorIiEEZNS1_11reduce_implILb1ES3_N6thrust23THRUST_200600_302600_NS6detail15normal_iteratorINS8_10device_ptrIiEEEEPffNS8_4plusIfEEEE10hipError_tPvRmT1_T2_T3_mT4_P12ihipStream_tbEUlT_E0_NS1_11comp_targetILNS1_3genE10ELNS1_11target_archE1201ELNS1_3gpuE5ELNS1_3repE0EEENS1_30default_config_static_selectorELNS0_4arch9wavefront6targetE1EEEvSK_.has_indirect_call, 0
	.section	.AMDGPU.csdata,"",@progbits
; Kernel info:
; codeLenInByte = 0
; TotalNumSgprs: 6
; NumVgprs: 0
; NumAgprs: 0
; TotalNumVgprs: 0
; ScratchSize: 0
; MemoryBound: 0
; FloatMode: 240
; IeeeMode: 1
; LDSByteSize: 0 bytes/workgroup (compile time only)
; SGPRBlocks: 0
; VGPRBlocks: 0
; NumSGPRsForWavesPerEU: 6
; NumVGPRsForWavesPerEU: 1
; AccumOffset: 4
; Occupancy: 8
; WaveLimiterHint : 0
; COMPUTE_PGM_RSRC2:SCRATCH_EN: 0
; COMPUTE_PGM_RSRC2:USER_SGPR: 2
; COMPUTE_PGM_RSRC2:TRAP_HANDLER: 0
; COMPUTE_PGM_RSRC2:TGID_X_EN: 1
; COMPUTE_PGM_RSRC2:TGID_Y_EN: 0
; COMPUTE_PGM_RSRC2:TGID_Z_EN: 0
; COMPUTE_PGM_RSRC2:TIDIG_COMP_CNT: 0
; COMPUTE_PGM_RSRC3_GFX90A:ACCUM_OFFSET: 0
; COMPUTE_PGM_RSRC3_GFX90A:TG_SPLIT: 0
	.section	.text._ZN7rocprim17ROCPRIM_400000_NS6detail17trampoline_kernelINS0_14default_configENS1_22reduce_config_selectorIiEEZNS1_11reduce_implILb1ES3_N6thrust23THRUST_200600_302600_NS6detail15normal_iteratorINS8_10device_ptrIiEEEEPffNS8_4plusIfEEEE10hipError_tPvRmT1_T2_T3_mT4_P12ihipStream_tbEUlT_E0_NS1_11comp_targetILNS1_3genE10ELNS1_11target_archE1200ELNS1_3gpuE4ELNS1_3repE0EEENS1_30default_config_static_selectorELNS0_4arch9wavefront6targetE1EEEvSK_,"axG",@progbits,_ZN7rocprim17ROCPRIM_400000_NS6detail17trampoline_kernelINS0_14default_configENS1_22reduce_config_selectorIiEEZNS1_11reduce_implILb1ES3_N6thrust23THRUST_200600_302600_NS6detail15normal_iteratorINS8_10device_ptrIiEEEEPffNS8_4plusIfEEEE10hipError_tPvRmT1_T2_T3_mT4_P12ihipStream_tbEUlT_E0_NS1_11comp_targetILNS1_3genE10ELNS1_11target_archE1200ELNS1_3gpuE4ELNS1_3repE0EEENS1_30default_config_static_selectorELNS0_4arch9wavefront6targetE1EEEvSK_,comdat
	.protected	_ZN7rocprim17ROCPRIM_400000_NS6detail17trampoline_kernelINS0_14default_configENS1_22reduce_config_selectorIiEEZNS1_11reduce_implILb1ES3_N6thrust23THRUST_200600_302600_NS6detail15normal_iteratorINS8_10device_ptrIiEEEEPffNS8_4plusIfEEEE10hipError_tPvRmT1_T2_T3_mT4_P12ihipStream_tbEUlT_E0_NS1_11comp_targetILNS1_3genE10ELNS1_11target_archE1200ELNS1_3gpuE4ELNS1_3repE0EEENS1_30default_config_static_selectorELNS0_4arch9wavefront6targetE1EEEvSK_ ; -- Begin function _ZN7rocprim17ROCPRIM_400000_NS6detail17trampoline_kernelINS0_14default_configENS1_22reduce_config_selectorIiEEZNS1_11reduce_implILb1ES3_N6thrust23THRUST_200600_302600_NS6detail15normal_iteratorINS8_10device_ptrIiEEEEPffNS8_4plusIfEEEE10hipError_tPvRmT1_T2_T3_mT4_P12ihipStream_tbEUlT_E0_NS1_11comp_targetILNS1_3genE10ELNS1_11target_archE1200ELNS1_3gpuE4ELNS1_3repE0EEENS1_30default_config_static_selectorELNS0_4arch9wavefront6targetE1EEEvSK_
	.globl	_ZN7rocprim17ROCPRIM_400000_NS6detail17trampoline_kernelINS0_14default_configENS1_22reduce_config_selectorIiEEZNS1_11reduce_implILb1ES3_N6thrust23THRUST_200600_302600_NS6detail15normal_iteratorINS8_10device_ptrIiEEEEPffNS8_4plusIfEEEE10hipError_tPvRmT1_T2_T3_mT4_P12ihipStream_tbEUlT_E0_NS1_11comp_targetILNS1_3genE10ELNS1_11target_archE1200ELNS1_3gpuE4ELNS1_3repE0EEENS1_30default_config_static_selectorELNS0_4arch9wavefront6targetE1EEEvSK_
	.p2align	8
	.type	_ZN7rocprim17ROCPRIM_400000_NS6detail17trampoline_kernelINS0_14default_configENS1_22reduce_config_selectorIiEEZNS1_11reduce_implILb1ES3_N6thrust23THRUST_200600_302600_NS6detail15normal_iteratorINS8_10device_ptrIiEEEEPffNS8_4plusIfEEEE10hipError_tPvRmT1_T2_T3_mT4_P12ihipStream_tbEUlT_E0_NS1_11comp_targetILNS1_3genE10ELNS1_11target_archE1200ELNS1_3gpuE4ELNS1_3repE0EEENS1_30default_config_static_selectorELNS0_4arch9wavefront6targetE1EEEvSK_,@function
_ZN7rocprim17ROCPRIM_400000_NS6detail17trampoline_kernelINS0_14default_configENS1_22reduce_config_selectorIiEEZNS1_11reduce_implILb1ES3_N6thrust23THRUST_200600_302600_NS6detail15normal_iteratorINS8_10device_ptrIiEEEEPffNS8_4plusIfEEEE10hipError_tPvRmT1_T2_T3_mT4_P12ihipStream_tbEUlT_E0_NS1_11comp_targetILNS1_3genE10ELNS1_11target_archE1200ELNS1_3gpuE4ELNS1_3repE0EEENS1_30default_config_static_selectorELNS0_4arch9wavefront6targetE1EEEvSK_: ; @_ZN7rocprim17ROCPRIM_400000_NS6detail17trampoline_kernelINS0_14default_configENS1_22reduce_config_selectorIiEEZNS1_11reduce_implILb1ES3_N6thrust23THRUST_200600_302600_NS6detail15normal_iteratorINS8_10device_ptrIiEEEEPffNS8_4plusIfEEEE10hipError_tPvRmT1_T2_T3_mT4_P12ihipStream_tbEUlT_E0_NS1_11comp_targetILNS1_3genE10ELNS1_11target_archE1200ELNS1_3gpuE4ELNS1_3repE0EEENS1_30default_config_static_selectorELNS0_4arch9wavefront6targetE1EEEvSK_
; %bb.0:
	.section	.rodata,"a",@progbits
	.p2align	6, 0x0
	.amdhsa_kernel _ZN7rocprim17ROCPRIM_400000_NS6detail17trampoline_kernelINS0_14default_configENS1_22reduce_config_selectorIiEEZNS1_11reduce_implILb1ES3_N6thrust23THRUST_200600_302600_NS6detail15normal_iteratorINS8_10device_ptrIiEEEEPffNS8_4plusIfEEEE10hipError_tPvRmT1_T2_T3_mT4_P12ihipStream_tbEUlT_E0_NS1_11comp_targetILNS1_3genE10ELNS1_11target_archE1200ELNS1_3gpuE4ELNS1_3repE0EEENS1_30default_config_static_selectorELNS0_4arch9wavefront6targetE1EEEvSK_
		.amdhsa_group_segment_fixed_size 0
		.amdhsa_private_segment_fixed_size 0
		.amdhsa_kernarg_size 56
		.amdhsa_user_sgpr_count 2
		.amdhsa_user_sgpr_dispatch_ptr 0
		.amdhsa_user_sgpr_queue_ptr 0
		.amdhsa_user_sgpr_kernarg_segment_ptr 1
		.amdhsa_user_sgpr_dispatch_id 0
		.amdhsa_user_sgpr_kernarg_preload_length 0
		.amdhsa_user_sgpr_kernarg_preload_offset 0
		.amdhsa_user_sgpr_private_segment_size 0
		.amdhsa_uses_dynamic_stack 0
		.amdhsa_enable_private_segment 0
		.amdhsa_system_sgpr_workgroup_id_x 1
		.amdhsa_system_sgpr_workgroup_id_y 0
		.amdhsa_system_sgpr_workgroup_id_z 0
		.amdhsa_system_sgpr_workgroup_info 0
		.amdhsa_system_vgpr_workitem_id 0
		.amdhsa_next_free_vgpr 1
		.amdhsa_next_free_sgpr 0
		.amdhsa_accum_offset 4
		.amdhsa_reserve_vcc 0
		.amdhsa_float_round_mode_32 0
		.amdhsa_float_round_mode_16_64 0
		.amdhsa_float_denorm_mode_32 3
		.amdhsa_float_denorm_mode_16_64 3
		.amdhsa_dx10_clamp 1
		.amdhsa_ieee_mode 1
		.amdhsa_fp16_overflow 0
		.amdhsa_tg_split 0
		.amdhsa_exception_fp_ieee_invalid_op 0
		.amdhsa_exception_fp_denorm_src 0
		.amdhsa_exception_fp_ieee_div_zero 0
		.amdhsa_exception_fp_ieee_overflow 0
		.amdhsa_exception_fp_ieee_underflow 0
		.amdhsa_exception_fp_ieee_inexact 0
		.amdhsa_exception_int_div_zero 0
	.end_amdhsa_kernel
	.section	.text._ZN7rocprim17ROCPRIM_400000_NS6detail17trampoline_kernelINS0_14default_configENS1_22reduce_config_selectorIiEEZNS1_11reduce_implILb1ES3_N6thrust23THRUST_200600_302600_NS6detail15normal_iteratorINS8_10device_ptrIiEEEEPffNS8_4plusIfEEEE10hipError_tPvRmT1_T2_T3_mT4_P12ihipStream_tbEUlT_E0_NS1_11comp_targetILNS1_3genE10ELNS1_11target_archE1200ELNS1_3gpuE4ELNS1_3repE0EEENS1_30default_config_static_selectorELNS0_4arch9wavefront6targetE1EEEvSK_,"axG",@progbits,_ZN7rocprim17ROCPRIM_400000_NS6detail17trampoline_kernelINS0_14default_configENS1_22reduce_config_selectorIiEEZNS1_11reduce_implILb1ES3_N6thrust23THRUST_200600_302600_NS6detail15normal_iteratorINS8_10device_ptrIiEEEEPffNS8_4plusIfEEEE10hipError_tPvRmT1_T2_T3_mT4_P12ihipStream_tbEUlT_E0_NS1_11comp_targetILNS1_3genE10ELNS1_11target_archE1200ELNS1_3gpuE4ELNS1_3repE0EEENS1_30default_config_static_selectorELNS0_4arch9wavefront6targetE1EEEvSK_,comdat
.Lfunc_end501:
	.size	_ZN7rocprim17ROCPRIM_400000_NS6detail17trampoline_kernelINS0_14default_configENS1_22reduce_config_selectorIiEEZNS1_11reduce_implILb1ES3_N6thrust23THRUST_200600_302600_NS6detail15normal_iteratorINS8_10device_ptrIiEEEEPffNS8_4plusIfEEEE10hipError_tPvRmT1_T2_T3_mT4_P12ihipStream_tbEUlT_E0_NS1_11comp_targetILNS1_3genE10ELNS1_11target_archE1200ELNS1_3gpuE4ELNS1_3repE0EEENS1_30default_config_static_selectorELNS0_4arch9wavefront6targetE1EEEvSK_, .Lfunc_end501-_ZN7rocprim17ROCPRIM_400000_NS6detail17trampoline_kernelINS0_14default_configENS1_22reduce_config_selectorIiEEZNS1_11reduce_implILb1ES3_N6thrust23THRUST_200600_302600_NS6detail15normal_iteratorINS8_10device_ptrIiEEEEPffNS8_4plusIfEEEE10hipError_tPvRmT1_T2_T3_mT4_P12ihipStream_tbEUlT_E0_NS1_11comp_targetILNS1_3genE10ELNS1_11target_archE1200ELNS1_3gpuE4ELNS1_3repE0EEENS1_30default_config_static_selectorELNS0_4arch9wavefront6targetE1EEEvSK_
                                        ; -- End function
	.set _ZN7rocprim17ROCPRIM_400000_NS6detail17trampoline_kernelINS0_14default_configENS1_22reduce_config_selectorIiEEZNS1_11reduce_implILb1ES3_N6thrust23THRUST_200600_302600_NS6detail15normal_iteratorINS8_10device_ptrIiEEEEPffNS8_4plusIfEEEE10hipError_tPvRmT1_T2_T3_mT4_P12ihipStream_tbEUlT_E0_NS1_11comp_targetILNS1_3genE10ELNS1_11target_archE1200ELNS1_3gpuE4ELNS1_3repE0EEENS1_30default_config_static_selectorELNS0_4arch9wavefront6targetE1EEEvSK_.num_vgpr, 0
	.set _ZN7rocprim17ROCPRIM_400000_NS6detail17trampoline_kernelINS0_14default_configENS1_22reduce_config_selectorIiEEZNS1_11reduce_implILb1ES3_N6thrust23THRUST_200600_302600_NS6detail15normal_iteratorINS8_10device_ptrIiEEEEPffNS8_4plusIfEEEE10hipError_tPvRmT1_T2_T3_mT4_P12ihipStream_tbEUlT_E0_NS1_11comp_targetILNS1_3genE10ELNS1_11target_archE1200ELNS1_3gpuE4ELNS1_3repE0EEENS1_30default_config_static_selectorELNS0_4arch9wavefront6targetE1EEEvSK_.num_agpr, 0
	.set _ZN7rocprim17ROCPRIM_400000_NS6detail17trampoline_kernelINS0_14default_configENS1_22reduce_config_selectorIiEEZNS1_11reduce_implILb1ES3_N6thrust23THRUST_200600_302600_NS6detail15normal_iteratorINS8_10device_ptrIiEEEEPffNS8_4plusIfEEEE10hipError_tPvRmT1_T2_T3_mT4_P12ihipStream_tbEUlT_E0_NS1_11comp_targetILNS1_3genE10ELNS1_11target_archE1200ELNS1_3gpuE4ELNS1_3repE0EEENS1_30default_config_static_selectorELNS0_4arch9wavefront6targetE1EEEvSK_.numbered_sgpr, 0
	.set _ZN7rocprim17ROCPRIM_400000_NS6detail17trampoline_kernelINS0_14default_configENS1_22reduce_config_selectorIiEEZNS1_11reduce_implILb1ES3_N6thrust23THRUST_200600_302600_NS6detail15normal_iteratorINS8_10device_ptrIiEEEEPffNS8_4plusIfEEEE10hipError_tPvRmT1_T2_T3_mT4_P12ihipStream_tbEUlT_E0_NS1_11comp_targetILNS1_3genE10ELNS1_11target_archE1200ELNS1_3gpuE4ELNS1_3repE0EEENS1_30default_config_static_selectorELNS0_4arch9wavefront6targetE1EEEvSK_.num_named_barrier, 0
	.set _ZN7rocprim17ROCPRIM_400000_NS6detail17trampoline_kernelINS0_14default_configENS1_22reduce_config_selectorIiEEZNS1_11reduce_implILb1ES3_N6thrust23THRUST_200600_302600_NS6detail15normal_iteratorINS8_10device_ptrIiEEEEPffNS8_4plusIfEEEE10hipError_tPvRmT1_T2_T3_mT4_P12ihipStream_tbEUlT_E0_NS1_11comp_targetILNS1_3genE10ELNS1_11target_archE1200ELNS1_3gpuE4ELNS1_3repE0EEENS1_30default_config_static_selectorELNS0_4arch9wavefront6targetE1EEEvSK_.private_seg_size, 0
	.set _ZN7rocprim17ROCPRIM_400000_NS6detail17trampoline_kernelINS0_14default_configENS1_22reduce_config_selectorIiEEZNS1_11reduce_implILb1ES3_N6thrust23THRUST_200600_302600_NS6detail15normal_iteratorINS8_10device_ptrIiEEEEPffNS8_4plusIfEEEE10hipError_tPvRmT1_T2_T3_mT4_P12ihipStream_tbEUlT_E0_NS1_11comp_targetILNS1_3genE10ELNS1_11target_archE1200ELNS1_3gpuE4ELNS1_3repE0EEENS1_30default_config_static_selectorELNS0_4arch9wavefront6targetE1EEEvSK_.uses_vcc, 0
	.set _ZN7rocprim17ROCPRIM_400000_NS6detail17trampoline_kernelINS0_14default_configENS1_22reduce_config_selectorIiEEZNS1_11reduce_implILb1ES3_N6thrust23THRUST_200600_302600_NS6detail15normal_iteratorINS8_10device_ptrIiEEEEPffNS8_4plusIfEEEE10hipError_tPvRmT1_T2_T3_mT4_P12ihipStream_tbEUlT_E0_NS1_11comp_targetILNS1_3genE10ELNS1_11target_archE1200ELNS1_3gpuE4ELNS1_3repE0EEENS1_30default_config_static_selectorELNS0_4arch9wavefront6targetE1EEEvSK_.uses_flat_scratch, 0
	.set _ZN7rocprim17ROCPRIM_400000_NS6detail17trampoline_kernelINS0_14default_configENS1_22reduce_config_selectorIiEEZNS1_11reduce_implILb1ES3_N6thrust23THRUST_200600_302600_NS6detail15normal_iteratorINS8_10device_ptrIiEEEEPffNS8_4plusIfEEEE10hipError_tPvRmT1_T2_T3_mT4_P12ihipStream_tbEUlT_E0_NS1_11comp_targetILNS1_3genE10ELNS1_11target_archE1200ELNS1_3gpuE4ELNS1_3repE0EEENS1_30default_config_static_selectorELNS0_4arch9wavefront6targetE1EEEvSK_.has_dyn_sized_stack, 0
	.set _ZN7rocprim17ROCPRIM_400000_NS6detail17trampoline_kernelINS0_14default_configENS1_22reduce_config_selectorIiEEZNS1_11reduce_implILb1ES3_N6thrust23THRUST_200600_302600_NS6detail15normal_iteratorINS8_10device_ptrIiEEEEPffNS8_4plusIfEEEE10hipError_tPvRmT1_T2_T3_mT4_P12ihipStream_tbEUlT_E0_NS1_11comp_targetILNS1_3genE10ELNS1_11target_archE1200ELNS1_3gpuE4ELNS1_3repE0EEENS1_30default_config_static_selectorELNS0_4arch9wavefront6targetE1EEEvSK_.has_recursion, 0
	.set _ZN7rocprim17ROCPRIM_400000_NS6detail17trampoline_kernelINS0_14default_configENS1_22reduce_config_selectorIiEEZNS1_11reduce_implILb1ES3_N6thrust23THRUST_200600_302600_NS6detail15normal_iteratorINS8_10device_ptrIiEEEEPffNS8_4plusIfEEEE10hipError_tPvRmT1_T2_T3_mT4_P12ihipStream_tbEUlT_E0_NS1_11comp_targetILNS1_3genE10ELNS1_11target_archE1200ELNS1_3gpuE4ELNS1_3repE0EEENS1_30default_config_static_selectorELNS0_4arch9wavefront6targetE1EEEvSK_.has_indirect_call, 0
	.section	.AMDGPU.csdata,"",@progbits
; Kernel info:
; codeLenInByte = 0
; TotalNumSgprs: 6
; NumVgprs: 0
; NumAgprs: 0
; TotalNumVgprs: 0
; ScratchSize: 0
; MemoryBound: 0
; FloatMode: 240
; IeeeMode: 1
; LDSByteSize: 0 bytes/workgroup (compile time only)
; SGPRBlocks: 0
; VGPRBlocks: 0
; NumSGPRsForWavesPerEU: 6
; NumVGPRsForWavesPerEU: 1
; AccumOffset: 4
; Occupancy: 8
; WaveLimiterHint : 0
; COMPUTE_PGM_RSRC2:SCRATCH_EN: 0
; COMPUTE_PGM_RSRC2:USER_SGPR: 2
; COMPUTE_PGM_RSRC2:TRAP_HANDLER: 0
; COMPUTE_PGM_RSRC2:TGID_X_EN: 1
; COMPUTE_PGM_RSRC2:TGID_Y_EN: 0
; COMPUTE_PGM_RSRC2:TGID_Z_EN: 0
; COMPUTE_PGM_RSRC2:TIDIG_COMP_CNT: 0
; COMPUTE_PGM_RSRC3_GFX90A:ACCUM_OFFSET: 0
; COMPUTE_PGM_RSRC3_GFX90A:TG_SPLIT: 0
	.section	.text._ZN7rocprim17ROCPRIM_400000_NS6detail17trampoline_kernelINS0_14default_configENS1_22reduce_config_selectorIiEEZNS1_11reduce_implILb1ES3_N6thrust23THRUST_200600_302600_NS6detail15normal_iteratorINS8_10device_ptrIiEEEEPffNS8_4plusIfEEEE10hipError_tPvRmT1_T2_T3_mT4_P12ihipStream_tbEUlT_E0_NS1_11comp_targetILNS1_3genE9ELNS1_11target_archE1100ELNS1_3gpuE3ELNS1_3repE0EEENS1_30default_config_static_selectorELNS0_4arch9wavefront6targetE1EEEvSK_,"axG",@progbits,_ZN7rocprim17ROCPRIM_400000_NS6detail17trampoline_kernelINS0_14default_configENS1_22reduce_config_selectorIiEEZNS1_11reduce_implILb1ES3_N6thrust23THRUST_200600_302600_NS6detail15normal_iteratorINS8_10device_ptrIiEEEEPffNS8_4plusIfEEEE10hipError_tPvRmT1_T2_T3_mT4_P12ihipStream_tbEUlT_E0_NS1_11comp_targetILNS1_3genE9ELNS1_11target_archE1100ELNS1_3gpuE3ELNS1_3repE0EEENS1_30default_config_static_selectorELNS0_4arch9wavefront6targetE1EEEvSK_,comdat
	.protected	_ZN7rocprim17ROCPRIM_400000_NS6detail17trampoline_kernelINS0_14default_configENS1_22reduce_config_selectorIiEEZNS1_11reduce_implILb1ES3_N6thrust23THRUST_200600_302600_NS6detail15normal_iteratorINS8_10device_ptrIiEEEEPffNS8_4plusIfEEEE10hipError_tPvRmT1_T2_T3_mT4_P12ihipStream_tbEUlT_E0_NS1_11comp_targetILNS1_3genE9ELNS1_11target_archE1100ELNS1_3gpuE3ELNS1_3repE0EEENS1_30default_config_static_selectorELNS0_4arch9wavefront6targetE1EEEvSK_ ; -- Begin function _ZN7rocprim17ROCPRIM_400000_NS6detail17trampoline_kernelINS0_14default_configENS1_22reduce_config_selectorIiEEZNS1_11reduce_implILb1ES3_N6thrust23THRUST_200600_302600_NS6detail15normal_iteratorINS8_10device_ptrIiEEEEPffNS8_4plusIfEEEE10hipError_tPvRmT1_T2_T3_mT4_P12ihipStream_tbEUlT_E0_NS1_11comp_targetILNS1_3genE9ELNS1_11target_archE1100ELNS1_3gpuE3ELNS1_3repE0EEENS1_30default_config_static_selectorELNS0_4arch9wavefront6targetE1EEEvSK_
	.globl	_ZN7rocprim17ROCPRIM_400000_NS6detail17trampoline_kernelINS0_14default_configENS1_22reduce_config_selectorIiEEZNS1_11reduce_implILb1ES3_N6thrust23THRUST_200600_302600_NS6detail15normal_iteratorINS8_10device_ptrIiEEEEPffNS8_4plusIfEEEE10hipError_tPvRmT1_T2_T3_mT4_P12ihipStream_tbEUlT_E0_NS1_11comp_targetILNS1_3genE9ELNS1_11target_archE1100ELNS1_3gpuE3ELNS1_3repE0EEENS1_30default_config_static_selectorELNS0_4arch9wavefront6targetE1EEEvSK_
	.p2align	8
	.type	_ZN7rocprim17ROCPRIM_400000_NS6detail17trampoline_kernelINS0_14default_configENS1_22reduce_config_selectorIiEEZNS1_11reduce_implILb1ES3_N6thrust23THRUST_200600_302600_NS6detail15normal_iteratorINS8_10device_ptrIiEEEEPffNS8_4plusIfEEEE10hipError_tPvRmT1_T2_T3_mT4_P12ihipStream_tbEUlT_E0_NS1_11comp_targetILNS1_3genE9ELNS1_11target_archE1100ELNS1_3gpuE3ELNS1_3repE0EEENS1_30default_config_static_selectorELNS0_4arch9wavefront6targetE1EEEvSK_,@function
_ZN7rocprim17ROCPRIM_400000_NS6detail17trampoline_kernelINS0_14default_configENS1_22reduce_config_selectorIiEEZNS1_11reduce_implILb1ES3_N6thrust23THRUST_200600_302600_NS6detail15normal_iteratorINS8_10device_ptrIiEEEEPffNS8_4plusIfEEEE10hipError_tPvRmT1_T2_T3_mT4_P12ihipStream_tbEUlT_E0_NS1_11comp_targetILNS1_3genE9ELNS1_11target_archE1100ELNS1_3gpuE3ELNS1_3repE0EEENS1_30default_config_static_selectorELNS0_4arch9wavefront6targetE1EEEvSK_: ; @_ZN7rocprim17ROCPRIM_400000_NS6detail17trampoline_kernelINS0_14default_configENS1_22reduce_config_selectorIiEEZNS1_11reduce_implILb1ES3_N6thrust23THRUST_200600_302600_NS6detail15normal_iteratorINS8_10device_ptrIiEEEEPffNS8_4plusIfEEEE10hipError_tPvRmT1_T2_T3_mT4_P12ihipStream_tbEUlT_E0_NS1_11comp_targetILNS1_3genE9ELNS1_11target_archE1100ELNS1_3gpuE3ELNS1_3repE0EEENS1_30default_config_static_selectorELNS0_4arch9wavefront6targetE1EEEvSK_
; %bb.0:
	.section	.rodata,"a",@progbits
	.p2align	6, 0x0
	.amdhsa_kernel _ZN7rocprim17ROCPRIM_400000_NS6detail17trampoline_kernelINS0_14default_configENS1_22reduce_config_selectorIiEEZNS1_11reduce_implILb1ES3_N6thrust23THRUST_200600_302600_NS6detail15normal_iteratorINS8_10device_ptrIiEEEEPffNS8_4plusIfEEEE10hipError_tPvRmT1_T2_T3_mT4_P12ihipStream_tbEUlT_E0_NS1_11comp_targetILNS1_3genE9ELNS1_11target_archE1100ELNS1_3gpuE3ELNS1_3repE0EEENS1_30default_config_static_selectorELNS0_4arch9wavefront6targetE1EEEvSK_
		.amdhsa_group_segment_fixed_size 0
		.amdhsa_private_segment_fixed_size 0
		.amdhsa_kernarg_size 56
		.amdhsa_user_sgpr_count 2
		.amdhsa_user_sgpr_dispatch_ptr 0
		.amdhsa_user_sgpr_queue_ptr 0
		.amdhsa_user_sgpr_kernarg_segment_ptr 1
		.amdhsa_user_sgpr_dispatch_id 0
		.amdhsa_user_sgpr_kernarg_preload_length 0
		.amdhsa_user_sgpr_kernarg_preload_offset 0
		.amdhsa_user_sgpr_private_segment_size 0
		.amdhsa_uses_dynamic_stack 0
		.amdhsa_enable_private_segment 0
		.amdhsa_system_sgpr_workgroup_id_x 1
		.amdhsa_system_sgpr_workgroup_id_y 0
		.amdhsa_system_sgpr_workgroup_id_z 0
		.amdhsa_system_sgpr_workgroup_info 0
		.amdhsa_system_vgpr_workitem_id 0
		.amdhsa_next_free_vgpr 1
		.amdhsa_next_free_sgpr 0
		.amdhsa_accum_offset 4
		.amdhsa_reserve_vcc 0
		.amdhsa_float_round_mode_32 0
		.amdhsa_float_round_mode_16_64 0
		.amdhsa_float_denorm_mode_32 3
		.amdhsa_float_denorm_mode_16_64 3
		.amdhsa_dx10_clamp 1
		.amdhsa_ieee_mode 1
		.amdhsa_fp16_overflow 0
		.amdhsa_tg_split 0
		.amdhsa_exception_fp_ieee_invalid_op 0
		.amdhsa_exception_fp_denorm_src 0
		.amdhsa_exception_fp_ieee_div_zero 0
		.amdhsa_exception_fp_ieee_overflow 0
		.amdhsa_exception_fp_ieee_underflow 0
		.amdhsa_exception_fp_ieee_inexact 0
		.amdhsa_exception_int_div_zero 0
	.end_amdhsa_kernel
	.section	.text._ZN7rocprim17ROCPRIM_400000_NS6detail17trampoline_kernelINS0_14default_configENS1_22reduce_config_selectorIiEEZNS1_11reduce_implILb1ES3_N6thrust23THRUST_200600_302600_NS6detail15normal_iteratorINS8_10device_ptrIiEEEEPffNS8_4plusIfEEEE10hipError_tPvRmT1_T2_T3_mT4_P12ihipStream_tbEUlT_E0_NS1_11comp_targetILNS1_3genE9ELNS1_11target_archE1100ELNS1_3gpuE3ELNS1_3repE0EEENS1_30default_config_static_selectorELNS0_4arch9wavefront6targetE1EEEvSK_,"axG",@progbits,_ZN7rocprim17ROCPRIM_400000_NS6detail17trampoline_kernelINS0_14default_configENS1_22reduce_config_selectorIiEEZNS1_11reduce_implILb1ES3_N6thrust23THRUST_200600_302600_NS6detail15normal_iteratorINS8_10device_ptrIiEEEEPffNS8_4plusIfEEEE10hipError_tPvRmT1_T2_T3_mT4_P12ihipStream_tbEUlT_E0_NS1_11comp_targetILNS1_3genE9ELNS1_11target_archE1100ELNS1_3gpuE3ELNS1_3repE0EEENS1_30default_config_static_selectorELNS0_4arch9wavefront6targetE1EEEvSK_,comdat
.Lfunc_end502:
	.size	_ZN7rocprim17ROCPRIM_400000_NS6detail17trampoline_kernelINS0_14default_configENS1_22reduce_config_selectorIiEEZNS1_11reduce_implILb1ES3_N6thrust23THRUST_200600_302600_NS6detail15normal_iteratorINS8_10device_ptrIiEEEEPffNS8_4plusIfEEEE10hipError_tPvRmT1_T2_T3_mT4_P12ihipStream_tbEUlT_E0_NS1_11comp_targetILNS1_3genE9ELNS1_11target_archE1100ELNS1_3gpuE3ELNS1_3repE0EEENS1_30default_config_static_selectorELNS0_4arch9wavefront6targetE1EEEvSK_, .Lfunc_end502-_ZN7rocprim17ROCPRIM_400000_NS6detail17trampoline_kernelINS0_14default_configENS1_22reduce_config_selectorIiEEZNS1_11reduce_implILb1ES3_N6thrust23THRUST_200600_302600_NS6detail15normal_iteratorINS8_10device_ptrIiEEEEPffNS8_4plusIfEEEE10hipError_tPvRmT1_T2_T3_mT4_P12ihipStream_tbEUlT_E0_NS1_11comp_targetILNS1_3genE9ELNS1_11target_archE1100ELNS1_3gpuE3ELNS1_3repE0EEENS1_30default_config_static_selectorELNS0_4arch9wavefront6targetE1EEEvSK_
                                        ; -- End function
	.set _ZN7rocprim17ROCPRIM_400000_NS6detail17trampoline_kernelINS0_14default_configENS1_22reduce_config_selectorIiEEZNS1_11reduce_implILb1ES3_N6thrust23THRUST_200600_302600_NS6detail15normal_iteratorINS8_10device_ptrIiEEEEPffNS8_4plusIfEEEE10hipError_tPvRmT1_T2_T3_mT4_P12ihipStream_tbEUlT_E0_NS1_11comp_targetILNS1_3genE9ELNS1_11target_archE1100ELNS1_3gpuE3ELNS1_3repE0EEENS1_30default_config_static_selectorELNS0_4arch9wavefront6targetE1EEEvSK_.num_vgpr, 0
	.set _ZN7rocprim17ROCPRIM_400000_NS6detail17trampoline_kernelINS0_14default_configENS1_22reduce_config_selectorIiEEZNS1_11reduce_implILb1ES3_N6thrust23THRUST_200600_302600_NS6detail15normal_iteratorINS8_10device_ptrIiEEEEPffNS8_4plusIfEEEE10hipError_tPvRmT1_T2_T3_mT4_P12ihipStream_tbEUlT_E0_NS1_11comp_targetILNS1_3genE9ELNS1_11target_archE1100ELNS1_3gpuE3ELNS1_3repE0EEENS1_30default_config_static_selectorELNS0_4arch9wavefront6targetE1EEEvSK_.num_agpr, 0
	.set _ZN7rocprim17ROCPRIM_400000_NS6detail17trampoline_kernelINS0_14default_configENS1_22reduce_config_selectorIiEEZNS1_11reduce_implILb1ES3_N6thrust23THRUST_200600_302600_NS6detail15normal_iteratorINS8_10device_ptrIiEEEEPffNS8_4plusIfEEEE10hipError_tPvRmT1_T2_T3_mT4_P12ihipStream_tbEUlT_E0_NS1_11comp_targetILNS1_3genE9ELNS1_11target_archE1100ELNS1_3gpuE3ELNS1_3repE0EEENS1_30default_config_static_selectorELNS0_4arch9wavefront6targetE1EEEvSK_.numbered_sgpr, 0
	.set _ZN7rocprim17ROCPRIM_400000_NS6detail17trampoline_kernelINS0_14default_configENS1_22reduce_config_selectorIiEEZNS1_11reduce_implILb1ES3_N6thrust23THRUST_200600_302600_NS6detail15normal_iteratorINS8_10device_ptrIiEEEEPffNS8_4plusIfEEEE10hipError_tPvRmT1_T2_T3_mT4_P12ihipStream_tbEUlT_E0_NS1_11comp_targetILNS1_3genE9ELNS1_11target_archE1100ELNS1_3gpuE3ELNS1_3repE0EEENS1_30default_config_static_selectorELNS0_4arch9wavefront6targetE1EEEvSK_.num_named_barrier, 0
	.set _ZN7rocprim17ROCPRIM_400000_NS6detail17trampoline_kernelINS0_14default_configENS1_22reduce_config_selectorIiEEZNS1_11reduce_implILb1ES3_N6thrust23THRUST_200600_302600_NS6detail15normal_iteratorINS8_10device_ptrIiEEEEPffNS8_4plusIfEEEE10hipError_tPvRmT1_T2_T3_mT4_P12ihipStream_tbEUlT_E0_NS1_11comp_targetILNS1_3genE9ELNS1_11target_archE1100ELNS1_3gpuE3ELNS1_3repE0EEENS1_30default_config_static_selectorELNS0_4arch9wavefront6targetE1EEEvSK_.private_seg_size, 0
	.set _ZN7rocprim17ROCPRIM_400000_NS6detail17trampoline_kernelINS0_14default_configENS1_22reduce_config_selectorIiEEZNS1_11reduce_implILb1ES3_N6thrust23THRUST_200600_302600_NS6detail15normal_iteratorINS8_10device_ptrIiEEEEPffNS8_4plusIfEEEE10hipError_tPvRmT1_T2_T3_mT4_P12ihipStream_tbEUlT_E0_NS1_11comp_targetILNS1_3genE9ELNS1_11target_archE1100ELNS1_3gpuE3ELNS1_3repE0EEENS1_30default_config_static_selectorELNS0_4arch9wavefront6targetE1EEEvSK_.uses_vcc, 0
	.set _ZN7rocprim17ROCPRIM_400000_NS6detail17trampoline_kernelINS0_14default_configENS1_22reduce_config_selectorIiEEZNS1_11reduce_implILb1ES3_N6thrust23THRUST_200600_302600_NS6detail15normal_iteratorINS8_10device_ptrIiEEEEPffNS8_4plusIfEEEE10hipError_tPvRmT1_T2_T3_mT4_P12ihipStream_tbEUlT_E0_NS1_11comp_targetILNS1_3genE9ELNS1_11target_archE1100ELNS1_3gpuE3ELNS1_3repE0EEENS1_30default_config_static_selectorELNS0_4arch9wavefront6targetE1EEEvSK_.uses_flat_scratch, 0
	.set _ZN7rocprim17ROCPRIM_400000_NS6detail17trampoline_kernelINS0_14default_configENS1_22reduce_config_selectorIiEEZNS1_11reduce_implILb1ES3_N6thrust23THRUST_200600_302600_NS6detail15normal_iteratorINS8_10device_ptrIiEEEEPffNS8_4plusIfEEEE10hipError_tPvRmT1_T2_T3_mT4_P12ihipStream_tbEUlT_E0_NS1_11comp_targetILNS1_3genE9ELNS1_11target_archE1100ELNS1_3gpuE3ELNS1_3repE0EEENS1_30default_config_static_selectorELNS0_4arch9wavefront6targetE1EEEvSK_.has_dyn_sized_stack, 0
	.set _ZN7rocprim17ROCPRIM_400000_NS6detail17trampoline_kernelINS0_14default_configENS1_22reduce_config_selectorIiEEZNS1_11reduce_implILb1ES3_N6thrust23THRUST_200600_302600_NS6detail15normal_iteratorINS8_10device_ptrIiEEEEPffNS8_4plusIfEEEE10hipError_tPvRmT1_T2_T3_mT4_P12ihipStream_tbEUlT_E0_NS1_11comp_targetILNS1_3genE9ELNS1_11target_archE1100ELNS1_3gpuE3ELNS1_3repE0EEENS1_30default_config_static_selectorELNS0_4arch9wavefront6targetE1EEEvSK_.has_recursion, 0
	.set _ZN7rocprim17ROCPRIM_400000_NS6detail17trampoline_kernelINS0_14default_configENS1_22reduce_config_selectorIiEEZNS1_11reduce_implILb1ES3_N6thrust23THRUST_200600_302600_NS6detail15normal_iteratorINS8_10device_ptrIiEEEEPffNS8_4plusIfEEEE10hipError_tPvRmT1_T2_T3_mT4_P12ihipStream_tbEUlT_E0_NS1_11comp_targetILNS1_3genE9ELNS1_11target_archE1100ELNS1_3gpuE3ELNS1_3repE0EEENS1_30default_config_static_selectorELNS0_4arch9wavefront6targetE1EEEvSK_.has_indirect_call, 0
	.section	.AMDGPU.csdata,"",@progbits
; Kernel info:
; codeLenInByte = 0
; TotalNumSgprs: 6
; NumVgprs: 0
; NumAgprs: 0
; TotalNumVgprs: 0
; ScratchSize: 0
; MemoryBound: 0
; FloatMode: 240
; IeeeMode: 1
; LDSByteSize: 0 bytes/workgroup (compile time only)
; SGPRBlocks: 0
; VGPRBlocks: 0
; NumSGPRsForWavesPerEU: 6
; NumVGPRsForWavesPerEU: 1
; AccumOffset: 4
; Occupancy: 8
; WaveLimiterHint : 0
; COMPUTE_PGM_RSRC2:SCRATCH_EN: 0
; COMPUTE_PGM_RSRC2:USER_SGPR: 2
; COMPUTE_PGM_RSRC2:TRAP_HANDLER: 0
; COMPUTE_PGM_RSRC2:TGID_X_EN: 1
; COMPUTE_PGM_RSRC2:TGID_Y_EN: 0
; COMPUTE_PGM_RSRC2:TGID_Z_EN: 0
; COMPUTE_PGM_RSRC2:TIDIG_COMP_CNT: 0
; COMPUTE_PGM_RSRC3_GFX90A:ACCUM_OFFSET: 0
; COMPUTE_PGM_RSRC3_GFX90A:TG_SPLIT: 0
	.section	.text._ZN7rocprim17ROCPRIM_400000_NS6detail17trampoline_kernelINS0_14default_configENS1_22reduce_config_selectorIiEEZNS1_11reduce_implILb1ES3_N6thrust23THRUST_200600_302600_NS6detail15normal_iteratorINS8_10device_ptrIiEEEEPffNS8_4plusIfEEEE10hipError_tPvRmT1_T2_T3_mT4_P12ihipStream_tbEUlT_E0_NS1_11comp_targetILNS1_3genE8ELNS1_11target_archE1030ELNS1_3gpuE2ELNS1_3repE0EEENS1_30default_config_static_selectorELNS0_4arch9wavefront6targetE1EEEvSK_,"axG",@progbits,_ZN7rocprim17ROCPRIM_400000_NS6detail17trampoline_kernelINS0_14default_configENS1_22reduce_config_selectorIiEEZNS1_11reduce_implILb1ES3_N6thrust23THRUST_200600_302600_NS6detail15normal_iteratorINS8_10device_ptrIiEEEEPffNS8_4plusIfEEEE10hipError_tPvRmT1_T2_T3_mT4_P12ihipStream_tbEUlT_E0_NS1_11comp_targetILNS1_3genE8ELNS1_11target_archE1030ELNS1_3gpuE2ELNS1_3repE0EEENS1_30default_config_static_selectorELNS0_4arch9wavefront6targetE1EEEvSK_,comdat
	.protected	_ZN7rocprim17ROCPRIM_400000_NS6detail17trampoline_kernelINS0_14default_configENS1_22reduce_config_selectorIiEEZNS1_11reduce_implILb1ES3_N6thrust23THRUST_200600_302600_NS6detail15normal_iteratorINS8_10device_ptrIiEEEEPffNS8_4plusIfEEEE10hipError_tPvRmT1_T2_T3_mT4_P12ihipStream_tbEUlT_E0_NS1_11comp_targetILNS1_3genE8ELNS1_11target_archE1030ELNS1_3gpuE2ELNS1_3repE0EEENS1_30default_config_static_selectorELNS0_4arch9wavefront6targetE1EEEvSK_ ; -- Begin function _ZN7rocprim17ROCPRIM_400000_NS6detail17trampoline_kernelINS0_14default_configENS1_22reduce_config_selectorIiEEZNS1_11reduce_implILb1ES3_N6thrust23THRUST_200600_302600_NS6detail15normal_iteratorINS8_10device_ptrIiEEEEPffNS8_4plusIfEEEE10hipError_tPvRmT1_T2_T3_mT4_P12ihipStream_tbEUlT_E0_NS1_11comp_targetILNS1_3genE8ELNS1_11target_archE1030ELNS1_3gpuE2ELNS1_3repE0EEENS1_30default_config_static_selectorELNS0_4arch9wavefront6targetE1EEEvSK_
	.globl	_ZN7rocprim17ROCPRIM_400000_NS6detail17trampoline_kernelINS0_14default_configENS1_22reduce_config_selectorIiEEZNS1_11reduce_implILb1ES3_N6thrust23THRUST_200600_302600_NS6detail15normal_iteratorINS8_10device_ptrIiEEEEPffNS8_4plusIfEEEE10hipError_tPvRmT1_T2_T3_mT4_P12ihipStream_tbEUlT_E0_NS1_11comp_targetILNS1_3genE8ELNS1_11target_archE1030ELNS1_3gpuE2ELNS1_3repE0EEENS1_30default_config_static_selectorELNS0_4arch9wavefront6targetE1EEEvSK_
	.p2align	8
	.type	_ZN7rocprim17ROCPRIM_400000_NS6detail17trampoline_kernelINS0_14default_configENS1_22reduce_config_selectorIiEEZNS1_11reduce_implILb1ES3_N6thrust23THRUST_200600_302600_NS6detail15normal_iteratorINS8_10device_ptrIiEEEEPffNS8_4plusIfEEEE10hipError_tPvRmT1_T2_T3_mT4_P12ihipStream_tbEUlT_E0_NS1_11comp_targetILNS1_3genE8ELNS1_11target_archE1030ELNS1_3gpuE2ELNS1_3repE0EEENS1_30default_config_static_selectorELNS0_4arch9wavefront6targetE1EEEvSK_,@function
_ZN7rocprim17ROCPRIM_400000_NS6detail17trampoline_kernelINS0_14default_configENS1_22reduce_config_selectorIiEEZNS1_11reduce_implILb1ES3_N6thrust23THRUST_200600_302600_NS6detail15normal_iteratorINS8_10device_ptrIiEEEEPffNS8_4plusIfEEEE10hipError_tPvRmT1_T2_T3_mT4_P12ihipStream_tbEUlT_E0_NS1_11comp_targetILNS1_3genE8ELNS1_11target_archE1030ELNS1_3gpuE2ELNS1_3repE0EEENS1_30default_config_static_selectorELNS0_4arch9wavefront6targetE1EEEvSK_: ; @_ZN7rocprim17ROCPRIM_400000_NS6detail17trampoline_kernelINS0_14default_configENS1_22reduce_config_selectorIiEEZNS1_11reduce_implILb1ES3_N6thrust23THRUST_200600_302600_NS6detail15normal_iteratorINS8_10device_ptrIiEEEEPffNS8_4plusIfEEEE10hipError_tPvRmT1_T2_T3_mT4_P12ihipStream_tbEUlT_E0_NS1_11comp_targetILNS1_3genE8ELNS1_11target_archE1030ELNS1_3gpuE2ELNS1_3repE0EEENS1_30default_config_static_selectorELNS0_4arch9wavefront6targetE1EEEvSK_
; %bb.0:
	.section	.rodata,"a",@progbits
	.p2align	6, 0x0
	.amdhsa_kernel _ZN7rocprim17ROCPRIM_400000_NS6detail17trampoline_kernelINS0_14default_configENS1_22reduce_config_selectorIiEEZNS1_11reduce_implILb1ES3_N6thrust23THRUST_200600_302600_NS6detail15normal_iteratorINS8_10device_ptrIiEEEEPffNS8_4plusIfEEEE10hipError_tPvRmT1_T2_T3_mT4_P12ihipStream_tbEUlT_E0_NS1_11comp_targetILNS1_3genE8ELNS1_11target_archE1030ELNS1_3gpuE2ELNS1_3repE0EEENS1_30default_config_static_selectorELNS0_4arch9wavefront6targetE1EEEvSK_
		.amdhsa_group_segment_fixed_size 0
		.amdhsa_private_segment_fixed_size 0
		.amdhsa_kernarg_size 56
		.amdhsa_user_sgpr_count 2
		.amdhsa_user_sgpr_dispatch_ptr 0
		.amdhsa_user_sgpr_queue_ptr 0
		.amdhsa_user_sgpr_kernarg_segment_ptr 1
		.amdhsa_user_sgpr_dispatch_id 0
		.amdhsa_user_sgpr_kernarg_preload_length 0
		.amdhsa_user_sgpr_kernarg_preload_offset 0
		.amdhsa_user_sgpr_private_segment_size 0
		.amdhsa_uses_dynamic_stack 0
		.amdhsa_enable_private_segment 0
		.amdhsa_system_sgpr_workgroup_id_x 1
		.amdhsa_system_sgpr_workgroup_id_y 0
		.amdhsa_system_sgpr_workgroup_id_z 0
		.amdhsa_system_sgpr_workgroup_info 0
		.amdhsa_system_vgpr_workitem_id 0
		.amdhsa_next_free_vgpr 1
		.amdhsa_next_free_sgpr 0
		.amdhsa_accum_offset 4
		.amdhsa_reserve_vcc 0
		.amdhsa_float_round_mode_32 0
		.amdhsa_float_round_mode_16_64 0
		.amdhsa_float_denorm_mode_32 3
		.amdhsa_float_denorm_mode_16_64 3
		.amdhsa_dx10_clamp 1
		.amdhsa_ieee_mode 1
		.amdhsa_fp16_overflow 0
		.amdhsa_tg_split 0
		.amdhsa_exception_fp_ieee_invalid_op 0
		.amdhsa_exception_fp_denorm_src 0
		.amdhsa_exception_fp_ieee_div_zero 0
		.amdhsa_exception_fp_ieee_overflow 0
		.amdhsa_exception_fp_ieee_underflow 0
		.amdhsa_exception_fp_ieee_inexact 0
		.amdhsa_exception_int_div_zero 0
	.end_amdhsa_kernel
	.section	.text._ZN7rocprim17ROCPRIM_400000_NS6detail17trampoline_kernelINS0_14default_configENS1_22reduce_config_selectorIiEEZNS1_11reduce_implILb1ES3_N6thrust23THRUST_200600_302600_NS6detail15normal_iteratorINS8_10device_ptrIiEEEEPffNS8_4plusIfEEEE10hipError_tPvRmT1_T2_T3_mT4_P12ihipStream_tbEUlT_E0_NS1_11comp_targetILNS1_3genE8ELNS1_11target_archE1030ELNS1_3gpuE2ELNS1_3repE0EEENS1_30default_config_static_selectorELNS0_4arch9wavefront6targetE1EEEvSK_,"axG",@progbits,_ZN7rocprim17ROCPRIM_400000_NS6detail17trampoline_kernelINS0_14default_configENS1_22reduce_config_selectorIiEEZNS1_11reduce_implILb1ES3_N6thrust23THRUST_200600_302600_NS6detail15normal_iteratorINS8_10device_ptrIiEEEEPffNS8_4plusIfEEEE10hipError_tPvRmT1_T2_T3_mT4_P12ihipStream_tbEUlT_E0_NS1_11comp_targetILNS1_3genE8ELNS1_11target_archE1030ELNS1_3gpuE2ELNS1_3repE0EEENS1_30default_config_static_selectorELNS0_4arch9wavefront6targetE1EEEvSK_,comdat
.Lfunc_end503:
	.size	_ZN7rocprim17ROCPRIM_400000_NS6detail17trampoline_kernelINS0_14default_configENS1_22reduce_config_selectorIiEEZNS1_11reduce_implILb1ES3_N6thrust23THRUST_200600_302600_NS6detail15normal_iteratorINS8_10device_ptrIiEEEEPffNS8_4plusIfEEEE10hipError_tPvRmT1_T2_T3_mT4_P12ihipStream_tbEUlT_E0_NS1_11comp_targetILNS1_3genE8ELNS1_11target_archE1030ELNS1_3gpuE2ELNS1_3repE0EEENS1_30default_config_static_selectorELNS0_4arch9wavefront6targetE1EEEvSK_, .Lfunc_end503-_ZN7rocprim17ROCPRIM_400000_NS6detail17trampoline_kernelINS0_14default_configENS1_22reduce_config_selectorIiEEZNS1_11reduce_implILb1ES3_N6thrust23THRUST_200600_302600_NS6detail15normal_iteratorINS8_10device_ptrIiEEEEPffNS8_4plusIfEEEE10hipError_tPvRmT1_T2_T3_mT4_P12ihipStream_tbEUlT_E0_NS1_11comp_targetILNS1_3genE8ELNS1_11target_archE1030ELNS1_3gpuE2ELNS1_3repE0EEENS1_30default_config_static_selectorELNS0_4arch9wavefront6targetE1EEEvSK_
                                        ; -- End function
	.set _ZN7rocprim17ROCPRIM_400000_NS6detail17trampoline_kernelINS0_14default_configENS1_22reduce_config_selectorIiEEZNS1_11reduce_implILb1ES3_N6thrust23THRUST_200600_302600_NS6detail15normal_iteratorINS8_10device_ptrIiEEEEPffNS8_4plusIfEEEE10hipError_tPvRmT1_T2_T3_mT4_P12ihipStream_tbEUlT_E0_NS1_11comp_targetILNS1_3genE8ELNS1_11target_archE1030ELNS1_3gpuE2ELNS1_3repE0EEENS1_30default_config_static_selectorELNS0_4arch9wavefront6targetE1EEEvSK_.num_vgpr, 0
	.set _ZN7rocprim17ROCPRIM_400000_NS6detail17trampoline_kernelINS0_14default_configENS1_22reduce_config_selectorIiEEZNS1_11reduce_implILb1ES3_N6thrust23THRUST_200600_302600_NS6detail15normal_iteratorINS8_10device_ptrIiEEEEPffNS8_4plusIfEEEE10hipError_tPvRmT1_T2_T3_mT4_P12ihipStream_tbEUlT_E0_NS1_11comp_targetILNS1_3genE8ELNS1_11target_archE1030ELNS1_3gpuE2ELNS1_3repE0EEENS1_30default_config_static_selectorELNS0_4arch9wavefront6targetE1EEEvSK_.num_agpr, 0
	.set _ZN7rocprim17ROCPRIM_400000_NS6detail17trampoline_kernelINS0_14default_configENS1_22reduce_config_selectorIiEEZNS1_11reduce_implILb1ES3_N6thrust23THRUST_200600_302600_NS6detail15normal_iteratorINS8_10device_ptrIiEEEEPffNS8_4plusIfEEEE10hipError_tPvRmT1_T2_T3_mT4_P12ihipStream_tbEUlT_E0_NS1_11comp_targetILNS1_3genE8ELNS1_11target_archE1030ELNS1_3gpuE2ELNS1_3repE0EEENS1_30default_config_static_selectorELNS0_4arch9wavefront6targetE1EEEvSK_.numbered_sgpr, 0
	.set _ZN7rocprim17ROCPRIM_400000_NS6detail17trampoline_kernelINS0_14default_configENS1_22reduce_config_selectorIiEEZNS1_11reduce_implILb1ES3_N6thrust23THRUST_200600_302600_NS6detail15normal_iteratorINS8_10device_ptrIiEEEEPffNS8_4plusIfEEEE10hipError_tPvRmT1_T2_T3_mT4_P12ihipStream_tbEUlT_E0_NS1_11comp_targetILNS1_3genE8ELNS1_11target_archE1030ELNS1_3gpuE2ELNS1_3repE0EEENS1_30default_config_static_selectorELNS0_4arch9wavefront6targetE1EEEvSK_.num_named_barrier, 0
	.set _ZN7rocprim17ROCPRIM_400000_NS6detail17trampoline_kernelINS0_14default_configENS1_22reduce_config_selectorIiEEZNS1_11reduce_implILb1ES3_N6thrust23THRUST_200600_302600_NS6detail15normal_iteratorINS8_10device_ptrIiEEEEPffNS8_4plusIfEEEE10hipError_tPvRmT1_T2_T3_mT4_P12ihipStream_tbEUlT_E0_NS1_11comp_targetILNS1_3genE8ELNS1_11target_archE1030ELNS1_3gpuE2ELNS1_3repE0EEENS1_30default_config_static_selectorELNS0_4arch9wavefront6targetE1EEEvSK_.private_seg_size, 0
	.set _ZN7rocprim17ROCPRIM_400000_NS6detail17trampoline_kernelINS0_14default_configENS1_22reduce_config_selectorIiEEZNS1_11reduce_implILb1ES3_N6thrust23THRUST_200600_302600_NS6detail15normal_iteratorINS8_10device_ptrIiEEEEPffNS8_4plusIfEEEE10hipError_tPvRmT1_T2_T3_mT4_P12ihipStream_tbEUlT_E0_NS1_11comp_targetILNS1_3genE8ELNS1_11target_archE1030ELNS1_3gpuE2ELNS1_3repE0EEENS1_30default_config_static_selectorELNS0_4arch9wavefront6targetE1EEEvSK_.uses_vcc, 0
	.set _ZN7rocprim17ROCPRIM_400000_NS6detail17trampoline_kernelINS0_14default_configENS1_22reduce_config_selectorIiEEZNS1_11reduce_implILb1ES3_N6thrust23THRUST_200600_302600_NS6detail15normal_iteratorINS8_10device_ptrIiEEEEPffNS8_4plusIfEEEE10hipError_tPvRmT1_T2_T3_mT4_P12ihipStream_tbEUlT_E0_NS1_11comp_targetILNS1_3genE8ELNS1_11target_archE1030ELNS1_3gpuE2ELNS1_3repE0EEENS1_30default_config_static_selectorELNS0_4arch9wavefront6targetE1EEEvSK_.uses_flat_scratch, 0
	.set _ZN7rocprim17ROCPRIM_400000_NS6detail17trampoline_kernelINS0_14default_configENS1_22reduce_config_selectorIiEEZNS1_11reduce_implILb1ES3_N6thrust23THRUST_200600_302600_NS6detail15normal_iteratorINS8_10device_ptrIiEEEEPffNS8_4plusIfEEEE10hipError_tPvRmT1_T2_T3_mT4_P12ihipStream_tbEUlT_E0_NS1_11comp_targetILNS1_3genE8ELNS1_11target_archE1030ELNS1_3gpuE2ELNS1_3repE0EEENS1_30default_config_static_selectorELNS0_4arch9wavefront6targetE1EEEvSK_.has_dyn_sized_stack, 0
	.set _ZN7rocprim17ROCPRIM_400000_NS6detail17trampoline_kernelINS0_14default_configENS1_22reduce_config_selectorIiEEZNS1_11reduce_implILb1ES3_N6thrust23THRUST_200600_302600_NS6detail15normal_iteratorINS8_10device_ptrIiEEEEPffNS8_4plusIfEEEE10hipError_tPvRmT1_T2_T3_mT4_P12ihipStream_tbEUlT_E0_NS1_11comp_targetILNS1_3genE8ELNS1_11target_archE1030ELNS1_3gpuE2ELNS1_3repE0EEENS1_30default_config_static_selectorELNS0_4arch9wavefront6targetE1EEEvSK_.has_recursion, 0
	.set _ZN7rocprim17ROCPRIM_400000_NS6detail17trampoline_kernelINS0_14default_configENS1_22reduce_config_selectorIiEEZNS1_11reduce_implILb1ES3_N6thrust23THRUST_200600_302600_NS6detail15normal_iteratorINS8_10device_ptrIiEEEEPffNS8_4plusIfEEEE10hipError_tPvRmT1_T2_T3_mT4_P12ihipStream_tbEUlT_E0_NS1_11comp_targetILNS1_3genE8ELNS1_11target_archE1030ELNS1_3gpuE2ELNS1_3repE0EEENS1_30default_config_static_selectorELNS0_4arch9wavefront6targetE1EEEvSK_.has_indirect_call, 0
	.section	.AMDGPU.csdata,"",@progbits
; Kernel info:
; codeLenInByte = 0
; TotalNumSgprs: 6
; NumVgprs: 0
; NumAgprs: 0
; TotalNumVgprs: 0
; ScratchSize: 0
; MemoryBound: 0
; FloatMode: 240
; IeeeMode: 1
; LDSByteSize: 0 bytes/workgroup (compile time only)
; SGPRBlocks: 0
; VGPRBlocks: 0
; NumSGPRsForWavesPerEU: 6
; NumVGPRsForWavesPerEU: 1
; AccumOffset: 4
; Occupancy: 8
; WaveLimiterHint : 0
; COMPUTE_PGM_RSRC2:SCRATCH_EN: 0
; COMPUTE_PGM_RSRC2:USER_SGPR: 2
; COMPUTE_PGM_RSRC2:TRAP_HANDLER: 0
; COMPUTE_PGM_RSRC2:TGID_X_EN: 1
; COMPUTE_PGM_RSRC2:TGID_Y_EN: 0
; COMPUTE_PGM_RSRC2:TGID_Z_EN: 0
; COMPUTE_PGM_RSRC2:TIDIG_COMP_CNT: 0
; COMPUTE_PGM_RSRC3_GFX90A:ACCUM_OFFSET: 0
; COMPUTE_PGM_RSRC3_GFX90A:TG_SPLIT: 0
	.section	.text._ZN7rocprim17ROCPRIM_400000_NS6detail17trampoline_kernelINS0_14default_configENS1_22reduce_config_selectorIiEEZNS1_11reduce_implILb1ES3_N6thrust23THRUST_200600_302600_NS6detail15normal_iteratorINS8_10device_ptrIiEEEEPffNS8_4plusIfEEEE10hipError_tPvRmT1_T2_T3_mT4_P12ihipStream_tbEUlT_E1_NS1_11comp_targetILNS1_3genE0ELNS1_11target_archE4294967295ELNS1_3gpuE0ELNS1_3repE0EEENS1_30default_config_static_selectorELNS0_4arch9wavefront6targetE1EEEvSK_,"axG",@progbits,_ZN7rocprim17ROCPRIM_400000_NS6detail17trampoline_kernelINS0_14default_configENS1_22reduce_config_selectorIiEEZNS1_11reduce_implILb1ES3_N6thrust23THRUST_200600_302600_NS6detail15normal_iteratorINS8_10device_ptrIiEEEEPffNS8_4plusIfEEEE10hipError_tPvRmT1_T2_T3_mT4_P12ihipStream_tbEUlT_E1_NS1_11comp_targetILNS1_3genE0ELNS1_11target_archE4294967295ELNS1_3gpuE0ELNS1_3repE0EEENS1_30default_config_static_selectorELNS0_4arch9wavefront6targetE1EEEvSK_,comdat
	.protected	_ZN7rocprim17ROCPRIM_400000_NS6detail17trampoline_kernelINS0_14default_configENS1_22reduce_config_selectorIiEEZNS1_11reduce_implILb1ES3_N6thrust23THRUST_200600_302600_NS6detail15normal_iteratorINS8_10device_ptrIiEEEEPffNS8_4plusIfEEEE10hipError_tPvRmT1_T2_T3_mT4_P12ihipStream_tbEUlT_E1_NS1_11comp_targetILNS1_3genE0ELNS1_11target_archE4294967295ELNS1_3gpuE0ELNS1_3repE0EEENS1_30default_config_static_selectorELNS0_4arch9wavefront6targetE1EEEvSK_ ; -- Begin function _ZN7rocprim17ROCPRIM_400000_NS6detail17trampoline_kernelINS0_14default_configENS1_22reduce_config_selectorIiEEZNS1_11reduce_implILb1ES3_N6thrust23THRUST_200600_302600_NS6detail15normal_iteratorINS8_10device_ptrIiEEEEPffNS8_4plusIfEEEE10hipError_tPvRmT1_T2_T3_mT4_P12ihipStream_tbEUlT_E1_NS1_11comp_targetILNS1_3genE0ELNS1_11target_archE4294967295ELNS1_3gpuE0ELNS1_3repE0EEENS1_30default_config_static_selectorELNS0_4arch9wavefront6targetE1EEEvSK_
	.globl	_ZN7rocprim17ROCPRIM_400000_NS6detail17trampoline_kernelINS0_14default_configENS1_22reduce_config_selectorIiEEZNS1_11reduce_implILb1ES3_N6thrust23THRUST_200600_302600_NS6detail15normal_iteratorINS8_10device_ptrIiEEEEPffNS8_4plusIfEEEE10hipError_tPvRmT1_T2_T3_mT4_P12ihipStream_tbEUlT_E1_NS1_11comp_targetILNS1_3genE0ELNS1_11target_archE4294967295ELNS1_3gpuE0ELNS1_3repE0EEENS1_30default_config_static_selectorELNS0_4arch9wavefront6targetE1EEEvSK_
	.p2align	8
	.type	_ZN7rocprim17ROCPRIM_400000_NS6detail17trampoline_kernelINS0_14default_configENS1_22reduce_config_selectorIiEEZNS1_11reduce_implILb1ES3_N6thrust23THRUST_200600_302600_NS6detail15normal_iteratorINS8_10device_ptrIiEEEEPffNS8_4plusIfEEEE10hipError_tPvRmT1_T2_T3_mT4_P12ihipStream_tbEUlT_E1_NS1_11comp_targetILNS1_3genE0ELNS1_11target_archE4294967295ELNS1_3gpuE0ELNS1_3repE0EEENS1_30default_config_static_selectorELNS0_4arch9wavefront6targetE1EEEvSK_,@function
_ZN7rocprim17ROCPRIM_400000_NS6detail17trampoline_kernelINS0_14default_configENS1_22reduce_config_selectorIiEEZNS1_11reduce_implILb1ES3_N6thrust23THRUST_200600_302600_NS6detail15normal_iteratorINS8_10device_ptrIiEEEEPffNS8_4plusIfEEEE10hipError_tPvRmT1_T2_T3_mT4_P12ihipStream_tbEUlT_E1_NS1_11comp_targetILNS1_3genE0ELNS1_11target_archE4294967295ELNS1_3gpuE0ELNS1_3repE0EEENS1_30default_config_static_selectorELNS0_4arch9wavefront6targetE1EEEvSK_: ; @_ZN7rocprim17ROCPRIM_400000_NS6detail17trampoline_kernelINS0_14default_configENS1_22reduce_config_selectorIiEEZNS1_11reduce_implILb1ES3_N6thrust23THRUST_200600_302600_NS6detail15normal_iteratorINS8_10device_ptrIiEEEEPffNS8_4plusIfEEEE10hipError_tPvRmT1_T2_T3_mT4_P12ihipStream_tbEUlT_E1_NS1_11comp_targetILNS1_3genE0ELNS1_11target_archE4294967295ELNS1_3gpuE0ELNS1_3repE0EEENS1_30default_config_static_selectorELNS0_4arch9wavefront6targetE1EEEvSK_
; %bb.0:
	s_load_dword s33, s[0:1], 0x4
	s_load_dwordx4 s[68:71], s[0:1], 0x8
	s_waitcnt lgkmcnt(0)
	s_cmp_lt_i32 s33, 8
	s_cbranch_scc1 .LBB504_11
; %bb.1:
	s_cmp_gt_i32 s33, 15
	s_cbranch_scc0 .LBB504_12
; %bb.2:
	s_cmp_gt_i32 s33, 31
	s_cbranch_scc0 .LBB504_13
; %bb.3:
	s_cmp_eq_u32 s33, 32
	s_mov_b64 s[66:67], 0
	s_cbranch_scc0 .LBB504_14
; %bb.4:
	s_mov_b32 s3, 0
	s_lshl_b32 s4, s2, 13
	s_mov_b32 s5, s3
	s_lshr_b64 s[6:7], s[70:71], 13
	s_lshl_b64 s[8:9], s[4:5], 2
	s_add_u32 s72, s68, s8
	s_addc_u32 s73, s69, s9
	s_cmp_lg_u64 s[6:7], s[2:3]
	s_cbranch_scc0 .LBB504_23
; %bb.5:
	v_lshlrev_b32_e32 v2, 2, v0
	global_load_dword v1, v2, s[72:73]
	global_load_dword v8, v2, s[72:73] offset:1024
	global_load_dword v9, v2, s[72:73] offset:2048
	;; [unrolled: 1-line block ×3, first 2 shown]
	v_mov_b32_e32 v3, 0
	v_lshl_add_u64 v[4:5], s[72:73], 0, v[2:3]
	v_add_co_u32_e32 v2, vcc, 0x1000, v4
	s_waitcnt vmcnt(3)
	v_cvt_f32_i32_e32 v1, v1
	v_addc_co_u32_e32 v3, vcc, 0, v5, vcc
	v_add_co_u32_e32 v6, vcc, 0x2000, v4
	s_nop 1
	v_addc_co_u32_e32 v7, vcc, 0, v5, vcc
	global_load_dword v11, v[2:3], off
	global_load_dword v12, v[2:3], off offset:1024
	global_load_dword v13, v[2:3], off offset:2048
	global_load_dword v14, v[2:3], off offset:3072
	global_load_dword v15, v[6:7], off
	global_load_dword v16, v[6:7], off offset:1024
	global_load_dword v17, v[6:7], off offset:2048
	global_load_dword v18, v[6:7], off offset:3072
	v_add_co_u32_e32 v2, vcc, 0x3000, v4
	s_nop 1
	v_addc_co_u32_e32 v3, vcc, 0, v5, vcc
	v_add_co_u32_e32 v6, vcc, 0x4000, v4
	s_nop 1
	v_addc_co_u32_e32 v7, vcc, 0, v5, vcc
	global_load_dword v19, v[2:3], off
	global_load_dword v20, v[2:3], off offset:1024
	global_load_dword v21, v[2:3], off offset:2048
	global_load_dword v22, v[2:3], off offset:3072
	global_load_dword v23, v[6:7], off
	global_load_dword v24, v[6:7], off offset:1024
	global_load_dword v25, v[6:7], off offset:2048
	global_load_dword v26, v[6:7], off offset:3072
	v_add_co_u32_e32 v2, vcc, 0x5000, v4
	s_nop 1
	;; [unrolled: 14-line block ×3, first 2 shown]
	v_addc_co_u32_e32 v3, vcc, 0, v5, vcc
	global_load_dword v4, v[2:3], off
	global_load_dword v5, v[2:3], off offset:1024
	global_load_dword v6, v[2:3], off offset:2048
	;; [unrolled: 1-line block ×3, first 2 shown]
	s_waitcnt vmcnt(30)
	v_cvt_f32_i32_e32 v2, v8
	s_waitcnt vmcnt(29)
	v_cvt_f32_i32_e32 v3, v9
	;; [unrolled: 2-line block ×3, first 2 shown]
	v_add_f32_e32 v1, v1, v2
	v_add_f32_e32 v1, v1, v3
	;; [unrolled: 1-line block ×3, first 2 shown]
	v_mbcnt_lo_u32_b32 v2, -1, 0
	v_mbcnt_hi_u32_b32 v2, -1, v2
	v_lshlrev_b32_e32 v3, 2, v2
	v_cmp_eq_u32_e32 vcc, 0, v2
	s_waitcnt vmcnt(27)
	v_cvt_f32_i32_e32 v9, v11
	s_waitcnt vmcnt(26)
	v_cvt_f32_i32_e32 v10, v12
	;; [unrolled: 2-line block ×5, first 2 shown]
	v_add_f32_e32 v1, v1, v9
	s_waitcnt vmcnt(22)
	v_cvt_f32_i32_e32 v14, v16
	v_add_f32_e32 v1, v1, v10
	s_waitcnt vmcnt(21)
	v_cvt_f32_i32_e32 v15, v17
	;; [unrolled: 3-line block ×23, first 2 shown]
	v_add_f32_e32 v1, v1, v32
	v_add_f32_e32 v1, v1, v4
	;; [unrolled: 1-line block ×5, first 2 shown]
	v_or_b32_e32 v4, 0xfc, v3
	s_nop 0
	v_add_f32_dpp v1, v1, v1 quad_perm:[1,0,3,2] row_mask:0xf bank_mask:0xf bound_ctrl:1
	s_nop 1
	v_add_f32_dpp v1, v1, v1 quad_perm:[2,3,0,1] row_mask:0xf bank_mask:0xf bound_ctrl:1
	s_nop 1
	v_add_f32_dpp v1, v1, v1 row_ror:4 row_mask:0xf bank_mask:0xf bound_ctrl:1
	s_nop 1
	v_add_f32_dpp v1, v1, v1 row_ror:8 row_mask:0xf bank_mask:0xf bound_ctrl:1
	s_nop 1
	v_add_f32_dpp v1, v1, v1 row_bcast:15 row_mask:0xf bank_mask:0xf bound_ctrl:1
	s_nop 1
	v_add_f32_dpp v1, v1, v1 row_bcast:31 row_mask:0xf bank_mask:0xf bound_ctrl:1
	ds_bpermute_b32 v1, v4, v1
	s_and_saveexec_b64 s[6:7], vcc
	s_cbranch_execz .LBB504_7
; %bb.6:
	v_lshrrev_b32_e32 v4, 4, v0
	v_and_b32_e32 v4, 12, v4
	s_waitcnt lgkmcnt(0)
	ds_write_b32 v4, v1 offset:48
.LBB504_7:
	s_or_b64 exec, exec, s[6:7]
	v_cmp_gt_u32_e32 vcc, 64, v0
	s_waitcnt lgkmcnt(0)
	s_barrier
	s_and_saveexec_b64 s[6:7], vcc
	s_cbranch_execz .LBB504_9
; %bb.8:
	v_and_b32_e32 v1, 3, v2
	v_lshlrev_b32_e32 v4, 2, v1
	ds_read_b32 v4, v4 offset:48
	v_cmp_ne_u32_e32 vcc, 3, v1
	s_nop 1
	v_addc_co_u32_e32 v1, vcc, 0, v2, vcc
	v_lshlrev_b32_e32 v1, 2, v1
	s_waitcnt lgkmcnt(0)
	ds_bpermute_b32 v1, v1, v4
	v_or_b32_e32 v2, 8, v3
	s_waitcnt lgkmcnt(0)
	v_add_f32_e32 v1, v4, v1
	ds_bpermute_b32 v2, v2, v1
	s_waitcnt lgkmcnt(0)
	v_add_f32_e32 v1, v1, v2
.LBB504_9:
	s_or_b64 exec, exec, s[6:7]
.LBB504_10:
	v_cmp_eq_u32_e64 s[4:5], 0, v0
	s_and_b64 vcc, exec, s[66:67]
	s_cbranch_vccnz .LBB504_15
	s_branch .LBB504_93
.LBB504_11:
	s_mov_b64 s[4:5], 0
                                        ; implicit-def: $vgpr1
	s_cbranch_execnz .LBB504_166
	s_branch .LBB504_224
.LBB504_12:
	s_mov_b64 s[4:5], 0
                                        ; implicit-def: $vgpr1
	s_cbranch_execnz .LBB504_134
	s_branch .LBB504_142
.LBB504_13:
	s_mov_b64 s[66:67], -1
.LBB504_14:
	s_mov_b64 s[4:5], 0
                                        ; implicit-def: $vgpr1
	s_and_b64 vcc, exec, s[66:67]
	s_cbranch_vccz .LBB504_93
.LBB504_15:
	s_cmp_eq_u32 s33, 16
	s_cbranch_scc0 .LBB504_22
; %bb.16:
	s_mov_b32 s3, 0
	s_lshl_b32 s4, s2, 12
	s_mov_b32 s5, s3
	s_lshr_b64 s[6:7], s[70:71], 12
	s_lshl_b64 s[8:9], s[4:5], 2
	s_add_u32 s34, s68, s8
	s_addc_u32 s35, s69, s9
	s_cmp_lg_u64 s[6:7], s[2:3]
	s_cbranch_scc0 .LBB504_94
; %bb.17:
	v_lshlrev_b32_e32 v2, 2, v0
	global_load_dword v1, v2, s[34:35]
	global_load_dword v8, v2, s[34:35] offset:1024
	global_load_dword v9, v2, s[34:35] offset:2048
	;; [unrolled: 1-line block ×3, first 2 shown]
	v_mov_b32_e32 v3, 0
	v_lshl_add_u64 v[4:5], s[34:35], 0, v[2:3]
	v_add_co_u32_e32 v2, vcc, 0x1000, v4
	s_waitcnt vmcnt(3)
	v_cvt_f32_i32_e32 v1, v1
	v_addc_co_u32_e32 v3, vcc, 0, v5, vcc
	v_add_co_u32_e32 v6, vcc, 0x2000, v4
	s_waitcnt vmcnt(2)
	v_cvt_f32_i32_e32 v8, v8
	v_addc_co_u32_e32 v7, vcc, 0, v5, vcc
	global_load_dword v11, v[2:3], off
	global_load_dword v12, v[2:3], off offset:1024
	global_load_dword v13, v[2:3], off offset:2048
	;; [unrolled: 1-line block ×3, first 2 shown]
	global_load_dword v15, v[6:7], off
	global_load_dword v16, v[6:7], off offset:1024
	global_load_dword v17, v[6:7], off offset:2048
	;; [unrolled: 1-line block ×3, first 2 shown]
	v_add_co_u32_e32 v2, vcc, 0x3000, v4
	s_waitcnt vmcnt(9)
	v_cvt_f32_i32_e32 v9, v9
	v_addc_co_u32_e32 v3, vcc, 0, v5, vcc
	global_load_dword v4, v[2:3], off
	global_load_dword v5, v[2:3], off offset:1024
	global_load_dword v6, v[2:3], off offset:2048
	;; [unrolled: 1-line block ×3, first 2 shown]
	s_waitcnt vmcnt(12)
	v_cvt_f32_i32_e32 v10, v10
	v_add_f32_e32 v1, v1, v8
	v_add_f32_e32 v1, v1, v9
	v_mbcnt_lo_u32_b32 v2, -1, 0
	v_add_f32_e32 v1, v1, v10
	v_mbcnt_hi_u32_b32 v2, -1, v2
	v_lshlrev_b32_e32 v3, 2, v2
	v_cmp_eq_u32_e32 vcc, 0, v2
	s_waitcnt vmcnt(11)
	v_cvt_f32_i32_e32 v11, v11
	s_waitcnt vmcnt(10)
	v_cvt_f32_i32_e32 v12, v12
	;; [unrolled: 2-line block ×5, first 2 shown]
	v_add_f32_e32 v1, v1, v11
	s_waitcnt vmcnt(6)
	v_cvt_f32_i32_e32 v16, v16
	v_add_f32_e32 v1, v1, v12
	s_waitcnt vmcnt(5)
	v_cvt_f32_i32_e32 v17, v17
	;; [unrolled: 3-line block ×7, first 2 shown]
	v_add_f32_e32 v1, v1, v18
	v_add_f32_e32 v1, v1, v4
	v_add_f32_e32 v1, v1, v5
	v_add_f32_e32 v1, v1, v6
	v_add_f32_e32 v1, v1, v7
	v_or_b32_e32 v4, 0xfc, v3
	s_nop 0
	v_add_f32_dpp v1, v1, v1 quad_perm:[1,0,3,2] row_mask:0xf bank_mask:0xf bound_ctrl:1
	s_nop 1
	v_add_f32_dpp v1, v1, v1 quad_perm:[2,3,0,1] row_mask:0xf bank_mask:0xf bound_ctrl:1
	s_nop 1
	v_add_f32_dpp v1, v1, v1 row_ror:4 row_mask:0xf bank_mask:0xf bound_ctrl:1
	s_nop 1
	v_add_f32_dpp v1, v1, v1 row_ror:8 row_mask:0xf bank_mask:0xf bound_ctrl:1
	s_nop 1
	v_add_f32_dpp v1, v1, v1 row_bcast:15 row_mask:0xf bank_mask:0xf bound_ctrl:1
	s_nop 1
	v_add_f32_dpp v1, v1, v1 row_bcast:31 row_mask:0xf bank_mask:0xf bound_ctrl:1
	ds_bpermute_b32 v1, v4, v1
	s_and_saveexec_b64 s[6:7], vcc
	s_cbranch_execz .LBB504_19
; %bb.18:
	v_lshrrev_b32_e32 v4, 4, v0
	v_and_b32_e32 v4, 12, v4
	s_waitcnt lgkmcnt(0)
	ds_write_b32 v4, v1
.LBB504_19:
	s_or_b64 exec, exec, s[6:7]
	v_cmp_gt_u32_e32 vcc, 64, v0
	s_waitcnt lgkmcnt(0)
	s_barrier
	s_and_saveexec_b64 s[6:7], vcc
	s_cbranch_execz .LBB504_21
; %bb.20:
	v_and_b32_e32 v1, 3, v2
	v_lshlrev_b32_e32 v4, 2, v1
	ds_read_b32 v4, v4
	v_cmp_ne_u32_e32 vcc, 3, v1
	s_nop 1
	v_addc_co_u32_e32 v1, vcc, 0, v2, vcc
	v_lshlrev_b32_e32 v1, 2, v1
	s_waitcnt lgkmcnt(0)
	ds_bpermute_b32 v1, v1, v4
	v_or_b32_e32 v2, 8, v3
	s_waitcnt lgkmcnt(0)
	v_add_f32_e32 v1, v4, v1
	ds_bpermute_b32 v2, v2, v1
	s_waitcnt lgkmcnt(0)
	v_add_f32_e32 v1, v1, v2
.LBB504_21:
	s_or_b64 exec, exec, s[6:7]
	s_mov_b64 s[6:7], 0
	s_branch .LBB504_95
.LBB504_22:
                                        ; implicit-def: $vgpr1
	s_branch .LBB504_142
.LBB504_23:
                                        ; implicit-def: $vgpr1
	s_cbranch_execz .LBB504_10
; %bb.24:
	s_sub_i32 s76, s70, s4
	v_mov_b32_e32 v2, 0
	v_cmp_gt_u32_e32 vcc, s76, v0
	v_mov_b32_e32 v3, v2
	v_mov_b32_e32 v4, v2
	;; [unrolled: 1-line block ×31, first 2 shown]
	s_and_saveexec_b64 s[4:5], vcc
	s_cbranch_execz .LBB504_26
; %bb.25:
	v_lshlrev_b32_e32 v1, 2, v0
	global_load_dword v1, v1, s[72:73]
	v_mov_b32_e32 v5, v2
	v_mov_b32_e32 v6, v2
	;; [unrolled: 1-line block ×31, first 2 shown]
	s_waitcnt vmcnt(0)
	v_cvt_f32_i32_e32 v4, v1
	v_mov_b64_e32 v[2:3], v[4:5]
	v_mov_b64_e32 v[4:5], v[6:7]
	;; [unrolled: 1-line block ×16, first 2 shown]
.LBB504_26:
	s_or_b64 exec, exec, s[4:5]
	v_or_b32_e32 v1, 0x100, v0
	v_cmp_gt_u32_e32 vcc, s76, v1
	s_and_saveexec_b64 s[4:5], vcc
	s_cbranch_execz .LBB504_28
; %bb.27:
	v_lshlrev_b32_e32 v1, 2, v0
	global_load_dword v1, v1, s[72:73] offset:1024
	s_waitcnt vmcnt(0)
	v_cvt_f32_i32_e32 v3, v1
.LBB504_28:
	s_or_b64 exec, exec, s[4:5]
	v_or_b32_e32 v1, 0x200, v0
	v_cmp_gt_u32_e64 s[4:5], s76, v1
	s_and_saveexec_b64 s[6:7], s[4:5]
	s_cbranch_execz .LBB504_30
; %bb.29:
	v_lshlrev_b32_e32 v1, 2, v0
	global_load_dword v1, v1, s[72:73] offset:2048
	s_waitcnt vmcnt(0)
	v_cvt_f32_i32_e32 v4, v1
.LBB504_30:
	s_or_b64 exec, exec, s[6:7]
	v_or_b32_e32 v1, 0x300, v0
	v_cmp_gt_u32_e64 s[6:7], s76, v1
	s_and_saveexec_b64 s[8:9], s[6:7]
	;; [unrolled: 11-line block ×3, first 2 shown]
	s_cbranch_execz .LBB504_34
; %bb.33:
	v_lshlrev_b32_e32 v1, 2, v1
	global_load_dword v1, v1, s[72:73]
	s_waitcnt vmcnt(0)
	v_cvt_f32_i32_e32 v6, v1
.LBB504_34:
	s_or_b64 exec, exec, s[10:11]
	v_or_b32_e32 v1, 0x500, v0
	v_cmp_gt_u32_e64 s[10:11], s76, v1
	s_and_saveexec_b64 s[12:13], s[10:11]
	s_cbranch_execz .LBB504_36
; %bb.35:
	v_lshlrev_b32_e32 v1, 2, v1
	global_load_dword v1, v1, s[72:73]
	s_waitcnt vmcnt(0)
	v_cvt_f32_i32_e32 v7, v1
.LBB504_36:
	s_or_b64 exec, exec, s[12:13]
	v_or_b32_e32 v1, 0x600, v0
	v_cmp_gt_u32_e64 s[12:13], s76, v1
	s_and_saveexec_b64 s[14:15], s[12:13]
	;; [unrolled: 11-line block ×27, first 2 shown]
	s_cbranch_execz .LBB504_88
; %bb.87:
	v_lshlrev_b32_e32 v1, 2, v1
	global_load_dword v1, v1, s[72:73]
	s_waitcnt vmcnt(0)
	v_cvt_f32_i32_e32 v33, v1
.LBB504_88:
	s_or_b64 exec, exec, s[74:75]
	v_add_f32_e32 v1, v2, v3
	v_cndmask_b32_e32 v1, v2, v1, vcc
	v_add_f32_e32 v2, v4, v1
	v_cndmask_b32_e64 v1, v1, v2, s[4:5]
	v_add_f32_e32 v2, v5, v1
	v_cndmask_b32_e64 v1, v1, v2, s[6:7]
	;; [unrolled: 2-line block ×30, first 2 shown]
	v_mbcnt_lo_u32_b32 v2, -1, 0
	v_mbcnt_hi_u32_b32 v2, -1, v2
	v_and_b32_e32 v4, 63, v2
	v_cmp_ne_u32_e32 vcc, 63, v4
	s_min_u32 s8, s76, 0x100
	v_and_b32_e32 v5, 0xc0, v0
	v_addc_co_u32_e32 v3, vcc, 0, v2, vcc
	v_lshlrev_b32_e32 v3, 2, v3
	ds_bpermute_b32 v3, v3, v1
	v_sub_u32_e64 v5, s8, v5 clamp
	v_add_u32_e32 v6, 1, v4
	v_cmp_gt_u32_e64 s[4:5], 62, v4
	v_cmp_lt_u32_e32 vcc, v6, v5
	s_waitcnt lgkmcnt(0)
	v_add_f32_e32 v3, v1, v3
	v_cndmask_b32_e64 v6, 0, 2, s[4:5]
	v_cndmask_b32_e32 v3, v1, v3, vcc
	v_add_lshl_u32 v6, v6, v2, 2
	ds_bpermute_b32 v6, v6, v3
	v_add_u32_e32 v7, 2, v4
	v_cmp_lt_u32_e64 s[4:5], v7, v5
	v_add_u32_e32 v7, 4, v4
	s_waitcnt lgkmcnt(0)
	v_add_f32_e32 v6, v3, v6
	v_cndmask_b32_e64 v3, v3, v6, s[4:5]
	v_cmp_gt_u32_e64 s[4:5], 60, v4
	s_nop 1
	v_cndmask_b32_e64 v6, 0, 4, s[4:5]
	v_add_lshl_u32 v6, v6, v2, 2
	ds_bpermute_b32 v6, v6, v3
	v_cmp_lt_u32_e64 s[4:5], v7, v5
	v_add_u32_e32 v7, 8, v4
	s_waitcnt lgkmcnt(0)
	v_add_f32_e32 v6, v3, v6
	v_cndmask_b32_e64 v3, v3, v6, s[4:5]
	v_cmp_gt_u32_e64 s[4:5], 56, v4
	s_nop 1
	v_cndmask_b32_e64 v6, 0, 8, s[4:5]
	v_add_lshl_u32 v6, v6, v2, 2
	ds_bpermute_b32 v6, v6, v3
	v_cmp_lt_u32_e64 s[4:5], v7, v5
	v_add_u32_e32 v7, 16, v4
	s_waitcnt lgkmcnt(0)
	v_add_f32_e32 v6, v3, v6
	v_cndmask_b32_e64 v3, v3, v6, s[4:5]
	v_cmp_gt_u32_e64 s[4:5], 48, v4
	v_add_u32_e32 v4, 32, v4
	s_nop 0
	v_cndmask_b32_e64 v6, 0, 16, s[4:5]
	v_add_lshl_u32 v6, v6, v2, 2
	ds_bpermute_b32 v6, v6, v3
	v_cmp_lt_u32_e64 s[4:5], v7, v5
	s_waitcnt lgkmcnt(0)
	v_add_f32_e32 v6, v3, v6
	v_cndmask_b32_e64 v6, v3, v6, s[4:5]
	v_lshlrev_b32_e32 v3, 2, v2
	v_or_b32_e32 v7, 0x80, v3
	ds_bpermute_b32 v7, v7, v6
	v_cmp_lt_u32_e64 s[4:5], v4, v5
	s_waitcnt lgkmcnt(0)
	v_add_f32_e32 v7, v6, v7
	v_cndmask_b32_e64 v4, v6, v7, s[4:5]
	v_cndmask_b32_e32 v1, v1, v4, vcc
	v_cmp_eq_u32_e32 vcc, 0, v2
	s_and_saveexec_b64 s[4:5], vcc
; %bb.89:
	v_lshrrev_b32_e32 v4, 4, v0
	v_and_b32_e32 v4, 12, v4
	ds_write_b32 v4, v1 offset:96
; %bb.90:
	s_or_b64 exec, exec, s[4:5]
	v_cmp_gt_u32_e32 vcc, 4, v0
	s_waitcnt lgkmcnt(0)
	s_barrier
	s_and_saveexec_b64 s[6:7], vcc
	s_cbranch_execz .LBB504_92
; %bb.91:
	ds_read_b32 v1, v3 offset:96
	v_and_b32_e32 v4, 3, v2
	v_cmp_ne_u32_e32 vcc, 3, v4
	s_add_i32 s8, s8, 63
	s_lshr_b32 s4, s8, 6
	v_addc_co_u32_e32 v2, vcc, 0, v2, vcc
	v_lshlrev_b32_e32 v2, 2, v2
	s_waitcnt lgkmcnt(0)
	ds_bpermute_b32 v2, v2, v1
	v_add_u32_e32 v5, 1, v4
	v_cmp_gt_u32_e32 vcc, s4, v5
	v_or_b32_e32 v3, 8, v3
	v_add_u32_e32 v4, 2, v4
	s_waitcnt lgkmcnt(0)
	v_add_f32_e32 v2, v1, v2
	v_cndmask_b32_e32 v2, v1, v2, vcc
	ds_bpermute_b32 v3, v3, v2
	v_cmp_gt_u32_e64 s[4:5], s4, v4
	s_waitcnt lgkmcnt(0)
	v_add_f32_e32 v3, v2, v3
	v_cndmask_b32_e64 v2, v2, v3, s[4:5]
	v_cndmask_b32_e32 v1, v1, v2, vcc
.LBB504_92:
	s_or_b64 exec, exec, s[6:7]
	v_cmp_eq_u32_e64 s[4:5], 0, v0
	s_and_b64 vcc, exec, s[66:67]
	s_cbranch_vccnz .LBB504_15
.LBB504_93:
	s_branch .LBB504_142
.LBB504_94:
	s_mov_b64 s[6:7], -1
                                        ; implicit-def: $vgpr1
.LBB504_95:
	s_and_b64 vcc, exec, s[6:7]
	s_cbranch_vccz .LBB504_133
; %bb.96:
	s_sub_i32 s38, s70, s4
	v_mov_b32_e32 v2, 0
	v_cmp_gt_u32_e32 vcc, s38, v0
	v_mov_b32_e32 v3, v2
	v_mov_b32_e32 v4, v2
	;; [unrolled: 1-line block ×15, first 2 shown]
	s_and_saveexec_b64 s[4:5], vcc
	s_cbranch_execz .LBB504_98
; %bb.97:
	v_lshlrev_b32_e32 v1, 2, v0
	global_load_dword v1, v1, s[34:35]
	v_mov_b32_e32 v5, v2
	v_mov_b32_e32 v6, v2
	;; [unrolled: 1-line block ×15, first 2 shown]
	s_waitcnt vmcnt(0)
	v_cvt_f32_i32_e32 v4, v1
	v_mov_b64_e32 v[2:3], v[4:5]
	v_mov_b64_e32 v[4:5], v[6:7]
	;; [unrolled: 1-line block ×8, first 2 shown]
.LBB504_98:
	s_or_b64 exec, exec, s[4:5]
	v_or_b32_e32 v1, 0x100, v0
	v_cmp_gt_u32_e32 vcc, s38, v1
	s_and_saveexec_b64 s[4:5], vcc
	s_cbranch_execz .LBB504_100
; %bb.99:
	v_lshlrev_b32_e32 v1, 2, v0
	global_load_dword v1, v1, s[34:35] offset:1024
	s_waitcnt vmcnt(0)
	v_cvt_f32_i32_e32 v3, v1
.LBB504_100:
	s_or_b64 exec, exec, s[4:5]
	v_or_b32_e32 v1, 0x200, v0
	v_cmp_gt_u32_e64 s[4:5], s38, v1
	s_and_saveexec_b64 s[6:7], s[4:5]
	s_cbranch_execz .LBB504_102
; %bb.101:
	v_lshlrev_b32_e32 v1, 2, v0
	global_load_dword v1, v1, s[34:35] offset:2048
	s_waitcnt vmcnt(0)
	v_cvt_f32_i32_e32 v4, v1
.LBB504_102:
	s_or_b64 exec, exec, s[6:7]
	v_or_b32_e32 v1, 0x300, v0
	v_cmp_gt_u32_e64 s[6:7], s38, v1
	s_and_saveexec_b64 s[8:9], s[6:7]
	;; [unrolled: 11-line block ×3, first 2 shown]
	s_cbranch_execz .LBB504_106
; %bb.105:
	v_lshlrev_b32_e32 v1, 2, v1
	global_load_dword v1, v1, s[34:35]
	s_waitcnt vmcnt(0)
	v_cvt_f32_i32_e32 v6, v1
.LBB504_106:
	s_or_b64 exec, exec, s[10:11]
	v_or_b32_e32 v1, 0x500, v0
	v_cmp_gt_u32_e64 s[10:11], s38, v1
	s_and_saveexec_b64 s[12:13], s[10:11]
	s_cbranch_execz .LBB504_108
; %bb.107:
	v_lshlrev_b32_e32 v1, 2, v1
	global_load_dword v1, v1, s[34:35]
	s_waitcnt vmcnt(0)
	v_cvt_f32_i32_e32 v7, v1
.LBB504_108:
	s_or_b64 exec, exec, s[12:13]
	v_or_b32_e32 v1, 0x600, v0
	v_cmp_gt_u32_e64 s[12:13], s38, v1
	s_and_saveexec_b64 s[14:15], s[12:13]
	;; [unrolled: 11-line block ×11, first 2 shown]
	s_cbranch_execz .LBB504_128
; %bb.127:
	v_lshlrev_b32_e32 v1, 2, v1
	global_load_dword v1, v1, s[34:35]
	s_waitcnt vmcnt(0)
	v_cvt_f32_i32_e32 v17, v1
.LBB504_128:
	s_or_b64 exec, exec, s[36:37]
	v_add_f32_e32 v1, v2, v3
	v_cndmask_b32_e32 v1, v2, v1, vcc
	v_add_f32_e32 v2, v4, v1
	v_cndmask_b32_e64 v1, v1, v2, s[4:5]
	v_add_f32_e32 v2, v5, v1
	v_cndmask_b32_e64 v1, v1, v2, s[6:7]
	;; [unrolled: 2-line block ×14, first 2 shown]
	v_mbcnt_lo_u32_b32 v2, -1, 0
	v_mbcnt_hi_u32_b32 v2, -1, v2
	v_and_b32_e32 v4, 63, v2
	v_cmp_ne_u32_e32 vcc, 63, v4
	s_min_u32 s8, s38, 0x100
	v_and_b32_e32 v5, 0xc0, v0
	v_addc_co_u32_e32 v3, vcc, 0, v2, vcc
	v_lshlrev_b32_e32 v3, 2, v3
	ds_bpermute_b32 v3, v3, v1
	v_sub_u32_e64 v5, s8, v5 clamp
	v_add_u32_e32 v6, 1, v4
	v_cmp_gt_u32_e64 s[4:5], 62, v4
	v_cmp_lt_u32_e32 vcc, v6, v5
	s_waitcnt lgkmcnt(0)
	v_add_f32_e32 v3, v1, v3
	v_cndmask_b32_e64 v6, 0, 2, s[4:5]
	v_cndmask_b32_e32 v3, v1, v3, vcc
	v_add_lshl_u32 v6, v6, v2, 2
	ds_bpermute_b32 v6, v6, v3
	v_add_u32_e32 v7, 2, v4
	v_cmp_lt_u32_e64 s[4:5], v7, v5
	v_add_u32_e32 v7, 4, v4
	s_waitcnt lgkmcnt(0)
	v_add_f32_e32 v6, v3, v6
	v_cndmask_b32_e64 v3, v3, v6, s[4:5]
	v_cmp_gt_u32_e64 s[4:5], 60, v4
	s_nop 1
	v_cndmask_b32_e64 v6, 0, 4, s[4:5]
	v_add_lshl_u32 v6, v6, v2, 2
	ds_bpermute_b32 v6, v6, v3
	v_cmp_lt_u32_e64 s[4:5], v7, v5
	v_add_u32_e32 v7, 8, v4
	s_waitcnt lgkmcnt(0)
	v_add_f32_e32 v6, v3, v6
	v_cndmask_b32_e64 v3, v3, v6, s[4:5]
	v_cmp_gt_u32_e64 s[4:5], 56, v4
	s_nop 1
	v_cndmask_b32_e64 v6, 0, 8, s[4:5]
	v_add_lshl_u32 v6, v6, v2, 2
	ds_bpermute_b32 v6, v6, v3
	v_cmp_lt_u32_e64 s[4:5], v7, v5
	v_add_u32_e32 v7, 16, v4
	s_waitcnt lgkmcnt(0)
	v_add_f32_e32 v6, v3, v6
	v_cndmask_b32_e64 v3, v3, v6, s[4:5]
	v_cmp_gt_u32_e64 s[4:5], 48, v4
	v_add_u32_e32 v4, 32, v4
	s_nop 0
	v_cndmask_b32_e64 v6, 0, 16, s[4:5]
	v_add_lshl_u32 v6, v6, v2, 2
	ds_bpermute_b32 v6, v6, v3
	v_cmp_lt_u32_e64 s[4:5], v7, v5
	s_waitcnt lgkmcnt(0)
	v_add_f32_e32 v6, v3, v6
	v_cndmask_b32_e64 v6, v3, v6, s[4:5]
	v_lshlrev_b32_e32 v3, 2, v2
	v_or_b32_e32 v7, 0x80, v3
	ds_bpermute_b32 v7, v7, v6
	v_cmp_lt_u32_e64 s[4:5], v4, v5
	s_waitcnt lgkmcnt(0)
	v_add_f32_e32 v7, v6, v7
	v_cndmask_b32_e64 v4, v6, v7, s[4:5]
	v_cndmask_b32_e32 v1, v1, v4, vcc
	v_cmp_eq_u32_e32 vcc, 0, v2
	s_and_saveexec_b64 s[4:5], vcc
; %bb.129:
	v_lshrrev_b32_e32 v4, 4, v0
	v_and_b32_e32 v4, 12, v4
	ds_write_b32 v4, v1 offset:96
; %bb.130:
	s_or_b64 exec, exec, s[4:5]
	v_cmp_gt_u32_e32 vcc, 4, v0
	s_waitcnt lgkmcnt(0)
	s_barrier
	s_and_saveexec_b64 s[6:7], vcc
	s_cbranch_execz .LBB504_132
; %bb.131:
	ds_read_b32 v1, v3 offset:96
	v_and_b32_e32 v4, 3, v2
	v_cmp_ne_u32_e32 vcc, 3, v4
	s_add_i32 s8, s8, 63
	s_lshr_b32 s4, s8, 6
	v_addc_co_u32_e32 v2, vcc, 0, v2, vcc
	v_lshlrev_b32_e32 v2, 2, v2
	s_waitcnt lgkmcnt(0)
	ds_bpermute_b32 v2, v2, v1
	v_add_u32_e32 v5, 1, v4
	v_cmp_gt_u32_e32 vcc, s4, v5
	v_or_b32_e32 v3, 8, v3
	v_add_u32_e32 v4, 2, v4
	s_waitcnt lgkmcnt(0)
	v_add_f32_e32 v2, v1, v2
	v_cndmask_b32_e32 v2, v1, v2, vcc
	ds_bpermute_b32 v3, v3, v2
	v_cmp_gt_u32_e64 s[4:5], s4, v4
	s_waitcnt lgkmcnt(0)
	v_add_f32_e32 v3, v2, v3
	v_cndmask_b32_e64 v2, v2, v3, s[4:5]
	v_cndmask_b32_e32 v1, v1, v2, vcc
.LBB504_132:
	s_or_b64 exec, exec, s[6:7]
.LBB504_133:
	v_cmp_eq_u32_e64 s[4:5], 0, v0
	s_branch .LBB504_142
.LBB504_134:
	s_cmp_eq_u32 s33, 8
	s_cbranch_scc0 .LBB504_141
; %bb.135:
	s_mov_b32 s3, 0
	s_lshl_b32 s4, s2, 11
	s_mov_b32 s5, s3
	s_lshr_b64 s[6:7], s[70:71], 11
	s_lshl_b64 s[8:9], s[4:5], 2
	s_add_u32 s16, s68, s8
	s_addc_u32 s17, s69, s9
	s_cmp_lg_u64 s[6:7], s[2:3]
	s_cbranch_scc0 .LBB504_143
; %bb.136:
	v_lshlrev_b32_e32 v2, 2, v0
	v_mov_b32_e32 v3, 0
	v_lshl_add_u64 v[4:5], s[16:17], 0, v[2:3]
	v_add_co_u32_e32 v4, vcc, 0x1000, v4
	s_nop 1
	v_addc_co_u32_e32 v5, vcc, 0, v5, vcc
	global_load_dword v1, v2, s[16:17]
	global_load_dword v6, v2, s[16:17] offset:1024
	global_load_dword v7, v2, s[16:17] offset:2048
	;; [unrolled: 1-line block ×3, first 2 shown]
	global_load_dword v9, v[4:5], off
	global_load_dword v10, v[4:5], off offset:1024
	global_load_dword v11, v[4:5], off offset:2048
	;; [unrolled: 1-line block ×3, first 2 shown]
	v_mbcnt_lo_u32_b32 v2, -1, 0
	v_mbcnt_hi_u32_b32 v2, -1, v2
	v_lshlrev_b32_e32 v3, 2, v2
	v_cmp_eq_u32_e32 vcc, 0, v2
	s_waitcnt vmcnt(7)
	v_cvt_f32_i32_e32 v1, v1
	s_waitcnt vmcnt(6)
	v_cvt_f32_i32_e32 v4, v6
	;; [unrolled: 2-line block ×6, first 2 shown]
	v_add_f32_e32 v1, v1, v4
	s_waitcnt vmcnt(1)
	v_cvt_f32_i32_e32 v9, v11
	v_add_f32_e32 v1, v1, v5
	s_waitcnt vmcnt(0)
	v_cvt_f32_i32_e32 v10, v12
	v_add_f32_e32 v1, v1, v6
	v_add_f32_e32 v1, v1, v7
	;; [unrolled: 1-line block ×5, first 2 shown]
	v_or_b32_e32 v4, 0xfc, v3
	s_nop 0
	v_add_f32_dpp v1, v1, v1 quad_perm:[1,0,3,2] row_mask:0xf bank_mask:0xf bound_ctrl:1
	s_nop 1
	v_add_f32_dpp v1, v1, v1 quad_perm:[2,3,0,1] row_mask:0xf bank_mask:0xf bound_ctrl:1
	s_nop 1
	v_add_f32_dpp v1, v1, v1 row_ror:4 row_mask:0xf bank_mask:0xf bound_ctrl:1
	s_nop 1
	v_add_f32_dpp v1, v1, v1 row_ror:8 row_mask:0xf bank_mask:0xf bound_ctrl:1
	s_nop 1
	v_add_f32_dpp v1, v1, v1 row_bcast:15 row_mask:0xf bank_mask:0xf bound_ctrl:1
	s_nop 1
	v_add_f32_dpp v1, v1, v1 row_bcast:31 row_mask:0xf bank_mask:0xf bound_ctrl:1
	ds_bpermute_b32 v1, v4, v1
	s_and_saveexec_b64 s[6:7], vcc
	s_cbranch_execz .LBB504_138
; %bb.137:
	v_lshrrev_b32_e32 v4, 4, v0
	v_and_b32_e32 v4, 12, v4
	s_waitcnt lgkmcnt(0)
	ds_write_b32 v4, v1 offset:80
.LBB504_138:
	s_or_b64 exec, exec, s[6:7]
	v_cmp_gt_u32_e32 vcc, 64, v0
	s_waitcnt lgkmcnt(0)
	s_barrier
	s_and_saveexec_b64 s[6:7], vcc
	s_cbranch_execz .LBB504_140
; %bb.139:
	v_and_b32_e32 v1, 3, v2
	v_lshlrev_b32_e32 v4, 2, v1
	ds_read_b32 v4, v4 offset:80
	v_cmp_ne_u32_e32 vcc, 3, v1
	s_nop 1
	v_addc_co_u32_e32 v1, vcc, 0, v2, vcc
	v_lshlrev_b32_e32 v1, 2, v1
	s_waitcnt lgkmcnt(0)
	ds_bpermute_b32 v1, v1, v4
	v_or_b32_e32 v2, 8, v3
	s_waitcnt lgkmcnt(0)
	v_add_f32_e32 v1, v4, v1
	ds_bpermute_b32 v2, v2, v1
	s_waitcnt lgkmcnt(0)
	v_add_f32_e32 v1, v1, v2
.LBB504_140:
	s_or_b64 exec, exec, s[6:7]
	s_branch .LBB504_165
.LBB504_141:
                                        ; implicit-def: $vgpr1
.LBB504_142:
	s_branch .LBB504_224
.LBB504_143:
                                        ; implicit-def: $vgpr1
	s_cbranch_execz .LBB504_165
; %bb.144:
	s_sub_i32 s20, s70, s4
	v_mov_b32_e32 v2, 0
	v_cmp_gt_u32_e32 vcc, s20, v0
	v_mov_b32_e32 v3, v2
	v_mov_b32_e32 v4, v2
	;; [unrolled: 1-line block ×7, first 2 shown]
	s_and_saveexec_b64 s[4:5], vcc
	s_cbranch_execz .LBB504_146
; %bb.145:
	v_lshlrev_b32_e32 v1, 2, v0
	global_load_dword v1, v1, s[16:17]
	v_mov_b32_e32 v5, v2
	v_mov_b32_e32 v6, v2
	;; [unrolled: 1-line block ×7, first 2 shown]
	s_waitcnt vmcnt(0)
	v_cvt_f32_i32_e32 v4, v1
	v_mov_b64_e32 v[2:3], v[4:5]
	v_mov_b64_e32 v[4:5], v[6:7]
	;; [unrolled: 1-line block ×4, first 2 shown]
.LBB504_146:
	s_or_b64 exec, exec, s[4:5]
	v_or_b32_e32 v1, 0x100, v0
	v_cmp_gt_u32_e32 vcc, s20, v1
	s_and_saveexec_b64 s[4:5], vcc
	s_cbranch_execz .LBB504_148
; %bb.147:
	v_lshlrev_b32_e32 v1, 2, v0
	global_load_dword v1, v1, s[16:17] offset:1024
	s_waitcnt vmcnt(0)
	v_cvt_f32_i32_e32 v3, v1
.LBB504_148:
	s_or_b64 exec, exec, s[4:5]
	v_or_b32_e32 v1, 0x200, v0
	v_cmp_gt_u32_e64 s[4:5], s20, v1
	s_and_saveexec_b64 s[6:7], s[4:5]
	s_cbranch_execz .LBB504_150
; %bb.149:
	v_lshlrev_b32_e32 v1, 2, v0
	global_load_dword v1, v1, s[16:17] offset:2048
	s_waitcnt vmcnt(0)
	v_cvt_f32_i32_e32 v4, v1
.LBB504_150:
	s_or_b64 exec, exec, s[6:7]
	v_or_b32_e32 v1, 0x300, v0
	v_cmp_gt_u32_e64 s[6:7], s20, v1
	s_and_saveexec_b64 s[8:9], s[6:7]
	;; [unrolled: 11-line block ×3, first 2 shown]
	s_cbranch_execz .LBB504_154
; %bb.153:
	v_lshlrev_b32_e32 v1, 2, v1
	global_load_dword v1, v1, s[16:17]
	s_waitcnt vmcnt(0)
	v_cvt_f32_i32_e32 v6, v1
.LBB504_154:
	s_or_b64 exec, exec, s[10:11]
	v_or_b32_e32 v1, 0x500, v0
	v_cmp_gt_u32_e64 s[10:11], s20, v1
	s_and_saveexec_b64 s[12:13], s[10:11]
	s_cbranch_execz .LBB504_156
; %bb.155:
	v_lshlrev_b32_e32 v1, 2, v1
	global_load_dword v1, v1, s[16:17]
	s_waitcnt vmcnt(0)
	v_cvt_f32_i32_e32 v7, v1
.LBB504_156:
	s_or_b64 exec, exec, s[12:13]
	v_or_b32_e32 v1, 0x600, v0
	v_cmp_gt_u32_e64 s[12:13], s20, v1
	s_and_saveexec_b64 s[14:15], s[12:13]
	;; [unrolled: 11-line block ×3, first 2 shown]
	s_cbranch_execz .LBB504_160
; %bb.159:
	v_lshlrev_b32_e32 v1, 2, v1
	global_load_dword v1, v1, s[16:17]
	s_waitcnt vmcnt(0)
	v_cvt_f32_i32_e32 v9, v1
.LBB504_160:
	s_or_b64 exec, exec, s[18:19]
	v_add_f32_e32 v1, v2, v3
	v_cndmask_b32_e32 v1, v2, v1, vcc
	v_add_f32_e32 v2, v4, v1
	v_cndmask_b32_e64 v1, v1, v2, s[4:5]
	v_add_f32_e32 v2, v5, v1
	v_cndmask_b32_e64 v1, v1, v2, s[6:7]
	;; [unrolled: 2-line block ×6, first 2 shown]
	v_mbcnt_lo_u32_b32 v2, -1, 0
	v_mbcnt_hi_u32_b32 v2, -1, v2
	v_and_b32_e32 v4, 63, v2
	v_cmp_ne_u32_e32 vcc, 63, v4
	s_min_u32 s8, s20, 0x100
	v_and_b32_e32 v5, 0xc0, v0
	v_addc_co_u32_e32 v3, vcc, 0, v2, vcc
	v_lshlrev_b32_e32 v3, 2, v3
	ds_bpermute_b32 v3, v3, v1
	v_sub_u32_e64 v5, s8, v5 clamp
	v_add_u32_e32 v6, 1, v4
	v_cmp_gt_u32_e64 s[4:5], 62, v4
	v_cmp_lt_u32_e32 vcc, v6, v5
	s_waitcnt lgkmcnt(0)
	v_add_f32_e32 v3, v1, v3
	v_cndmask_b32_e64 v6, 0, 2, s[4:5]
	v_cndmask_b32_e32 v3, v1, v3, vcc
	v_add_lshl_u32 v6, v6, v2, 2
	ds_bpermute_b32 v6, v6, v3
	v_add_u32_e32 v7, 2, v4
	v_cmp_lt_u32_e64 s[4:5], v7, v5
	v_add_u32_e32 v7, 4, v4
	s_waitcnt lgkmcnt(0)
	v_add_f32_e32 v6, v3, v6
	v_cndmask_b32_e64 v3, v3, v6, s[4:5]
	v_cmp_gt_u32_e64 s[4:5], 60, v4
	s_nop 1
	v_cndmask_b32_e64 v6, 0, 4, s[4:5]
	v_add_lshl_u32 v6, v6, v2, 2
	ds_bpermute_b32 v6, v6, v3
	v_cmp_lt_u32_e64 s[4:5], v7, v5
	v_add_u32_e32 v7, 8, v4
	s_waitcnt lgkmcnt(0)
	v_add_f32_e32 v6, v3, v6
	v_cndmask_b32_e64 v3, v3, v6, s[4:5]
	v_cmp_gt_u32_e64 s[4:5], 56, v4
	s_nop 1
	v_cndmask_b32_e64 v6, 0, 8, s[4:5]
	v_add_lshl_u32 v6, v6, v2, 2
	ds_bpermute_b32 v6, v6, v3
	v_cmp_lt_u32_e64 s[4:5], v7, v5
	v_add_u32_e32 v7, 16, v4
	s_waitcnt lgkmcnt(0)
	v_add_f32_e32 v6, v3, v6
	v_cndmask_b32_e64 v3, v3, v6, s[4:5]
	v_cmp_gt_u32_e64 s[4:5], 48, v4
	v_add_u32_e32 v4, 32, v4
	s_nop 0
	v_cndmask_b32_e64 v6, 0, 16, s[4:5]
	v_add_lshl_u32 v6, v6, v2, 2
	ds_bpermute_b32 v6, v6, v3
	v_cmp_lt_u32_e64 s[4:5], v7, v5
	s_waitcnt lgkmcnt(0)
	v_add_f32_e32 v6, v3, v6
	v_cndmask_b32_e64 v6, v3, v6, s[4:5]
	v_lshlrev_b32_e32 v3, 2, v2
	v_or_b32_e32 v7, 0x80, v3
	ds_bpermute_b32 v7, v7, v6
	v_cmp_lt_u32_e64 s[4:5], v4, v5
	s_waitcnt lgkmcnt(0)
	v_add_f32_e32 v7, v6, v7
	v_cndmask_b32_e64 v4, v6, v7, s[4:5]
	v_cndmask_b32_e32 v1, v1, v4, vcc
	v_cmp_eq_u32_e32 vcc, 0, v2
	s_and_saveexec_b64 s[4:5], vcc
; %bb.161:
	v_lshrrev_b32_e32 v4, 4, v0
	v_and_b32_e32 v4, 12, v4
	ds_write_b32 v4, v1 offset:96
; %bb.162:
	s_or_b64 exec, exec, s[4:5]
	v_cmp_gt_u32_e32 vcc, 4, v0
	s_waitcnt lgkmcnt(0)
	s_barrier
	s_and_saveexec_b64 s[6:7], vcc
	s_cbranch_execz .LBB504_164
; %bb.163:
	ds_read_b32 v1, v3 offset:96
	v_and_b32_e32 v4, 3, v2
	v_cmp_ne_u32_e32 vcc, 3, v4
	s_add_i32 s8, s8, 63
	s_lshr_b32 s4, s8, 6
	v_addc_co_u32_e32 v2, vcc, 0, v2, vcc
	v_lshlrev_b32_e32 v2, 2, v2
	s_waitcnt lgkmcnt(0)
	ds_bpermute_b32 v2, v2, v1
	v_add_u32_e32 v5, 1, v4
	v_cmp_gt_u32_e32 vcc, s4, v5
	v_or_b32_e32 v3, 8, v3
	v_add_u32_e32 v4, 2, v4
	s_waitcnt lgkmcnt(0)
	v_add_f32_e32 v2, v1, v2
	v_cndmask_b32_e32 v2, v1, v2, vcc
	ds_bpermute_b32 v3, v3, v2
	v_cmp_gt_u32_e64 s[4:5], s4, v4
	s_waitcnt lgkmcnt(0)
	v_add_f32_e32 v3, v2, v3
	v_cndmask_b32_e64 v2, v2, v3, s[4:5]
	v_cndmask_b32_e32 v1, v1, v2, vcc
.LBB504_164:
	s_or_b64 exec, exec, s[6:7]
.LBB504_165:
	v_cmp_eq_u32_e64 s[4:5], 0, v0
	s_branch .LBB504_224
.LBB504_166:
	s_cmp_gt_i32 s33, 1
	s_cbranch_scc0 .LBB504_175
; %bb.167:
	s_cmp_gt_i32 s33, 3
	s_cbranch_scc0 .LBB504_176
; %bb.168:
	s_cmp_eq_u32 s33, 4
	s_cbranch_scc0 .LBB504_177
; %bb.169:
	s_mov_b32 s3, 0
	s_lshl_b32 s4, s2, 10
	s_mov_b32 s5, s3
	s_lshr_b64 s[6:7], s[70:71], 10
	s_lshl_b64 s[8:9], s[4:5], 2
	s_add_u32 s8, s68, s8
	s_addc_u32 s9, s69, s9
	s_cmp_lg_u64 s[6:7], s[2:3]
	s_cbranch_scc0 .LBB504_179
; %bb.170:
	v_lshlrev_b32_e32 v1, 2, v0
	global_load_dword v3, v1, s[8:9]
	global_load_dword v4, v1, s[8:9] offset:1024
	global_load_dword v5, v1, s[8:9] offset:2048
	global_load_dword v6, v1, s[8:9] offset:3072
	v_mbcnt_lo_u32_b32 v1, -1, 0
	v_mbcnt_hi_u32_b32 v2, -1, v1
	v_cmp_eq_u32_e32 vcc, 0, v2
	s_waitcnt vmcnt(3)
	v_cvt_f32_i32_e32 v1, v3
	s_waitcnt vmcnt(2)
	v_cvt_f32_i32_e32 v4, v4
	;; [unrolled: 2-line block ×4, first 2 shown]
	v_lshlrev_b32_e32 v3, 2, v2
	v_add_f32_e32 v1, v1, v4
	v_add_f32_e32 v1, v1, v5
	;; [unrolled: 1-line block ×3, first 2 shown]
	v_or_b32_e32 v4, 0xfc, v3
	s_nop 0
	v_add_f32_dpp v1, v1, v1 quad_perm:[1,0,3,2] row_mask:0xf bank_mask:0xf bound_ctrl:1
	s_nop 1
	v_add_f32_dpp v1, v1, v1 quad_perm:[2,3,0,1] row_mask:0xf bank_mask:0xf bound_ctrl:1
	s_nop 1
	v_add_f32_dpp v1, v1, v1 row_ror:4 row_mask:0xf bank_mask:0xf bound_ctrl:1
	s_nop 1
	v_add_f32_dpp v1, v1, v1 row_ror:8 row_mask:0xf bank_mask:0xf bound_ctrl:1
	s_nop 1
	v_add_f32_dpp v1, v1, v1 row_bcast:15 row_mask:0xf bank_mask:0xf bound_ctrl:1
	s_nop 1
	v_add_f32_dpp v1, v1, v1 row_bcast:31 row_mask:0xf bank_mask:0xf bound_ctrl:1
	ds_bpermute_b32 v1, v4, v1
	s_and_saveexec_b64 s[6:7], vcc
	s_cbranch_execz .LBB504_172
; %bb.171:
	v_lshrrev_b32_e32 v4, 4, v0
	v_and_b32_e32 v4, 12, v4
	s_waitcnt lgkmcnt(0)
	ds_write_b32 v4, v1 offset:64
.LBB504_172:
	s_or_b64 exec, exec, s[6:7]
	v_cmp_gt_u32_e32 vcc, 64, v0
	s_waitcnt lgkmcnt(0)
	s_barrier
	s_and_saveexec_b64 s[6:7], vcc
	s_cbranch_execz .LBB504_174
; %bb.173:
	v_and_b32_e32 v1, 3, v2
	v_lshlrev_b32_e32 v4, 2, v1
	ds_read_b32 v4, v4 offset:64
	v_cmp_ne_u32_e32 vcc, 3, v1
	s_nop 1
	v_addc_co_u32_e32 v1, vcc, 0, v2, vcc
	v_lshlrev_b32_e32 v1, 2, v1
	s_waitcnt lgkmcnt(0)
	ds_bpermute_b32 v1, v1, v4
	v_or_b32_e32 v2, 8, v3
	s_waitcnt lgkmcnt(0)
	v_add_f32_e32 v1, v4, v1
	ds_bpermute_b32 v2, v2, v1
	s_waitcnt lgkmcnt(0)
	v_add_f32_e32 v1, v1, v2
.LBB504_174:
	s_or_b64 exec, exec, s[6:7]
	s_mov_b64 s[6:7], 0
	s_branch .LBB504_180
.LBB504_175:
                                        ; implicit-def: $vgpr1
	s_cbranch_execnz .LBB504_215
	s_branch .LBB504_224
.LBB504_176:
                                        ; implicit-def: $vgpr1
	s_cbranch_execz .LBB504_178
	s_branch .LBB504_195
.LBB504_177:
                                        ; implicit-def: $vgpr1
.LBB504_178:
	s_branch .LBB504_224
.LBB504_179:
	s_mov_b64 s[6:7], -1
                                        ; implicit-def: $vgpr1
.LBB504_180:
	s_and_b64 vcc, exec, s[6:7]
	s_cbranch_vccz .LBB504_194
; %bb.181:
	s_sub_i32 s12, s70, s4
	v_mov_b32_e32 v2, 0
	v_cmp_gt_u32_e32 vcc, s12, v0
	v_mov_b32_e32 v3, v2
	v_mov_b32_e32 v4, v2
	;; [unrolled: 1-line block ×3, first 2 shown]
	s_and_saveexec_b64 s[4:5], vcc
	s_cbranch_execz .LBB504_183
; %bb.182:
	v_lshlrev_b32_e32 v1, 2, v0
	global_load_dword v1, v1, s[8:9]
	v_mov_b32_e32 v5, v2
	v_mov_b32_e32 v6, v2
	;; [unrolled: 1-line block ×3, first 2 shown]
	s_waitcnt vmcnt(0)
	v_cvt_f32_i32_e32 v4, v1
	v_mov_b64_e32 v[2:3], v[4:5]
	v_mov_b64_e32 v[4:5], v[6:7]
.LBB504_183:
	s_or_b64 exec, exec, s[4:5]
	v_or_b32_e32 v1, 0x100, v0
	v_cmp_gt_u32_e32 vcc, s12, v1
	s_and_saveexec_b64 s[4:5], vcc
	s_cbranch_execz .LBB504_185
; %bb.184:
	v_lshlrev_b32_e32 v1, 2, v0
	global_load_dword v1, v1, s[8:9] offset:1024
	s_waitcnt vmcnt(0)
	v_cvt_f32_i32_e32 v3, v1
.LBB504_185:
	s_or_b64 exec, exec, s[4:5]
	v_or_b32_e32 v1, 0x200, v0
	v_cmp_gt_u32_e64 s[4:5], s12, v1
	s_and_saveexec_b64 s[6:7], s[4:5]
	s_cbranch_execz .LBB504_187
; %bb.186:
	v_lshlrev_b32_e32 v1, 2, v0
	global_load_dword v1, v1, s[8:9] offset:2048
	s_waitcnt vmcnt(0)
	v_cvt_f32_i32_e32 v4, v1
.LBB504_187:
	s_or_b64 exec, exec, s[6:7]
	v_or_b32_e32 v1, 0x300, v0
	v_cmp_gt_u32_e64 s[6:7], s12, v1
	s_and_saveexec_b64 s[10:11], s[6:7]
	s_cbranch_execz .LBB504_189
; %bb.188:
	v_lshlrev_b32_e32 v1, 2, v0
	global_load_dword v1, v1, s[8:9] offset:3072
	s_waitcnt vmcnt(0)
	v_cvt_f32_i32_e32 v5, v1
.LBB504_189:
	s_or_b64 exec, exec, s[10:11]
	v_add_f32_e32 v1, v2, v3
	v_cndmask_b32_e32 v1, v2, v1, vcc
	v_add_f32_e32 v2, v4, v1
	v_cndmask_b32_e64 v1, v1, v2, s[4:5]
	v_add_f32_e32 v2, v5, v1
	v_cndmask_b32_e64 v1, v1, v2, s[6:7]
	v_mbcnt_lo_u32_b32 v2, -1, 0
	v_mbcnt_hi_u32_b32 v2, -1, v2
	v_and_b32_e32 v4, 63, v2
	v_cmp_ne_u32_e32 vcc, 63, v4
	s_min_u32 s8, s12, 0x100
	v_and_b32_e32 v5, 0xc0, v0
	v_addc_co_u32_e32 v3, vcc, 0, v2, vcc
	v_lshlrev_b32_e32 v3, 2, v3
	ds_bpermute_b32 v3, v3, v1
	v_sub_u32_e64 v5, s8, v5 clamp
	v_add_u32_e32 v6, 1, v4
	v_cmp_gt_u32_e64 s[4:5], 62, v4
	v_cmp_lt_u32_e32 vcc, v6, v5
	s_waitcnt lgkmcnt(0)
	v_add_f32_e32 v3, v1, v3
	v_cndmask_b32_e64 v6, 0, 2, s[4:5]
	v_cndmask_b32_e32 v3, v1, v3, vcc
	v_add_lshl_u32 v6, v6, v2, 2
	ds_bpermute_b32 v6, v6, v3
	v_add_u32_e32 v7, 2, v4
	v_cmp_lt_u32_e64 s[4:5], v7, v5
	v_add_u32_e32 v7, 4, v4
	s_waitcnt lgkmcnt(0)
	v_add_f32_e32 v6, v3, v6
	v_cndmask_b32_e64 v3, v3, v6, s[4:5]
	v_cmp_gt_u32_e64 s[4:5], 60, v4
	s_nop 1
	v_cndmask_b32_e64 v6, 0, 4, s[4:5]
	v_add_lshl_u32 v6, v6, v2, 2
	ds_bpermute_b32 v6, v6, v3
	v_cmp_lt_u32_e64 s[4:5], v7, v5
	v_add_u32_e32 v7, 8, v4
	s_waitcnt lgkmcnt(0)
	v_add_f32_e32 v6, v3, v6
	v_cndmask_b32_e64 v3, v3, v6, s[4:5]
	v_cmp_gt_u32_e64 s[4:5], 56, v4
	s_nop 1
	v_cndmask_b32_e64 v6, 0, 8, s[4:5]
	v_add_lshl_u32 v6, v6, v2, 2
	ds_bpermute_b32 v6, v6, v3
	v_cmp_lt_u32_e64 s[4:5], v7, v5
	v_add_u32_e32 v7, 16, v4
	s_waitcnt lgkmcnt(0)
	v_add_f32_e32 v6, v3, v6
	v_cndmask_b32_e64 v3, v3, v6, s[4:5]
	v_cmp_gt_u32_e64 s[4:5], 48, v4
	v_add_u32_e32 v4, 32, v4
	s_nop 0
	v_cndmask_b32_e64 v6, 0, 16, s[4:5]
	v_add_lshl_u32 v6, v6, v2, 2
	ds_bpermute_b32 v6, v6, v3
	v_cmp_lt_u32_e64 s[4:5], v7, v5
	s_waitcnt lgkmcnt(0)
	v_add_f32_e32 v6, v3, v6
	v_cndmask_b32_e64 v6, v3, v6, s[4:5]
	v_lshlrev_b32_e32 v3, 2, v2
	v_or_b32_e32 v7, 0x80, v3
	ds_bpermute_b32 v7, v7, v6
	v_cmp_lt_u32_e64 s[4:5], v4, v5
	s_waitcnt lgkmcnt(0)
	v_add_f32_e32 v7, v6, v7
	v_cndmask_b32_e64 v4, v6, v7, s[4:5]
	v_cndmask_b32_e32 v1, v1, v4, vcc
	v_cmp_eq_u32_e32 vcc, 0, v2
	s_and_saveexec_b64 s[4:5], vcc
; %bb.190:
	v_lshrrev_b32_e32 v4, 4, v0
	v_and_b32_e32 v4, 12, v4
	ds_write_b32 v4, v1 offset:96
; %bb.191:
	s_or_b64 exec, exec, s[4:5]
	v_cmp_gt_u32_e32 vcc, 4, v0
	s_waitcnt lgkmcnt(0)
	s_barrier
	s_and_saveexec_b64 s[6:7], vcc
	s_cbranch_execz .LBB504_193
; %bb.192:
	ds_read_b32 v1, v3 offset:96
	v_and_b32_e32 v4, 3, v2
	v_cmp_ne_u32_e32 vcc, 3, v4
	s_add_i32 s8, s8, 63
	s_lshr_b32 s4, s8, 6
	v_addc_co_u32_e32 v2, vcc, 0, v2, vcc
	v_lshlrev_b32_e32 v2, 2, v2
	s_waitcnt lgkmcnt(0)
	ds_bpermute_b32 v2, v2, v1
	v_add_u32_e32 v5, 1, v4
	v_cmp_gt_u32_e32 vcc, s4, v5
	v_or_b32_e32 v3, 8, v3
	v_add_u32_e32 v4, 2, v4
	s_waitcnt lgkmcnt(0)
	v_add_f32_e32 v2, v1, v2
	v_cndmask_b32_e32 v2, v1, v2, vcc
	ds_bpermute_b32 v3, v3, v2
	v_cmp_gt_u32_e64 s[4:5], s4, v4
	s_waitcnt lgkmcnt(0)
	v_add_f32_e32 v3, v2, v3
	v_cndmask_b32_e64 v2, v2, v3, s[4:5]
	v_cndmask_b32_e32 v1, v1, v2, vcc
.LBB504_193:
	s_or_b64 exec, exec, s[6:7]
.LBB504_194:
	v_cmp_eq_u32_e64 s[4:5], 0, v0
	s_branch .LBB504_178
.LBB504_195:
	s_cmp_eq_u32 s33, 2
	s_cbranch_scc0 .LBB504_202
; %bb.196:
	s_mov_b32 s3, 0
	s_lshl_b32 s6, s2, 9
	s_mov_b32 s7, s3
	s_lshr_b64 s[8:9], s[70:71], 9
	s_lshl_b64 s[4:5], s[6:7], 2
	s_add_u32 s4, s68, s4
	s_addc_u32 s5, s69, s5
	s_cmp_lg_u64 s[8:9], s[2:3]
	s_cbranch_scc0 .LBB504_203
; %bb.197:
	v_lshlrev_b32_e32 v1, 2, v0
	global_load_dword v2, v1, s[4:5]
	global_load_dword v3, v1, s[4:5] offset:1024
	s_waitcnt vmcnt(1)
	v_cvt_f32_i32_e32 v1, v2
	s_waitcnt vmcnt(0)
	v_cvt_f32_i32_e32 v4, v3
	v_mbcnt_lo_u32_b32 v2, -1, 0
	v_mbcnt_hi_u32_b32 v2, -1, v2
	v_lshlrev_b32_e32 v3, 2, v2
	v_add_f32_e32 v1, v1, v4
	v_or_b32_e32 v4, 0xfc, v3
	v_cmp_eq_u32_e32 vcc, 0, v2
	v_add_f32_dpp v1, v1, v1 quad_perm:[1,0,3,2] row_mask:0xf bank_mask:0xf bound_ctrl:1
	s_nop 1
	v_add_f32_dpp v1, v1, v1 quad_perm:[2,3,0,1] row_mask:0xf bank_mask:0xf bound_ctrl:1
	s_nop 1
	v_add_f32_dpp v1, v1, v1 row_ror:4 row_mask:0xf bank_mask:0xf bound_ctrl:1
	s_nop 1
	v_add_f32_dpp v1, v1, v1 row_ror:8 row_mask:0xf bank_mask:0xf bound_ctrl:1
	s_nop 1
	v_add_f32_dpp v1, v1, v1 row_bcast:15 row_mask:0xf bank_mask:0xf bound_ctrl:1
	s_nop 1
	v_add_f32_dpp v1, v1, v1 row_bcast:31 row_mask:0xf bank_mask:0xf bound_ctrl:1
	ds_bpermute_b32 v1, v4, v1
	s_and_saveexec_b64 s[8:9], vcc
	s_cbranch_execz .LBB504_199
; %bb.198:
	v_lshrrev_b32_e32 v4, 4, v0
	v_and_b32_e32 v4, 12, v4
	s_waitcnt lgkmcnt(0)
	ds_write_b32 v4, v1 offset:32
.LBB504_199:
	s_or_b64 exec, exec, s[8:9]
	v_cmp_gt_u32_e32 vcc, 64, v0
	s_waitcnt lgkmcnt(0)
	s_barrier
	s_and_saveexec_b64 s[8:9], vcc
	s_cbranch_execz .LBB504_201
; %bb.200:
	v_and_b32_e32 v1, 3, v2
	v_lshlrev_b32_e32 v4, 2, v1
	ds_read_b32 v4, v4 offset:32
	v_cmp_ne_u32_e32 vcc, 3, v1
	s_nop 1
	v_addc_co_u32_e32 v1, vcc, 0, v2, vcc
	v_lshlrev_b32_e32 v1, 2, v1
	s_waitcnt lgkmcnt(0)
	ds_bpermute_b32 v1, v1, v4
	v_or_b32_e32 v2, 8, v3
	s_waitcnt lgkmcnt(0)
	v_add_f32_e32 v1, v4, v1
	ds_bpermute_b32 v2, v2, v1
	s_waitcnt lgkmcnt(0)
	v_add_f32_e32 v1, v1, v2
.LBB504_201:
	s_or_b64 exec, exec, s[8:9]
	s_mov_b64 s[8:9], 0
	s_branch .LBB504_204
.LBB504_202:
                                        ; implicit-def: $vgpr1
	s_branch .LBB504_224
.LBB504_203:
	s_mov_b64 s[8:9], -1
                                        ; implicit-def: $vgpr1
.LBB504_204:
	s_and_b64 vcc, exec, s[8:9]
	s_cbranch_vccz .LBB504_214
; %bb.205:
	s_sub_i32 s8, s70, s6
	v_mov_b32_e32 v2, 0
	v_cmp_gt_u32_e32 vcc, s8, v0
	v_mov_b32_e32 v3, v2
	s_and_saveexec_b64 s[6:7], vcc
	s_cbranch_execz .LBB504_207
; %bb.206:
	v_lshlrev_b32_e32 v1, 2, v0
	global_load_dword v1, v1, s[4:5]
	v_mov_b32_e32 v5, v2
	s_waitcnt vmcnt(0)
	v_cvt_f32_i32_e32 v4, v1
	v_mov_b64_e32 v[2:3], v[4:5]
.LBB504_207:
	s_or_b64 exec, exec, s[6:7]
	v_or_b32_e32 v1, 0x100, v0
	v_cmp_gt_u32_e32 vcc, s8, v1
	s_and_saveexec_b64 s[6:7], vcc
	s_cbranch_execz .LBB504_209
; %bb.208:
	v_lshlrev_b32_e32 v1, 2, v0
	global_load_dword v1, v1, s[4:5] offset:1024
	s_waitcnt vmcnt(0)
	v_cvt_f32_i32_e32 v3, v1
.LBB504_209:
	s_or_b64 exec, exec, s[6:7]
	v_add_f32_e32 v1, v3, v2
	v_cndmask_b32_e32 v1, v2, v1, vcc
	v_mbcnt_lo_u32_b32 v2, -1, 0
	v_mbcnt_hi_u32_b32 v2, -1, v2
	v_and_b32_e32 v4, 63, v2
	v_cmp_ne_u32_e32 vcc, 63, v4
	s_min_u32 s8, s8, 0x100
	v_and_b32_e32 v5, 0xc0, v0
	v_addc_co_u32_e32 v3, vcc, 0, v2, vcc
	v_lshlrev_b32_e32 v3, 2, v3
	ds_bpermute_b32 v3, v3, v1
	v_sub_u32_e64 v5, s8, v5 clamp
	v_add_u32_e32 v6, 1, v4
	v_cmp_gt_u32_e64 s[4:5], 62, v4
	v_cmp_lt_u32_e32 vcc, v6, v5
	s_waitcnt lgkmcnt(0)
	v_add_f32_e32 v3, v1, v3
	v_cndmask_b32_e64 v6, 0, 2, s[4:5]
	v_cndmask_b32_e32 v3, v1, v3, vcc
	v_add_lshl_u32 v6, v6, v2, 2
	ds_bpermute_b32 v6, v6, v3
	v_add_u32_e32 v7, 2, v4
	v_cmp_lt_u32_e64 s[4:5], v7, v5
	v_add_u32_e32 v7, 4, v4
	s_waitcnt lgkmcnt(0)
	v_add_f32_e32 v6, v3, v6
	v_cndmask_b32_e64 v3, v3, v6, s[4:5]
	v_cmp_gt_u32_e64 s[4:5], 60, v4
	s_nop 1
	v_cndmask_b32_e64 v6, 0, 4, s[4:5]
	v_add_lshl_u32 v6, v6, v2, 2
	ds_bpermute_b32 v6, v6, v3
	v_cmp_lt_u32_e64 s[4:5], v7, v5
	v_add_u32_e32 v7, 8, v4
	s_waitcnt lgkmcnt(0)
	v_add_f32_e32 v6, v3, v6
	v_cndmask_b32_e64 v3, v3, v6, s[4:5]
	v_cmp_gt_u32_e64 s[4:5], 56, v4
	s_nop 1
	v_cndmask_b32_e64 v6, 0, 8, s[4:5]
	v_add_lshl_u32 v6, v6, v2, 2
	ds_bpermute_b32 v6, v6, v3
	v_cmp_lt_u32_e64 s[4:5], v7, v5
	v_add_u32_e32 v7, 16, v4
	s_waitcnt lgkmcnt(0)
	v_add_f32_e32 v6, v3, v6
	v_cndmask_b32_e64 v3, v3, v6, s[4:5]
	v_cmp_gt_u32_e64 s[4:5], 48, v4
	v_add_u32_e32 v4, 32, v4
	s_nop 0
	v_cndmask_b32_e64 v6, 0, 16, s[4:5]
	v_add_lshl_u32 v6, v6, v2, 2
	ds_bpermute_b32 v6, v6, v3
	v_cmp_lt_u32_e64 s[4:5], v7, v5
	s_waitcnt lgkmcnt(0)
	v_add_f32_e32 v6, v3, v6
	v_cndmask_b32_e64 v6, v3, v6, s[4:5]
	v_lshlrev_b32_e32 v3, 2, v2
	v_or_b32_e32 v7, 0x80, v3
	ds_bpermute_b32 v7, v7, v6
	v_cmp_lt_u32_e64 s[4:5], v4, v5
	s_waitcnt lgkmcnt(0)
	v_add_f32_e32 v7, v6, v7
	v_cndmask_b32_e64 v4, v6, v7, s[4:5]
	v_cndmask_b32_e32 v1, v1, v4, vcc
	v_cmp_eq_u32_e32 vcc, 0, v2
	s_and_saveexec_b64 s[4:5], vcc
; %bb.210:
	v_lshrrev_b32_e32 v4, 4, v0
	v_and_b32_e32 v4, 12, v4
	ds_write_b32 v4, v1 offset:96
; %bb.211:
	s_or_b64 exec, exec, s[4:5]
	v_cmp_gt_u32_e32 vcc, 4, v0
	s_waitcnt lgkmcnt(0)
	s_barrier
	s_and_saveexec_b64 s[6:7], vcc
	s_cbranch_execz .LBB504_213
; %bb.212:
	ds_read_b32 v1, v3 offset:96
	v_and_b32_e32 v4, 3, v2
	v_cmp_ne_u32_e32 vcc, 3, v4
	s_add_i32 s8, s8, 63
	s_lshr_b32 s4, s8, 6
	v_addc_co_u32_e32 v2, vcc, 0, v2, vcc
	v_lshlrev_b32_e32 v2, 2, v2
	s_waitcnt lgkmcnt(0)
	ds_bpermute_b32 v2, v2, v1
	v_add_u32_e32 v5, 1, v4
	v_cmp_gt_u32_e32 vcc, s4, v5
	v_or_b32_e32 v3, 8, v3
	v_add_u32_e32 v4, 2, v4
	s_waitcnt lgkmcnt(0)
	v_add_f32_e32 v2, v1, v2
	v_cndmask_b32_e32 v2, v1, v2, vcc
	ds_bpermute_b32 v3, v3, v2
	v_cmp_gt_u32_e64 s[4:5], s4, v4
	s_waitcnt lgkmcnt(0)
	v_add_f32_e32 v3, v2, v3
	v_cndmask_b32_e64 v2, v2, v3, s[4:5]
	v_cndmask_b32_e32 v1, v1, v2, vcc
.LBB504_213:
	s_or_b64 exec, exec, s[6:7]
.LBB504_214:
	v_cmp_eq_u32_e64 s[4:5], 0, v0
	s_branch .LBB504_224
.LBB504_215:
	s_cmp_eq_u32 s33, 1
	s_cbranch_scc0 .LBB504_223
; %bb.216:
	s_mov_b32 s5, 0
	s_lshl_b32 s4, s2, 8
	s_mov_b32 s3, s5
	s_lshr_b64 s[6:7], s[70:71], 8
	s_cmp_lg_u64 s[6:7], s[2:3]
	v_mbcnt_lo_u32_b32 v2, -1, 0
	s_cbranch_scc0 .LBB504_227
; %bb.217:
	s_lshl_b64 s[6:7], s[4:5], 2
	s_add_u32 s6, s68, s6
	s_addc_u32 s7, s69, s7
	v_lshlrev_b32_e32 v1, 2, v0
	global_load_dword v1, v1, s[6:7]
	v_mbcnt_hi_u32_b32 v3, -1, v2
	v_lshlrev_b32_e32 v4, 2, v3
	v_or_b32_e32 v5, 0xfc, v4
	v_cmp_eq_u32_e32 vcc, 0, v3
	s_waitcnt vmcnt(0)
	v_cvt_f32_i32_e32 v1, v1
	s_nop 1
	v_add_f32_dpp v1, v1, v1 quad_perm:[1,0,3,2] row_mask:0xf bank_mask:0xf bound_ctrl:1
	s_nop 1
	v_add_f32_dpp v1, v1, v1 quad_perm:[2,3,0,1] row_mask:0xf bank_mask:0xf bound_ctrl:1
	s_nop 1
	v_add_f32_dpp v1, v1, v1 row_ror:4 row_mask:0xf bank_mask:0xf bound_ctrl:1
	s_nop 1
	v_add_f32_dpp v1, v1, v1 row_ror:8 row_mask:0xf bank_mask:0xf bound_ctrl:1
	s_nop 1
	v_add_f32_dpp v1, v1, v1 row_bcast:15 row_mask:0xf bank_mask:0xf bound_ctrl:1
	s_nop 1
	v_add_f32_dpp v1, v1, v1 row_bcast:31 row_mask:0xf bank_mask:0xf bound_ctrl:1
	ds_bpermute_b32 v1, v5, v1
	s_and_saveexec_b64 s[6:7], vcc
	s_cbranch_execz .LBB504_219
; %bb.218:
	v_lshrrev_b32_e32 v5, 4, v0
	v_and_b32_e32 v5, 12, v5
	s_waitcnt lgkmcnt(0)
	ds_write_b32 v5, v1 offset:16
.LBB504_219:
	s_or_b64 exec, exec, s[6:7]
	v_cmp_gt_u32_e32 vcc, 64, v0
	s_waitcnt lgkmcnt(0)
	s_barrier
	s_and_saveexec_b64 s[6:7], vcc
	s_cbranch_execz .LBB504_221
; %bb.220:
	v_and_b32_e32 v1, 3, v3
	v_lshlrev_b32_e32 v5, 2, v1
	ds_read_b32 v5, v5 offset:16
	v_cmp_ne_u32_e32 vcc, 3, v1
	s_nop 1
	v_addc_co_u32_e32 v1, vcc, 0, v3, vcc
	v_lshlrev_b32_e32 v1, 2, v1
	s_waitcnt lgkmcnt(0)
	ds_bpermute_b32 v1, v1, v5
	v_or_b32_e32 v3, 8, v4
	s_waitcnt lgkmcnt(0)
	v_add_f32_e32 v1, v5, v1
	ds_bpermute_b32 v3, v3, v1
	s_waitcnt lgkmcnt(0)
	v_add_f32_e32 v1, v1, v3
.LBB504_221:
	s_or_b64 exec, exec, s[6:7]
.LBB504_222:
	v_cmp_eq_u32_e64 s[4:5], 0, v0
	s_and_saveexec_b64 s[6:7], s[4:5]
	s_cbranch_execnz .LBB504_225
	s_branch .LBB504_226
.LBB504_223:
                                        ; implicit-def: $vgpr1
                                        ; implicit-def: $sgpr2_sgpr3
.LBB504_224:
	s_and_saveexec_b64 s[6:7], s[4:5]
	s_cbranch_execz .LBB504_226
.LBB504_225:
	s_load_dwordx2 s[4:5], s[0:1], 0x18
	s_load_dword s6, s[0:1], 0x20
	s_lshl_b64 s[0:1], s[2:3], 2
	v_mov_b32_e32 v0, 0
	s_waitcnt lgkmcnt(0)
	s_add_u32 s0, s4, s0
	s_addc_u32 s1, s5, s1
	s_cmp_eq_u64 s[70:71], 0
	v_add_f32_e32 v1, s6, v1
	v_mov_b32_e32 v2, s6
	s_cselect_b64 vcc, -1, 0
	v_cndmask_b32_e32 v1, v1, v2, vcc
	global_store_dword v0, v1, s[0:1]
.LBB504_226:
	s_endpgm
.LBB504_227:
                                        ; implicit-def: $vgpr1
	s_cbranch_execz .LBB504_222
; %bb.228:
	s_sub_i32 s8, s70, s4
	v_cmp_gt_u32_e32 vcc, s8, v0
                                        ; implicit-def: $vgpr1
	s_and_saveexec_b64 s[6:7], vcc
	s_cbranch_execz .LBB504_230
; %bb.229:
	s_lshl_b64 s[4:5], s[4:5], 2
	s_add_u32 s4, s68, s4
	s_addc_u32 s5, s69, s5
	v_lshlrev_b32_e32 v1, 2, v0
	global_load_dword v1, v1, s[4:5]
	s_waitcnt vmcnt(0)
	v_cvt_f32_i32_e32 v1, v1
.LBB504_230:
	s_or_b64 exec, exec, s[6:7]
	v_mbcnt_hi_u32_b32 v2, -1, v2
	v_and_b32_e32 v4, 63, v2
	v_cmp_ne_u32_e32 vcc, 63, v4
	s_min_u32 s8, s8, 0x100
	v_and_b32_e32 v5, 0xc0, v0
	v_addc_co_u32_e32 v3, vcc, 0, v2, vcc
	v_lshlrev_b32_e32 v3, 2, v3
	ds_bpermute_b32 v3, v3, v1
	v_sub_u32_e64 v5, s8, v5 clamp
	v_add_u32_e32 v6, 1, v4
	v_cmp_gt_u32_e64 s[4:5], 62, v4
	v_cmp_lt_u32_e32 vcc, v6, v5
	s_waitcnt lgkmcnt(0)
	v_add_f32_e32 v3, v1, v3
	v_cndmask_b32_e64 v6, 0, 2, s[4:5]
	v_cndmask_b32_e32 v3, v1, v3, vcc
	v_add_lshl_u32 v6, v6, v2, 2
	ds_bpermute_b32 v6, v6, v3
	v_add_u32_e32 v7, 2, v4
	v_cmp_lt_u32_e64 s[4:5], v7, v5
	v_add_u32_e32 v7, 4, v4
	s_waitcnt lgkmcnt(0)
	v_add_f32_e32 v6, v3, v6
	v_cndmask_b32_e64 v3, v3, v6, s[4:5]
	v_cmp_gt_u32_e64 s[4:5], 60, v4
	s_nop 1
	v_cndmask_b32_e64 v6, 0, 4, s[4:5]
	v_add_lshl_u32 v6, v6, v2, 2
	ds_bpermute_b32 v6, v6, v3
	v_cmp_lt_u32_e64 s[4:5], v7, v5
	v_add_u32_e32 v7, 8, v4
	s_waitcnt lgkmcnt(0)
	v_add_f32_e32 v6, v3, v6
	v_cndmask_b32_e64 v3, v3, v6, s[4:5]
	v_cmp_gt_u32_e64 s[4:5], 56, v4
	s_nop 1
	v_cndmask_b32_e64 v6, 0, 8, s[4:5]
	v_add_lshl_u32 v6, v6, v2, 2
	ds_bpermute_b32 v6, v6, v3
	v_cmp_lt_u32_e64 s[4:5], v7, v5
	v_add_u32_e32 v7, 16, v4
	s_waitcnt lgkmcnt(0)
	v_add_f32_e32 v6, v3, v6
	v_cndmask_b32_e64 v3, v3, v6, s[4:5]
	v_cmp_gt_u32_e64 s[4:5], 48, v4
	v_add_u32_e32 v4, 32, v4
	s_nop 0
	v_cndmask_b32_e64 v6, 0, 16, s[4:5]
	v_add_lshl_u32 v6, v6, v2, 2
	ds_bpermute_b32 v6, v6, v3
	v_cmp_lt_u32_e64 s[4:5], v7, v5
	s_waitcnt lgkmcnt(0)
	v_add_f32_e32 v6, v3, v6
	v_cndmask_b32_e64 v6, v3, v6, s[4:5]
	v_lshlrev_b32_e32 v3, 2, v2
	v_or_b32_e32 v7, 0x80, v3
	ds_bpermute_b32 v7, v7, v6
	v_cmp_lt_u32_e64 s[4:5], v4, v5
	s_waitcnt lgkmcnt(0)
	v_add_f32_e32 v7, v6, v7
	v_cndmask_b32_e64 v4, v6, v7, s[4:5]
	v_cndmask_b32_e32 v1, v1, v4, vcc
	v_cmp_eq_u32_e32 vcc, 0, v2
	s_and_saveexec_b64 s[4:5], vcc
; %bb.231:
	v_lshrrev_b32_e32 v4, 4, v0
	v_and_b32_e32 v4, 12, v4
	ds_write_b32 v4, v1 offset:96
; %bb.232:
	s_or_b64 exec, exec, s[4:5]
	v_cmp_gt_u32_e32 vcc, 4, v0
	s_waitcnt lgkmcnt(0)
	s_barrier
	s_and_saveexec_b64 s[6:7], vcc
	s_cbranch_execz .LBB504_234
; %bb.233:
	ds_read_b32 v1, v3 offset:96
	v_and_b32_e32 v4, 3, v2
	v_cmp_ne_u32_e32 vcc, 3, v4
	s_add_i32 s8, s8, 63
	s_lshr_b32 s4, s8, 6
	v_addc_co_u32_e32 v2, vcc, 0, v2, vcc
	v_lshlrev_b32_e32 v2, 2, v2
	s_waitcnt lgkmcnt(0)
	ds_bpermute_b32 v2, v2, v1
	v_add_u32_e32 v5, 1, v4
	v_cmp_gt_u32_e32 vcc, s4, v5
	v_or_b32_e32 v3, 8, v3
	v_add_u32_e32 v4, 2, v4
	s_waitcnt lgkmcnt(0)
	v_add_f32_e32 v2, v1, v2
	v_cndmask_b32_e32 v2, v1, v2, vcc
	ds_bpermute_b32 v3, v3, v2
	v_cmp_gt_u32_e64 s[4:5], s4, v4
	s_waitcnt lgkmcnt(0)
	v_add_f32_e32 v3, v2, v3
	v_cndmask_b32_e64 v2, v2, v3, s[4:5]
	v_cndmask_b32_e32 v1, v1, v2, vcc
.LBB504_234:
	s_or_b64 exec, exec, s[6:7]
	v_cmp_eq_u32_e64 s[4:5], 0, v0
	s_and_saveexec_b64 s[6:7], s[4:5]
	s_cbranch_execnz .LBB504_225
	s_branch .LBB504_226
	.section	.rodata,"a",@progbits
	.p2align	6, 0x0
	.amdhsa_kernel _ZN7rocprim17ROCPRIM_400000_NS6detail17trampoline_kernelINS0_14default_configENS1_22reduce_config_selectorIiEEZNS1_11reduce_implILb1ES3_N6thrust23THRUST_200600_302600_NS6detail15normal_iteratorINS8_10device_ptrIiEEEEPffNS8_4plusIfEEEE10hipError_tPvRmT1_T2_T3_mT4_P12ihipStream_tbEUlT_E1_NS1_11comp_targetILNS1_3genE0ELNS1_11target_archE4294967295ELNS1_3gpuE0ELNS1_3repE0EEENS1_30default_config_static_selectorELNS0_4arch9wavefront6targetE1EEEvSK_
		.amdhsa_group_segment_fixed_size 112
		.amdhsa_private_segment_fixed_size 0
		.amdhsa_kernarg_size 40
		.amdhsa_user_sgpr_count 2
		.amdhsa_user_sgpr_dispatch_ptr 0
		.amdhsa_user_sgpr_queue_ptr 0
		.amdhsa_user_sgpr_kernarg_segment_ptr 1
		.amdhsa_user_sgpr_dispatch_id 0
		.amdhsa_user_sgpr_kernarg_preload_length 0
		.amdhsa_user_sgpr_kernarg_preload_offset 0
		.amdhsa_user_sgpr_private_segment_size 0
		.amdhsa_uses_dynamic_stack 0
		.amdhsa_enable_private_segment 0
		.amdhsa_system_sgpr_workgroup_id_x 1
		.amdhsa_system_sgpr_workgroup_id_y 0
		.amdhsa_system_sgpr_workgroup_id_z 0
		.amdhsa_system_sgpr_workgroup_info 0
		.amdhsa_system_vgpr_workitem_id 0
		.amdhsa_next_free_vgpr 36
		.amdhsa_next_free_sgpr 77
		.amdhsa_accum_offset 36
		.amdhsa_reserve_vcc 1
		.amdhsa_float_round_mode_32 0
		.amdhsa_float_round_mode_16_64 0
		.amdhsa_float_denorm_mode_32 3
		.amdhsa_float_denorm_mode_16_64 3
		.amdhsa_dx10_clamp 1
		.amdhsa_ieee_mode 1
		.amdhsa_fp16_overflow 0
		.amdhsa_tg_split 0
		.amdhsa_exception_fp_ieee_invalid_op 0
		.amdhsa_exception_fp_denorm_src 0
		.amdhsa_exception_fp_ieee_div_zero 0
		.amdhsa_exception_fp_ieee_overflow 0
		.amdhsa_exception_fp_ieee_underflow 0
		.amdhsa_exception_fp_ieee_inexact 0
		.amdhsa_exception_int_div_zero 0
	.end_amdhsa_kernel
	.section	.text._ZN7rocprim17ROCPRIM_400000_NS6detail17trampoline_kernelINS0_14default_configENS1_22reduce_config_selectorIiEEZNS1_11reduce_implILb1ES3_N6thrust23THRUST_200600_302600_NS6detail15normal_iteratorINS8_10device_ptrIiEEEEPffNS8_4plusIfEEEE10hipError_tPvRmT1_T2_T3_mT4_P12ihipStream_tbEUlT_E1_NS1_11comp_targetILNS1_3genE0ELNS1_11target_archE4294967295ELNS1_3gpuE0ELNS1_3repE0EEENS1_30default_config_static_selectorELNS0_4arch9wavefront6targetE1EEEvSK_,"axG",@progbits,_ZN7rocprim17ROCPRIM_400000_NS6detail17trampoline_kernelINS0_14default_configENS1_22reduce_config_selectorIiEEZNS1_11reduce_implILb1ES3_N6thrust23THRUST_200600_302600_NS6detail15normal_iteratorINS8_10device_ptrIiEEEEPffNS8_4plusIfEEEE10hipError_tPvRmT1_T2_T3_mT4_P12ihipStream_tbEUlT_E1_NS1_11comp_targetILNS1_3genE0ELNS1_11target_archE4294967295ELNS1_3gpuE0ELNS1_3repE0EEENS1_30default_config_static_selectorELNS0_4arch9wavefront6targetE1EEEvSK_,comdat
.Lfunc_end504:
	.size	_ZN7rocprim17ROCPRIM_400000_NS6detail17trampoline_kernelINS0_14default_configENS1_22reduce_config_selectorIiEEZNS1_11reduce_implILb1ES3_N6thrust23THRUST_200600_302600_NS6detail15normal_iteratorINS8_10device_ptrIiEEEEPffNS8_4plusIfEEEE10hipError_tPvRmT1_T2_T3_mT4_P12ihipStream_tbEUlT_E1_NS1_11comp_targetILNS1_3genE0ELNS1_11target_archE4294967295ELNS1_3gpuE0ELNS1_3repE0EEENS1_30default_config_static_selectorELNS0_4arch9wavefront6targetE1EEEvSK_, .Lfunc_end504-_ZN7rocprim17ROCPRIM_400000_NS6detail17trampoline_kernelINS0_14default_configENS1_22reduce_config_selectorIiEEZNS1_11reduce_implILb1ES3_N6thrust23THRUST_200600_302600_NS6detail15normal_iteratorINS8_10device_ptrIiEEEEPffNS8_4plusIfEEEE10hipError_tPvRmT1_T2_T3_mT4_P12ihipStream_tbEUlT_E1_NS1_11comp_targetILNS1_3genE0ELNS1_11target_archE4294967295ELNS1_3gpuE0ELNS1_3repE0EEENS1_30default_config_static_selectorELNS0_4arch9wavefront6targetE1EEEvSK_
                                        ; -- End function
	.set _ZN7rocprim17ROCPRIM_400000_NS6detail17trampoline_kernelINS0_14default_configENS1_22reduce_config_selectorIiEEZNS1_11reduce_implILb1ES3_N6thrust23THRUST_200600_302600_NS6detail15normal_iteratorINS8_10device_ptrIiEEEEPffNS8_4plusIfEEEE10hipError_tPvRmT1_T2_T3_mT4_P12ihipStream_tbEUlT_E1_NS1_11comp_targetILNS1_3genE0ELNS1_11target_archE4294967295ELNS1_3gpuE0ELNS1_3repE0EEENS1_30default_config_static_selectorELNS0_4arch9wavefront6targetE1EEEvSK_.num_vgpr, 36
	.set _ZN7rocprim17ROCPRIM_400000_NS6detail17trampoline_kernelINS0_14default_configENS1_22reduce_config_selectorIiEEZNS1_11reduce_implILb1ES3_N6thrust23THRUST_200600_302600_NS6detail15normal_iteratorINS8_10device_ptrIiEEEEPffNS8_4plusIfEEEE10hipError_tPvRmT1_T2_T3_mT4_P12ihipStream_tbEUlT_E1_NS1_11comp_targetILNS1_3genE0ELNS1_11target_archE4294967295ELNS1_3gpuE0ELNS1_3repE0EEENS1_30default_config_static_selectorELNS0_4arch9wavefront6targetE1EEEvSK_.num_agpr, 0
	.set _ZN7rocprim17ROCPRIM_400000_NS6detail17trampoline_kernelINS0_14default_configENS1_22reduce_config_selectorIiEEZNS1_11reduce_implILb1ES3_N6thrust23THRUST_200600_302600_NS6detail15normal_iteratorINS8_10device_ptrIiEEEEPffNS8_4plusIfEEEE10hipError_tPvRmT1_T2_T3_mT4_P12ihipStream_tbEUlT_E1_NS1_11comp_targetILNS1_3genE0ELNS1_11target_archE4294967295ELNS1_3gpuE0ELNS1_3repE0EEENS1_30default_config_static_selectorELNS0_4arch9wavefront6targetE1EEEvSK_.numbered_sgpr, 77
	.set _ZN7rocprim17ROCPRIM_400000_NS6detail17trampoline_kernelINS0_14default_configENS1_22reduce_config_selectorIiEEZNS1_11reduce_implILb1ES3_N6thrust23THRUST_200600_302600_NS6detail15normal_iteratorINS8_10device_ptrIiEEEEPffNS8_4plusIfEEEE10hipError_tPvRmT1_T2_T3_mT4_P12ihipStream_tbEUlT_E1_NS1_11comp_targetILNS1_3genE0ELNS1_11target_archE4294967295ELNS1_3gpuE0ELNS1_3repE0EEENS1_30default_config_static_selectorELNS0_4arch9wavefront6targetE1EEEvSK_.num_named_barrier, 0
	.set _ZN7rocprim17ROCPRIM_400000_NS6detail17trampoline_kernelINS0_14default_configENS1_22reduce_config_selectorIiEEZNS1_11reduce_implILb1ES3_N6thrust23THRUST_200600_302600_NS6detail15normal_iteratorINS8_10device_ptrIiEEEEPffNS8_4plusIfEEEE10hipError_tPvRmT1_T2_T3_mT4_P12ihipStream_tbEUlT_E1_NS1_11comp_targetILNS1_3genE0ELNS1_11target_archE4294967295ELNS1_3gpuE0ELNS1_3repE0EEENS1_30default_config_static_selectorELNS0_4arch9wavefront6targetE1EEEvSK_.private_seg_size, 0
	.set _ZN7rocprim17ROCPRIM_400000_NS6detail17trampoline_kernelINS0_14default_configENS1_22reduce_config_selectorIiEEZNS1_11reduce_implILb1ES3_N6thrust23THRUST_200600_302600_NS6detail15normal_iteratorINS8_10device_ptrIiEEEEPffNS8_4plusIfEEEE10hipError_tPvRmT1_T2_T3_mT4_P12ihipStream_tbEUlT_E1_NS1_11comp_targetILNS1_3genE0ELNS1_11target_archE4294967295ELNS1_3gpuE0ELNS1_3repE0EEENS1_30default_config_static_selectorELNS0_4arch9wavefront6targetE1EEEvSK_.uses_vcc, 1
	.set _ZN7rocprim17ROCPRIM_400000_NS6detail17trampoline_kernelINS0_14default_configENS1_22reduce_config_selectorIiEEZNS1_11reduce_implILb1ES3_N6thrust23THRUST_200600_302600_NS6detail15normal_iteratorINS8_10device_ptrIiEEEEPffNS8_4plusIfEEEE10hipError_tPvRmT1_T2_T3_mT4_P12ihipStream_tbEUlT_E1_NS1_11comp_targetILNS1_3genE0ELNS1_11target_archE4294967295ELNS1_3gpuE0ELNS1_3repE0EEENS1_30default_config_static_selectorELNS0_4arch9wavefront6targetE1EEEvSK_.uses_flat_scratch, 0
	.set _ZN7rocprim17ROCPRIM_400000_NS6detail17trampoline_kernelINS0_14default_configENS1_22reduce_config_selectorIiEEZNS1_11reduce_implILb1ES3_N6thrust23THRUST_200600_302600_NS6detail15normal_iteratorINS8_10device_ptrIiEEEEPffNS8_4plusIfEEEE10hipError_tPvRmT1_T2_T3_mT4_P12ihipStream_tbEUlT_E1_NS1_11comp_targetILNS1_3genE0ELNS1_11target_archE4294967295ELNS1_3gpuE0ELNS1_3repE0EEENS1_30default_config_static_selectorELNS0_4arch9wavefront6targetE1EEEvSK_.has_dyn_sized_stack, 0
	.set _ZN7rocprim17ROCPRIM_400000_NS6detail17trampoline_kernelINS0_14default_configENS1_22reduce_config_selectorIiEEZNS1_11reduce_implILb1ES3_N6thrust23THRUST_200600_302600_NS6detail15normal_iteratorINS8_10device_ptrIiEEEEPffNS8_4plusIfEEEE10hipError_tPvRmT1_T2_T3_mT4_P12ihipStream_tbEUlT_E1_NS1_11comp_targetILNS1_3genE0ELNS1_11target_archE4294967295ELNS1_3gpuE0ELNS1_3repE0EEENS1_30default_config_static_selectorELNS0_4arch9wavefront6targetE1EEEvSK_.has_recursion, 0
	.set _ZN7rocprim17ROCPRIM_400000_NS6detail17trampoline_kernelINS0_14default_configENS1_22reduce_config_selectorIiEEZNS1_11reduce_implILb1ES3_N6thrust23THRUST_200600_302600_NS6detail15normal_iteratorINS8_10device_ptrIiEEEEPffNS8_4plusIfEEEE10hipError_tPvRmT1_T2_T3_mT4_P12ihipStream_tbEUlT_E1_NS1_11comp_targetILNS1_3genE0ELNS1_11target_archE4294967295ELNS1_3gpuE0ELNS1_3repE0EEENS1_30default_config_static_selectorELNS0_4arch9wavefront6targetE1EEEvSK_.has_indirect_call, 0
	.section	.AMDGPU.csdata,"",@progbits
; Kernel info:
; codeLenInByte = 11084
; TotalNumSgprs: 83
; NumVgprs: 36
; NumAgprs: 0
; TotalNumVgprs: 36
; ScratchSize: 0
; MemoryBound: 0
; FloatMode: 240
; IeeeMode: 1
; LDSByteSize: 112 bytes/workgroup (compile time only)
; SGPRBlocks: 10
; VGPRBlocks: 4
; NumSGPRsForWavesPerEU: 83
; NumVGPRsForWavesPerEU: 36
; AccumOffset: 36
; Occupancy: 8
; WaveLimiterHint : 1
; COMPUTE_PGM_RSRC2:SCRATCH_EN: 0
; COMPUTE_PGM_RSRC2:USER_SGPR: 2
; COMPUTE_PGM_RSRC2:TRAP_HANDLER: 0
; COMPUTE_PGM_RSRC2:TGID_X_EN: 1
; COMPUTE_PGM_RSRC2:TGID_Y_EN: 0
; COMPUTE_PGM_RSRC2:TGID_Z_EN: 0
; COMPUTE_PGM_RSRC2:TIDIG_COMP_CNT: 0
; COMPUTE_PGM_RSRC3_GFX90A:ACCUM_OFFSET: 8
; COMPUTE_PGM_RSRC3_GFX90A:TG_SPLIT: 0
	.section	.text._ZN7rocprim17ROCPRIM_400000_NS6detail17trampoline_kernelINS0_14default_configENS1_22reduce_config_selectorIiEEZNS1_11reduce_implILb1ES3_N6thrust23THRUST_200600_302600_NS6detail15normal_iteratorINS8_10device_ptrIiEEEEPffNS8_4plusIfEEEE10hipError_tPvRmT1_T2_T3_mT4_P12ihipStream_tbEUlT_E1_NS1_11comp_targetILNS1_3genE5ELNS1_11target_archE942ELNS1_3gpuE9ELNS1_3repE0EEENS1_30default_config_static_selectorELNS0_4arch9wavefront6targetE1EEEvSK_,"axG",@progbits,_ZN7rocprim17ROCPRIM_400000_NS6detail17trampoline_kernelINS0_14default_configENS1_22reduce_config_selectorIiEEZNS1_11reduce_implILb1ES3_N6thrust23THRUST_200600_302600_NS6detail15normal_iteratorINS8_10device_ptrIiEEEEPffNS8_4plusIfEEEE10hipError_tPvRmT1_T2_T3_mT4_P12ihipStream_tbEUlT_E1_NS1_11comp_targetILNS1_3genE5ELNS1_11target_archE942ELNS1_3gpuE9ELNS1_3repE0EEENS1_30default_config_static_selectorELNS0_4arch9wavefront6targetE1EEEvSK_,comdat
	.protected	_ZN7rocprim17ROCPRIM_400000_NS6detail17trampoline_kernelINS0_14default_configENS1_22reduce_config_selectorIiEEZNS1_11reduce_implILb1ES3_N6thrust23THRUST_200600_302600_NS6detail15normal_iteratorINS8_10device_ptrIiEEEEPffNS8_4plusIfEEEE10hipError_tPvRmT1_T2_T3_mT4_P12ihipStream_tbEUlT_E1_NS1_11comp_targetILNS1_3genE5ELNS1_11target_archE942ELNS1_3gpuE9ELNS1_3repE0EEENS1_30default_config_static_selectorELNS0_4arch9wavefront6targetE1EEEvSK_ ; -- Begin function _ZN7rocprim17ROCPRIM_400000_NS6detail17trampoline_kernelINS0_14default_configENS1_22reduce_config_selectorIiEEZNS1_11reduce_implILb1ES3_N6thrust23THRUST_200600_302600_NS6detail15normal_iteratorINS8_10device_ptrIiEEEEPffNS8_4plusIfEEEE10hipError_tPvRmT1_T2_T3_mT4_P12ihipStream_tbEUlT_E1_NS1_11comp_targetILNS1_3genE5ELNS1_11target_archE942ELNS1_3gpuE9ELNS1_3repE0EEENS1_30default_config_static_selectorELNS0_4arch9wavefront6targetE1EEEvSK_
	.globl	_ZN7rocprim17ROCPRIM_400000_NS6detail17trampoline_kernelINS0_14default_configENS1_22reduce_config_selectorIiEEZNS1_11reduce_implILb1ES3_N6thrust23THRUST_200600_302600_NS6detail15normal_iteratorINS8_10device_ptrIiEEEEPffNS8_4plusIfEEEE10hipError_tPvRmT1_T2_T3_mT4_P12ihipStream_tbEUlT_E1_NS1_11comp_targetILNS1_3genE5ELNS1_11target_archE942ELNS1_3gpuE9ELNS1_3repE0EEENS1_30default_config_static_selectorELNS0_4arch9wavefront6targetE1EEEvSK_
	.p2align	8
	.type	_ZN7rocprim17ROCPRIM_400000_NS6detail17trampoline_kernelINS0_14default_configENS1_22reduce_config_selectorIiEEZNS1_11reduce_implILb1ES3_N6thrust23THRUST_200600_302600_NS6detail15normal_iteratorINS8_10device_ptrIiEEEEPffNS8_4plusIfEEEE10hipError_tPvRmT1_T2_T3_mT4_P12ihipStream_tbEUlT_E1_NS1_11comp_targetILNS1_3genE5ELNS1_11target_archE942ELNS1_3gpuE9ELNS1_3repE0EEENS1_30default_config_static_selectorELNS0_4arch9wavefront6targetE1EEEvSK_,@function
_ZN7rocprim17ROCPRIM_400000_NS6detail17trampoline_kernelINS0_14default_configENS1_22reduce_config_selectorIiEEZNS1_11reduce_implILb1ES3_N6thrust23THRUST_200600_302600_NS6detail15normal_iteratorINS8_10device_ptrIiEEEEPffNS8_4plusIfEEEE10hipError_tPvRmT1_T2_T3_mT4_P12ihipStream_tbEUlT_E1_NS1_11comp_targetILNS1_3genE5ELNS1_11target_archE942ELNS1_3gpuE9ELNS1_3repE0EEENS1_30default_config_static_selectorELNS0_4arch9wavefront6targetE1EEEvSK_: ; @_ZN7rocprim17ROCPRIM_400000_NS6detail17trampoline_kernelINS0_14default_configENS1_22reduce_config_selectorIiEEZNS1_11reduce_implILb1ES3_N6thrust23THRUST_200600_302600_NS6detail15normal_iteratorINS8_10device_ptrIiEEEEPffNS8_4plusIfEEEE10hipError_tPvRmT1_T2_T3_mT4_P12ihipStream_tbEUlT_E1_NS1_11comp_targetILNS1_3genE5ELNS1_11target_archE942ELNS1_3gpuE9ELNS1_3repE0EEENS1_30default_config_static_selectorELNS0_4arch9wavefront6targetE1EEEvSK_
; %bb.0:
	.section	.rodata,"a",@progbits
	.p2align	6, 0x0
	.amdhsa_kernel _ZN7rocprim17ROCPRIM_400000_NS6detail17trampoline_kernelINS0_14default_configENS1_22reduce_config_selectorIiEEZNS1_11reduce_implILb1ES3_N6thrust23THRUST_200600_302600_NS6detail15normal_iteratorINS8_10device_ptrIiEEEEPffNS8_4plusIfEEEE10hipError_tPvRmT1_T2_T3_mT4_P12ihipStream_tbEUlT_E1_NS1_11comp_targetILNS1_3genE5ELNS1_11target_archE942ELNS1_3gpuE9ELNS1_3repE0EEENS1_30default_config_static_selectorELNS0_4arch9wavefront6targetE1EEEvSK_
		.amdhsa_group_segment_fixed_size 0
		.amdhsa_private_segment_fixed_size 0
		.amdhsa_kernarg_size 40
		.amdhsa_user_sgpr_count 2
		.amdhsa_user_sgpr_dispatch_ptr 0
		.amdhsa_user_sgpr_queue_ptr 0
		.amdhsa_user_sgpr_kernarg_segment_ptr 1
		.amdhsa_user_sgpr_dispatch_id 0
		.amdhsa_user_sgpr_kernarg_preload_length 0
		.amdhsa_user_sgpr_kernarg_preload_offset 0
		.amdhsa_user_sgpr_private_segment_size 0
		.amdhsa_uses_dynamic_stack 0
		.amdhsa_enable_private_segment 0
		.amdhsa_system_sgpr_workgroup_id_x 1
		.amdhsa_system_sgpr_workgroup_id_y 0
		.amdhsa_system_sgpr_workgroup_id_z 0
		.amdhsa_system_sgpr_workgroup_info 0
		.amdhsa_system_vgpr_workitem_id 0
		.amdhsa_next_free_vgpr 1
		.amdhsa_next_free_sgpr 0
		.amdhsa_accum_offset 4
		.amdhsa_reserve_vcc 0
		.amdhsa_float_round_mode_32 0
		.amdhsa_float_round_mode_16_64 0
		.amdhsa_float_denorm_mode_32 3
		.amdhsa_float_denorm_mode_16_64 3
		.amdhsa_dx10_clamp 1
		.amdhsa_ieee_mode 1
		.amdhsa_fp16_overflow 0
		.amdhsa_tg_split 0
		.amdhsa_exception_fp_ieee_invalid_op 0
		.amdhsa_exception_fp_denorm_src 0
		.amdhsa_exception_fp_ieee_div_zero 0
		.amdhsa_exception_fp_ieee_overflow 0
		.amdhsa_exception_fp_ieee_underflow 0
		.amdhsa_exception_fp_ieee_inexact 0
		.amdhsa_exception_int_div_zero 0
	.end_amdhsa_kernel
	.section	.text._ZN7rocprim17ROCPRIM_400000_NS6detail17trampoline_kernelINS0_14default_configENS1_22reduce_config_selectorIiEEZNS1_11reduce_implILb1ES3_N6thrust23THRUST_200600_302600_NS6detail15normal_iteratorINS8_10device_ptrIiEEEEPffNS8_4plusIfEEEE10hipError_tPvRmT1_T2_T3_mT4_P12ihipStream_tbEUlT_E1_NS1_11comp_targetILNS1_3genE5ELNS1_11target_archE942ELNS1_3gpuE9ELNS1_3repE0EEENS1_30default_config_static_selectorELNS0_4arch9wavefront6targetE1EEEvSK_,"axG",@progbits,_ZN7rocprim17ROCPRIM_400000_NS6detail17trampoline_kernelINS0_14default_configENS1_22reduce_config_selectorIiEEZNS1_11reduce_implILb1ES3_N6thrust23THRUST_200600_302600_NS6detail15normal_iteratorINS8_10device_ptrIiEEEEPffNS8_4plusIfEEEE10hipError_tPvRmT1_T2_T3_mT4_P12ihipStream_tbEUlT_E1_NS1_11comp_targetILNS1_3genE5ELNS1_11target_archE942ELNS1_3gpuE9ELNS1_3repE0EEENS1_30default_config_static_selectorELNS0_4arch9wavefront6targetE1EEEvSK_,comdat
.Lfunc_end505:
	.size	_ZN7rocprim17ROCPRIM_400000_NS6detail17trampoline_kernelINS0_14default_configENS1_22reduce_config_selectorIiEEZNS1_11reduce_implILb1ES3_N6thrust23THRUST_200600_302600_NS6detail15normal_iteratorINS8_10device_ptrIiEEEEPffNS8_4plusIfEEEE10hipError_tPvRmT1_T2_T3_mT4_P12ihipStream_tbEUlT_E1_NS1_11comp_targetILNS1_3genE5ELNS1_11target_archE942ELNS1_3gpuE9ELNS1_3repE0EEENS1_30default_config_static_selectorELNS0_4arch9wavefront6targetE1EEEvSK_, .Lfunc_end505-_ZN7rocprim17ROCPRIM_400000_NS6detail17trampoline_kernelINS0_14default_configENS1_22reduce_config_selectorIiEEZNS1_11reduce_implILb1ES3_N6thrust23THRUST_200600_302600_NS6detail15normal_iteratorINS8_10device_ptrIiEEEEPffNS8_4plusIfEEEE10hipError_tPvRmT1_T2_T3_mT4_P12ihipStream_tbEUlT_E1_NS1_11comp_targetILNS1_3genE5ELNS1_11target_archE942ELNS1_3gpuE9ELNS1_3repE0EEENS1_30default_config_static_selectorELNS0_4arch9wavefront6targetE1EEEvSK_
                                        ; -- End function
	.set _ZN7rocprim17ROCPRIM_400000_NS6detail17trampoline_kernelINS0_14default_configENS1_22reduce_config_selectorIiEEZNS1_11reduce_implILb1ES3_N6thrust23THRUST_200600_302600_NS6detail15normal_iteratorINS8_10device_ptrIiEEEEPffNS8_4plusIfEEEE10hipError_tPvRmT1_T2_T3_mT4_P12ihipStream_tbEUlT_E1_NS1_11comp_targetILNS1_3genE5ELNS1_11target_archE942ELNS1_3gpuE9ELNS1_3repE0EEENS1_30default_config_static_selectorELNS0_4arch9wavefront6targetE1EEEvSK_.num_vgpr, 0
	.set _ZN7rocprim17ROCPRIM_400000_NS6detail17trampoline_kernelINS0_14default_configENS1_22reduce_config_selectorIiEEZNS1_11reduce_implILb1ES3_N6thrust23THRUST_200600_302600_NS6detail15normal_iteratorINS8_10device_ptrIiEEEEPffNS8_4plusIfEEEE10hipError_tPvRmT1_T2_T3_mT4_P12ihipStream_tbEUlT_E1_NS1_11comp_targetILNS1_3genE5ELNS1_11target_archE942ELNS1_3gpuE9ELNS1_3repE0EEENS1_30default_config_static_selectorELNS0_4arch9wavefront6targetE1EEEvSK_.num_agpr, 0
	.set _ZN7rocprim17ROCPRIM_400000_NS6detail17trampoline_kernelINS0_14default_configENS1_22reduce_config_selectorIiEEZNS1_11reduce_implILb1ES3_N6thrust23THRUST_200600_302600_NS6detail15normal_iteratorINS8_10device_ptrIiEEEEPffNS8_4plusIfEEEE10hipError_tPvRmT1_T2_T3_mT4_P12ihipStream_tbEUlT_E1_NS1_11comp_targetILNS1_3genE5ELNS1_11target_archE942ELNS1_3gpuE9ELNS1_3repE0EEENS1_30default_config_static_selectorELNS0_4arch9wavefront6targetE1EEEvSK_.numbered_sgpr, 0
	.set _ZN7rocprim17ROCPRIM_400000_NS6detail17trampoline_kernelINS0_14default_configENS1_22reduce_config_selectorIiEEZNS1_11reduce_implILb1ES3_N6thrust23THRUST_200600_302600_NS6detail15normal_iteratorINS8_10device_ptrIiEEEEPffNS8_4plusIfEEEE10hipError_tPvRmT1_T2_T3_mT4_P12ihipStream_tbEUlT_E1_NS1_11comp_targetILNS1_3genE5ELNS1_11target_archE942ELNS1_3gpuE9ELNS1_3repE0EEENS1_30default_config_static_selectorELNS0_4arch9wavefront6targetE1EEEvSK_.num_named_barrier, 0
	.set _ZN7rocprim17ROCPRIM_400000_NS6detail17trampoline_kernelINS0_14default_configENS1_22reduce_config_selectorIiEEZNS1_11reduce_implILb1ES3_N6thrust23THRUST_200600_302600_NS6detail15normal_iteratorINS8_10device_ptrIiEEEEPffNS8_4plusIfEEEE10hipError_tPvRmT1_T2_T3_mT4_P12ihipStream_tbEUlT_E1_NS1_11comp_targetILNS1_3genE5ELNS1_11target_archE942ELNS1_3gpuE9ELNS1_3repE0EEENS1_30default_config_static_selectorELNS0_4arch9wavefront6targetE1EEEvSK_.private_seg_size, 0
	.set _ZN7rocprim17ROCPRIM_400000_NS6detail17trampoline_kernelINS0_14default_configENS1_22reduce_config_selectorIiEEZNS1_11reduce_implILb1ES3_N6thrust23THRUST_200600_302600_NS6detail15normal_iteratorINS8_10device_ptrIiEEEEPffNS8_4plusIfEEEE10hipError_tPvRmT1_T2_T3_mT4_P12ihipStream_tbEUlT_E1_NS1_11comp_targetILNS1_3genE5ELNS1_11target_archE942ELNS1_3gpuE9ELNS1_3repE0EEENS1_30default_config_static_selectorELNS0_4arch9wavefront6targetE1EEEvSK_.uses_vcc, 0
	.set _ZN7rocprim17ROCPRIM_400000_NS6detail17trampoline_kernelINS0_14default_configENS1_22reduce_config_selectorIiEEZNS1_11reduce_implILb1ES3_N6thrust23THRUST_200600_302600_NS6detail15normal_iteratorINS8_10device_ptrIiEEEEPffNS8_4plusIfEEEE10hipError_tPvRmT1_T2_T3_mT4_P12ihipStream_tbEUlT_E1_NS1_11comp_targetILNS1_3genE5ELNS1_11target_archE942ELNS1_3gpuE9ELNS1_3repE0EEENS1_30default_config_static_selectorELNS0_4arch9wavefront6targetE1EEEvSK_.uses_flat_scratch, 0
	.set _ZN7rocprim17ROCPRIM_400000_NS6detail17trampoline_kernelINS0_14default_configENS1_22reduce_config_selectorIiEEZNS1_11reduce_implILb1ES3_N6thrust23THRUST_200600_302600_NS6detail15normal_iteratorINS8_10device_ptrIiEEEEPffNS8_4plusIfEEEE10hipError_tPvRmT1_T2_T3_mT4_P12ihipStream_tbEUlT_E1_NS1_11comp_targetILNS1_3genE5ELNS1_11target_archE942ELNS1_3gpuE9ELNS1_3repE0EEENS1_30default_config_static_selectorELNS0_4arch9wavefront6targetE1EEEvSK_.has_dyn_sized_stack, 0
	.set _ZN7rocprim17ROCPRIM_400000_NS6detail17trampoline_kernelINS0_14default_configENS1_22reduce_config_selectorIiEEZNS1_11reduce_implILb1ES3_N6thrust23THRUST_200600_302600_NS6detail15normal_iteratorINS8_10device_ptrIiEEEEPffNS8_4plusIfEEEE10hipError_tPvRmT1_T2_T3_mT4_P12ihipStream_tbEUlT_E1_NS1_11comp_targetILNS1_3genE5ELNS1_11target_archE942ELNS1_3gpuE9ELNS1_3repE0EEENS1_30default_config_static_selectorELNS0_4arch9wavefront6targetE1EEEvSK_.has_recursion, 0
	.set _ZN7rocprim17ROCPRIM_400000_NS6detail17trampoline_kernelINS0_14default_configENS1_22reduce_config_selectorIiEEZNS1_11reduce_implILb1ES3_N6thrust23THRUST_200600_302600_NS6detail15normal_iteratorINS8_10device_ptrIiEEEEPffNS8_4plusIfEEEE10hipError_tPvRmT1_T2_T3_mT4_P12ihipStream_tbEUlT_E1_NS1_11comp_targetILNS1_3genE5ELNS1_11target_archE942ELNS1_3gpuE9ELNS1_3repE0EEENS1_30default_config_static_selectorELNS0_4arch9wavefront6targetE1EEEvSK_.has_indirect_call, 0
	.section	.AMDGPU.csdata,"",@progbits
; Kernel info:
; codeLenInByte = 0
; TotalNumSgprs: 6
; NumVgprs: 0
; NumAgprs: 0
; TotalNumVgprs: 0
; ScratchSize: 0
; MemoryBound: 0
; FloatMode: 240
; IeeeMode: 1
; LDSByteSize: 0 bytes/workgroup (compile time only)
; SGPRBlocks: 0
; VGPRBlocks: 0
; NumSGPRsForWavesPerEU: 6
; NumVGPRsForWavesPerEU: 1
; AccumOffset: 4
; Occupancy: 8
; WaveLimiterHint : 0
; COMPUTE_PGM_RSRC2:SCRATCH_EN: 0
; COMPUTE_PGM_RSRC2:USER_SGPR: 2
; COMPUTE_PGM_RSRC2:TRAP_HANDLER: 0
; COMPUTE_PGM_RSRC2:TGID_X_EN: 1
; COMPUTE_PGM_RSRC2:TGID_Y_EN: 0
; COMPUTE_PGM_RSRC2:TGID_Z_EN: 0
; COMPUTE_PGM_RSRC2:TIDIG_COMP_CNT: 0
; COMPUTE_PGM_RSRC3_GFX90A:ACCUM_OFFSET: 0
; COMPUTE_PGM_RSRC3_GFX90A:TG_SPLIT: 0
	.section	.text._ZN7rocprim17ROCPRIM_400000_NS6detail17trampoline_kernelINS0_14default_configENS1_22reduce_config_selectorIiEEZNS1_11reduce_implILb1ES3_N6thrust23THRUST_200600_302600_NS6detail15normal_iteratorINS8_10device_ptrIiEEEEPffNS8_4plusIfEEEE10hipError_tPvRmT1_T2_T3_mT4_P12ihipStream_tbEUlT_E1_NS1_11comp_targetILNS1_3genE4ELNS1_11target_archE910ELNS1_3gpuE8ELNS1_3repE0EEENS1_30default_config_static_selectorELNS0_4arch9wavefront6targetE1EEEvSK_,"axG",@progbits,_ZN7rocprim17ROCPRIM_400000_NS6detail17trampoline_kernelINS0_14default_configENS1_22reduce_config_selectorIiEEZNS1_11reduce_implILb1ES3_N6thrust23THRUST_200600_302600_NS6detail15normal_iteratorINS8_10device_ptrIiEEEEPffNS8_4plusIfEEEE10hipError_tPvRmT1_T2_T3_mT4_P12ihipStream_tbEUlT_E1_NS1_11comp_targetILNS1_3genE4ELNS1_11target_archE910ELNS1_3gpuE8ELNS1_3repE0EEENS1_30default_config_static_selectorELNS0_4arch9wavefront6targetE1EEEvSK_,comdat
	.protected	_ZN7rocprim17ROCPRIM_400000_NS6detail17trampoline_kernelINS0_14default_configENS1_22reduce_config_selectorIiEEZNS1_11reduce_implILb1ES3_N6thrust23THRUST_200600_302600_NS6detail15normal_iteratorINS8_10device_ptrIiEEEEPffNS8_4plusIfEEEE10hipError_tPvRmT1_T2_T3_mT4_P12ihipStream_tbEUlT_E1_NS1_11comp_targetILNS1_3genE4ELNS1_11target_archE910ELNS1_3gpuE8ELNS1_3repE0EEENS1_30default_config_static_selectorELNS0_4arch9wavefront6targetE1EEEvSK_ ; -- Begin function _ZN7rocprim17ROCPRIM_400000_NS6detail17trampoline_kernelINS0_14default_configENS1_22reduce_config_selectorIiEEZNS1_11reduce_implILb1ES3_N6thrust23THRUST_200600_302600_NS6detail15normal_iteratorINS8_10device_ptrIiEEEEPffNS8_4plusIfEEEE10hipError_tPvRmT1_T2_T3_mT4_P12ihipStream_tbEUlT_E1_NS1_11comp_targetILNS1_3genE4ELNS1_11target_archE910ELNS1_3gpuE8ELNS1_3repE0EEENS1_30default_config_static_selectorELNS0_4arch9wavefront6targetE1EEEvSK_
	.globl	_ZN7rocprim17ROCPRIM_400000_NS6detail17trampoline_kernelINS0_14default_configENS1_22reduce_config_selectorIiEEZNS1_11reduce_implILb1ES3_N6thrust23THRUST_200600_302600_NS6detail15normal_iteratorINS8_10device_ptrIiEEEEPffNS8_4plusIfEEEE10hipError_tPvRmT1_T2_T3_mT4_P12ihipStream_tbEUlT_E1_NS1_11comp_targetILNS1_3genE4ELNS1_11target_archE910ELNS1_3gpuE8ELNS1_3repE0EEENS1_30default_config_static_selectorELNS0_4arch9wavefront6targetE1EEEvSK_
	.p2align	8
	.type	_ZN7rocprim17ROCPRIM_400000_NS6detail17trampoline_kernelINS0_14default_configENS1_22reduce_config_selectorIiEEZNS1_11reduce_implILb1ES3_N6thrust23THRUST_200600_302600_NS6detail15normal_iteratorINS8_10device_ptrIiEEEEPffNS8_4plusIfEEEE10hipError_tPvRmT1_T2_T3_mT4_P12ihipStream_tbEUlT_E1_NS1_11comp_targetILNS1_3genE4ELNS1_11target_archE910ELNS1_3gpuE8ELNS1_3repE0EEENS1_30default_config_static_selectorELNS0_4arch9wavefront6targetE1EEEvSK_,@function
_ZN7rocprim17ROCPRIM_400000_NS6detail17trampoline_kernelINS0_14default_configENS1_22reduce_config_selectorIiEEZNS1_11reduce_implILb1ES3_N6thrust23THRUST_200600_302600_NS6detail15normal_iteratorINS8_10device_ptrIiEEEEPffNS8_4plusIfEEEE10hipError_tPvRmT1_T2_T3_mT4_P12ihipStream_tbEUlT_E1_NS1_11comp_targetILNS1_3genE4ELNS1_11target_archE910ELNS1_3gpuE8ELNS1_3repE0EEENS1_30default_config_static_selectorELNS0_4arch9wavefront6targetE1EEEvSK_: ; @_ZN7rocprim17ROCPRIM_400000_NS6detail17trampoline_kernelINS0_14default_configENS1_22reduce_config_selectorIiEEZNS1_11reduce_implILb1ES3_N6thrust23THRUST_200600_302600_NS6detail15normal_iteratorINS8_10device_ptrIiEEEEPffNS8_4plusIfEEEE10hipError_tPvRmT1_T2_T3_mT4_P12ihipStream_tbEUlT_E1_NS1_11comp_targetILNS1_3genE4ELNS1_11target_archE910ELNS1_3gpuE8ELNS1_3repE0EEENS1_30default_config_static_selectorELNS0_4arch9wavefront6targetE1EEEvSK_
; %bb.0:
	.section	.rodata,"a",@progbits
	.p2align	6, 0x0
	.amdhsa_kernel _ZN7rocprim17ROCPRIM_400000_NS6detail17trampoline_kernelINS0_14default_configENS1_22reduce_config_selectorIiEEZNS1_11reduce_implILb1ES3_N6thrust23THRUST_200600_302600_NS6detail15normal_iteratorINS8_10device_ptrIiEEEEPffNS8_4plusIfEEEE10hipError_tPvRmT1_T2_T3_mT4_P12ihipStream_tbEUlT_E1_NS1_11comp_targetILNS1_3genE4ELNS1_11target_archE910ELNS1_3gpuE8ELNS1_3repE0EEENS1_30default_config_static_selectorELNS0_4arch9wavefront6targetE1EEEvSK_
		.amdhsa_group_segment_fixed_size 0
		.amdhsa_private_segment_fixed_size 0
		.amdhsa_kernarg_size 40
		.amdhsa_user_sgpr_count 2
		.amdhsa_user_sgpr_dispatch_ptr 0
		.amdhsa_user_sgpr_queue_ptr 0
		.amdhsa_user_sgpr_kernarg_segment_ptr 1
		.amdhsa_user_sgpr_dispatch_id 0
		.amdhsa_user_sgpr_kernarg_preload_length 0
		.amdhsa_user_sgpr_kernarg_preload_offset 0
		.amdhsa_user_sgpr_private_segment_size 0
		.amdhsa_uses_dynamic_stack 0
		.amdhsa_enable_private_segment 0
		.amdhsa_system_sgpr_workgroup_id_x 1
		.amdhsa_system_sgpr_workgroup_id_y 0
		.amdhsa_system_sgpr_workgroup_id_z 0
		.amdhsa_system_sgpr_workgroup_info 0
		.amdhsa_system_vgpr_workitem_id 0
		.amdhsa_next_free_vgpr 1
		.amdhsa_next_free_sgpr 0
		.amdhsa_accum_offset 4
		.amdhsa_reserve_vcc 0
		.amdhsa_float_round_mode_32 0
		.amdhsa_float_round_mode_16_64 0
		.amdhsa_float_denorm_mode_32 3
		.amdhsa_float_denorm_mode_16_64 3
		.amdhsa_dx10_clamp 1
		.amdhsa_ieee_mode 1
		.amdhsa_fp16_overflow 0
		.amdhsa_tg_split 0
		.amdhsa_exception_fp_ieee_invalid_op 0
		.amdhsa_exception_fp_denorm_src 0
		.amdhsa_exception_fp_ieee_div_zero 0
		.amdhsa_exception_fp_ieee_overflow 0
		.amdhsa_exception_fp_ieee_underflow 0
		.amdhsa_exception_fp_ieee_inexact 0
		.amdhsa_exception_int_div_zero 0
	.end_amdhsa_kernel
	.section	.text._ZN7rocprim17ROCPRIM_400000_NS6detail17trampoline_kernelINS0_14default_configENS1_22reduce_config_selectorIiEEZNS1_11reduce_implILb1ES3_N6thrust23THRUST_200600_302600_NS6detail15normal_iteratorINS8_10device_ptrIiEEEEPffNS8_4plusIfEEEE10hipError_tPvRmT1_T2_T3_mT4_P12ihipStream_tbEUlT_E1_NS1_11comp_targetILNS1_3genE4ELNS1_11target_archE910ELNS1_3gpuE8ELNS1_3repE0EEENS1_30default_config_static_selectorELNS0_4arch9wavefront6targetE1EEEvSK_,"axG",@progbits,_ZN7rocprim17ROCPRIM_400000_NS6detail17trampoline_kernelINS0_14default_configENS1_22reduce_config_selectorIiEEZNS1_11reduce_implILb1ES3_N6thrust23THRUST_200600_302600_NS6detail15normal_iteratorINS8_10device_ptrIiEEEEPffNS8_4plusIfEEEE10hipError_tPvRmT1_T2_T3_mT4_P12ihipStream_tbEUlT_E1_NS1_11comp_targetILNS1_3genE4ELNS1_11target_archE910ELNS1_3gpuE8ELNS1_3repE0EEENS1_30default_config_static_selectorELNS0_4arch9wavefront6targetE1EEEvSK_,comdat
.Lfunc_end506:
	.size	_ZN7rocprim17ROCPRIM_400000_NS6detail17trampoline_kernelINS0_14default_configENS1_22reduce_config_selectorIiEEZNS1_11reduce_implILb1ES3_N6thrust23THRUST_200600_302600_NS6detail15normal_iteratorINS8_10device_ptrIiEEEEPffNS8_4plusIfEEEE10hipError_tPvRmT1_T2_T3_mT4_P12ihipStream_tbEUlT_E1_NS1_11comp_targetILNS1_3genE4ELNS1_11target_archE910ELNS1_3gpuE8ELNS1_3repE0EEENS1_30default_config_static_selectorELNS0_4arch9wavefront6targetE1EEEvSK_, .Lfunc_end506-_ZN7rocprim17ROCPRIM_400000_NS6detail17trampoline_kernelINS0_14default_configENS1_22reduce_config_selectorIiEEZNS1_11reduce_implILb1ES3_N6thrust23THRUST_200600_302600_NS6detail15normal_iteratorINS8_10device_ptrIiEEEEPffNS8_4plusIfEEEE10hipError_tPvRmT1_T2_T3_mT4_P12ihipStream_tbEUlT_E1_NS1_11comp_targetILNS1_3genE4ELNS1_11target_archE910ELNS1_3gpuE8ELNS1_3repE0EEENS1_30default_config_static_selectorELNS0_4arch9wavefront6targetE1EEEvSK_
                                        ; -- End function
	.set _ZN7rocprim17ROCPRIM_400000_NS6detail17trampoline_kernelINS0_14default_configENS1_22reduce_config_selectorIiEEZNS1_11reduce_implILb1ES3_N6thrust23THRUST_200600_302600_NS6detail15normal_iteratorINS8_10device_ptrIiEEEEPffNS8_4plusIfEEEE10hipError_tPvRmT1_T2_T3_mT4_P12ihipStream_tbEUlT_E1_NS1_11comp_targetILNS1_3genE4ELNS1_11target_archE910ELNS1_3gpuE8ELNS1_3repE0EEENS1_30default_config_static_selectorELNS0_4arch9wavefront6targetE1EEEvSK_.num_vgpr, 0
	.set _ZN7rocprim17ROCPRIM_400000_NS6detail17trampoline_kernelINS0_14default_configENS1_22reduce_config_selectorIiEEZNS1_11reduce_implILb1ES3_N6thrust23THRUST_200600_302600_NS6detail15normal_iteratorINS8_10device_ptrIiEEEEPffNS8_4plusIfEEEE10hipError_tPvRmT1_T2_T3_mT4_P12ihipStream_tbEUlT_E1_NS1_11comp_targetILNS1_3genE4ELNS1_11target_archE910ELNS1_3gpuE8ELNS1_3repE0EEENS1_30default_config_static_selectorELNS0_4arch9wavefront6targetE1EEEvSK_.num_agpr, 0
	.set _ZN7rocprim17ROCPRIM_400000_NS6detail17trampoline_kernelINS0_14default_configENS1_22reduce_config_selectorIiEEZNS1_11reduce_implILb1ES3_N6thrust23THRUST_200600_302600_NS6detail15normal_iteratorINS8_10device_ptrIiEEEEPffNS8_4plusIfEEEE10hipError_tPvRmT1_T2_T3_mT4_P12ihipStream_tbEUlT_E1_NS1_11comp_targetILNS1_3genE4ELNS1_11target_archE910ELNS1_3gpuE8ELNS1_3repE0EEENS1_30default_config_static_selectorELNS0_4arch9wavefront6targetE1EEEvSK_.numbered_sgpr, 0
	.set _ZN7rocprim17ROCPRIM_400000_NS6detail17trampoline_kernelINS0_14default_configENS1_22reduce_config_selectorIiEEZNS1_11reduce_implILb1ES3_N6thrust23THRUST_200600_302600_NS6detail15normal_iteratorINS8_10device_ptrIiEEEEPffNS8_4plusIfEEEE10hipError_tPvRmT1_T2_T3_mT4_P12ihipStream_tbEUlT_E1_NS1_11comp_targetILNS1_3genE4ELNS1_11target_archE910ELNS1_3gpuE8ELNS1_3repE0EEENS1_30default_config_static_selectorELNS0_4arch9wavefront6targetE1EEEvSK_.num_named_barrier, 0
	.set _ZN7rocprim17ROCPRIM_400000_NS6detail17trampoline_kernelINS0_14default_configENS1_22reduce_config_selectorIiEEZNS1_11reduce_implILb1ES3_N6thrust23THRUST_200600_302600_NS6detail15normal_iteratorINS8_10device_ptrIiEEEEPffNS8_4plusIfEEEE10hipError_tPvRmT1_T2_T3_mT4_P12ihipStream_tbEUlT_E1_NS1_11comp_targetILNS1_3genE4ELNS1_11target_archE910ELNS1_3gpuE8ELNS1_3repE0EEENS1_30default_config_static_selectorELNS0_4arch9wavefront6targetE1EEEvSK_.private_seg_size, 0
	.set _ZN7rocprim17ROCPRIM_400000_NS6detail17trampoline_kernelINS0_14default_configENS1_22reduce_config_selectorIiEEZNS1_11reduce_implILb1ES3_N6thrust23THRUST_200600_302600_NS6detail15normal_iteratorINS8_10device_ptrIiEEEEPffNS8_4plusIfEEEE10hipError_tPvRmT1_T2_T3_mT4_P12ihipStream_tbEUlT_E1_NS1_11comp_targetILNS1_3genE4ELNS1_11target_archE910ELNS1_3gpuE8ELNS1_3repE0EEENS1_30default_config_static_selectorELNS0_4arch9wavefront6targetE1EEEvSK_.uses_vcc, 0
	.set _ZN7rocprim17ROCPRIM_400000_NS6detail17trampoline_kernelINS0_14default_configENS1_22reduce_config_selectorIiEEZNS1_11reduce_implILb1ES3_N6thrust23THRUST_200600_302600_NS6detail15normal_iteratorINS8_10device_ptrIiEEEEPffNS8_4plusIfEEEE10hipError_tPvRmT1_T2_T3_mT4_P12ihipStream_tbEUlT_E1_NS1_11comp_targetILNS1_3genE4ELNS1_11target_archE910ELNS1_3gpuE8ELNS1_3repE0EEENS1_30default_config_static_selectorELNS0_4arch9wavefront6targetE1EEEvSK_.uses_flat_scratch, 0
	.set _ZN7rocprim17ROCPRIM_400000_NS6detail17trampoline_kernelINS0_14default_configENS1_22reduce_config_selectorIiEEZNS1_11reduce_implILb1ES3_N6thrust23THRUST_200600_302600_NS6detail15normal_iteratorINS8_10device_ptrIiEEEEPffNS8_4plusIfEEEE10hipError_tPvRmT1_T2_T3_mT4_P12ihipStream_tbEUlT_E1_NS1_11comp_targetILNS1_3genE4ELNS1_11target_archE910ELNS1_3gpuE8ELNS1_3repE0EEENS1_30default_config_static_selectorELNS0_4arch9wavefront6targetE1EEEvSK_.has_dyn_sized_stack, 0
	.set _ZN7rocprim17ROCPRIM_400000_NS6detail17trampoline_kernelINS0_14default_configENS1_22reduce_config_selectorIiEEZNS1_11reduce_implILb1ES3_N6thrust23THRUST_200600_302600_NS6detail15normal_iteratorINS8_10device_ptrIiEEEEPffNS8_4plusIfEEEE10hipError_tPvRmT1_T2_T3_mT4_P12ihipStream_tbEUlT_E1_NS1_11comp_targetILNS1_3genE4ELNS1_11target_archE910ELNS1_3gpuE8ELNS1_3repE0EEENS1_30default_config_static_selectorELNS0_4arch9wavefront6targetE1EEEvSK_.has_recursion, 0
	.set _ZN7rocprim17ROCPRIM_400000_NS6detail17trampoline_kernelINS0_14default_configENS1_22reduce_config_selectorIiEEZNS1_11reduce_implILb1ES3_N6thrust23THRUST_200600_302600_NS6detail15normal_iteratorINS8_10device_ptrIiEEEEPffNS8_4plusIfEEEE10hipError_tPvRmT1_T2_T3_mT4_P12ihipStream_tbEUlT_E1_NS1_11comp_targetILNS1_3genE4ELNS1_11target_archE910ELNS1_3gpuE8ELNS1_3repE0EEENS1_30default_config_static_selectorELNS0_4arch9wavefront6targetE1EEEvSK_.has_indirect_call, 0
	.section	.AMDGPU.csdata,"",@progbits
; Kernel info:
; codeLenInByte = 0
; TotalNumSgprs: 6
; NumVgprs: 0
; NumAgprs: 0
; TotalNumVgprs: 0
; ScratchSize: 0
; MemoryBound: 0
; FloatMode: 240
; IeeeMode: 1
; LDSByteSize: 0 bytes/workgroup (compile time only)
; SGPRBlocks: 0
; VGPRBlocks: 0
; NumSGPRsForWavesPerEU: 6
; NumVGPRsForWavesPerEU: 1
; AccumOffset: 4
; Occupancy: 8
; WaveLimiterHint : 0
; COMPUTE_PGM_RSRC2:SCRATCH_EN: 0
; COMPUTE_PGM_RSRC2:USER_SGPR: 2
; COMPUTE_PGM_RSRC2:TRAP_HANDLER: 0
; COMPUTE_PGM_RSRC2:TGID_X_EN: 1
; COMPUTE_PGM_RSRC2:TGID_Y_EN: 0
; COMPUTE_PGM_RSRC2:TGID_Z_EN: 0
; COMPUTE_PGM_RSRC2:TIDIG_COMP_CNT: 0
; COMPUTE_PGM_RSRC3_GFX90A:ACCUM_OFFSET: 0
; COMPUTE_PGM_RSRC3_GFX90A:TG_SPLIT: 0
	.section	.text._ZN7rocprim17ROCPRIM_400000_NS6detail17trampoline_kernelINS0_14default_configENS1_22reduce_config_selectorIiEEZNS1_11reduce_implILb1ES3_N6thrust23THRUST_200600_302600_NS6detail15normal_iteratorINS8_10device_ptrIiEEEEPffNS8_4plusIfEEEE10hipError_tPvRmT1_T2_T3_mT4_P12ihipStream_tbEUlT_E1_NS1_11comp_targetILNS1_3genE3ELNS1_11target_archE908ELNS1_3gpuE7ELNS1_3repE0EEENS1_30default_config_static_selectorELNS0_4arch9wavefront6targetE1EEEvSK_,"axG",@progbits,_ZN7rocprim17ROCPRIM_400000_NS6detail17trampoline_kernelINS0_14default_configENS1_22reduce_config_selectorIiEEZNS1_11reduce_implILb1ES3_N6thrust23THRUST_200600_302600_NS6detail15normal_iteratorINS8_10device_ptrIiEEEEPffNS8_4plusIfEEEE10hipError_tPvRmT1_T2_T3_mT4_P12ihipStream_tbEUlT_E1_NS1_11comp_targetILNS1_3genE3ELNS1_11target_archE908ELNS1_3gpuE7ELNS1_3repE0EEENS1_30default_config_static_selectorELNS0_4arch9wavefront6targetE1EEEvSK_,comdat
	.protected	_ZN7rocprim17ROCPRIM_400000_NS6detail17trampoline_kernelINS0_14default_configENS1_22reduce_config_selectorIiEEZNS1_11reduce_implILb1ES3_N6thrust23THRUST_200600_302600_NS6detail15normal_iteratorINS8_10device_ptrIiEEEEPffNS8_4plusIfEEEE10hipError_tPvRmT1_T2_T3_mT4_P12ihipStream_tbEUlT_E1_NS1_11comp_targetILNS1_3genE3ELNS1_11target_archE908ELNS1_3gpuE7ELNS1_3repE0EEENS1_30default_config_static_selectorELNS0_4arch9wavefront6targetE1EEEvSK_ ; -- Begin function _ZN7rocprim17ROCPRIM_400000_NS6detail17trampoline_kernelINS0_14default_configENS1_22reduce_config_selectorIiEEZNS1_11reduce_implILb1ES3_N6thrust23THRUST_200600_302600_NS6detail15normal_iteratorINS8_10device_ptrIiEEEEPffNS8_4plusIfEEEE10hipError_tPvRmT1_T2_T3_mT4_P12ihipStream_tbEUlT_E1_NS1_11comp_targetILNS1_3genE3ELNS1_11target_archE908ELNS1_3gpuE7ELNS1_3repE0EEENS1_30default_config_static_selectorELNS0_4arch9wavefront6targetE1EEEvSK_
	.globl	_ZN7rocprim17ROCPRIM_400000_NS6detail17trampoline_kernelINS0_14default_configENS1_22reduce_config_selectorIiEEZNS1_11reduce_implILb1ES3_N6thrust23THRUST_200600_302600_NS6detail15normal_iteratorINS8_10device_ptrIiEEEEPffNS8_4plusIfEEEE10hipError_tPvRmT1_T2_T3_mT4_P12ihipStream_tbEUlT_E1_NS1_11comp_targetILNS1_3genE3ELNS1_11target_archE908ELNS1_3gpuE7ELNS1_3repE0EEENS1_30default_config_static_selectorELNS0_4arch9wavefront6targetE1EEEvSK_
	.p2align	8
	.type	_ZN7rocprim17ROCPRIM_400000_NS6detail17trampoline_kernelINS0_14default_configENS1_22reduce_config_selectorIiEEZNS1_11reduce_implILb1ES3_N6thrust23THRUST_200600_302600_NS6detail15normal_iteratorINS8_10device_ptrIiEEEEPffNS8_4plusIfEEEE10hipError_tPvRmT1_T2_T3_mT4_P12ihipStream_tbEUlT_E1_NS1_11comp_targetILNS1_3genE3ELNS1_11target_archE908ELNS1_3gpuE7ELNS1_3repE0EEENS1_30default_config_static_selectorELNS0_4arch9wavefront6targetE1EEEvSK_,@function
_ZN7rocprim17ROCPRIM_400000_NS6detail17trampoline_kernelINS0_14default_configENS1_22reduce_config_selectorIiEEZNS1_11reduce_implILb1ES3_N6thrust23THRUST_200600_302600_NS6detail15normal_iteratorINS8_10device_ptrIiEEEEPffNS8_4plusIfEEEE10hipError_tPvRmT1_T2_T3_mT4_P12ihipStream_tbEUlT_E1_NS1_11comp_targetILNS1_3genE3ELNS1_11target_archE908ELNS1_3gpuE7ELNS1_3repE0EEENS1_30default_config_static_selectorELNS0_4arch9wavefront6targetE1EEEvSK_: ; @_ZN7rocprim17ROCPRIM_400000_NS6detail17trampoline_kernelINS0_14default_configENS1_22reduce_config_selectorIiEEZNS1_11reduce_implILb1ES3_N6thrust23THRUST_200600_302600_NS6detail15normal_iteratorINS8_10device_ptrIiEEEEPffNS8_4plusIfEEEE10hipError_tPvRmT1_T2_T3_mT4_P12ihipStream_tbEUlT_E1_NS1_11comp_targetILNS1_3genE3ELNS1_11target_archE908ELNS1_3gpuE7ELNS1_3repE0EEENS1_30default_config_static_selectorELNS0_4arch9wavefront6targetE1EEEvSK_
; %bb.0:
	.section	.rodata,"a",@progbits
	.p2align	6, 0x0
	.amdhsa_kernel _ZN7rocprim17ROCPRIM_400000_NS6detail17trampoline_kernelINS0_14default_configENS1_22reduce_config_selectorIiEEZNS1_11reduce_implILb1ES3_N6thrust23THRUST_200600_302600_NS6detail15normal_iteratorINS8_10device_ptrIiEEEEPffNS8_4plusIfEEEE10hipError_tPvRmT1_T2_T3_mT4_P12ihipStream_tbEUlT_E1_NS1_11comp_targetILNS1_3genE3ELNS1_11target_archE908ELNS1_3gpuE7ELNS1_3repE0EEENS1_30default_config_static_selectorELNS0_4arch9wavefront6targetE1EEEvSK_
		.amdhsa_group_segment_fixed_size 0
		.amdhsa_private_segment_fixed_size 0
		.amdhsa_kernarg_size 40
		.amdhsa_user_sgpr_count 2
		.amdhsa_user_sgpr_dispatch_ptr 0
		.amdhsa_user_sgpr_queue_ptr 0
		.amdhsa_user_sgpr_kernarg_segment_ptr 1
		.amdhsa_user_sgpr_dispatch_id 0
		.amdhsa_user_sgpr_kernarg_preload_length 0
		.amdhsa_user_sgpr_kernarg_preload_offset 0
		.amdhsa_user_sgpr_private_segment_size 0
		.amdhsa_uses_dynamic_stack 0
		.amdhsa_enable_private_segment 0
		.amdhsa_system_sgpr_workgroup_id_x 1
		.amdhsa_system_sgpr_workgroup_id_y 0
		.amdhsa_system_sgpr_workgroup_id_z 0
		.amdhsa_system_sgpr_workgroup_info 0
		.amdhsa_system_vgpr_workitem_id 0
		.amdhsa_next_free_vgpr 1
		.amdhsa_next_free_sgpr 0
		.amdhsa_accum_offset 4
		.amdhsa_reserve_vcc 0
		.amdhsa_float_round_mode_32 0
		.amdhsa_float_round_mode_16_64 0
		.amdhsa_float_denorm_mode_32 3
		.amdhsa_float_denorm_mode_16_64 3
		.amdhsa_dx10_clamp 1
		.amdhsa_ieee_mode 1
		.amdhsa_fp16_overflow 0
		.amdhsa_tg_split 0
		.amdhsa_exception_fp_ieee_invalid_op 0
		.amdhsa_exception_fp_denorm_src 0
		.amdhsa_exception_fp_ieee_div_zero 0
		.amdhsa_exception_fp_ieee_overflow 0
		.amdhsa_exception_fp_ieee_underflow 0
		.amdhsa_exception_fp_ieee_inexact 0
		.amdhsa_exception_int_div_zero 0
	.end_amdhsa_kernel
	.section	.text._ZN7rocprim17ROCPRIM_400000_NS6detail17trampoline_kernelINS0_14default_configENS1_22reduce_config_selectorIiEEZNS1_11reduce_implILb1ES3_N6thrust23THRUST_200600_302600_NS6detail15normal_iteratorINS8_10device_ptrIiEEEEPffNS8_4plusIfEEEE10hipError_tPvRmT1_T2_T3_mT4_P12ihipStream_tbEUlT_E1_NS1_11comp_targetILNS1_3genE3ELNS1_11target_archE908ELNS1_3gpuE7ELNS1_3repE0EEENS1_30default_config_static_selectorELNS0_4arch9wavefront6targetE1EEEvSK_,"axG",@progbits,_ZN7rocprim17ROCPRIM_400000_NS6detail17trampoline_kernelINS0_14default_configENS1_22reduce_config_selectorIiEEZNS1_11reduce_implILb1ES3_N6thrust23THRUST_200600_302600_NS6detail15normal_iteratorINS8_10device_ptrIiEEEEPffNS8_4plusIfEEEE10hipError_tPvRmT1_T2_T3_mT4_P12ihipStream_tbEUlT_E1_NS1_11comp_targetILNS1_3genE3ELNS1_11target_archE908ELNS1_3gpuE7ELNS1_3repE0EEENS1_30default_config_static_selectorELNS0_4arch9wavefront6targetE1EEEvSK_,comdat
.Lfunc_end507:
	.size	_ZN7rocprim17ROCPRIM_400000_NS6detail17trampoline_kernelINS0_14default_configENS1_22reduce_config_selectorIiEEZNS1_11reduce_implILb1ES3_N6thrust23THRUST_200600_302600_NS6detail15normal_iteratorINS8_10device_ptrIiEEEEPffNS8_4plusIfEEEE10hipError_tPvRmT1_T2_T3_mT4_P12ihipStream_tbEUlT_E1_NS1_11comp_targetILNS1_3genE3ELNS1_11target_archE908ELNS1_3gpuE7ELNS1_3repE0EEENS1_30default_config_static_selectorELNS0_4arch9wavefront6targetE1EEEvSK_, .Lfunc_end507-_ZN7rocprim17ROCPRIM_400000_NS6detail17trampoline_kernelINS0_14default_configENS1_22reduce_config_selectorIiEEZNS1_11reduce_implILb1ES3_N6thrust23THRUST_200600_302600_NS6detail15normal_iteratorINS8_10device_ptrIiEEEEPffNS8_4plusIfEEEE10hipError_tPvRmT1_T2_T3_mT4_P12ihipStream_tbEUlT_E1_NS1_11comp_targetILNS1_3genE3ELNS1_11target_archE908ELNS1_3gpuE7ELNS1_3repE0EEENS1_30default_config_static_selectorELNS0_4arch9wavefront6targetE1EEEvSK_
                                        ; -- End function
	.set _ZN7rocprim17ROCPRIM_400000_NS6detail17trampoline_kernelINS0_14default_configENS1_22reduce_config_selectorIiEEZNS1_11reduce_implILb1ES3_N6thrust23THRUST_200600_302600_NS6detail15normal_iteratorINS8_10device_ptrIiEEEEPffNS8_4plusIfEEEE10hipError_tPvRmT1_T2_T3_mT4_P12ihipStream_tbEUlT_E1_NS1_11comp_targetILNS1_3genE3ELNS1_11target_archE908ELNS1_3gpuE7ELNS1_3repE0EEENS1_30default_config_static_selectorELNS0_4arch9wavefront6targetE1EEEvSK_.num_vgpr, 0
	.set _ZN7rocprim17ROCPRIM_400000_NS6detail17trampoline_kernelINS0_14default_configENS1_22reduce_config_selectorIiEEZNS1_11reduce_implILb1ES3_N6thrust23THRUST_200600_302600_NS6detail15normal_iteratorINS8_10device_ptrIiEEEEPffNS8_4plusIfEEEE10hipError_tPvRmT1_T2_T3_mT4_P12ihipStream_tbEUlT_E1_NS1_11comp_targetILNS1_3genE3ELNS1_11target_archE908ELNS1_3gpuE7ELNS1_3repE0EEENS1_30default_config_static_selectorELNS0_4arch9wavefront6targetE1EEEvSK_.num_agpr, 0
	.set _ZN7rocprim17ROCPRIM_400000_NS6detail17trampoline_kernelINS0_14default_configENS1_22reduce_config_selectorIiEEZNS1_11reduce_implILb1ES3_N6thrust23THRUST_200600_302600_NS6detail15normal_iteratorINS8_10device_ptrIiEEEEPffNS8_4plusIfEEEE10hipError_tPvRmT1_T2_T3_mT4_P12ihipStream_tbEUlT_E1_NS1_11comp_targetILNS1_3genE3ELNS1_11target_archE908ELNS1_3gpuE7ELNS1_3repE0EEENS1_30default_config_static_selectorELNS0_4arch9wavefront6targetE1EEEvSK_.numbered_sgpr, 0
	.set _ZN7rocprim17ROCPRIM_400000_NS6detail17trampoline_kernelINS0_14default_configENS1_22reduce_config_selectorIiEEZNS1_11reduce_implILb1ES3_N6thrust23THRUST_200600_302600_NS6detail15normal_iteratorINS8_10device_ptrIiEEEEPffNS8_4plusIfEEEE10hipError_tPvRmT1_T2_T3_mT4_P12ihipStream_tbEUlT_E1_NS1_11comp_targetILNS1_3genE3ELNS1_11target_archE908ELNS1_3gpuE7ELNS1_3repE0EEENS1_30default_config_static_selectorELNS0_4arch9wavefront6targetE1EEEvSK_.num_named_barrier, 0
	.set _ZN7rocprim17ROCPRIM_400000_NS6detail17trampoline_kernelINS0_14default_configENS1_22reduce_config_selectorIiEEZNS1_11reduce_implILb1ES3_N6thrust23THRUST_200600_302600_NS6detail15normal_iteratorINS8_10device_ptrIiEEEEPffNS8_4plusIfEEEE10hipError_tPvRmT1_T2_T3_mT4_P12ihipStream_tbEUlT_E1_NS1_11comp_targetILNS1_3genE3ELNS1_11target_archE908ELNS1_3gpuE7ELNS1_3repE0EEENS1_30default_config_static_selectorELNS0_4arch9wavefront6targetE1EEEvSK_.private_seg_size, 0
	.set _ZN7rocprim17ROCPRIM_400000_NS6detail17trampoline_kernelINS0_14default_configENS1_22reduce_config_selectorIiEEZNS1_11reduce_implILb1ES3_N6thrust23THRUST_200600_302600_NS6detail15normal_iteratorINS8_10device_ptrIiEEEEPffNS8_4plusIfEEEE10hipError_tPvRmT1_T2_T3_mT4_P12ihipStream_tbEUlT_E1_NS1_11comp_targetILNS1_3genE3ELNS1_11target_archE908ELNS1_3gpuE7ELNS1_3repE0EEENS1_30default_config_static_selectorELNS0_4arch9wavefront6targetE1EEEvSK_.uses_vcc, 0
	.set _ZN7rocprim17ROCPRIM_400000_NS6detail17trampoline_kernelINS0_14default_configENS1_22reduce_config_selectorIiEEZNS1_11reduce_implILb1ES3_N6thrust23THRUST_200600_302600_NS6detail15normal_iteratorINS8_10device_ptrIiEEEEPffNS8_4plusIfEEEE10hipError_tPvRmT1_T2_T3_mT4_P12ihipStream_tbEUlT_E1_NS1_11comp_targetILNS1_3genE3ELNS1_11target_archE908ELNS1_3gpuE7ELNS1_3repE0EEENS1_30default_config_static_selectorELNS0_4arch9wavefront6targetE1EEEvSK_.uses_flat_scratch, 0
	.set _ZN7rocprim17ROCPRIM_400000_NS6detail17trampoline_kernelINS0_14default_configENS1_22reduce_config_selectorIiEEZNS1_11reduce_implILb1ES3_N6thrust23THRUST_200600_302600_NS6detail15normal_iteratorINS8_10device_ptrIiEEEEPffNS8_4plusIfEEEE10hipError_tPvRmT1_T2_T3_mT4_P12ihipStream_tbEUlT_E1_NS1_11comp_targetILNS1_3genE3ELNS1_11target_archE908ELNS1_3gpuE7ELNS1_3repE0EEENS1_30default_config_static_selectorELNS0_4arch9wavefront6targetE1EEEvSK_.has_dyn_sized_stack, 0
	.set _ZN7rocprim17ROCPRIM_400000_NS6detail17trampoline_kernelINS0_14default_configENS1_22reduce_config_selectorIiEEZNS1_11reduce_implILb1ES3_N6thrust23THRUST_200600_302600_NS6detail15normal_iteratorINS8_10device_ptrIiEEEEPffNS8_4plusIfEEEE10hipError_tPvRmT1_T2_T3_mT4_P12ihipStream_tbEUlT_E1_NS1_11comp_targetILNS1_3genE3ELNS1_11target_archE908ELNS1_3gpuE7ELNS1_3repE0EEENS1_30default_config_static_selectorELNS0_4arch9wavefront6targetE1EEEvSK_.has_recursion, 0
	.set _ZN7rocprim17ROCPRIM_400000_NS6detail17trampoline_kernelINS0_14default_configENS1_22reduce_config_selectorIiEEZNS1_11reduce_implILb1ES3_N6thrust23THRUST_200600_302600_NS6detail15normal_iteratorINS8_10device_ptrIiEEEEPffNS8_4plusIfEEEE10hipError_tPvRmT1_T2_T3_mT4_P12ihipStream_tbEUlT_E1_NS1_11comp_targetILNS1_3genE3ELNS1_11target_archE908ELNS1_3gpuE7ELNS1_3repE0EEENS1_30default_config_static_selectorELNS0_4arch9wavefront6targetE1EEEvSK_.has_indirect_call, 0
	.section	.AMDGPU.csdata,"",@progbits
; Kernel info:
; codeLenInByte = 0
; TotalNumSgprs: 6
; NumVgprs: 0
; NumAgprs: 0
; TotalNumVgprs: 0
; ScratchSize: 0
; MemoryBound: 0
; FloatMode: 240
; IeeeMode: 1
; LDSByteSize: 0 bytes/workgroup (compile time only)
; SGPRBlocks: 0
; VGPRBlocks: 0
; NumSGPRsForWavesPerEU: 6
; NumVGPRsForWavesPerEU: 1
; AccumOffset: 4
; Occupancy: 8
; WaveLimiterHint : 0
; COMPUTE_PGM_RSRC2:SCRATCH_EN: 0
; COMPUTE_PGM_RSRC2:USER_SGPR: 2
; COMPUTE_PGM_RSRC2:TRAP_HANDLER: 0
; COMPUTE_PGM_RSRC2:TGID_X_EN: 1
; COMPUTE_PGM_RSRC2:TGID_Y_EN: 0
; COMPUTE_PGM_RSRC2:TGID_Z_EN: 0
; COMPUTE_PGM_RSRC2:TIDIG_COMP_CNT: 0
; COMPUTE_PGM_RSRC3_GFX90A:ACCUM_OFFSET: 0
; COMPUTE_PGM_RSRC3_GFX90A:TG_SPLIT: 0
	.section	.text._ZN7rocprim17ROCPRIM_400000_NS6detail17trampoline_kernelINS0_14default_configENS1_22reduce_config_selectorIiEEZNS1_11reduce_implILb1ES3_N6thrust23THRUST_200600_302600_NS6detail15normal_iteratorINS8_10device_ptrIiEEEEPffNS8_4plusIfEEEE10hipError_tPvRmT1_T2_T3_mT4_P12ihipStream_tbEUlT_E1_NS1_11comp_targetILNS1_3genE2ELNS1_11target_archE906ELNS1_3gpuE6ELNS1_3repE0EEENS1_30default_config_static_selectorELNS0_4arch9wavefront6targetE1EEEvSK_,"axG",@progbits,_ZN7rocprim17ROCPRIM_400000_NS6detail17trampoline_kernelINS0_14default_configENS1_22reduce_config_selectorIiEEZNS1_11reduce_implILb1ES3_N6thrust23THRUST_200600_302600_NS6detail15normal_iteratorINS8_10device_ptrIiEEEEPffNS8_4plusIfEEEE10hipError_tPvRmT1_T2_T3_mT4_P12ihipStream_tbEUlT_E1_NS1_11comp_targetILNS1_3genE2ELNS1_11target_archE906ELNS1_3gpuE6ELNS1_3repE0EEENS1_30default_config_static_selectorELNS0_4arch9wavefront6targetE1EEEvSK_,comdat
	.protected	_ZN7rocprim17ROCPRIM_400000_NS6detail17trampoline_kernelINS0_14default_configENS1_22reduce_config_selectorIiEEZNS1_11reduce_implILb1ES3_N6thrust23THRUST_200600_302600_NS6detail15normal_iteratorINS8_10device_ptrIiEEEEPffNS8_4plusIfEEEE10hipError_tPvRmT1_T2_T3_mT4_P12ihipStream_tbEUlT_E1_NS1_11comp_targetILNS1_3genE2ELNS1_11target_archE906ELNS1_3gpuE6ELNS1_3repE0EEENS1_30default_config_static_selectorELNS0_4arch9wavefront6targetE1EEEvSK_ ; -- Begin function _ZN7rocprim17ROCPRIM_400000_NS6detail17trampoline_kernelINS0_14default_configENS1_22reduce_config_selectorIiEEZNS1_11reduce_implILb1ES3_N6thrust23THRUST_200600_302600_NS6detail15normal_iteratorINS8_10device_ptrIiEEEEPffNS8_4plusIfEEEE10hipError_tPvRmT1_T2_T3_mT4_P12ihipStream_tbEUlT_E1_NS1_11comp_targetILNS1_3genE2ELNS1_11target_archE906ELNS1_3gpuE6ELNS1_3repE0EEENS1_30default_config_static_selectorELNS0_4arch9wavefront6targetE1EEEvSK_
	.globl	_ZN7rocprim17ROCPRIM_400000_NS6detail17trampoline_kernelINS0_14default_configENS1_22reduce_config_selectorIiEEZNS1_11reduce_implILb1ES3_N6thrust23THRUST_200600_302600_NS6detail15normal_iteratorINS8_10device_ptrIiEEEEPffNS8_4plusIfEEEE10hipError_tPvRmT1_T2_T3_mT4_P12ihipStream_tbEUlT_E1_NS1_11comp_targetILNS1_3genE2ELNS1_11target_archE906ELNS1_3gpuE6ELNS1_3repE0EEENS1_30default_config_static_selectorELNS0_4arch9wavefront6targetE1EEEvSK_
	.p2align	8
	.type	_ZN7rocprim17ROCPRIM_400000_NS6detail17trampoline_kernelINS0_14default_configENS1_22reduce_config_selectorIiEEZNS1_11reduce_implILb1ES3_N6thrust23THRUST_200600_302600_NS6detail15normal_iteratorINS8_10device_ptrIiEEEEPffNS8_4plusIfEEEE10hipError_tPvRmT1_T2_T3_mT4_P12ihipStream_tbEUlT_E1_NS1_11comp_targetILNS1_3genE2ELNS1_11target_archE906ELNS1_3gpuE6ELNS1_3repE0EEENS1_30default_config_static_selectorELNS0_4arch9wavefront6targetE1EEEvSK_,@function
_ZN7rocprim17ROCPRIM_400000_NS6detail17trampoline_kernelINS0_14default_configENS1_22reduce_config_selectorIiEEZNS1_11reduce_implILb1ES3_N6thrust23THRUST_200600_302600_NS6detail15normal_iteratorINS8_10device_ptrIiEEEEPffNS8_4plusIfEEEE10hipError_tPvRmT1_T2_T3_mT4_P12ihipStream_tbEUlT_E1_NS1_11comp_targetILNS1_3genE2ELNS1_11target_archE906ELNS1_3gpuE6ELNS1_3repE0EEENS1_30default_config_static_selectorELNS0_4arch9wavefront6targetE1EEEvSK_: ; @_ZN7rocprim17ROCPRIM_400000_NS6detail17trampoline_kernelINS0_14default_configENS1_22reduce_config_selectorIiEEZNS1_11reduce_implILb1ES3_N6thrust23THRUST_200600_302600_NS6detail15normal_iteratorINS8_10device_ptrIiEEEEPffNS8_4plusIfEEEE10hipError_tPvRmT1_T2_T3_mT4_P12ihipStream_tbEUlT_E1_NS1_11comp_targetILNS1_3genE2ELNS1_11target_archE906ELNS1_3gpuE6ELNS1_3repE0EEENS1_30default_config_static_selectorELNS0_4arch9wavefront6targetE1EEEvSK_
; %bb.0:
	.section	.rodata,"a",@progbits
	.p2align	6, 0x0
	.amdhsa_kernel _ZN7rocprim17ROCPRIM_400000_NS6detail17trampoline_kernelINS0_14default_configENS1_22reduce_config_selectorIiEEZNS1_11reduce_implILb1ES3_N6thrust23THRUST_200600_302600_NS6detail15normal_iteratorINS8_10device_ptrIiEEEEPffNS8_4plusIfEEEE10hipError_tPvRmT1_T2_T3_mT4_P12ihipStream_tbEUlT_E1_NS1_11comp_targetILNS1_3genE2ELNS1_11target_archE906ELNS1_3gpuE6ELNS1_3repE0EEENS1_30default_config_static_selectorELNS0_4arch9wavefront6targetE1EEEvSK_
		.amdhsa_group_segment_fixed_size 0
		.amdhsa_private_segment_fixed_size 0
		.amdhsa_kernarg_size 40
		.amdhsa_user_sgpr_count 2
		.amdhsa_user_sgpr_dispatch_ptr 0
		.amdhsa_user_sgpr_queue_ptr 0
		.amdhsa_user_sgpr_kernarg_segment_ptr 1
		.amdhsa_user_sgpr_dispatch_id 0
		.amdhsa_user_sgpr_kernarg_preload_length 0
		.amdhsa_user_sgpr_kernarg_preload_offset 0
		.amdhsa_user_sgpr_private_segment_size 0
		.amdhsa_uses_dynamic_stack 0
		.amdhsa_enable_private_segment 0
		.amdhsa_system_sgpr_workgroup_id_x 1
		.amdhsa_system_sgpr_workgroup_id_y 0
		.amdhsa_system_sgpr_workgroup_id_z 0
		.amdhsa_system_sgpr_workgroup_info 0
		.amdhsa_system_vgpr_workitem_id 0
		.amdhsa_next_free_vgpr 1
		.amdhsa_next_free_sgpr 0
		.amdhsa_accum_offset 4
		.amdhsa_reserve_vcc 0
		.amdhsa_float_round_mode_32 0
		.amdhsa_float_round_mode_16_64 0
		.amdhsa_float_denorm_mode_32 3
		.amdhsa_float_denorm_mode_16_64 3
		.amdhsa_dx10_clamp 1
		.amdhsa_ieee_mode 1
		.amdhsa_fp16_overflow 0
		.amdhsa_tg_split 0
		.amdhsa_exception_fp_ieee_invalid_op 0
		.amdhsa_exception_fp_denorm_src 0
		.amdhsa_exception_fp_ieee_div_zero 0
		.amdhsa_exception_fp_ieee_overflow 0
		.amdhsa_exception_fp_ieee_underflow 0
		.amdhsa_exception_fp_ieee_inexact 0
		.amdhsa_exception_int_div_zero 0
	.end_amdhsa_kernel
	.section	.text._ZN7rocprim17ROCPRIM_400000_NS6detail17trampoline_kernelINS0_14default_configENS1_22reduce_config_selectorIiEEZNS1_11reduce_implILb1ES3_N6thrust23THRUST_200600_302600_NS6detail15normal_iteratorINS8_10device_ptrIiEEEEPffNS8_4plusIfEEEE10hipError_tPvRmT1_T2_T3_mT4_P12ihipStream_tbEUlT_E1_NS1_11comp_targetILNS1_3genE2ELNS1_11target_archE906ELNS1_3gpuE6ELNS1_3repE0EEENS1_30default_config_static_selectorELNS0_4arch9wavefront6targetE1EEEvSK_,"axG",@progbits,_ZN7rocprim17ROCPRIM_400000_NS6detail17trampoline_kernelINS0_14default_configENS1_22reduce_config_selectorIiEEZNS1_11reduce_implILb1ES3_N6thrust23THRUST_200600_302600_NS6detail15normal_iteratorINS8_10device_ptrIiEEEEPffNS8_4plusIfEEEE10hipError_tPvRmT1_T2_T3_mT4_P12ihipStream_tbEUlT_E1_NS1_11comp_targetILNS1_3genE2ELNS1_11target_archE906ELNS1_3gpuE6ELNS1_3repE0EEENS1_30default_config_static_selectorELNS0_4arch9wavefront6targetE1EEEvSK_,comdat
.Lfunc_end508:
	.size	_ZN7rocprim17ROCPRIM_400000_NS6detail17trampoline_kernelINS0_14default_configENS1_22reduce_config_selectorIiEEZNS1_11reduce_implILb1ES3_N6thrust23THRUST_200600_302600_NS6detail15normal_iteratorINS8_10device_ptrIiEEEEPffNS8_4plusIfEEEE10hipError_tPvRmT1_T2_T3_mT4_P12ihipStream_tbEUlT_E1_NS1_11comp_targetILNS1_3genE2ELNS1_11target_archE906ELNS1_3gpuE6ELNS1_3repE0EEENS1_30default_config_static_selectorELNS0_4arch9wavefront6targetE1EEEvSK_, .Lfunc_end508-_ZN7rocprim17ROCPRIM_400000_NS6detail17trampoline_kernelINS0_14default_configENS1_22reduce_config_selectorIiEEZNS1_11reduce_implILb1ES3_N6thrust23THRUST_200600_302600_NS6detail15normal_iteratorINS8_10device_ptrIiEEEEPffNS8_4plusIfEEEE10hipError_tPvRmT1_T2_T3_mT4_P12ihipStream_tbEUlT_E1_NS1_11comp_targetILNS1_3genE2ELNS1_11target_archE906ELNS1_3gpuE6ELNS1_3repE0EEENS1_30default_config_static_selectorELNS0_4arch9wavefront6targetE1EEEvSK_
                                        ; -- End function
	.set _ZN7rocprim17ROCPRIM_400000_NS6detail17trampoline_kernelINS0_14default_configENS1_22reduce_config_selectorIiEEZNS1_11reduce_implILb1ES3_N6thrust23THRUST_200600_302600_NS6detail15normal_iteratorINS8_10device_ptrIiEEEEPffNS8_4plusIfEEEE10hipError_tPvRmT1_T2_T3_mT4_P12ihipStream_tbEUlT_E1_NS1_11comp_targetILNS1_3genE2ELNS1_11target_archE906ELNS1_3gpuE6ELNS1_3repE0EEENS1_30default_config_static_selectorELNS0_4arch9wavefront6targetE1EEEvSK_.num_vgpr, 0
	.set _ZN7rocprim17ROCPRIM_400000_NS6detail17trampoline_kernelINS0_14default_configENS1_22reduce_config_selectorIiEEZNS1_11reduce_implILb1ES3_N6thrust23THRUST_200600_302600_NS6detail15normal_iteratorINS8_10device_ptrIiEEEEPffNS8_4plusIfEEEE10hipError_tPvRmT1_T2_T3_mT4_P12ihipStream_tbEUlT_E1_NS1_11comp_targetILNS1_3genE2ELNS1_11target_archE906ELNS1_3gpuE6ELNS1_3repE0EEENS1_30default_config_static_selectorELNS0_4arch9wavefront6targetE1EEEvSK_.num_agpr, 0
	.set _ZN7rocprim17ROCPRIM_400000_NS6detail17trampoline_kernelINS0_14default_configENS1_22reduce_config_selectorIiEEZNS1_11reduce_implILb1ES3_N6thrust23THRUST_200600_302600_NS6detail15normal_iteratorINS8_10device_ptrIiEEEEPffNS8_4plusIfEEEE10hipError_tPvRmT1_T2_T3_mT4_P12ihipStream_tbEUlT_E1_NS1_11comp_targetILNS1_3genE2ELNS1_11target_archE906ELNS1_3gpuE6ELNS1_3repE0EEENS1_30default_config_static_selectorELNS0_4arch9wavefront6targetE1EEEvSK_.numbered_sgpr, 0
	.set _ZN7rocprim17ROCPRIM_400000_NS6detail17trampoline_kernelINS0_14default_configENS1_22reduce_config_selectorIiEEZNS1_11reduce_implILb1ES3_N6thrust23THRUST_200600_302600_NS6detail15normal_iteratorINS8_10device_ptrIiEEEEPffNS8_4plusIfEEEE10hipError_tPvRmT1_T2_T3_mT4_P12ihipStream_tbEUlT_E1_NS1_11comp_targetILNS1_3genE2ELNS1_11target_archE906ELNS1_3gpuE6ELNS1_3repE0EEENS1_30default_config_static_selectorELNS0_4arch9wavefront6targetE1EEEvSK_.num_named_barrier, 0
	.set _ZN7rocprim17ROCPRIM_400000_NS6detail17trampoline_kernelINS0_14default_configENS1_22reduce_config_selectorIiEEZNS1_11reduce_implILb1ES3_N6thrust23THRUST_200600_302600_NS6detail15normal_iteratorINS8_10device_ptrIiEEEEPffNS8_4plusIfEEEE10hipError_tPvRmT1_T2_T3_mT4_P12ihipStream_tbEUlT_E1_NS1_11comp_targetILNS1_3genE2ELNS1_11target_archE906ELNS1_3gpuE6ELNS1_3repE0EEENS1_30default_config_static_selectorELNS0_4arch9wavefront6targetE1EEEvSK_.private_seg_size, 0
	.set _ZN7rocprim17ROCPRIM_400000_NS6detail17trampoline_kernelINS0_14default_configENS1_22reduce_config_selectorIiEEZNS1_11reduce_implILb1ES3_N6thrust23THRUST_200600_302600_NS6detail15normal_iteratorINS8_10device_ptrIiEEEEPffNS8_4plusIfEEEE10hipError_tPvRmT1_T2_T3_mT4_P12ihipStream_tbEUlT_E1_NS1_11comp_targetILNS1_3genE2ELNS1_11target_archE906ELNS1_3gpuE6ELNS1_3repE0EEENS1_30default_config_static_selectorELNS0_4arch9wavefront6targetE1EEEvSK_.uses_vcc, 0
	.set _ZN7rocprim17ROCPRIM_400000_NS6detail17trampoline_kernelINS0_14default_configENS1_22reduce_config_selectorIiEEZNS1_11reduce_implILb1ES3_N6thrust23THRUST_200600_302600_NS6detail15normal_iteratorINS8_10device_ptrIiEEEEPffNS8_4plusIfEEEE10hipError_tPvRmT1_T2_T3_mT4_P12ihipStream_tbEUlT_E1_NS1_11comp_targetILNS1_3genE2ELNS1_11target_archE906ELNS1_3gpuE6ELNS1_3repE0EEENS1_30default_config_static_selectorELNS0_4arch9wavefront6targetE1EEEvSK_.uses_flat_scratch, 0
	.set _ZN7rocprim17ROCPRIM_400000_NS6detail17trampoline_kernelINS0_14default_configENS1_22reduce_config_selectorIiEEZNS1_11reduce_implILb1ES3_N6thrust23THRUST_200600_302600_NS6detail15normal_iteratorINS8_10device_ptrIiEEEEPffNS8_4plusIfEEEE10hipError_tPvRmT1_T2_T3_mT4_P12ihipStream_tbEUlT_E1_NS1_11comp_targetILNS1_3genE2ELNS1_11target_archE906ELNS1_3gpuE6ELNS1_3repE0EEENS1_30default_config_static_selectorELNS0_4arch9wavefront6targetE1EEEvSK_.has_dyn_sized_stack, 0
	.set _ZN7rocprim17ROCPRIM_400000_NS6detail17trampoline_kernelINS0_14default_configENS1_22reduce_config_selectorIiEEZNS1_11reduce_implILb1ES3_N6thrust23THRUST_200600_302600_NS6detail15normal_iteratorINS8_10device_ptrIiEEEEPffNS8_4plusIfEEEE10hipError_tPvRmT1_T2_T3_mT4_P12ihipStream_tbEUlT_E1_NS1_11comp_targetILNS1_3genE2ELNS1_11target_archE906ELNS1_3gpuE6ELNS1_3repE0EEENS1_30default_config_static_selectorELNS0_4arch9wavefront6targetE1EEEvSK_.has_recursion, 0
	.set _ZN7rocprim17ROCPRIM_400000_NS6detail17trampoline_kernelINS0_14default_configENS1_22reduce_config_selectorIiEEZNS1_11reduce_implILb1ES3_N6thrust23THRUST_200600_302600_NS6detail15normal_iteratorINS8_10device_ptrIiEEEEPffNS8_4plusIfEEEE10hipError_tPvRmT1_T2_T3_mT4_P12ihipStream_tbEUlT_E1_NS1_11comp_targetILNS1_3genE2ELNS1_11target_archE906ELNS1_3gpuE6ELNS1_3repE0EEENS1_30default_config_static_selectorELNS0_4arch9wavefront6targetE1EEEvSK_.has_indirect_call, 0
	.section	.AMDGPU.csdata,"",@progbits
; Kernel info:
; codeLenInByte = 0
; TotalNumSgprs: 6
; NumVgprs: 0
; NumAgprs: 0
; TotalNumVgprs: 0
; ScratchSize: 0
; MemoryBound: 0
; FloatMode: 240
; IeeeMode: 1
; LDSByteSize: 0 bytes/workgroup (compile time only)
; SGPRBlocks: 0
; VGPRBlocks: 0
; NumSGPRsForWavesPerEU: 6
; NumVGPRsForWavesPerEU: 1
; AccumOffset: 4
; Occupancy: 8
; WaveLimiterHint : 0
; COMPUTE_PGM_RSRC2:SCRATCH_EN: 0
; COMPUTE_PGM_RSRC2:USER_SGPR: 2
; COMPUTE_PGM_RSRC2:TRAP_HANDLER: 0
; COMPUTE_PGM_RSRC2:TGID_X_EN: 1
; COMPUTE_PGM_RSRC2:TGID_Y_EN: 0
; COMPUTE_PGM_RSRC2:TGID_Z_EN: 0
; COMPUTE_PGM_RSRC2:TIDIG_COMP_CNT: 0
; COMPUTE_PGM_RSRC3_GFX90A:ACCUM_OFFSET: 0
; COMPUTE_PGM_RSRC3_GFX90A:TG_SPLIT: 0
	.section	.text._ZN7rocprim17ROCPRIM_400000_NS6detail17trampoline_kernelINS0_14default_configENS1_22reduce_config_selectorIiEEZNS1_11reduce_implILb1ES3_N6thrust23THRUST_200600_302600_NS6detail15normal_iteratorINS8_10device_ptrIiEEEEPffNS8_4plusIfEEEE10hipError_tPvRmT1_T2_T3_mT4_P12ihipStream_tbEUlT_E1_NS1_11comp_targetILNS1_3genE10ELNS1_11target_archE1201ELNS1_3gpuE5ELNS1_3repE0EEENS1_30default_config_static_selectorELNS0_4arch9wavefront6targetE1EEEvSK_,"axG",@progbits,_ZN7rocprim17ROCPRIM_400000_NS6detail17trampoline_kernelINS0_14default_configENS1_22reduce_config_selectorIiEEZNS1_11reduce_implILb1ES3_N6thrust23THRUST_200600_302600_NS6detail15normal_iteratorINS8_10device_ptrIiEEEEPffNS8_4plusIfEEEE10hipError_tPvRmT1_T2_T3_mT4_P12ihipStream_tbEUlT_E1_NS1_11comp_targetILNS1_3genE10ELNS1_11target_archE1201ELNS1_3gpuE5ELNS1_3repE0EEENS1_30default_config_static_selectorELNS0_4arch9wavefront6targetE1EEEvSK_,comdat
	.protected	_ZN7rocprim17ROCPRIM_400000_NS6detail17trampoline_kernelINS0_14default_configENS1_22reduce_config_selectorIiEEZNS1_11reduce_implILb1ES3_N6thrust23THRUST_200600_302600_NS6detail15normal_iteratorINS8_10device_ptrIiEEEEPffNS8_4plusIfEEEE10hipError_tPvRmT1_T2_T3_mT4_P12ihipStream_tbEUlT_E1_NS1_11comp_targetILNS1_3genE10ELNS1_11target_archE1201ELNS1_3gpuE5ELNS1_3repE0EEENS1_30default_config_static_selectorELNS0_4arch9wavefront6targetE1EEEvSK_ ; -- Begin function _ZN7rocprim17ROCPRIM_400000_NS6detail17trampoline_kernelINS0_14default_configENS1_22reduce_config_selectorIiEEZNS1_11reduce_implILb1ES3_N6thrust23THRUST_200600_302600_NS6detail15normal_iteratorINS8_10device_ptrIiEEEEPffNS8_4plusIfEEEE10hipError_tPvRmT1_T2_T3_mT4_P12ihipStream_tbEUlT_E1_NS1_11comp_targetILNS1_3genE10ELNS1_11target_archE1201ELNS1_3gpuE5ELNS1_3repE0EEENS1_30default_config_static_selectorELNS0_4arch9wavefront6targetE1EEEvSK_
	.globl	_ZN7rocprim17ROCPRIM_400000_NS6detail17trampoline_kernelINS0_14default_configENS1_22reduce_config_selectorIiEEZNS1_11reduce_implILb1ES3_N6thrust23THRUST_200600_302600_NS6detail15normal_iteratorINS8_10device_ptrIiEEEEPffNS8_4plusIfEEEE10hipError_tPvRmT1_T2_T3_mT4_P12ihipStream_tbEUlT_E1_NS1_11comp_targetILNS1_3genE10ELNS1_11target_archE1201ELNS1_3gpuE5ELNS1_3repE0EEENS1_30default_config_static_selectorELNS0_4arch9wavefront6targetE1EEEvSK_
	.p2align	8
	.type	_ZN7rocprim17ROCPRIM_400000_NS6detail17trampoline_kernelINS0_14default_configENS1_22reduce_config_selectorIiEEZNS1_11reduce_implILb1ES3_N6thrust23THRUST_200600_302600_NS6detail15normal_iteratorINS8_10device_ptrIiEEEEPffNS8_4plusIfEEEE10hipError_tPvRmT1_T2_T3_mT4_P12ihipStream_tbEUlT_E1_NS1_11comp_targetILNS1_3genE10ELNS1_11target_archE1201ELNS1_3gpuE5ELNS1_3repE0EEENS1_30default_config_static_selectorELNS0_4arch9wavefront6targetE1EEEvSK_,@function
_ZN7rocprim17ROCPRIM_400000_NS6detail17trampoline_kernelINS0_14default_configENS1_22reduce_config_selectorIiEEZNS1_11reduce_implILb1ES3_N6thrust23THRUST_200600_302600_NS6detail15normal_iteratorINS8_10device_ptrIiEEEEPffNS8_4plusIfEEEE10hipError_tPvRmT1_T2_T3_mT4_P12ihipStream_tbEUlT_E1_NS1_11comp_targetILNS1_3genE10ELNS1_11target_archE1201ELNS1_3gpuE5ELNS1_3repE0EEENS1_30default_config_static_selectorELNS0_4arch9wavefront6targetE1EEEvSK_: ; @_ZN7rocprim17ROCPRIM_400000_NS6detail17trampoline_kernelINS0_14default_configENS1_22reduce_config_selectorIiEEZNS1_11reduce_implILb1ES3_N6thrust23THRUST_200600_302600_NS6detail15normal_iteratorINS8_10device_ptrIiEEEEPffNS8_4plusIfEEEE10hipError_tPvRmT1_T2_T3_mT4_P12ihipStream_tbEUlT_E1_NS1_11comp_targetILNS1_3genE10ELNS1_11target_archE1201ELNS1_3gpuE5ELNS1_3repE0EEENS1_30default_config_static_selectorELNS0_4arch9wavefront6targetE1EEEvSK_
; %bb.0:
	.section	.rodata,"a",@progbits
	.p2align	6, 0x0
	.amdhsa_kernel _ZN7rocprim17ROCPRIM_400000_NS6detail17trampoline_kernelINS0_14default_configENS1_22reduce_config_selectorIiEEZNS1_11reduce_implILb1ES3_N6thrust23THRUST_200600_302600_NS6detail15normal_iteratorINS8_10device_ptrIiEEEEPffNS8_4plusIfEEEE10hipError_tPvRmT1_T2_T3_mT4_P12ihipStream_tbEUlT_E1_NS1_11comp_targetILNS1_3genE10ELNS1_11target_archE1201ELNS1_3gpuE5ELNS1_3repE0EEENS1_30default_config_static_selectorELNS0_4arch9wavefront6targetE1EEEvSK_
		.amdhsa_group_segment_fixed_size 0
		.amdhsa_private_segment_fixed_size 0
		.amdhsa_kernarg_size 40
		.amdhsa_user_sgpr_count 2
		.amdhsa_user_sgpr_dispatch_ptr 0
		.amdhsa_user_sgpr_queue_ptr 0
		.amdhsa_user_sgpr_kernarg_segment_ptr 1
		.amdhsa_user_sgpr_dispatch_id 0
		.amdhsa_user_sgpr_kernarg_preload_length 0
		.amdhsa_user_sgpr_kernarg_preload_offset 0
		.amdhsa_user_sgpr_private_segment_size 0
		.amdhsa_uses_dynamic_stack 0
		.amdhsa_enable_private_segment 0
		.amdhsa_system_sgpr_workgroup_id_x 1
		.amdhsa_system_sgpr_workgroup_id_y 0
		.amdhsa_system_sgpr_workgroup_id_z 0
		.amdhsa_system_sgpr_workgroup_info 0
		.amdhsa_system_vgpr_workitem_id 0
		.amdhsa_next_free_vgpr 1
		.amdhsa_next_free_sgpr 0
		.amdhsa_accum_offset 4
		.amdhsa_reserve_vcc 0
		.amdhsa_float_round_mode_32 0
		.amdhsa_float_round_mode_16_64 0
		.amdhsa_float_denorm_mode_32 3
		.amdhsa_float_denorm_mode_16_64 3
		.amdhsa_dx10_clamp 1
		.amdhsa_ieee_mode 1
		.amdhsa_fp16_overflow 0
		.amdhsa_tg_split 0
		.amdhsa_exception_fp_ieee_invalid_op 0
		.amdhsa_exception_fp_denorm_src 0
		.amdhsa_exception_fp_ieee_div_zero 0
		.amdhsa_exception_fp_ieee_overflow 0
		.amdhsa_exception_fp_ieee_underflow 0
		.amdhsa_exception_fp_ieee_inexact 0
		.amdhsa_exception_int_div_zero 0
	.end_amdhsa_kernel
	.section	.text._ZN7rocprim17ROCPRIM_400000_NS6detail17trampoline_kernelINS0_14default_configENS1_22reduce_config_selectorIiEEZNS1_11reduce_implILb1ES3_N6thrust23THRUST_200600_302600_NS6detail15normal_iteratorINS8_10device_ptrIiEEEEPffNS8_4plusIfEEEE10hipError_tPvRmT1_T2_T3_mT4_P12ihipStream_tbEUlT_E1_NS1_11comp_targetILNS1_3genE10ELNS1_11target_archE1201ELNS1_3gpuE5ELNS1_3repE0EEENS1_30default_config_static_selectorELNS0_4arch9wavefront6targetE1EEEvSK_,"axG",@progbits,_ZN7rocprim17ROCPRIM_400000_NS6detail17trampoline_kernelINS0_14default_configENS1_22reduce_config_selectorIiEEZNS1_11reduce_implILb1ES3_N6thrust23THRUST_200600_302600_NS6detail15normal_iteratorINS8_10device_ptrIiEEEEPffNS8_4plusIfEEEE10hipError_tPvRmT1_T2_T3_mT4_P12ihipStream_tbEUlT_E1_NS1_11comp_targetILNS1_3genE10ELNS1_11target_archE1201ELNS1_3gpuE5ELNS1_3repE0EEENS1_30default_config_static_selectorELNS0_4arch9wavefront6targetE1EEEvSK_,comdat
.Lfunc_end509:
	.size	_ZN7rocprim17ROCPRIM_400000_NS6detail17trampoline_kernelINS0_14default_configENS1_22reduce_config_selectorIiEEZNS1_11reduce_implILb1ES3_N6thrust23THRUST_200600_302600_NS6detail15normal_iteratorINS8_10device_ptrIiEEEEPffNS8_4plusIfEEEE10hipError_tPvRmT1_T2_T3_mT4_P12ihipStream_tbEUlT_E1_NS1_11comp_targetILNS1_3genE10ELNS1_11target_archE1201ELNS1_3gpuE5ELNS1_3repE0EEENS1_30default_config_static_selectorELNS0_4arch9wavefront6targetE1EEEvSK_, .Lfunc_end509-_ZN7rocprim17ROCPRIM_400000_NS6detail17trampoline_kernelINS0_14default_configENS1_22reduce_config_selectorIiEEZNS1_11reduce_implILb1ES3_N6thrust23THRUST_200600_302600_NS6detail15normal_iteratorINS8_10device_ptrIiEEEEPffNS8_4plusIfEEEE10hipError_tPvRmT1_T2_T3_mT4_P12ihipStream_tbEUlT_E1_NS1_11comp_targetILNS1_3genE10ELNS1_11target_archE1201ELNS1_3gpuE5ELNS1_3repE0EEENS1_30default_config_static_selectorELNS0_4arch9wavefront6targetE1EEEvSK_
                                        ; -- End function
	.set _ZN7rocprim17ROCPRIM_400000_NS6detail17trampoline_kernelINS0_14default_configENS1_22reduce_config_selectorIiEEZNS1_11reduce_implILb1ES3_N6thrust23THRUST_200600_302600_NS6detail15normal_iteratorINS8_10device_ptrIiEEEEPffNS8_4plusIfEEEE10hipError_tPvRmT1_T2_T3_mT4_P12ihipStream_tbEUlT_E1_NS1_11comp_targetILNS1_3genE10ELNS1_11target_archE1201ELNS1_3gpuE5ELNS1_3repE0EEENS1_30default_config_static_selectorELNS0_4arch9wavefront6targetE1EEEvSK_.num_vgpr, 0
	.set _ZN7rocprim17ROCPRIM_400000_NS6detail17trampoline_kernelINS0_14default_configENS1_22reduce_config_selectorIiEEZNS1_11reduce_implILb1ES3_N6thrust23THRUST_200600_302600_NS6detail15normal_iteratorINS8_10device_ptrIiEEEEPffNS8_4plusIfEEEE10hipError_tPvRmT1_T2_T3_mT4_P12ihipStream_tbEUlT_E1_NS1_11comp_targetILNS1_3genE10ELNS1_11target_archE1201ELNS1_3gpuE5ELNS1_3repE0EEENS1_30default_config_static_selectorELNS0_4arch9wavefront6targetE1EEEvSK_.num_agpr, 0
	.set _ZN7rocprim17ROCPRIM_400000_NS6detail17trampoline_kernelINS0_14default_configENS1_22reduce_config_selectorIiEEZNS1_11reduce_implILb1ES3_N6thrust23THRUST_200600_302600_NS6detail15normal_iteratorINS8_10device_ptrIiEEEEPffNS8_4plusIfEEEE10hipError_tPvRmT1_T2_T3_mT4_P12ihipStream_tbEUlT_E1_NS1_11comp_targetILNS1_3genE10ELNS1_11target_archE1201ELNS1_3gpuE5ELNS1_3repE0EEENS1_30default_config_static_selectorELNS0_4arch9wavefront6targetE1EEEvSK_.numbered_sgpr, 0
	.set _ZN7rocprim17ROCPRIM_400000_NS6detail17trampoline_kernelINS0_14default_configENS1_22reduce_config_selectorIiEEZNS1_11reduce_implILb1ES3_N6thrust23THRUST_200600_302600_NS6detail15normal_iteratorINS8_10device_ptrIiEEEEPffNS8_4plusIfEEEE10hipError_tPvRmT1_T2_T3_mT4_P12ihipStream_tbEUlT_E1_NS1_11comp_targetILNS1_3genE10ELNS1_11target_archE1201ELNS1_3gpuE5ELNS1_3repE0EEENS1_30default_config_static_selectorELNS0_4arch9wavefront6targetE1EEEvSK_.num_named_barrier, 0
	.set _ZN7rocprim17ROCPRIM_400000_NS6detail17trampoline_kernelINS0_14default_configENS1_22reduce_config_selectorIiEEZNS1_11reduce_implILb1ES3_N6thrust23THRUST_200600_302600_NS6detail15normal_iteratorINS8_10device_ptrIiEEEEPffNS8_4plusIfEEEE10hipError_tPvRmT1_T2_T3_mT4_P12ihipStream_tbEUlT_E1_NS1_11comp_targetILNS1_3genE10ELNS1_11target_archE1201ELNS1_3gpuE5ELNS1_3repE0EEENS1_30default_config_static_selectorELNS0_4arch9wavefront6targetE1EEEvSK_.private_seg_size, 0
	.set _ZN7rocprim17ROCPRIM_400000_NS6detail17trampoline_kernelINS0_14default_configENS1_22reduce_config_selectorIiEEZNS1_11reduce_implILb1ES3_N6thrust23THRUST_200600_302600_NS6detail15normal_iteratorINS8_10device_ptrIiEEEEPffNS8_4plusIfEEEE10hipError_tPvRmT1_T2_T3_mT4_P12ihipStream_tbEUlT_E1_NS1_11comp_targetILNS1_3genE10ELNS1_11target_archE1201ELNS1_3gpuE5ELNS1_3repE0EEENS1_30default_config_static_selectorELNS0_4arch9wavefront6targetE1EEEvSK_.uses_vcc, 0
	.set _ZN7rocprim17ROCPRIM_400000_NS6detail17trampoline_kernelINS0_14default_configENS1_22reduce_config_selectorIiEEZNS1_11reduce_implILb1ES3_N6thrust23THRUST_200600_302600_NS6detail15normal_iteratorINS8_10device_ptrIiEEEEPffNS8_4plusIfEEEE10hipError_tPvRmT1_T2_T3_mT4_P12ihipStream_tbEUlT_E1_NS1_11comp_targetILNS1_3genE10ELNS1_11target_archE1201ELNS1_3gpuE5ELNS1_3repE0EEENS1_30default_config_static_selectorELNS0_4arch9wavefront6targetE1EEEvSK_.uses_flat_scratch, 0
	.set _ZN7rocprim17ROCPRIM_400000_NS6detail17trampoline_kernelINS0_14default_configENS1_22reduce_config_selectorIiEEZNS1_11reduce_implILb1ES3_N6thrust23THRUST_200600_302600_NS6detail15normal_iteratorINS8_10device_ptrIiEEEEPffNS8_4plusIfEEEE10hipError_tPvRmT1_T2_T3_mT4_P12ihipStream_tbEUlT_E1_NS1_11comp_targetILNS1_3genE10ELNS1_11target_archE1201ELNS1_3gpuE5ELNS1_3repE0EEENS1_30default_config_static_selectorELNS0_4arch9wavefront6targetE1EEEvSK_.has_dyn_sized_stack, 0
	.set _ZN7rocprim17ROCPRIM_400000_NS6detail17trampoline_kernelINS0_14default_configENS1_22reduce_config_selectorIiEEZNS1_11reduce_implILb1ES3_N6thrust23THRUST_200600_302600_NS6detail15normal_iteratorINS8_10device_ptrIiEEEEPffNS8_4plusIfEEEE10hipError_tPvRmT1_T2_T3_mT4_P12ihipStream_tbEUlT_E1_NS1_11comp_targetILNS1_3genE10ELNS1_11target_archE1201ELNS1_3gpuE5ELNS1_3repE0EEENS1_30default_config_static_selectorELNS0_4arch9wavefront6targetE1EEEvSK_.has_recursion, 0
	.set _ZN7rocprim17ROCPRIM_400000_NS6detail17trampoline_kernelINS0_14default_configENS1_22reduce_config_selectorIiEEZNS1_11reduce_implILb1ES3_N6thrust23THRUST_200600_302600_NS6detail15normal_iteratorINS8_10device_ptrIiEEEEPffNS8_4plusIfEEEE10hipError_tPvRmT1_T2_T3_mT4_P12ihipStream_tbEUlT_E1_NS1_11comp_targetILNS1_3genE10ELNS1_11target_archE1201ELNS1_3gpuE5ELNS1_3repE0EEENS1_30default_config_static_selectorELNS0_4arch9wavefront6targetE1EEEvSK_.has_indirect_call, 0
	.section	.AMDGPU.csdata,"",@progbits
; Kernel info:
; codeLenInByte = 0
; TotalNumSgprs: 6
; NumVgprs: 0
; NumAgprs: 0
; TotalNumVgprs: 0
; ScratchSize: 0
; MemoryBound: 0
; FloatMode: 240
; IeeeMode: 1
; LDSByteSize: 0 bytes/workgroup (compile time only)
; SGPRBlocks: 0
; VGPRBlocks: 0
; NumSGPRsForWavesPerEU: 6
; NumVGPRsForWavesPerEU: 1
; AccumOffset: 4
; Occupancy: 8
; WaveLimiterHint : 0
; COMPUTE_PGM_RSRC2:SCRATCH_EN: 0
; COMPUTE_PGM_RSRC2:USER_SGPR: 2
; COMPUTE_PGM_RSRC2:TRAP_HANDLER: 0
; COMPUTE_PGM_RSRC2:TGID_X_EN: 1
; COMPUTE_PGM_RSRC2:TGID_Y_EN: 0
; COMPUTE_PGM_RSRC2:TGID_Z_EN: 0
; COMPUTE_PGM_RSRC2:TIDIG_COMP_CNT: 0
; COMPUTE_PGM_RSRC3_GFX90A:ACCUM_OFFSET: 0
; COMPUTE_PGM_RSRC3_GFX90A:TG_SPLIT: 0
	.section	.text._ZN7rocprim17ROCPRIM_400000_NS6detail17trampoline_kernelINS0_14default_configENS1_22reduce_config_selectorIiEEZNS1_11reduce_implILb1ES3_N6thrust23THRUST_200600_302600_NS6detail15normal_iteratorINS8_10device_ptrIiEEEEPffNS8_4plusIfEEEE10hipError_tPvRmT1_T2_T3_mT4_P12ihipStream_tbEUlT_E1_NS1_11comp_targetILNS1_3genE10ELNS1_11target_archE1200ELNS1_3gpuE4ELNS1_3repE0EEENS1_30default_config_static_selectorELNS0_4arch9wavefront6targetE1EEEvSK_,"axG",@progbits,_ZN7rocprim17ROCPRIM_400000_NS6detail17trampoline_kernelINS0_14default_configENS1_22reduce_config_selectorIiEEZNS1_11reduce_implILb1ES3_N6thrust23THRUST_200600_302600_NS6detail15normal_iteratorINS8_10device_ptrIiEEEEPffNS8_4plusIfEEEE10hipError_tPvRmT1_T2_T3_mT4_P12ihipStream_tbEUlT_E1_NS1_11comp_targetILNS1_3genE10ELNS1_11target_archE1200ELNS1_3gpuE4ELNS1_3repE0EEENS1_30default_config_static_selectorELNS0_4arch9wavefront6targetE1EEEvSK_,comdat
	.protected	_ZN7rocprim17ROCPRIM_400000_NS6detail17trampoline_kernelINS0_14default_configENS1_22reduce_config_selectorIiEEZNS1_11reduce_implILb1ES3_N6thrust23THRUST_200600_302600_NS6detail15normal_iteratorINS8_10device_ptrIiEEEEPffNS8_4plusIfEEEE10hipError_tPvRmT1_T2_T3_mT4_P12ihipStream_tbEUlT_E1_NS1_11comp_targetILNS1_3genE10ELNS1_11target_archE1200ELNS1_3gpuE4ELNS1_3repE0EEENS1_30default_config_static_selectorELNS0_4arch9wavefront6targetE1EEEvSK_ ; -- Begin function _ZN7rocprim17ROCPRIM_400000_NS6detail17trampoline_kernelINS0_14default_configENS1_22reduce_config_selectorIiEEZNS1_11reduce_implILb1ES3_N6thrust23THRUST_200600_302600_NS6detail15normal_iteratorINS8_10device_ptrIiEEEEPffNS8_4plusIfEEEE10hipError_tPvRmT1_T2_T3_mT4_P12ihipStream_tbEUlT_E1_NS1_11comp_targetILNS1_3genE10ELNS1_11target_archE1200ELNS1_3gpuE4ELNS1_3repE0EEENS1_30default_config_static_selectorELNS0_4arch9wavefront6targetE1EEEvSK_
	.globl	_ZN7rocprim17ROCPRIM_400000_NS6detail17trampoline_kernelINS0_14default_configENS1_22reduce_config_selectorIiEEZNS1_11reduce_implILb1ES3_N6thrust23THRUST_200600_302600_NS6detail15normal_iteratorINS8_10device_ptrIiEEEEPffNS8_4plusIfEEEE10hipError_tPvRmT1_T2_T3_mT4_P12ihipStream_tbEUlT_E1_NS1_11comp_targetILNS1_3genE10ELNS1_11target_archE1200ELNS1_3gpuE4ELNS1_3repE0EEENS1_30default_config_static_selectorELNS0_4arch9wavefront6targetE1EEEvSK_
	.p2align	8
	.type	_ZN7rocprim17ROCPRIM_400000_NS6detail17trampoline_kernelINS0_14default_configENS1_22reduce_config_selectorIiEEZNS1_11reduce_implILb1ES3_N6thrust23THRUST_200600_302600_NS6detail15normal_iteratorINS8_10device_ptrIiEEEEPffNS8_4plusIfEEEE10hipError_tPvRmT1_T2_T3_mT4_P12ihipStream_tbEUlT_E1_NS1_11comp_targetILNS1_3genE10ELNS1_11target_archE1200ELNS1_3gpuE4ELNS1_3repE0EEENS1_30default_config_static_selectorELNS0_4arch9wavefront6targetE1EEEvSK_,@function
_ZN7rocprim17ROCPRIM_400000_NS6detail17trampoline_kernelINS0_14default_configENS1_22reduce_config_selectorIiEEZNS1_11reduce_implILb1ES3_N6thrust23THRUST_200600_302600_NS6detail15normal_iteratorINS8_10device_ptrIiEEEEPffNS8_4plusIfEEEE10hipError_tPvRmT1_T2_T3_mT4_P12ihipStream_tbEUlT_E1_NS1_11comp_targetILNS1_3genE10ELNS1_11target_archE1200ELNS1_3gpuE4ELNS1_3repE0EEENS1_30default_config_static_selectorELNS0_4arch9wavefront6targetE1EEEvSK_: ; @_ZN7rocprim17ROCPRIM_400000_NS6detail17trampoline_kernelINS0_14default_configENS1_22reduce_config_selectorIiEEZNS1_11reduce_implILb1ES3_N6thrust23THRUST_200600_302600_NS6detail15normal_iteratorINS8_10device_ptrIiEEEEPffNS8_4plusIfEEEE10hipError_tPvRmT1_T2_T3_mT4_P12ihipStream_tbEUlT_E1_NS1_11comp_targetILNS1_3genE10ELNS1_11target_archE1200ELNS1_3gpuE4ELNS1_3repE0EEENS1_30default_config_static_selectorELNS0_4arch9wavefront6targetE1EEEvSK_
; %bb.0:
	.section	.rodata,"a",@progbits
	.p2align	6, 0x0
	.amdhsa_kernel _ZN7rocprim17ROCPRIM_400000_NS6detail17trampoline_kernelINS0_14default_configENS1_22reduce_config_selectorIiEEZNS1_11reduce_implILb1ES3_N6thrust23THRUST_200600_302600_NS6detail15normal_iteratorINS8_10device_ptrIiEEEEPffNS8_4plusIfEEEE10hipError_tPvRmT1_T2_T3_mT4_P12ihipStream_tbEUlT_E1_NS1_11comp_targetILNS1_3genE10ELNS1_11target_archE1200ELNS1_3gpuE4ELNS1_3repE0EEENS1_30default_config_static_selectorELNS0_4arch9wavefront6targetE1EEEvSK_
		.amdhsa_group_segment_fixed_size 0
		.amdhsa_private_segment_fixed_size 0
		.amdhsa_kernarg_size 40
		.amdhsa_user_sgpr_count 2
		.amdhsa_user_sgpr_dispatch_ptr 0
		.amdhsa_user_sgpr_queue_ptr 0
		.amdhsa_user_sgpr_kernarg_segment_ptr 1
		.amdhsa_user_sgpr_dispatch_id 0
		.amdhsa_user_sgpr_kernarg_preload_length 0
		.amdhsa_user_sgpr_kernarg_preload_offset 0
		.amdhsa_user_sgpr_private_segment_size 0
		.amdhsa_uses_dynamic_stack 0
		.amdhsa_enable_private_segment 0
		.amdhsa_system_sgpr_workgroup_id_x 1
		.amdhsa_system_sgpr_workgroup_id_y 0
		.amdhsa_system_sgpr_workgroup_id_z 0
		.amdhsa_system_sgpr_workgroup_info 0
		.amdhsa_system_vgpr_workitem_id 0
		.amdhsa_next_free_vgpr 1
		.amdhsa_next_free_sgpr 0
		.amdhsa_accum_offset 4
		.amdhsa_reserve_vcc 0
		.amdhsa_float_round_mode_32 0
		.amdhsa_float_round_mode_16_64 0
		.amdhsa_float_denorm_mode_32 3
		.amdhsa_float_denorm_mode_16_64 3
		.amdhsa_dx10_clamp 1
		.amdhsa_ieee_mode 1
		.amdhsa_fp16_overflow 0
		.amdhsa_tg_split 0
		.amdhsa_exception_fp_ieee_invalid_op 0
		.amdhsa_exception_fp_denorm_src 0
		.amdhsa_exception_fp_ieee_div_zero 0
		.amdhsa_exception_fp_ieee_overflow 0
		.amdhsa_exception_fp_ieee_underflow 0
		.amdhsa_exception_fp_ieee_inexact 0
		.amdhsa_exception_int_div_zero 0
	.end_amdhsa_kernel
	.section	.text._ZN7rocprim17ROCPRIM_400000_NS6detail17trampoline_kernelINS0_14default_configENS1_22reduce_config_selectorIiEEZNS1_11reduce_implILb1ES3_N6thrust23THRUST_200600_302600_NS6detail15normal_iteratorINS8_10device_ptrIiEEEEPffNS8_4plusIfEEEE10hipError_tPvRmT1_T2_T3_mT4_P12ihipStream_tbEUlT_E1_NS1_11comp_targetILNS1_3genE10ELNS1_11target_archE1200ELNS1_3gpuE4ELNS1_3repE0EEENS1_30default_config_static_selectorELNS0_4arch9wavefront6targetE1EEEvSK_,"axG",@progbits,_ZN7rocprim17ROCPRIM_400000_NS6detail17trampoline_kernelINS0_14default_configENS1_22reduce_config_selectorIiEEZNS1_11reduce_implILb1ES3_N6thrust23THRUST_200600_302600_NS6detail15normal_iteratorINS8_10device_ptrIiEEEEPffNS8_4plusIfEEEE10hipError_tPvRmT1_T2_T3_mT4_P12ihipStream_tbEUlT_E1_NS1_11comp_targetILNS1_3genE10ELNS1_11target_archE1200ELNS1_3gpuE4ELNS1_3repE0EEENS1_30default_config_static_selectorELNS0_4arch9wavefront6targetE1EEEvSK_,comdat
.Lfunc_end510:
	.size	_ZN7rocprim17ROCPRIM_400000_NS6detail17trampoline_kernelINS0_14default_configENS1_22reduce_config_selectorIiEEZNS1_11reduce_implILb1ES3_N6thrust23THRUST_200600_302600_NS6detail15normal_iteratorINS8_10device_ptrIiEEEEPffNS8_4plusIfEEEE10hipError_tPvRmT1_T2_T3_mT4_P12ihipStream_tbEUlT_E1_NS1_11comp_targetILNS1_3genE10ELNS1_11target_archE1200ELNS1_3gpuE4ELNS1_3repE0EEENS1_30default_config_static_selectorELNS0_4arch9wavefront6targetE1EEEvSK_, .Lfunc_end510-_ZN7rocprim17ROCPRIM_400000_NS6detail17trampoline_kernelINS0_14default_configENS1_22reduce_config_selectorIiEEZNS1_11reduce_implILb1ES3_N6thrust23THRUST_200600_302600_NS6detail15normal_iteratorINS8_10device_ptrIiEEEEPffNS8_4plusIfEEEE10hipError_tPvRmT1_T2_T3_mT4_P12ihipStream_tbEUlT_E1_NS1_11comp_targetILNS1_3genE10ELNS1_11target_archE1200ELNS1_3gpuE4ELNS1_3repE0EEENS1_30default_config_static_selectorELNS0_4arch9wavefront6targetE1EEEvSK_
                                        ; -- End function
	.set _ZN7rocprim17ROCPRIM_400000_NS6detail17trampoline_kernelINS0_14default_configENS1_22reduce_config_selectorIiEEZNS1_11reduce_implILb1ES3_N6thrust23THRUST_200600_302600_NS6detail15normal_iteratorINS8_10device_ptrIiEEEEPffNS8_4plusIfEEEE10hipError_tPvRmT1_T2_T3_mT4_P12ihipStream_tbEUlT_E1_NS1_11comp_targetILNS1_3genE10ELNS1_11target_archE1200ELNS1_3gpuE4ELNS1_3repE0EEENS1_30default_config_static_selectorELNS0_4arch9wavefront6targetE1EEEvSK_.num_vgpr, 0
	.set _ZN7rocprim17ROCPRIM_400000_NS6detail17trampoline_kernelINS0_14default_configENS1_22reduce_config_selectorIiEEZNS1_11reduce_implILb1ES3_N6thrust23THRUST_200600_302600_NS6detail15normal_iteratorINS8_10device_ptrIiEEEEPffNS8_4plusIfEEEE10hipError_tPvRmT1_T2_T3_mT4_P12ihipStream_tbEUlT_E1_NS1_11comp_targetILNS1_3genE10ELNS1_11target_archE1200ELNS1_3gpuE4ELNS1_3repE0EEENS1_30default_config_static_selectorELNS0_4arch9wavefront6targetE1EEEvSK_.num_agpr, 0
	.set _ZN7rocprim17ROCPRIM_400000_NS6detail17trampoline_kernelINS0_14default_configENS1_22reduce_config_selectorIiEEZNS1_11reduce_implILb1ES3_N6thrust23THRUST_200600_302600_NS6detail15normal_iteratorINS8_10device_ptrIiEEEEPffNS8_4plusIfEEEE10hipError_tPvRmT1_T2_T3_mT4_P12ihipStream_tbEUlT_E1_NS1_11comp_targetILNS1_3genE10ELNS1_11target_archE1200ELNS1_3gpuE4ELNS1_3repE0EEENS1_30default_config_static_selectorELNS0_4arch9wavefront6targetE1EEEvSK_.numbered_sgpr, 0
	.set _ZN7rocprim17ROCPRIM_400000_NS6detail17trampoline_kernelINS0_14default_configENS1_22reduce_config_selectorIiEEZNS1_11reduce_implILb1ES3_N6thrust23THRUST_200600_302600_NS6detail15normal_iteratorINS8_10device_ptrIiEEEEPffNS8_4plusIfEEEE10hipError_tPvRmT1_T2_T3_mT4_P12ihipStream_tbEUlT_E1_NS1_11comp_targetILNS1_3genE10ELNS1_11target_archE1200ELNS1_3gpuE4ELNS1_3repE0EEENS1_30default_config_static_selectorELNS0_4arch9wavefront6targetE1EEEvSK_.num_named_barrier, 0
	.set _ZN7rocprim17ROCPRIM_400000_NS6detail17trampoline_kernelINS0_14default_configENS1_22reduce_config_selectorIiEEZNS1_11reduce_implILb1ES3_N6thrust23THRUST_200600_302600_NS6detail15normal_iteratorINS8_10device_ptrIiEEEEPffNS8_4plusIfEEEE10hipError_tPvRmT1_T2_T3_mT4_P12ihipStream_tbEUlT_E1_NS1_11comp_targetILNS1_3genE10ELNS1_11target_archE1200ELNS1_3gpuE4ELNS1_3repE0EEENS1_30default_config_static_selectorELNS0_4arch9wavefront6targetE1EEEvSK_.private_seg_size, 0
	.set _ZN7rocprim17ROCPRIM_400000_NS6detail17trampoline_kernelINS0_14default_configENS1_22reduce_config_selectorIiEEZNS1_11reduce_implILb1ES3_N6thrust23THRUST_200600_302600_NS6detail15normal_iteratorINS8_10device_ptrIiEEEEPffNS8_4plusIfEEEE10hipError_tPvRmT1_T2_T3_mT4_P12ihipStream_tbEUlT_E1_NS1_11comp_targetILNS1_3genE10ELNS1_11target_archE1200ELNS1_3gpuE4ELNS1_3repE0EEENS1_30default_config_static_selectorELNS0_4arch9wavefront6targetE1EEEvSK_.uses_vcc, 0
	.set _ZN7rocprim17ROCPRIM_400000_NS6detail17trampoline_kernelINS0_14default_configENS1_22reduce_config_selectorIiEEZNS1_11reduce_implILb1ES3_N6thrust23THRUST_200600_302600_NS6detail15normal_iteratorINS8_10device_ptrIiEEEEPffNS8_4plusIfEEEE10hipError_tPvRmT1_T2_T3_mT4_P12ihipStream_tbEUlT_E1_NS1_11comp_targetILNS1_3genE10ELNS1_11target_archE1200ELNS1_3gpuE4ELNS1_3repE0EEENS1_30default_config_static_selectorELNS0_4arch9wavefront6targetE1EEEvSK_.uses_flat_scratch, 0
	.set _ZN7rocprim17ROCPRIM_400000_NS6detail17trampoline_kernelINS0_14default_configENS1_22reduce_config_selectorIiEEZNS1_11reduce_implILb1ES3_N6thrust23THRUST_200600_302600_NS6detail15normal_iteratorINS8_10device_ptrIiEEEEPffNS8_4plusIfEEEE10hipError_tPvRmT1_T2_T3_mT4_P12ihipStream_tbEUlT_E1_NS1_11comp_targetILNS1_3genE10ELNS1_11target_archE1200ELNS1_3gpuE4ELNS1_3repE0EEENS1_30default_config_static_selectorELNS0_4arch9wavefront6targetE1EEEvSK_.has_dyn_sized_stack, 0
	.set _ZN7rocprim17ROCPRIM_400000_NS6detail17trampoline_kernelINS0_14default_configENS1_22reduce_config_selectorIiEEZNS1_11reduce_implILb1ES3_N6thrust23THRUST_200600_302600_NS6detail15normal_iteratorINS8_10device_ptrIiEEEEPffNS8_4plusIfEEEE10hipError_tPvRmT1_T2_T3_mT4_P12ihipStream_tbEUlT_E1_NS1_11comp_targetILNS1_3genE10ELNS1_11target_archE1200ELNS1_3gpuE4ELNS1_3repE0EEENS1_30default_config_static_selectorELNS0_4arch9wavefront6targetE1EEEvSK_.has_recursion, 0
	.set _ZN7rocprim17ROCPRIM_400000_NS6detail17trampoline_kernelINS0_14default_configENS1_22reduce_config_selectorIiEEZNS1_11reduce_implILb1ES3_N6thrust23THRUST_200600_302600_NS6detail15normal_iteratorINS8_10device_ptrIiEEEEPffNS8_4plusIfEEEE10hipError_tPvRmT1_T2_T3_mT4_P12ihipStream_tbEUlT_E1_NS1_11comp_targetILNS1_3genE10ELNS1_11target_archE1200ELNS1_3gpuE4ELNS1_3repE0EEENS1_30default_config_static_selectorELNS0_4arch9wavefront6targetE1EEEvSK_.has_indirect_call, 0
	.section	.AMDGPU.csdata,"",@progbits
; Kernel info:
; codeLenInByte = 0
; TotalNumSgprs: 6
; NumVgprs: 0
; NumAgprs: 0
; TotalNumVgprs: 0
; ScratchSize: 0
; MemoryBound: 0
; FloatMode: 240
; IeeeMode: 1
; LDSByteSize: 0 bytes/workgroup (compile time only)
; SGPRBlocks: 0
; VGPRBlocks: 0
; NumSGPRsForWavesPerEU: 6
; NumVGPRsForWavesPerEU: 1
; AccumOffset: 4
; Occupancy: 8
; WaveLimiterHint : 0
; COMPUTE_PGM_RSRC2:SCRATCH_EN: 0
; COMPUTE_PGM_RSRC2:USER_SGPR: 2
; COMPUTE_PGM_RSRC2:TRAP_HANDLER: 0
; COMPUTE_PGM_RSRC2:TGID_X_EN: 1
; COMPUTE_PGM_RSRC2:TGID_Y_EN: 0
; COMPUTE_PGM_RSRC2:TGID_Z_EN: 0
; COMPUTE_PGM_RSRC2:TIDIG_COMP_CNT: 0
; COMPUTE_PGM_RSRC3_GFX90A:ACCUM_OFFSET: 0
; COMPUTE_PGM_RSRC3_GFX90A:TG_SPLIT: 0
	.section	.text._ZN7rocprim17ROCPRIM_400000_NS6detail17trampoline_kernelINS0_14default_configENS1_22reduce_config_selectorIiEEZNS1_11reduce_implILb1ES3_N6thrust23THRUST_200600_302600_NS6detail15normal_iteratorINS8_10device_ptrIiEEEEPffNS8_4plusIfEEEE10hipError_tPvRmT1_T2_T3_mT4_P12ihipStream_tbEUlT_E1_NS1_11comp_targetILNS1_3genE9ELNS1_11target_archE1100ELNS1_3gpuE3ELNS1_3repE0EEENS1_30default_config_static_selectorELNS0_4arch9wavefront6targetE1EEEvSK_,"axG",@progbits,_ZN7rocprim17ROCPRIM_400000_NS6detail17trampoline_kernelINS0_14default_configENS1_22reduce_config_selectorIiEEZNS1_11reduce_implILb1ES3_N6thrust23THRUST_200600_302600_NS6detail15normal_iteratorINS8_10device_ptrIiEEEEPffNS8_4plusIfEEEE10hipError_tPvRmT1_T2_T3_mT4_P12ihipStream_tbEUlT_E1_NS1_11comp_targetILNS1_3genE9ELNS1_11target_archE1100ELNS1_3gpuE3ELNS1_3repE0EEENS1_30default_config_static_selectorELNS0_4arch9wavefront6targetE1EEEvSK_,comdat
	.protected	_ZN7rocprim17ROCPRIM_400000_NS6detail17trampoline_kernelINS0_14default_configENS1_22reduce_config_selectorIiEEZNS1_11reduce_implILb1ES3_N6thrust23THRUST_200600_302600_NS6detail15normal_iteratorINS8_10device_ptrIiEEEEPffNS8_4plusIfEEEE10hipError_tPvRmT1_T2_T3_mT4_P12ihipStream_tbEUlT_E1_NS1_11comp_targetILNS1_3genE9ELNS1_11target_archE1100ELNS1_3gpuE3ELNS1_3repE0EEENS1_30default_config_static_selectorELNS0_4arch9wavefront6targetE1EEEvSK_ ; -- Begin function _ZN7rocprim17ROCPRIM_400000_NS6detail17trampoline_kernelINS0_14default_configENS1_22reduce_config_selectorIiEEZNS1_11reduce_implILb1ES3_N6thrust23THRUST_200600_302600_NS6detail15normal_iteratorINS8_10device_ptrIiEEEEPffNS8_4plusIfEEEE10hipError_tPvRmT1_T2_T3_mT4_P12ihipStream_tbEUlT_E1_NS1_11comp_targetILNS1_3genE9ELNS1_11target_archE1100ELNS1_3gpuE3ELNS1_3repE0EEENS1_30default_config_static_selectorELNS0_4arch9wavefront6targetE1EEEvSK_
	.globl	_ZN7rocprim17ROCPRIM_400000_NS6detail17trampoline_kernelINS0_14default_configENS1_22reduce_config_selectorIiEEZNS1_11reduce_implILb1ES3_N6thrust23THRUST_200600_302600_NS6detail15normal_iteratorINS8_10device_ptrIiEEEEPffNS8_4plusIfEEEE10hipError_tPvRmT1_T2_T3_mT4_P12ihipStream_tbEUlT_E1_NS1_11comp_targetILNS1_3genE9ELNS1_11target_archE1100ELNS1_3gpuE3ELNS1_3repE0EEENS1_30default_config_static_selectorELNS0_4arch9wavefront6targetE1EEEvSK_
	.p2align	8
	.type	_ZN7rocprim17ROCPRIM_400000_NS6detail17trampoline_kernelINS0_14default_configENS1_22reduce_config_selectorIiEEZNS1_11reduce_implILb1ES3_N6thrust23THRUST_200600_302600_NS6detail15normal_iteratorINS8_10device_ptrIiEEEEPffNS8_4plusIfEEEE10hipError_tPvRmT1_T2_T3_mT4_P12ihipStream_tbEUlT_E1_NS1_11comp_targetILNS1_3genE9ELNS1_11target_archE1100ELNS1_3gpuE3ELNS1_3repE0EEENS1_30default_config_static_selectorELNS0_4arch9wavefront6targetE1EEEvSK_,@function
_ZN7rocprim17ROCPRIM_400000_NS6detail17trampoline_kernelINS0_14default_configENS1_22reduce_config_selectorIiEEZNS1_11reduce_implILb1ES3_N6thrust23THRUST_200600_302600_NS6detail15normal_iteratorINS8_10device_ptrIiEEEEPffNS8_4plusIfEEEE10hipError_tPvRmT1_T2_T3_mT4_P12ihipStream_tbEUlT_E1_NS1_11comp_targetILNS1_3genE9ELNS1_11target_archE1100ELNS1_3gpuE3ELNS1_3repE0EEENS1_30default_config_static_selectorELNS0_4arch9wavefront6targetE1EEEvSK_: ; @_ZN7rocprim17ROCPRIM_400000_NS6detail17trampoline_kernelINS0_14default_configENS1_22reduce_config_selectorIiEEZNS1_11reduce_implILb1ES3_N6thrust23THRUST_200600_302600_NS6detail15normal_iteratorINS8_10device_ptrIiEEEEPffNS8_4plusIfEEEE10hipError_tPvRmT1_T2_T3_mT4_P12ihipStream_tbEUlT_E1_NS1_11comp_targetILNS1_3genE9ELNS1_11target_archE1100ELNS1_3gpuE3ELNS1_3repE0EEENS1_30default_config_static_selectorELNS0_4arch9wavefront6targetE1EEEvSK_
; %bb.0:
	.section	.rodata,"a",@progbits
	.p2align	6, 0x0
	.amdhsa_kernel _ZN7rocprim17ROCPRIM_400000_NS6detail17trampoline_kernelINS0_14default_configENS1_22reduce_config_selectorIiEEZNS1_11reduce_implILb1ES3_N6thrust23THRUST_200600_302600_NS6detail15normal_iteratorINS8_10device_ptrIiEEEEPffNS8_4plusIfEEEE10hipError_tPvRmT1_T2_T3_mT4_P12ihipStream_tbEUlT_E1_NS1_11comp_targetILNS1_3genE9ELNS1_11target_archE1100ELNS1_3gpuE3ELNS1_3repE0EEENS1_30default_config_static_selectorELNS0_4arch9wavefront6targetE1EEEvSK_
		.amdhsa_group_segment_fixed_size 0
		.amdhsa_private_segment_fixed_size 0
		.amdhsa_kernarg_size 40
		.amdhsa_user_sgpr_count 2
		.amdhsa_user_sgpr_dispatch_ptr 0
		.amdhsa_user_sgpr_queue_ptr 0
		.amdhsa_user_sgpr_kernarg_segment_ptr 1
		.amdhsa_user_sgpr_dispatch_id 0
		.amdhsa_user_sgpr_kernarg_preload_length 0
		.amdhsa_user_sgpr_kernarg_preload_offset 0
		.amdhsa_user_sgpr_private_segment_size 0
		.amdhsa_uses_dynamic_stack 0
		.amdhsa_enable_private_segment 0
		.amdhsa_system_sgpr_workgroup_id_x 1
		.amdhsa_system_sgpr_workgroup_id_y 0
		.amdhsa_system_sgpr_workgroup_id_z 0
		.amdhsa_system_sgpr_workgroup_info 0
		.amdhsa_system_vgpr_workitem_id 0
		.amdhsa_next_free_vgpr 1
		.amdhsa_next_free_sgpr 0
		.amdhsa_accum_offset 4
		.amdhsa_reserve_vcc 0
		.amdhsa_float_round_mode_32 0
		.amdhsa_float_round_mode_16_64 0
		.amdhsa_float_denorm_mode_32 3
		.amdhsa_float_denorm_mode_16_64 3
		.amdhsa_dx10_clamp 1
		.amdhsa_ieee_mode 1
		.amdhsa_fp16_overflow 0
		.amdhsa_tg_split 0
		.amdhsa_exception_fp_ieee_invalid_op 0
		.amdhsa_exception_fp_denorm_src 0
		.amdhsa_exception_fp_ieee_div_zero 0
		.amdhsa_exception_fp_ieee_overflow 0
		.amdhsa_exception_fp_ieee_underflow 0
		.amdhsa_exception_fp_ieee_inexact 0
		.amdhsa_exception_int_div_zero 0
	.end_amdhsa_kernel
	.section	.text._ZN7rocprim17ROCPRIM_400000_NS6detail17trampoline_kernelINS0_14default_configENS1_22reduce_config_selectorIiEEZNS1_11reduce_implILb1ES3_N6thrust23THRUST_200600_302600_NS6detail15normal_iteratorINS8_10device_ptrIiEEEEPffNS8_4plusIfEEEE10hipError_tPvRmT1_T2_T3_mT4_P12ihipStream_tbEUlT_E1_NS1_11comp_targetILNS1_3genE9ELNS1_11target_archE1100ELNS1_3gpuE3ELNS1_3repE0EEENS1_30default_config_static_selectorELNS0_4arch9wavefront6targetE1EEEvSK_,"axG",@progbits,_ZN7rocprim17ROCPRIM_400000_NS6detail17trampoline_kernelINS0_14default_configENS1_22reduce_config_selectorIiEEZNS1_11reduce_implILb1ES3_N6thrust23THRUST_200600_302600_NS6detail15normal_iteratorINS8_10device_ptrIiEEEEPffNS8_4plusIfEEEE10hipError_tPvRmT1_T2_T3_mT4_P12ihipStream_tbEUlT_E1_NS1_11comp_targetILNS1_3genE9ELNS1_11target_archE1100ELNS1_3gpuE3ELNS1_3repE0EEENS1_30default_config_static_selectorELNS0_4arch9wavefront6targetE1EEEvSK_,comdat
.Lfunc_end511:
	.size	_ZN7rocprim17ROCPRIM_400000_NS6detail17trampoline_kernelINS0_14default_configENS1_22reduce_config_selectorIiEEZNS1_11reduce_implILb1ES3_N6thrust23THRUST_200600_302600_NS6detail15normal_iteratorINS8_10device_ptrIiEEEEPffNS8_4plusIfEEEE10hipError_tPvRmT1_T2_T3_mT4_P12ihipStream_tbEUlT_E1_NS1_11comp_targetILNS1_3genE9ELNS1_11target_archE1100ELNS1_3gpuE3ELNS1_3repE0EEENS1_30default_config_static_selectorELNS0_4arch9wavefront6targetE1EEEvSK_, .Lfunc_end511-_ZN7rocprim17ROCPRIM_400000_NS6detail17trampoline_kernelINS0_14default_configENS1_22reduce_config_selectorIiEEZNS1_11reduce_implILb1ES3_N6thrust23THRUST_200600_302600_NS6detail15normal_iteratorINS8_10device_ptrIiEEEEPffNS8_4plusIfEEEE10hipError_tPvRmT1_T2_T3_mT4_P12ihipStream_tbEUlT_E1_NS1_11comp_targetILNS1_3genE9ELNS1_11target_archE1100ELNS1_3gpuE3ELNS1_3repE0EEENS1_30default_config_static_selectorELNS0_4arch9wavefront6targetE1EEEvSK_
                                        ; -- End function
	.set _ZN7rocprim17ROCPRIM_400000_NS6detail17trampoline_kernelINS0_14default_configENS1_22reduce_config_selectorIiEEZNS1_11reduce_implILb1ES3_N6thrust23THRUST_200600_302600_NS6detail15normal_iteratorINS8_10device_ptrIiEEEEPffNS8_4plusIfEEEE10hipError_tPvRmT1_T2_T3_mT4_P12ihipStream_tbEUlT_E1_NS1_11comp_targetILNS1_3genE9ELNS1_11target_archE1100ELNS1_3gpuE3ELNS1_3repE0EEENS1_30default_config_static_selectorELNS0_4arch9wavefront6targetE1EEEvSK_.num_vgpr, 0
	.set _ZN7rocprim17ROCPRIM_400000_NS6detail17trampoline_kernelINS0_14default_configENS1_22reduce_config_selectorIiEEZNS1_11reduce_implILb1ES3_N6thrust23THRUST_200600_302600_NS6detail15normal_iteratorINS8_10device_ptrIiEEEEPffNS8_4plusIfEEEE10hipError_tPvRmT1_T2_T3_mT4_P12ihipStream_tbEUlT_E1_NS1_11comp_targetILNS1_3genE9ELNS1_11target_archE1100ELNS1_3gpuE3ELNS1_3repE0EEENS1_30default_config_static_selectorELNS0_4arch9wavefront6targetE1EEEvSK_.num_agpr, 0
	.set _ZN7rocprim17ROCPRIM_400000_NS6detail17trampoline_kernelINS0_14default_configENS1_22reduce_config_selectorIiEEZNS1_11reduce_implILb1ES3_N6thrust23THRUST_200600_302600_NS6detail15normal_iteratorINS8_10device_ptrIiEEEEPffNS8_4plusIfEEEE10hipError_tPvRmT1_T2_T3_mT4_P12ihipStream_tbEUlT_E1_NS1_11comp_targetILNS1_3genE9ELNS1_11target_archE1100ELNS1_3gpuE3ELNS1_3repE0EEENS1_30default_config_static_selectorELNS0_4arch9wavefront6targetE1EEEvSK_.numbered_sgpr, 0
	.set _ZN7rocprim17ROCPRIM_400000_NS6detail17trampoline_kernelINS0_14default_configENS1_22reduce_config_selectorIiEEZNS1_11reduce_implILb1ES3_N6thrust23THRUST_200600_302600_NS6detail15normal_iteratorINS8_10device_ptrIiEEEEPffNS8_4plusIfEEEE10hipError_tPvRmT1_T2_T3_mT4_P12ihipStream_tbEUlT_E1_NS1_11comp_targetILNS1_3genE9ELNS1_11target_archE1100ELNS1_3gpuE3ELNS1_3repE0EEENS1_30default_config_static_selectorELNS0_4arch9wavefront6targetE1EEEvSK_.num_named_barrier, 0
	.set _ZN7rocprim17ROCPRIM_400000_NS6detail17trampoline_kernelINS0_14default_configENS1_22reduce_config_selectorIiEEZNS1_11reduce_implILb1ES3_N6thrust23THRUST_200600_302600_NS6detail15normal_iteratorINS8_10device_ptrIiEEEEPffNS8_4plusIfEEEE10hipError_tPvRmT1_T2_T3_mT4_P12ihipStream_tbEUlT_E1_NS1_11comp_targetILNS1_3genE9ELNS1_11target_archE1100ELNS1_3gpuE3ELNS1_3repE0EEENS1_30default_config_static_selectorELNS0_4arch9wavefront6targetE1EEEvSK_.private_seg_size, 0
	.set _ZN7rocprim17ROCPRIM_400000_NS6detail17trampoline_kernelINS0_14default_configENS1_22reduce_config_selectorIiEEZNS1_11reduce_implILb1ES3_N6thrust23THRUST_200600_302600_NS6detail15normal_iteratorINS8_10device_ptrIiEEEEPffNS8_4plusIfEEEE10hipError_tPvRmT1_T2_T3_mT4_P12ihipStream_tbEUlT_E1_NS1_11comp_targetILNS1_3genE9ELNS1_11target_archE1100ELNS1_3gpuE3ELNS1_3repE0EEENS1_30default_config_static_selectorELNS0_4arch9wavefront6targetE1EEEvSK_.uses_vcc, 0
	.set _ZN7rocprim17ROCPRIM_400000_NS6detail17trampoline_kernelINS0_14default_configENS1_22reduce_config_selectorIiEEZNS1_11reduce_implILb1ES3_N6thrust23THRUST_200600_302600_NS6detail15normal_iteratorINS8_10device_ptrIiEEEEPffNS8_4plusIfEEEE10hipError_tPvRmT1_T2_T3_mT4_P12ihipStream_tbEUlT_E1_NS1_11comp_targetILNS1_3genE9ELNS1_11target_archE1100ELNS1_3gpuE3ELNS1_3repE0EEENS1_30default_config_static_selectorELNS0_4arch9wavefront6targetE1EEEvSK_.uses_flat_scratch, 0
	.set _ZN7rocprim17ROCPRIM_400000_NS6detail17trampoline_kernelINS0_14default_configENS1_22reduce_config_selectorIiEEZNS1_11reduce_implILb1ES3_N6thrust23THRUST_200600_302600_NS6detail15normal_iteratorINS8_10device_ptrIiEEEEPffNS8_4plusIfEEEE10hipError_tPvRmT1_T2_T3_mT4_P12ihipStream_tbEUlT_E1_NS1_11comp_targetILNS1_3genE9ELNS1_11target_archE1100ELNS1_3gpuE3ELNS1_3repE0EEENS1_30default_config_static_selectorELNS0_4arch9wavefront6targetE1EEEvSK_.has_dyn_sized_stack, 0
	.set _ZN7rocprim17ROCPRIM_400000_NS6detail17trampoline_kernelINS0_14default_configENS1_22reduce_config_selectorIiEEZNS1_11reduce_implILb1ES3_N6thrust23THRUST_200600_302600_NS6detail15normal_iteratorINS8_10device_ptrIiEEEEPffNS8_4plusIfEEEE10hipError_tPvRmT1_T2_T3_mT4_P12ihipStream_tbEUlT_E1_NS1_11comp_targetILNS1_3genE9ELNS1_11target_archE1100ELNS1_3gpuE3ELNS1_3repE0EEENS1_30default_config_static_selectorELNS0_4arch9wavefront6targetE1EEEvSK_.has_recursion, 0
	.set _ZN7rocprim17ROCPRIM_400000_NS6detail17trampoline_kernelINS0_14default_configENS1_22reduce_config_selectorIiEEZNS1_11reduce_implILb1ES3_N6thrust23THRUST_200600_302600_NS6detail15normal_iteratorINS8_10device_ptrIiEEEEPffNS8_4plusIfEEEE10hipError_tPvRmT1_T2_T3_mT4_P12ihipStream_tbEUlT_E1_NS1_11comp_targetILNS1_3genE9ELNS1_11target_archE1100ELNS1_3gpuE3ELNS1_3repE0EEENS1_30default_config_static_selectorELNS0_4arch9wavefront6targetE1EEEvSK_.has_indirect_call, 0
	.section	.AMDGPU.csdata,"",@progbits
; Kernel info:
; codeLenInByte = 0
; TotalNumSgprs: 6
; NumVgprs: 0
; NumAgprs: 0
; TotalNumVgprs: 0
; ScratchSize: 0
; MemoryBound: 0
; FloatMode: 240
; IeeeMode: 1
; LDSByteSize: 0 bytes/workgroup (compile time only)
; SGPRBlocks: 0
; VGPRBlocks: 0
; NumSGPRsForWavesPerEU: 6
; NumVGPRsForWavesPerEU: 1
; AccumOffset: 4
; Occupancy: 8
; WaveLimiterHint : 0
; COMPUTE_PGM_RSRC2:SCRATCH_EN: 0
; COMPUTE_PGM_RSRC2:USER_SGPR: 2
; COMPUTE_PGM_RSRC2:TRAP_HANDLER: 0
; COMPUTE_PGM_RSRC2:TGID_X_EN: 1
; COMPUTE_PGM_RSRC2:TGID_Y_EN: 0
; COMPUTE_PGM_RSRC2:TGID_Z_EN: 0
; COMPUTE_PGM_RSRC2:TIDIG_COMP_CNT: 0
; COMPUTE_PGM_RSRC3_GFX90A:ACCUM_OFFSET: 0
; COMPUTE_PGM_RSRC3_GFX90A:TG_SPLIT: 0
	.section	.text._ZN7rocprim17ROCPRIM_400000_NS6detail17trampoline_kernelINS0_14default_configENS1_22reduce_config_selectorIiEEZNS1_11reduce_implILb1ES3_N6thrust23THRUST_200600_302600_NS6detail15normal_iteratorINS8_10device_ptrIiEEEEPffNS8_4plusIfEEEE10hipError_tPvRmT1_T2_T3_mT4_P12ihipStream_tbEUlT_E1_NS1_11comp_targetILNS1_3genE8ELNS1_11target_archE1030ELNS1_3gpuE2ELNS1_3repE0EEENS1_30default_config_static_selectorELNS0_4arch9wavefront6targetE1EEEvSK_,"axG",@progbits,_ZN7rocprim17ROCPRIM_400000_NS6detail17trampoline_kernelINS0_14default_configENS1_22reduce_config_selectorIiEEZNS1_11reduce_implILb1ES3_N6thrust23THRUST_200600_302600_NS6detail15normal_iteratorINS8_10device_ptrIiEEEEPffNS8_4plusIfEEEE10hipError_tPvRmT1_T2_T3_mT4_P12ihipStream_tbEUlT_E1_NS1_11comp_targetILNS1_3genE8ELNS1_11target_archE1030ELNS1_3gpuE2ELNS1_3repE0EEENS1_30default_config_static_selectorELNS0_4arch9wavefront6targetE1EEEvSK_,comdat
	.protected	_ZN7rocprim17ROCPRIM_400000_NS6detail17trampoline_kernelINS0_14default_configENS1_22reduce_config_selectorIiEEZNS1_11reduce_implILb1ES3_N6thrust23THRUST_200600_302600_NS6detail15normal_iteratorINS8_10device_ptrIiEEEEPffNS8_4plusIfEEEE10hipError_tPvRmT1_T2_T3_mT4_P12ihipStream_tbEUlT_E1_NS1_11comp_targetILNS1_3genE8ELNS1_11target_archE1030ELNS1_3gpuE2ELNS1_3repE0EEENS1_30default_config_static_selectorELNS0_4arch9wavefront6targetE1EEEvSK_ ; -- Begin function _ZN7rocprim17ROCPRIM_400000_NS6detail17trampoline_kernelINS0_14default_configENS1_22reduce_config_selectorIiEEZNS1_11reduce_implILb1ES3_N6thrust23THRUST_200600_302600_NS6detail15normal_iteratorINS8_10device_ptrIiEEEEPffNS8_4plusIfEEEE10hipError_tPvRmT1_T2_T3_mT4_P12ihipStream_tbEUlT_E1_NS1_11comp_targetILNS1_3genE8ELNS1_11target_archE1030ELNS1_3gpuE2ELNS1_3repE0EEENS1_30default_config_static_selectorELNS0_4arch9wavefront6targetE1EEEvSK_
	.globl	_ZN7rocprim17ROCPRIM_400000_NS6detail17trampoline_kernelINS0_14default_configENS1_22reduce_config_selectorIiEEZNS1_11reduce_implILb1ES3_N6thrust23THRUST_200600_302600_NS6detail15normal_iteratorINS8_10device_ptrIiEEEEPffNS8_4plusIfEEEE10hipError_tPvRmT1_T2_T3_mT4_P12ihipStream_tbEUlT_E1_NS1_11comp_targetILNS1_3genE8ELNS1_11target_archE1030ELNS1_3gpuE2ELNS1_3repE0EEENS1_30default_config_static_selectorELNS0_4arch9wavefront6targetE1EEEvSK_
	.p2align	8
	.type	_ZN7rocprim17ROCPRIM_400000_NS6detail17trampoline_kernelINS0_14default_configENS1_22reduce_config_selectorIiEEZNS1_11reduce_implILb1ES3_N6thrust23THRUST_200600_302600_NS6detail15normal_iteratorINS8_10device_ptrIiEEEEPffNS8_4plusIfEEEE10hipError_tPvRmT1_T2_T3_mT4_P12ihipStream_tbEUlT_E1_NS1_11comp_targetILNS1_3genE8ELNS1_11target_archE1030ELNS1_3gpuE2ELNS1_3repE0EEENS1_30default_config_static_selectorELNS0_4arch9wavefront6targetE1EEEvSK_,@function
_ZN7rocprim17ROCPRIM_400000_NS6detail17trampoline_kernelINS0_14default_configENS1_22reduce_config_selectorIiEEZNS1_11reduce_implILb1ES3_N6thrust23THRUST_200600_302600_NS6detail15normal_iteratorINS8_10device_ptrIiEEEEPffNS8_4plusIfEEEE10hipError_tPvRmT1_T2_T3_mT4_P12ihipStream_tbEUlT_E1_NS1_11comp_targetILNS1_3genE8ELNS1_11target_archE1030ELNS1_3gpuE2ELNS1_3repE0EEENS1_30default_config_static_selectorELNS0_4arch9wavefront6targetE1EEEvSK_: ; @_ZN7rocprim17ROCPRIM_400000_NS6detail17trampoline_kernelINS0_14default_configENS1_22reduce_config_selectorIiEEZNS1_11reduce_implILb1ES3_N6thrust23THRUST_200600_302600_NS6detail15normal_iteratorINS8_10device_ptrIiEEEEPffNS8_4plusIfEEEE10hipError_tPvRmT1_T2_T3_mT4_P12ihipStream_tbEUlT_E1_NS1_11comp_targetILNS1_3genE8ELNS1_11target_archE1030ELNS1_3gpuE2ELNS1_3repE0EEENS1_30default_config_static_selectorELNS0_4arch9wavefront6targetE1EEEvSK_
; %bb.0:
	.section	.rodata,"a",@progbits
	.p2align	6, 0x0
	.amdhsa_kernel _ZN7rocprim17ROCPRIM_400000_NS6detail17trampoline_kernelINS0_14default_configENS1_22reduce_config_selectorIiEEZNS1_11reduce_implILb1ES3_N6thrust23THRUST_200600_302600_NS6detail15normal_iteratorINS8_10device_ptrIiEEEEPffNS8_4plusIfEEEE10hipError_tPvRmT1_T2_T3_mT4_P12ihipStream_tbEUlT_E1_NS1_11comp_targetILNS1_3genE8ELNS1_11target_archE1030ELNS1_3gpuE2ELNS1_3repE0EEENS1_30default_config_static_selectorELNS0_4arch9wavefront6targetE1EEEvSK_
		.amdhsa_group_segment_fixed_size 0
		.amdhsa_private_segment_fixed_size 0
		.amdhsa_kernarg_size 40
		.amdhsa_user_sgpr_count 2
		.amdhsa_user_sgpr_dispatch_ptr 0
		.amdhsa_user_sgpr_queue_ptr 0
		.amdhsa_user_sgpr_kernarg_segment_ptr 1
		.amdhsa_user_sgpr_dispatch_id 0
		.amdhsa_user_sgpr_kernarg_preload_length 0
		.amdhsa_user_sgpr_kernarg_preload_offset 0
		.amdhsa_user_sgpr_private_segment_size 0
		.amdhsa_uses_dynamic_stack 0
		.amdhsa_enable_private_segment 0
		.amdhsa_system_sgpr_workgroup_id_x 1
		.amdhsa_system_sgpr_workgroup_id_y 0
		.amdhsa_system_sgpr_workgroup_id_z 0
		.amdhsa_system_sgpr_workgroup_info 0
		.amdhsa_system_vgpr_workitem_id 0
		.amdhsa_next_free_vgpr 1
		.amdhsa_next_free_sgpr 0
		.amdhsa_accum_offset 4
		.amdhsa_reserve_vcc 0
		.amdhsa_float_round_mode_32 0
		.amdhsa_float_round_mode_16_64 0
		.amdhsa_float_denorm_mode_32 3
		.amdhsa_float_denorm_mode_16_64 3
		.amdhsa_dx10_clamp 1
		.amdhsa_ieee_mode 1
		.amdhsa_fp16_overflow 0
		.amdhsa_tg_split 0
		.amdhsa_exception_fp_ieee_invalid_op 0
		.amdhsa_exception_fp_denorm_src 0
		.amdhsa_exception_fp_ieee_div_zero 0
		.amdhsa_exception_fp_ieee_overflow 0
		.amdhsa_exception_fp_ieee_underflow 0
		.amdhsa_exception_fp_ieee_inexact 0
		.amdhsa_exception_int_div_zero 0
	.end_amdhsa_kernel
	.section	.text._ZN7rocprim17ROCPRIM_400000_NS6detail17trampoline_kernelINS0_14default_configENS1_22reduce_config_selectorIiEEZNS1_11reduce_implILb1ES3_N6thrust23THRUST_200600_302600_NS6detail15normal_iteratorINS8_10device_ptrIiEEEEPffNS8_4plusIfEEEE10hipError_tPvRmT1_T2_T3_mT4_P12ihipStream_tbEUlT_E1_NS1_11comp_targetILNS1_3genE8ELNS1_11target_archE1030ELNS1_3gpuE2ELNS1_3repE0EEENS1_30default_config_static_selectorELNS0_4arch9wavefront6targetE1EEEvSK_,"axG",@progbits,_ZN7rocprim17ROCPRIM_400000_NS6detail17trampoline_kernelINS0_14default_configENS1_22reduce_config_selectorIiEEZNS1_11reduce_implILb1ES3_N6thrust23THRUST_200600_302600_NS6detail15normal_iteratorINS8_10device_ptrIiEEEEPffNS8_4plusIfEEEE10hipError_tPvRmT1_T2_T3_mT4_P12ihipStream_tbEUlT_E1_NS1_11comp_targetILNS1_3genE8ELNS1_11target_archE1030ELNS1_3gpuE2ELNS1_3repE0EEENS1_30default_config_static_selectorELNS0_4arch9wavefront6targetE1EEEvSK_,comdat
.Lfunc_end512:
	.size	_ZN7rocprim17ROCPRIM_400000_NS6detail17trampoline_kernelINS0_14default_configENS1_22reduce_config_selectorIiEEZNS1_11reduce_implILb1ES3_N6thrust23THRUST_200600_302600_NS6detail15normal_iteratorINS8_10device_ptrIiEEEEPffNS8_4plusIfEEEE10hipError_tPvRmT1_T2_T3_mT4_P12ihipStream_tbEUlT_E1_NS1_11comp_targetILNS1_3genE8ELNS1_11target_archE1030ELNS1_3gpuE2ELNS1_3repE0EEENS1_30default_config_static_selectorELNS0_4arch9wavefront6targetE1EEEvSK_, .Lfunc_end512-_ZN7rocprim17ROCPRIM_400000_NS6detail17trampoline_kernelINS0_14default_configENS1_22reduce_config_selectorIiEEZNS1_11reduce_implILb1ES3_N6thrust23THRUST_200600_302600_NS6detail15normal_iteratorINS8_10device_ptrIiEEEEPffNS8_4plusIfEEEE10hipError_tPvRmT1_T2_T3_mT4_P12ihipStream_tbEUlT_E1_NS1_11comp_targetILNS1_3genE8ELNS1_11target_archE1030ELNS1_3gpuE2ELNS1_3repE0EEENS1_30default_config_static_selectorELNS0_4arch9wavefront6targetE1EEEvSK_
                                        ; -- End function
	.set _ZN7rocprim17ROCPRIM_400000_NS6detail17trampoline_kernelINS0_14default_configENS1_22reduce_config_selectorIiEEZNS1_11reduce_implILb1ES3_N6thrust23THRUST_200600_302600_NS6detail15normal_iteratorINS8_10device_ptrIiEEEEPffNS8_4plusIfEEEE10hipError_tPvRmT1_T2_T3_mT4_P12ihipStream_tbEUlT_E1_NS1_11comp_targetILNS1_3genE8ELNS1_11target_archE1030ELNS1_3gpuE2ELNS1_3repE0EEENS1_30default_config_static_selectorELNS0_4arch9wavefront6targetE1EEEvSK_.num_vgpr, 0
	.set _ZN7rocprim17ROCPRIM_400000_NS6detail17trampoline_kernelINS0_14default_configENS1_22reduce_config_selectorIiEEZNS1_11reduce_implILb1ES3_N6thrust23THRUST_200600_302600_NS6detail15normal_iteratorINS8_10device_ptrIiEEEEPffNS8_4plusIfEEEE10hipError_tPvRmT1_T2_T3_mT4_P12ihipStream_tbEUlT_E1_NS1_11comp_targetILNS1_3genE8ELNS1_11target_archE1030ELNS1_3gpuE2ELNS1_3repE0EEENS1_30default_config_static_selectorELNS0_4arch9wavefront6targetE1EEEvSK_.num_agpr, 0
	.set _ZN7rocprim17ROCPRIM_400000_NS6detail17trampoline_kernelINS0_14default_configENS1_22reduce_config_selectorIiEEZNS1_11reduce_implILb1ES3_N6thrust23THRUST_200600_302600_NS6detail15normal_iteratorINS8_10device_ptrIiEEEEPffNS8_4plusIfEEEE10hipError_tPvRmT1_T2_T3_mT4_P12ihipStream_tbEUlT_E1_NS1_11comp_targetILNS1_3genE8ELNS1_11target_archE1030ELNS1_3gpuE2ELNS1_3repE0EEENS1_30default_config_static_selectorELNS0_4arch9wavefront6targetE1EEEvSK_.numbered_sgpr, 0
	.set _ZN7rocprim17ROCPRIM_400000_NS6detail17trampoline_kernelINS0_14default_configENS1_22reduce_config_selectorIiEEZNS1_11reduce_implILb1ES3_N6thrust23THRUST_200600_302600_NS6detail15normal_iteratorINS8_10device_ptrIiEEEEPffNS8_4plusIfEEEE10hipError_tPvRmT1_T2_T3_mT4_P12ihipStream_tbEUlT_E1_NS1_11comp_targetILNS1_3genE8ELNS1_11target_archE1030ELNS1_3gpuE2ELNS1_3repE0EEENS1_30default_config_static_selectorELNS0_4arch9wavefront6targetE1EEEvSK_.num_named_barrier, 0
	.set _ZN7rocprim17ROCPRIM_400000_NS6detail17trampoline_kernelINS0_14default_configENS1_22reduce_config_selectorIiEEZNS1_11reduce_implILb1ES3_N6thrust23THRUST_200600_302600_NS6detail15normal_iteratorINS8_10device_ptrIiEEEEPffNS8_4plusIfEEEE10hipError_tPvRmT1_T2_T3_mT4_P12ihipStream_tbEUlT_E1_NS1_11comp_targetILNS1_3genE8ELNS1_11target_archE1030ELNS1_3gpuE2ELNS1_3repE0EEENS1_30default_config_static_selectorELNS0_4arch9wavefront6targetE1EEEvSK_.private_seg_size, 0
	.set _ZN7rocprim17ROCPRIM_400000_NS6detail17trampoline_kernelINS0_14default_configENS1_22reduce_config_selectorIiEEZNS1_11reduce_implILb1ES3_N6thrust23THRUST_200600_302600_NS6detail15normal_iteratorINS8_10device_ptrIiEEEEPffNS8_4plusIfEEEE10hipError_tPvRmT1_T2_T3_mT4_P12ihipStream_tbEUlT_E1_NS1_11comp_targetILNS1_3genE8ELNS1_11target_archE1030ELNS1_3gpuE2ELNS1_3repE0EEENS1_30default_config_static_selectorELNS0_4arch9wavefront6targetE1EEEvSK_.uses_vcc, 0
	.set _ZN7rocprim17ROCPRIM_400000_NS6detail17trampoline_kernelINS0_14default_configENS1_22reduce_config_selectorIiEEZNS1_11reduce_implILb1ES3_N6thrust23THRUST_200600_302600_NS6detail15normal_iteratorINS8_10device_ptrIiEEEEPffNS8_4plusIfEEEE10hipError_tPvRmT1_T2_T3_mT4_P12ihipStream_tbEUlT_E1_NS1_11comp_targetILNS1_3genE8ELNS1_11target_archE1030ELNS1_3gpuE2ELNS1_3repE0EEENS1_30default_config_static_selectorELNS0_4arch9wavefront6targetE1EEEvSK_.uses_flat_scratch, 0
	.set _ZN7rocprim17ROCPRIM_400000_NS6detail17trampoline_kernelINS0_14default_configENS1_22reduce_config_selectorIiEEZNS1_11reduce_implILb1ES3_N6thrust23THRUST_200600_302600_NS6detail15normal_iteratorINS8_10device_ptrIiEEEEPffNS8_4plusIfEEEE10hipError_tPvRmT1_T2_T3_mT4_P12ihipStream_tbEUlT_E1_NS1_11comp_targetILNS1_3genE8ELNS1_11target_archE1030ELNS1_3gpuE2ELNS1_3repE0EEENS1_30default_config_static_selectorELNS0_4arch9wavefront6targetE1EEEvSK_.has_dyn_sized_stack, 0
	.set _ZN7rocprim17ROCPRIM_400000_NS6detail17trampoline_kernelINS0_14default_configENS1_22reduce_config_selectorIiEEZNS1_11reduce_implILb1ES3_N6thrust23THRUST_200600_302600_NS6detail15normal_iteratorINS8_10device_ptrIiEEEEPffNS8_4plusIfEEEE10hipError_tPvRmT1_T2_T3_mT4_P12ihipStream_tbEUlT_E1_NS1_11comp_targetILNS1_3genE8ELNS1_11target_archE1030ELNS1_3gpuE2ELNS1_3repE0EEENS1_30default_config_static_selectorELNS0_4arch9wavefront6targetE1EEEvSK_.has_recursion, 0
	.set _ZN7rocprim17ROCPRIM_400000_NS6detail17trampoline_kernelINS0_14default_configENS1_22reduce_config_selectorIiEEZNS1_11reduce_implILb1ES3_N6thrust23THRUST_200600_302600_NS6detail15normal_iteratorINS8_10device_ptrIiEEEEPffNS8_4plusIfEEEE10hipError_tPvRmT1_T2_T3_mT4_P12ihipStream_tbEUlT_E1_NS1_11comp_targetILNS1_3genE8ELNS1_11target_archE1030ELNS1_3gpuE2ELNS1_3repE0EEENS1_30default_config_static_selectorELNS0_4arch9wavefront6targetE1EEEvSK_.has_indirect_call, 0
	.section	.AMDGPU.csdata,"",@progbits
; Kernel info:
; codeLenInByte = 0
; TotalNumSgprs: 6
; NumVgprs: 0
; NumAgprs: 0
; TotalNumVgprs: 0
; ScratchSize: 0
; MemoryBound: 0
; FloatMode: 240
; IeeeMode: 1
; LDSByteSize: 0 bytes/workgroup (compile time only)
; SGPRBlocks: 0
; VGPRBlocks: 0
; NumSGPRsForWavesPerEU: 6
; NumVGPRsForWavesPerEU: 1
; AccumOffset: 4
; Occupancy: 8
; WaveLimiterHint : 0
; COMPUTE_PGM_RSRC2:SCRATCH_EN: 0
; COMPUTE_PGM_RSRC2:USER_SGPR: 2
; COMPUTE_PGM_RSRC2:TRAP_HANDLER: 0
; COMPUTE_PGM_RSRC2:TGID_X_EN: 1
; COMPUTE_PGM_RSRC2:TGID_Y_EN: 0
; COMPUTE_PGM_RSRC2:TGID_Z_EN: 0
; COMPUTE_PGM_RSRC2:TIDIG_COMP_CNT: 0
; COMPUTE_PGM_RSRC3_GFX90A:ACCUM_OFFSET: 0
; COMPUTE_PGM_RSRC3_GFX90A:TG_SPLIT: 0
	.section	.text._ZN7rocprim17ROCPRIM_400000_NS6detail17trampoline_kernelINS0_14default_configENS1_22reduce_config_selectorIsEEZNS1_11reduce_implILb1ES3_N6thrust23THRUST_200600_302600_NS6detail15normal_iteratorINS8_10device_ptrIsEEEEPiiNS8_4plusIiEEEE10hipError_tPvRmT1_T2_T3_mT4_P12ihipStream_tbEUlT_E0_NS1_11comp_targetILNS1_3genE0ELNS1_11target_archE4294967295ELNS1_3gpuE0ELNS1_3repE0EEENS1_30default_config_static_selectorELNS0_4arch9wavefront6targetE1EEEvSK_,"axG",@progbits,_ZN7rocprim17ROCPRIM_400000_NS6detail17trampoline_kernelINS0_14default_configENS1_22reduce_config_selectorIsEEZNS1_11reduce_implILb1ES3_N6thrust23THRUST_200600_302600_NS6detail15normal_iteratorINS8_10device_ptrIsEEEEPiiNS8_4plusIiEEEE10hipError_tPvRmT1_T2_T3_mT4_P12ihipStream_tbEUlT_E0_NS1_11comp_targetILNS1_3genE0ELNS1_11target_archE4294967295ELNS1_3gpuE0ELNS1_3repE0EEENS1_30default_config_static_selectorELNS0_4arch9wavefront6targetE1EEEvSK_,comdat
	.protected	_ZN7rocprim17ROCPRIM_400000_NS6detail17trampoline_kernelINS0_14default_configENS1_22reduce_config_selectorIsEEZNS1_11reduce_implILb1ES3_N6thrust23THRUST_200600_302600_NS6detail15normal_iteratorINS8_10device_ptrIsEEEEPiiNS8_4plusIiEEEE10hipError_tPvRmT1_T2_T3_mT4_P12ihipStream_tbEUlT_E0_NS1_11comp_targetILNS1_3genE0ELNS1_11target_archE4294967295ELNS1_3gpuE0ELNS1_3repE0EEENS1_30default_config_static_selectorELNS0_4arch9wavefront6targetE1EEEvSK_ ; -- Begin function _ZN7rocprim17ROCPRIM_400000_NS6detail17trampoline_kernelINS0_14default_configENS1_22reduce_config_selectorIsEEZNS1_11reduce_implILb1ES3_N6thrust23THRUST_200600_302600_NS6detail15normal_iteratorINS8_10device_ptrIsEEEEPiiNS8_4plusIiEEEE10hipError_tPvRmT1_T2_T3_mT4_P12ihipStream_tbEUlT_E0_NS1_11comp_targetILNS1_3genE0ELNS1_11target_archE4294967295ELNS1_3gpuE0ELNS1_3repE0EEENS1_30default_config_static_selectorELNS0_4arch9wavefront6targetE1EEEvSK_
	.globl	_ZN7rocprim17ROCPRIM_400000_NS6detail17trampoline_kernelINS0_14default_configENS1_22reduce_config_selectorIsEEZNS1_11reduce_implILb1ES3_N6thrust23THRUST_200600_302600_NS6detail15normal_iteratorINS8_10device_ptrIsEEEEPiiNS8_4plusIiEEEE10hipError_tPvRmT1_T2_T3_mT4_P12ihipStream_tbEUlT_E0_NS1_11comp_targetILNS1_3genE0ELNS1_11target_archE4294967295ELNS1_3gpuE0ELNS1_3repE0EEENS1_30default_config_static_selectorELNS0_4arch9wavefront6targetE1EEEvSK_
	.p2align	8
	.type	_ZN7rocprim17ROCPRIM_400000_NS6detail17trampoline_kernelINS0_14default_configENS1_22reduce_config_selectorIsEEZNS1_11reduce_implILb1ES3_N6thrust23THRUST_200600_302600_NS6detail15normal_iteratorINS8_10device_ptrIsEEEEPiiNS8_4plusIiEEEE10hipError_tPvRmT1_T2_T3_mT4_P12ihipStream_tbEUlT_E0_NS1_11comp_targetILNS1_3genE0ELNS1_11target_archE4294967295ELNS1_3gpuE0ELNS1_3repE0EEENS1_30default_config_static_selectorELNS0_4arch9wavefront6targetE1EEEvSK_,@function
_ZN7rocprim17ROCPRIM_400000_NS6detail17trampoline_kernelINS0_14default_configENS1_22reduce_config_selectorIsEEZNS1_11reduce_implILb1ES3_N6thrust23THRUST_200600_302600_NS6detail15normal_iteratorINS8_10device_ptrIsEEEEPiiNS8_4plusIiEEEE10hipError_tPvRmT1_T2_T3_mT4_P12ihipStream_tbEUlT_E0_NS1_11comp_targetILNS1_3genE0ELNS1_11target_archE4294967295ELNS1_3gpuE0ELNS1_3repE0EEENS1_30default_config_static_selectorELNS0_4arch9wavefront6targetE1EEEvSK_: ; @_ZN7rocprim17ROCPRIM_400000_NS6detail17trampoline_kernelINS0_14default_configENS1_22reduce_config_selectorIsEEZNS1_11reduce_implILb1ES3_N6thrust23THRUST_200600_302600_NS6detail15normal_iteratorINS8_10device_ptrIsEEEEPiiNS8_4plusIiEEEE10hipError_tPvRmT1_T2_T3_mT4_P12ihipStream_tbEUlT_E0_NS1_11comp_targetILNS1_3genE0ELNS1_11target_archE4294967295ELNS1_3gpuE0ELNS1_3repE0EEENS1_30default_config_static_selectorELNS0_4arch9wavefront6targetE1EEEvSK_
; %bb.0:
	s_load_dwordx8 s[12:19], s[0:1], 0x0
	s_load_dwordx4 s[20:23], s[0:1], 0x20
	v_lshlrev_b32_e32 v10, 1, v0
	v_mbcnt_lo_u32_b32 v1, -1, 0
	s_waitcnt lgkmcnt(0)
	s_lshl_b64 s[4:5], s[14:15], 1
	s_add_u32 s10, s12, s4
	s_addc_u32 s11, s13, s5
	s_lshl_b32 s4, s2, 10
	s_mov_b32 s5, 0
	s_lshr_b64 s[6:7], s[16:17], 10
	s_lshl_b64 s[8:9], s[4:5], 1
	s_add_u32 s14, s10, s8
	s_mov_b32 s3, s5
	s_addc_u32 s15, s11, s9
	s_cmp_lg_u64 s[6:7], s[2:3]
	s_cbranch_scc0 .LBB513_6
; %bb.1:
	v_mov_b32_e32 v11, 0
	v_lshl_add_u64 v[2:3], s[14:15], 0, v[10:11]
	flat_load_sshort v5, v[2:3]
	flat_load_sshort v6, v[2:3] offset:256
	flat_load_sshort v7, v[2:3] offset:512
	;; [unrolled: 1-line block ×7, first 2 shown]
	v_mbcnt_hi_u32_b32 v3, -1, v1
	v_lshlrev_b32_e32 v4, 2, v3
	v_cmp_eq_u32_e32 vcc, 0, v3
	s_waitcnt vmcnt(0) lgkmcnt(0)
	v_add_u32_e32 v2, v6, v5
	v_or_b32_e32 v5, 0xfc, v4
	v_add3_u32 v2, v2, v7, v8
	v_add3_u32 v2, v2, v9, v11
	;; [unrolled: 1-line block ×3, first 2 shown]
	s_nop 1
	v_add_u32_dpp v2, v2, v2 quad_perm:[1,0,3,2] row_mask:0xf bank_mask:0xf bound_ctrl:1
	s_nop 1
	v_add_u32_dpp v2, v2, v2 quad_perm:[2,3,0,1] row_mask:0xf bank_mask:0xf bound_ctrl:1
	s_nop 1
	v_add_u32_dpp v2, v2, v2 row_ror:4 row_mask:0xf bank_mask:0xf bound_ctrl:1
	s_nop 1
	v_add_u32_dpp v2, v2, v2 row_ror:8 row_mask:0xf bank_mask:0xf bound_ctrl:1
	s_nop 1
	v_add_u32_dpp v2, v2, v2 row_bcast:15 row_mask:0xf bank_mask:0xf bound_ctrl:1
	s_nop 1
	v_add_u32_dpp v2, v2, v2 row_bcast:31 row_mask:0xf bank_mask:0xf bound_ctrl:1
	ds_bpermute_b32 v2, v5, v2
	s_and_saveexec_b64 s[6:7], vcc
	s_cbranch_execz .LBB513_3
; %bb.2:
	v_lshrrev_b32_e32 v5, 4, v0
	v_and_b32_e32 v5, 4, v5
	s_waitcnt lgkmcnt(0)
	ds_write_b32 v5, v2
.LBB513_3:
	s_or_b64 exec, exec, s[6:7]
	v_cmp_gt_u32_e32 vcc, 64, v0
	s_waitcnt lgkmcnt(0)
	s_barrier
	s_and_saveexec_b64 s[6:7], vcc
	s_cbranch_execz .LBB513_5
; %bb.4:
	v_and_b32_e32 v2, 1, v3
	v_lshlrev_b32_e32 v2, 2, v2
	ds_read_b32 v2, v2
	v_or_b32_e32 v3, 4, v4
	s_waitcnt lgkmcnt(0)
	ds_bpermute_b32 v3, v3, v2
	s_waitcnt lgkmcnt(0)
	v_add_u32_e32 v2, v3, v2
.LBB513_5:
	s_or_b64 exec, exec, s[6:7]
	s_load_dword s26, s[0:1], 0x30
	s_branch .LBB513_28
.LBB513_6:
                                        ; implicit-def: $vgpr2
	s_load_dword s26, s[0:1], 0x30
	s_cbranch_execz .LBB513_28
; %bb.7:
	s_sub_i32 s27, s16, s4
	v_mov_b32_e32 v2, 0
	v_cmp_gt_u32_e32 vcc, s27, v0
	v_mov_b32_e32 v3, v2
	v_mov_b32_e32 v4, v2
	;; [unrolled: 1-line block ×7, first 2 shown]
	s_and_saveexec_b64 s[0:1], vcc
	s_cbranch_execz .LBB513_9
; %bb.8:
	v_mov_b32_e32 v11, v2
	v_lshl_add_u64 v[4:5], s[14:15], 0, v[10:11]
	flat_load_sshort v12, v[4:5]
	v_mov_b32_e32 v13, v2
	v_mov_b32_e32 v14, v2
	;; [unrolled: 1-line block ×7, first 2 shown]
	s_waitcnt vmcnt(0) lgkmcnt(0)
	v_mov_b64_e32 v[2:3], v[12:13]
	v_mov_b64_e32 v[4:5], v[14:15]
	;; [unrolled: 1-line block ×4, first 2 shown]
.LBB513_9:
	s_or_b64 exec, exec, s[0:1]
	v_or_b32_e32 v11, 0x80, v0
	v_cmp_gt_u32_e32 vcc, s27, v11
	s_and_saveexec_b64 s[0:1], vcc
	s_cbranch_execz .LBB513_11
; %bb.10:
	v_mov_b32_e32 v11, 0
	v_lshl_add_u64 v[12:13], s[14:15], 0, v[10:11]
	flat_load_sshort v3, v[12:13] offset:256
.LBB513_11:
	s_or_b64 exec, exec, s[0:1]
	v_or_b32_e32 v11, 0x100, v0
	v_cmp_gt_u32_e64 s[0:1], s27, v11
	s_and_saveexec_b64 s[4:5], s[0:1]
	s_cbranch_execz .LBB513_13
; %bb.12:
	v_mov_b32_e32 v11, 0
	v_lshl_add_u64 v[12:13], s[14:15], 0, v[10:11]
	flat_load_sshort v4, v[12:13] offset:512
.LBB513_13:
	s_or_b64 exec, exec, s[4:5]
	v_or_b32_e32 v11, 0x180, v0
	v_cmp_gt_u32_e64 s[4:5], s27, v11
	s_and_saveexec_b64 s[6:7], s[4:5]
	;; [unrolled: 10-line block ×6, first 2 shown]
	s_cbranch_execz .LBB513_23
; %bb.22:
	v_mov_b32_e32 v11, 0
	v_lshl_add_u64 v[10:11], s[14:15], 0, v[10:11]
	flat_load_sshort v9, v[10:11] offset:1792
.LBB513_23:
	s_or_b64 exec, exec, s[24:25]
	s_waitcnt vmcnt(0) lgkmcnt(0)
	v_cndmask_b32_e32 v3, 0, v3, vcc
	v_add_u32_e32 v2, v3, v2
	v_cndmask_b32_e64 v3, 0, v4, s[0:1]
	v_cndmask_b32_e64 v4, 0, v5, s[4:5]
	v_add3_u32 v2, v2, v3, v4
	v_cndmask_b32_e64 v3, 0, v6, s[6:7]
	v_cndmask_b32_e64 v4, 0, v7, s[8:9]
	v_add3_u32 v2, v2, v3, v4
	v_cndmask_b32_e64 v3, 0, v8, s[10:11]
	v_cndmask_b32_e64 v4, 0, v9, s[12:13]
	v_mbcnt_hi_u32_b32 v1, -1, v1
	v_add3_u32 v2, v2, v3, v4
	v_and_b32_e32 v4, 63, v1
	v_cmp_ne_u32_e32 vcc, 63, v4
	s_min_u32 s4, s27, 0x80
	v_and_b32_e32 v5, 64, v0
	v_addc_co_u32_e32 v3, vcc, 0, v1, vcc
	v_lshlrev_b32_e32 v3, 2, v3
	ds_bpermute_b32 v3, v3, v2
	v_sub_u32_e64 v5, s4, v5 clamp
	v_add_u32_e32 v6, 1, v4
	v_cmp_lt_u32_e32 vcc, v6, v5
	v_add_u32_e32 v6, 2, v4
	s_waitcnt lgkmcnt(0)
	v_cndmask_b32_e32 v3, 0, v3, vcc
	v_cmp_gt_u32_e32 vcc, 62, v4
	v_add_u32_e32 v2, v2, v3
	s_nop 0
	v_cndmask_b32_e64 v3, 0, 2, vcc
	v_add_lshl_u32 v3, v3, v1, 2
	ds_bpermute_b32 v3, v3, v2
	v_cmp_lt_u32_e32 vcc, v6, v5
	v_add_u32_e32 v6, 4, v4
	s_waitcnt lgkmcnt(0)
	v_cndmask_b32_e32 v3, 0, v3, vcc
	v_cmp_gt_u32_e32 vcc, 60, v4
	v_add_u32_e32 v2, v2, v3
	s_nop 0
	v_cndmask_b32_e64 v3, 0, 4, vcc
	v_add_lshl_u32 v3, v3, v1, 2
	ds_bpermute_b32 v3, v3, v2
	;; [unrolled: 10-line block ×3, first 2 shown]
	v_cmp_lt_u32_e32 vcc, v6, v5
	v_add_u32_e32 v6, 16, v4
	s_waitcnt lgkmcnt(0)
	v_cndmask_b32_e32 v3, 0, v3, vcc
	v_cmp_gt_u32_e32 vcc, 48, v4
	v_add_u32_e32 v2, v2, v3
	v_add_u32_e32 v4, 32, v4
	v_cndmask_b32_e64 v3, 0, 16, vcc
	v_add_lshl_u32 v3, v3, v1, 2
	ds_bpermute_b32 v3, v3, v2
	v_cmp_lt_u32_e32 vcc, v6, v5
	s_waitcnt lgkmcnt(0)
	s_nop 0
	v_cndmask_b32_e32 v3, 0, v3, vcc
	v_add_u32_e32 v2, v2, v3
	v_lshlrev_b32_e32 v3, 2, v1
	v_or_b32_e32 v6, 0x80, v3
	ds_bpermute_b32 v6, v6, v2
	v_cmp_lt_u32_e32 vcc, v4, v5
	s_waitcnt lgkmcnt(0)
	s_nop 0
	v_cndmask_b32_e32 v4, 0, v6, vcc
	v_add_u32_e32 v2, v2, v4
	v_cmp_eq_u32_e32 vcc, 0, v1
	s_and_saveexec_b64 s[0:1], vcc
; %bb.24:
	v_lshrrev_b32_e32 v4, 4, v0
	v_and_b32_e32 v4, 4, v4
	ds_write_b32 v4, v2 offset:8
; %bb.25:
	s_or_b64 exec, exec, s[0:1]
	v_cmp_gt_u32_e32 vcc, 2, v0
	s_waitcnt lgkmcnt(0)
	s_barrier
	s_and_saveexec_b64 s[0:1], vcc
	s_cbranch_execz .LBB513_27
; %bb.26:
	ds_read_b32 v2, v3 offset:8
	v_or_b32_e32 v3, 4, v3
	v_and_b32_e32 v1, 1, v1
	s_add_i32 s4, s4, 63
	v_add_u32_e32 v1, 1, v1
	s_waitcnt lgkmcnt(0)
	ds_bpermute_b32 v3, v3, v2
	s_lshr_b32 s4, s4, 6
	v_cmp_gt_u32_e32 vcc, s4, v1
	s_waitcnt lgkmcnt(0)
	s_nop 0
	v_cndmask_b32_e32 v1, 0, v3, vcc
	v_add_u32_e32 v2, v1, v2
.LBB513_27:
	s_or_b64 exec, exec, s[0:1]
.LBB513_28:
	v_cmp_eq_u32_e32 vcc, 0, v0
	s_and_saveexec_b64 s[0:1], vcc
	s_cbranch_execnz .LBB513_30
; %bb.29:
	s_endpgm
.LBB513_30:
	s_mul_i32 s0, s22, s21
	s_mul_hi_u32 s1, s22, s20
	s_add_i32 s0, s1, s0
	s_mul_i32 s1, s23, s20
	s_add_i32 s1, s0, s1
	s_mul_i32 s0, s22, s20
	s_lshl_b64 s[0:1], s[0:1], 2
	s_add_u32 s4, s18, s0
	s_addc_u32 s5, s19, s1
	s_cmp_eq_u64 s[16:17], 0
	s_cselect_b64 vcc, -1, 0
	s_lshl_b64 s[0:1], s[2:3], 2
	s_waitcnt lgkmcnt(0)
	v_mov_b32_e32 v0, s26
	s_add_u32 s0, s4, s0
	v_cndmask_b32_e32 v0, v2, v0, vcc
	s_addc_u32 s1, s5, s1
	v_mov_b32_e32 v1, 0
	global_store_dword v1, v0, s[0:1]
	s_endpgm
	.section	.rodata,"a",@progbits
	.p2align	6, 0x0
	.amdhsa_kernel _ZN7rocprim17ROCPRIM_400000_NS6detail17trampoline_kernelINS0_14default_configENS1_22reduce_config_selectorIsEEZNS1_11reduce_implILb1ES3_N6thrust23THRUST_200600_302600_NS6detail15normal_iteratorINS8_10device_ptrIsEEEEPiiNS8_4plusIiEEEE10hipError_tPvRmT1_T2_T3_mT4_P12ihipStream_tbEUlT_E0_NS1_11comp_targetILNS1_3genE0ELNS1_11target_archE4294967295ELNS1_3gpuE0ELNS1_3repE0EEENS1_30default_config_static_selectorELNS0_4arch9wavefront6targetE1EEEvSK_
		.amdhsa_group_segment_fixed_size 16
		.amdhsa_private_segment_fixed_size 0
		.amdhsa_kernarg_size 56
		.amdhsa_user_sgpr_count 2
		.amdhsa_user_sgpr_dispatch_ptr 0
		.amdhsa_user_sgpr_queue_ptr 0
		.amdhsa_user_sgpr_kernarg_segment_ptr 1
		.amdhsa_user_sgpr_dispatch_id 0
		.amdhsa_user_sgpr_kernarg_preload_length 0
		.amdhsa_user_sgpr_kernarg_preload_offset 0
		.amdhsa_user_sgpr_private_segment_size 0
		.amdhsa_uses_dynamic_stack 0
		.amdhsa_enable_private_segment 0
		.amdhsa_system_sgpr_workgroup_id_x 1
		.amdhsa_system_sgpr_workgroup_id_y 0
		.amdhsa_system_sgpr_workgroup_id_z 0
		.amdhsa_system_sgpr_workgroup_info 0
		.amdhsa_system_vgpr_workitem_id 0
		.amdhsa_next_free_vgpr 20
		.amdhsa_next_free_sgpr 28
		.amdhsa_accum_offset 20
		.amdhsa_reserve_vcc 1
		.amdhsa_float_round_mode_32 0
		.amdhsa_float_round_mode_16_64 0
		.amdhsa_float_denorm_mode_32 3
		.amdhsa_float_denorm_mode_16_64 3
		.amdhsa_dx10_clamp 1
		.amdhsa_ieee_mode 1
		.amdhsa_fp16_overflow 0
		.amdhsa_tg_split 0
		.amdhsa_exception_fp_ieee_invalid_op 0
		.amdhsa_exception_fp_denorm_src 0
		.amdhsa_exception_fp_ieee_div_zero 0
		.amdhsa_exception_fp_ieee_overflow 0
		.amdhsa_exception_fp_ieee_underflow 0
		.amdhsa_exception_fp_ieee_inexact 0
		.amdhsa_exception_int_div_zero 0
	.end_amdhsa_kernel
	.section	.text._ZN7rocprim17ROCPRIM_400000_NS6detail17trampoline_kernelINS0_14default_configENS1_22reduce_config_selectorIsEEZNS1_11reduce_implILb1ES3_N6thrust23THRUST_200600_302600_NS6detail15normal_iteratorINS8_10device_ptrIsEEEEPiiNS8_4plusIiEEEE10hipError_tPvRmT1_T2_T3_mT4_P12ihipStream_tbEUlT_E0_NS1_11comp_targetILNS1_3genE0ELNS1_11target_archE4294967295ELNS1_3gpuE0ELNS1_3repE0EEENS1_30default_config_static_selectorELNS0_4arch9wavefront6targetE1EEEvSK_,"axG",@progbits,_ZN7rocprim17ROCPRIM_400000_NS6detail17trampoline_kernelINS0_14default_configENS1_22reduce_config_selectorIsEEZNS1_11reduce_implILb1ES3_N6thrust23THRUST_200600_302600_NS6detail15normal_iteratorINS8_10device_ptrIsEEEEPiiNS8_4plusIiEEEE10hipError_tPvRmT1_T2_T3_mT4_P12ihipStream_tbEUlT_E0_NS1_11comp_targetILNS1_3genE0ELNS1_11target_archE4294967295ELNS1_3gpuE0ELNS1_3repE0EEENS1_30default_config_static_selectorELNS0_4arch9wavefront6targetE1EEEvSK_,comdat
.Lfunc_end513:
	.size	_ZN7rocprim17ROCPRIM_400000_NS6detail17trampoline_kernelINS0_14default_configENS1_22reduce_config_selectorIsEEZNS1_11reduce_implILb1ES3_N6thrust23THRUST_200600_302600_NS6detail15normal_iteratorINS8_10device_ptrIsEEEEPiiNS8_4plusIiEEEE10hipError_tPvRmT1_T2_T3_mT4_P12ihipStream_tbEUlT_E0_NS1_11comp_targetILNS1_3genE0ELNS1_11target_archE4294967295ELNS1_3gpuE0ELNS1_3repE0EEENS1_30default_config_static_selectorELNS0_4arch9wavefront6targetE1EEEvSK_, .Lfunc_end513-_ZN7rocprim17ROCPRIM_400000_NS6detail17trampoline_kernelINS0_14default_configENS1_22reduce_config_selectorIsEEZNS1_11reduce_implILb1ES3_N6thrust23THRUST_200600_302600_NS6detail15normal_iteratorINS8_10device_ptrIsEEEEPiiNS8_4plusIiEEEE10hipError_tPvRmT1_T2_T3_mT4_P12ihipStream_tbEUlT_E0_NS1_11comp_targetILNS1_3genE0ELNS1_11target_archE4294967295ELNS1_3gpuE0ELNS1_3repE0EEENS1_30default_config_static_selectorELNS0_4arch9wavefront6targetE1EEEvSK_
                                        ; -- End function
	.set _ZN7rocprim17ROCPRIM_400000_NS6detail17trampoline_kernelINS0_14default_configENS1_22reduce_config_selectorIsEEZNS1_11reduce_implILb1ES3_N6thrust23THRUST_200600_302600_NS6detail15normal_iteratorINS8_10device_ptrIsEEEEPiiNS8_4plusIiEEEE10hipError_tPvRmT1_T2_T3_mT4_P12ihipStream_tbEUlT_E0_NS1_11comp_targetILNS1_3genE0ELNS1_11target_archE4294967295ELNS1_3gpuE0ELNS1_3repE0EEENS1_30default_config_static_selectorELNS0_4arch9wavefront6targetE1EEEvSK_.num_vgpr, 20
	.set _ZN7rocprim17ROCPRIM_400000_NS6detail17trampoline_kernelINS0_14default_configENS1_22reduce_config_selectorIsEEZNS1_11reduce_implILb1ES3_N6thrust23THRUST_200600_302600_NS6detail15normal_iteratorINS8_10device_ptrIsEEEEPiiNS8_4plusIiEEEE10hipError_tPvRmT1_T2_T3_mT4_P12ihipStream_tbEUlT_E0_NS1_11comp_targetILNS1_3genE0ELNS1_11target_archE4294967295ELNS1_3gpuE0ELNS1_3repE0EEENS1_30default_config_static_selectorELNS0_4arch9wavefront6targetE1EEEvSK_.num_agpr, 0
	.set _ZN7rocprim17ROCPRIM_400000_NS6detail17trampoline_kernelINS0_14default_configENS1_22reduce_config_selectorIsEEZNS1_11reduce_implILb1ES3_N6thrust23THRUST_200600_302600_NS6detail15normal_iteratorINS8_10device_ptrIsEEEEPiiNS8_4plusIiEEEE10hipError_tPvRmT1_T2_T3_mT4_P12ihipStream_tbEUlT_E0_NS1_11comp_targetILNS1_3genE0ELNS1_11target_archE4294967295ELNS1_3gpuE0ELNS1_3repE0EEENS1_30default_config_static_selectorELNS0_4arch9wavefront6targetE1EEEvSK_.numbered_sgpr, 28
	.set _ZN7rocprim17ROCPRIM_400000_NS6detail17trampoline_kernelINS0_14default_configENS1_22reduce_config_selectorIsEEZNS1_11reduce_implILb1ES3_N6thrust23THRUST_200600_302600_NS6detail15normal_iteratorINS8_10device_ptrIsEEEEPiiNS8_4plusIiEEEE10hipError_tPvRmT1_T2_T3_mT4_P12ihipStream_tbEUlT_E0_NS1_11comp_targetILNS1_3genE0ELNS1_11target_archE4294967295ELNS1_3gpuE0ELNS1_3repE0EEENS1_30default_config_static_selectorELNS0_4arch9wavefront6targetE1EEEvSK_.num_named_barrier, 0
	.set _ZN7rocprim17ROCPRIM_400000_NS6detail17trampoline_kernelINS0_14default_configENS1_22reduce_config_selectorIsEEZNS1_11reduce_implILb1ES3_N6thrust23THRUST_200600_302600_NS6detail15normal_iteratorINS8_10device_ptrIsEEEEPiiNS8_4plusIiEEEE10hipError_tPvRmT1_T2_T3_mT4_P12ihipStream_tbEUlT_E0_NS1_11comp_targetILNS1_3genE0ELNS1_11target_archE4294967295ELNS1_3gpuE0ELNS1_3repE0EEENS1_30default_config_static_selectorELNS0_4arch9wavefront6targetE1EEEvSK_.private_seg_size, 0
	.set _ZN7rocprim17ROCPRIM_400000_NS6detail17trampoline_kernelINS0_14default_configENS1_22reduce_config_selectorIsEEZNS1_11reduce_implILb1ES3_N6thrust23THRUST_200600_302600_NS6detail15normal_iteratorINS8_10device_ptrIsEEEEPiiNS8_4plusIiEEEE10hipError_tPvRmT1_T2_T3_mT4_P12ihipStream_tbEUlT_E0_NS1_11comp_targetILNS1_3genE0ELNS1_11target_archE4294967295ELNS1_3gpuE0ELNS1_3repE0EEENS1_30default_config_static_selectorELNS0_4arch9wavefront6targetE1EEEvSK_.uses_vcc, 1
	.set _ZN7rocprim17ROCPRIM_400000_NS6detail17trampoline_kernelINS0_14default_configENS1_22reduce_config_selectorIsEEZNS1_11reduce_implILb1ES3_N6thrust23THRUST_200600_302600_NS6detail15normal_iteratorINS8_10device_ptrIsEEEEPiiNS8_4plusIiEEEE10hipError_tPvRmT1_T2_T3_mT4_P12ihipStream_tbEUlT_E0_NS1_11comp_targetILNS1_3genE0ELNS1_11target_archE4294967295ELNS1_3gpuE0ELNS1_3repE0EEENS1_30default_config_static_selectorELNS0_4arch9wavefront6targetE1EEEvSK_.uses_flat_scratch, 0
	.set _ZN7rocprim17ROCPRIM_400000_NS6detail17trampoline_kernelINS0_14default_configENS1_22reduce_config_selectorIsEEZNS1_11reduce_implILb1ES3_N6thrust23THRUST_200600_302600_NS6detail15normal_iteratorINS8_10device_ptrIsEEEEPiiNS8_4plusIiEEEE10hipError_tPvRmT1_T2_T3_mT4_P12ihipStream_tbEUlT_E0_NS1_11comp_targetILNS1_3genE0ELNS1_11target_archE4294967295ELNS1_3gpuE0ELNS1_3repE0EEENS1_30default_config_static_selectorELNS0_4arch9wavefront6targetE1EEEvSK_.has_dyn_sized_stack, 0
	.set _ZN7rocprim17ROCPRIM_400000_NS6detail17trampoline_kernelINS0_14default_configENS1_22reduce_config_selectorIsEEZNS1_11reduce_implILb1ES3_N6thrust23THRUST_200600_302600_NS6detail15normal_iteratorINS8_10device_ptrIsEEEEPiiNS8_4plusIiEEEE10hipError_tPvRmT1_T2_T3_mT4_P12ihipStream_tbEUlT_E0_NS1_11comp_targetILNS1_3genE0ELNS1_11target_archE4294967295ELNS1_3gpuE0ELNS1_3repE0EEENS1_30default_config_static_selectorELNS0_4arch9wavefront6targetE1EEEvSK_.has_recursion, 0
	.set _ZN7rocprim17ROCPRIM_400000_NS6detail17trampoline_kernelINS0_14default_configENS1_22reduce_config_selectorIsEEZNS1_11reduce_implILb1ES3_N6thrust23THRUST_200600_302600_NS6detail15normal_iteratorINS8_10device_ptrIsEEEEPiiNS8_4plusIiEEEE10hipError_tPvRmT1_T2_T3_mT4_P12ihipStream_tbEUlT_E0_NS1_11comp_targetILNS1_3genE0ELNS1_11target_archE4294967295ELNS1_3gpuE0ELNS1_3repE0EEENS1_30default_config_static_selectorELNS0_4arch9wavefront6targetE1EEEvSK_.has_indirect_call, 0
	.section	.AMDGPU.csdata,"",@progbits
; Kernel info:
; codeLenInByte = 1484
; TotalNumSgprs: 34
; NumVgprs: 20
; NumAgprs: 0
; TotalNumVgprs: 20
; ScratchSize: 0
; MemoryBound: 0
; FloatMode: 240
; IeeeMode: 1
; LDSByteSize: 16 bytes/workgroup (compile time only)
; SGPRBlocks: 4
; VGPRBlocks: 2
; NumSGPRsForWavesPerEU: 34
; NumVGPRsForWavesPerEU: 20
; AccumOffset: 20
; Occupancy: 8
; WaveLimiterHint : 1
; COMPUTE_PGM_RSRC2:SCRATCH_EN: 0
; COMPUTE_PGM_RSRC2:USER_SGPR: 2
; COMPUTE_PGM_RSRC2:TRAP_HANDLER: 0
; COMPUTE_PGM_RSRC2:TGID_X_EN: 1
; COMPUTE_PGM_RSRC2:TGID_Y_EN: 0
; COMPUTE_PGM_RSRC2:TGID_Z_EN: 0
; COMPUTE_PGM_RSRC2:TIDIG_COMP_CNT: 0
; COMPUTE_PGM_RSRC3_GFX90A:ACCUM_OFFSET: 4
; COMPUTE_PGM_RSRC3_GFX90A:TG_SPLIT: 0
	.section	.text._ZN7rocprim17ROCPRIM_400000_NS6detail17trampoline_kernelINS0_14default_configENS1_22reduce_config_selectorIsEEZNS1_11reduce_implILb1ES3_N6thrust23THRUST_200600_302600_NS6detail15normal_iteratorINS8_10device_ptrIsEEEEPiiNS8_4plusIiEEEE10hipError_tPvRmT1_T2_T3_mT4_P12ihipStream_tbEUlT_E0_NS1_11comp_targetILNS1_3genE5ELNS1_11target_archE942ELNS1_3gpuE9ELNS1_3repE0EEENS1_30default_config_static_selectorELNS0_4arch9wavefront6targetE1EEEvSK_,"axG",@progbits,_ZN7rocprim17ROCPRIM_400000_NS6detail17trampoline_kernelINS0_14default_configENS1_22reduce_config_selectorIsEEZNS1_11reduce_implILb1ES3_N6thrust23THRUST_200600_302600_NS6detail15normal_iteratorINS8_10device_ptrIsEEEEPiiNS8_4plusIiEEEE10hipError_tPvRmT1_T2_T3_mT4_P12ihipStream_tbEUlT_E0_NS1_11comp_targetILNS1_3genE5ELNS1_11target_archE942ELNS1_3gpuE9ELNS1_3repE0EEENS1_30default_config_static_selectorELNS0_4arch9wavefront6targetE1EEEvSK_,comdat
	.protected	_ZN7rocprim17ROCPRIM_400000_NS6detail17trampoline_kernelINS0_14default_configENS1_22reduce_config_selectorIsEEZNS1_11reduce_implILb1ES3_N6thrust23THRUST_200600_302600_NS6detail15normal_iteratorINS8_10device_ptrIsEEEEPiiNS8_4plusIiEEEE10hipError_tPvRmT1_T2_T3_mT4_P12ihipStream_tbEUlT_E0_NS1_11comp_targetILNS1_3genE5ELNS1_11target_archE942ELNS1_3gpuE9ELNS1_3repE0EEENS1_30default_config_static_selectorELNS0_4arch9wavefront6targetE1EEEvSK_ ; -- Begin function _ZN7rocprim17ROCPRIM_400000_NS6detail17trampoline_kernelINS0_14default_configENS1_22reduce_config_selectorIsEEZNS1_11reduce_implILb1ES3_N6thrust23THRUST_200600_302600_NS6detail15normal_iteratorINS8_10device_ptrIsEEEEPiiNS8_4plusIiEEEE10hipError_tPvRmT1_T2_T3_mT4_P12ihipStream_tbEUlT_E0_NS1_11comp_targetILNS1_3genE5ELNS1_11target_archE942ELNS1_3gpuE9ELNS1_3repE0EEENS1_30default_config_static_selectorELNS0_4arch9wavefront6targetE1EEEvSK_
	.globl	_ZN7rocprim17ROCPRIM_400000_NS6detail17trampoline_kernelINS0_14default_configENS1_22reduce_config_selectorIsEEZNS1_11reduce_implILb1ES3_N6thrust23THRUST_200600_302600_NS6detail15normal_iteratorINS8_10device_ptrIsEEEEPiiNS8_4plusIiEEEE10hipError_tPvRmT1_T2_T3_mT4_P12ihipStream_tbEUlT_E0_NS1_11comp_targetILNS1_3genE5ELNS1_11target_archE942ELNS1_3gpuE9ELNS1_3repE0EEENS1_30default_config_static_selectorELNS0_4arch9wavefront6targetE1EEEvSK_
	.p2align	8
	.type	_ZN7rocprim17ROCPRIM_400000_NS6detail17trampoline_kernelINS0_14default_configENS1_22reduce_config_selectorIsEEZNS1_11reduce_implILb1ES3_N6thrust23THRUST_200600_302600_NS6detail15normal_iteratorINS8_10device_ptrIsEEEEPiiNS8_4plusIiEEEE10hipError_tPvRmT1_T2_T3_mT4_P12ihipStream_tbEUlT_E0_NS1_11comp_targetILNS1_3genE5ELNS1_11target_archE942ELNS1_3gpuE9ELNS1_3repE0EEENS1_30default_config_static_selectorELNS0_4arch9wavefront6targetE1EEEvSK_,@function
_ZN7rocprim17ROCPRIM_400000_NS6detail17trampoline_kernelINS0_14default_configENS1_22reduce_config_selectorIsEEZNS1_11reduce_implILb1ES3_N6thrust23THRUST_200600_302600_NS6detail15normal_iteratorINS8_10device_ptrIsEEEEPiiNS8_4plusIiEEEE10hipError_tPvRmT1_T2_T3_mT4_P12ihipStream_tbEUlT_E0_NS1_11comp_targetILNS1_3genE5ELNS1_11target_archE942ELNS1_3gpuE9ELNS1_3repE0EEENS1_30default_config_static_selectorELNS0_4arch9wavefront6targetE1EEEvSK_: ; @_ZN7rocprim17ROCPRIM_400000_NS6detail17trampoline_kernelINS0_14default_configENS1_22reduce_config_selectorIsEEZNS1_11reduce_implILb1ES3_N6thrust23THRUST_200600_302600_NS6detail15normal_iteratorINS8_10device_ptrIsEEEEPiiNS8_4plusIiEEEE10hipError_tPvRmT1_T2_T3_mT4_P12ihipStream_tbEUlT_E0_NS1_11comp_targetILNS1_3genE5ELNS1_11target_archE942ELNS1_3gpuE9ELNS1_3repE0EEENS1_30default_config_static_selectorELNS0_4arch9wavefront6targetE1EEEvSK_
; %bb.0:
	.section	.rodata,"a",@progbits
	.p2align	6, 0x0
	.amdhsa_kernel _ZN7rocprim17ROCPRIM_400000_NS6detail17trampoline_kernelINS0_14default_configENS1_22reduce_config_selectorIsEEZNS1_11reduce_implILb1ES3_N6thrust23THRUST_200600_302600_NS6detail15normal_iteratorINS8_10device_ptrIsEEEEPiiNS8_4plusIiEEEE10hipError_tPvRmT1_T2_T3_mT4_P12ihipStream_tbEUlT_E0_NS1_11comp_targetILNS1_3genE5ELNS1_11target_archE942ELNS1_3gpuE9ELNS1_3repE0EEENS1_30default_config_static_selectorELNS0_4arch9wavefront6targetE1EEEvSK_
		.amdhsa_group_segment_fixed_size 0
		.amdhsa_private_segment_fixed_size 0
		.amdhsa_kernarg_size 56
		.amdhsa_user_sgpr_count 2
		.amdhsa_user_sgpr_dispatch_ptr 0
		.amdhsa_user_sgpr_queue_ptr 0
		.amdhsa_user_sgpr_kernarg_segment_ptr 1
		.amdhsa_user_sgpr_dispatch_id 0
		.amdhsa_user_sgpr_kernarg_preload_length 0
		.amdhsa_user_sgpr_kernarg_preload_offset 0
		.amdhsa_user_sgpr_private_segment_size 0
		.amdhsa_uses_dynamic_stack 0
		.amdhsa_enable_private_segment 0
		.amdhsa_system_sgpr_workgroup_id_x 1
		.amdhsa_system_sgpr_workgroup_id_y 0
		.amdhsa_system_sgpr_workgroup_id_z 0
		.amdhsa_system_sgpr_workgroup_info 0
		.amdhsa_system_vgpr_workitem_id 0
		.amdhsa_next_free_vgpr 1
		.amdhsa_next_free_sgpr 0
		.amdhsa_accum_offset 4
		.amdhsa_reserve_vcc 0
		.amdhsa_float_round_mode_32 0
		.amdhsa_float_round_mode_16_64 0
		.amdhsa_float_denorm_mode_32 3
		.amdhsa_float_denorm_mode_16_64 3
		.amdhsa_dx10_clamp 1
		.amdhsa_ieee_mode 1
		.amdhsa_fp16_overflow 0
		.amdhsa_tg_split 0
		.amdhsa_exception_fp_ieee_invalid_op 0
		.amdhsa_exception_fp_denorm_src 0
		.amdhsa_exception_fp_ieee_div_zero 0
		.amdhsa_exception_fp_ieee_overflow 0
		.amdhsa_exception_fp_ieee_underflow 0
		.amdhsa_exception_fp_ieee_inexact 0
		.amdhsa_exception_int_div_zero 0
	.end_amdhsa_kernel
	.section	.text._ZN7rocprim17ROCPRIM_400000_NS6detail17trampoline_kernelINS0_14default_configENS1_22reduce_config_selectorIsEEZNS1_11reduce_implILb1ES3_N6thrust23THRUST_200600_302600_NS6detail15normal_iteratorINS8_10device_ptrIsEEEEPiiNS8_4plusIiEEEE10hipError_tPvRmT1_T2_T3_mT4_P12ihipStream_tbEUlT_E0_NS1_11comp_targetILNS1_3genE5ELNS1_11target_archE942ELNS1_3gpuE9ELNS1_3repE0EEENS1_30default_config_static_selectorELNS0_4arch9wavefront6targetE1EEEvSK_,"axG",@progbits,_ZN7rocprim17ROCPRIM_400000_NS6detail17trampoline_kernelINS0_14default_configENS1_22reduce_config_selectorIsEEZNS1_11reduce_implILb1ES3_N6thrust23THRUST_200600_302600_NS6detail15normal_iteratorINS8_10device_ptrIsEEEEPiiNS8_4plusIiEEEE10hipError_tPvRmT1_T2_T3_mT4_P12ihipStream_tbEUlT_E0_NS1_11comp_targetILNS1_3genE5ELNS1_11target_archE942ELNS1_3gpuE9ELNS1_3repE0EEENS1_30default_config_static_selectorELNS0_4arch9wavefront6targetE1EEEvSK_,comdat
.Lfunc_end514:
	.size	_ZN7rocprim17ROCPRIM_400000_NS6detail17trampoline_kernelINS0_14default_configENS1_22reduce_config_selectorIsEEZNS1_11reduce_implILb1ES3_N6thrust23THRUST_200600_302600_NS6detail15normal_iteratorINS8_10device_ptrIsEEEEPiiNS8_4plusIiEEEE10hipError_tPvRmT1_T2_T3_mT4_P12ihipStream_tbEUlT_E0_NS1_11comp_targetILNS1_3genE5ELNS1_11target_archE942ELNS1_3gpuE9ELNS1_3repE0EEENS1_30default_config_static_selectorELNS0_4arch9wavefront6targetE1EEEvSK_, .Lfunc_end514-_ZN7rocprim17ROCPRIM_400000_NS6detail17trampoline_kernelINS0_14default_configENS1_22reduce_config_selectorIsEEZNS1_11reduce_implILb1ES3_N6thrust23THRUST_200600_302600_NS6detail15normal_iteratorINS8_10device_ptrIsEEEEPiiNS8_4plusIiEEEE10hipError_tPvRmT1_T2_T3_mT4_P12ihipStream_tbEUlT_E0_NS1_11comp_targetILNS1_3genE5ELNS1_11target_archE942ELNS1_3gpuE9ELNS1_3repE0EEENS1_30default_config_static_selectorELNS0_4arch9wavefront6targetE1EEEvSK_
                                        ; -- End function
	.set _ZN7rocprim17ROCPRIM_400000_NS6detail17trampoline_kernelINS0_14default_configENS1_22reduce_config_selectorIsEEZNS1_11reduce_implILb1ES3_N6thrust23THRUST_200600_302600_NS6detail15normal_iteratorINS8_10device_ptrIsEEEEPiiNS8_4plusIiEEEE10hipError_tPvRmT1_T2_T3_mT4_P12ihipStream_tbEUlT_E0_NS1_11comp_targetILNS1_3genE5ELNS1_11target_archE942ELNS1_3gpuE9ELNS1_3repE0EEENS1_30default_config_static_selectorELNS0_4arch9wavefront6targetE1EEEvSK_.num_vgpr, 0
	.set _ZN7rocprim17ROCPRIM_400000_NS6detail17trampoline_kernelINS0_14default_configENS1_22reduce_config_selectorIsEEZNS1_11reduce_implILb1ES3_N6thrust23THRUST_200600_302600_NS6detail15normal_iteratorINS8_10device_ptrIsEEEEPiiNS8_4plusIiEEEE10hipError_tPvRmT1_T2_T3_mT4_P12ihipStream_tbEUlT_E0_NS1_11comp_targetILNS1_3genE5ELNS1_11target_archE942ELNS1_3gpuE9ELNS1_3repE0EEENS1_30default_config_static_selectorELNS0_4arch9wavefront6targetE1EEEvSK_.num_agpr, 0
	.set _ZN7rocprim17ROCPRIM_400000_NS6detail17trampoline_kernelINS0_14default_configENS1_22reduce_config_selectorIsEEZNS1_11reduce_implILb1ES3_N6thrust23THRUST_200600_302600_NS6detail15normal_iteratorINS8_10device_ptrIsEEEEPiiNS8_4plusIiEEEE10hipError_tPvRmT1_T2_T3_mT4_P12ihipStream_tbEUlT_E0_NS1_11comp_targetILNS1_3genE5ELNS1_11target_archE942ELNS1_3gpuE9ELNS1_3repE0EEENS1_30default_config_static_selectorELNS0_4arch9wavefront6targetE1EEEvSK_.numbered_sgpr, 0
	.set _ZN7rocprim17ROCPRIM_400000_NS6detail17trampoline_kernelINS0_14default_configENS1_22reduce_config_selectorIsEEZNS1_11reduce_implILb1ES3_N6thrust23THRUST_200600_302600_NS6detail15normal_iteratorINS8_10device_ptrIsEEEEPiiNS8_4plusIiEEEE10hipError_tPvRmT1_T2_T3_mT4_P12ihipStream_tbEUlT_E0_NS1_11comp_targetILNS1_3genE5ELNS1_11target_archE942ELNS1_3gpuE9ELNS1_3repE0EEENS1_30default_config_static_selectorELNS0_4arch9wavefront6targetE1EEEvSK_.num_named_barrier, 0
	.set _ZN7rocprim17ROCPRIM_400000_NS6detail17trampoline_kernelINS0_14default_configENS1_22reduce_config_selectorIsEEZNS1_11reduce_implILb1ES3_N6thrust23THRUST_200600_302600_NS6detail15normal_iteratorINS8_10device_ptrIsEEEEPiiNS8_4plusIiEEEE10hipError_tPvRmT1_T2_T3_mT4_P12ihipStream_tbEUlT_E0_NS1_11comp_targetILNS1_3genE5ELNS1_11target_archE942ELNS1_3gpuE9ELNS1_3repE0EEENS1_30default_config_static_selectorELNS0_4arch9wavefront6targetE1EEEvSK_.private_seg_size, 0
	.set _ZN7rocprim17ROCPRIM_400000_NS6detail17trampoline_kernelINS0_14default_configENS1_22reduce_config_selectorIsEEZNS1_11reduce_implILb1ES3_N6thrust23THRUST_200600_302600_NS6detail15normal_iteratorINS8_10device_ptrIsEEEEPiiNS8_4plusIiEEEE10hipError_tPvRmT1_T2_T3_mT4_P12ihipStream_tbEUlT_E0_NS1_11comp_targetILNS1_3genE5ELNS1_11target_archE942ELNS1_3gpuE9ELNS1_3repE0EEENS1_30default_config_static_selectorELNS0_4arch9wavefront6targetE1EEEvSK_.uses_vcc, 0
	.set _ZN7rocprim17ROCPRIM_400000_NS6detail17trampoline_kernelINS0_14default_configENS1_22reduce_config_selectorIsEEZNS1_11reduce_implILb1ES3_N6thrust23THRUST_200600_302600_NS6detail15normal_iteratorINS8_10device_ptrIsEEEEPiiNS8_4plusIiEEEE10hipError_tPvRmT1_T2_T3_mT4_P12ihipStream_tbEUlT_E0_NS1_11comp_targetILNS1_3genE5ELNS1_11target_archE942ELNS1_3gpuE9ELNS1_3repE0EEENS1_30default_config_static_selectorELNS0_4arch9wavefront6targetE1EEEvSK_.uses_flat_scratch, 0
	.set _ZN7rocprim17ROCPRIM_400000_NS6detail17trampoline_kernelINS0_14default_configENS1_22reduce_config_selectorIsEEZNS1_11reduce_implILb1ES3_N6thrust23THRUST_200600_302600_NS6detail15normal_iteratorINS8_10device_ptrIsEEEEPiiNS8_4plusIiEEEE10hipError_tPvRmT1_T2_T3_mT4_P12ihipStream_tbEUlT_E0_NS1_11comp_targetILNS1_3genE5ELNS1_11target_archE942ELNS1_3gpuE9ELNS1_3repE0EEENS1_30default_config_static_selectorELNS0_4arch9wavefront6targetE1EEEvSK_.has_dyn_sized_stack, 0
	.set _ZN7rocprim17ROCPRIM_400000_NS6detail17trampoline_kernelINS0_14default_configENS1_22reduce_config_selectorIsEEZNS1_11reduce_implILb1ES3_N6thrust23THRUST_200600_302600_NS6detail15normal_iteratorINS8_10device_ptrIsEEEEPiiNS8_4plusIiEEEE10hipError_tPvRmT1_T2_T3_mT4_P12ihipStream_tbEUlT_E0_NS1_11comp_targetILNS1_3genE5ELNS1_11target_archE942ELNS1_3gpuE9ELNS1_3repE0EEENS1_30default_config_static_selectorELNS0_4arch9wavefront6targetE1EEEvSK_.has_recursion, 0
	.set _ZN7rocprim17ROCPRIM_400000_NS6detail17trampoline_kernelINS0_14default_configENS1_22reduce_config_selectorIsEEZNS1_11reduce_implILb1ES3_N6thrust23THRUST_200600_302600_NS6detail15normal_iteratorINS8_10device_ptrIsEEEEPiiNS8_4plusIiEEEE10hipError_tPvRmT1_T2_T3_mT4_P12ihipStream_tbEUlT_E0_NS1_11comp_targetILNS1_3genE5ELNS1_11target_archE942ELNS1_3gpuE9ELNS1_3repE0EEENS1_30default_config_static_selectorELNS0_4arch9wavefront6targetE1EEEvSK_.has_indirect_call, 0
	.section	.AMDGPU.csdata,"",@progbits
; Kernel info:
; codeLenInByte = 0
; TotalNumSgprs: 6
; NumVgprs: 0
; NumAgprs: 0
; TotalNumVgprs: 0
; ScratchSize: 0
; MemoryBound: 0
; FloatMode: 240
; IeeeMode: 1
; LDSByteSize: 0 bytes/workgroup (compile time only)
; SGPRBlocks: 0
; VGPRBlocks: 0
; NumSGPRsForWavesPerEU: 6
; NumVGPRsForWavesPerEU: 1
; AccumOffset: 4
; Occupancy: 8
; WaveLimiterHint : 0
; COMPUTE_PGM_RSRC2:SCRATCH_EN: 0
; COMPUTE_PGM_RSRC2:USER_SGPR: 2
; COMPUTE_PGM_RSRC2:TRAP_HANDLER: 0
; COMPUTE_PGM_RSRC2:TGID_X_EN: 1
; COMPUTE_PGM_RSRC2:TGID_Y_EN: 0
; COMPUTE_PGM_RSRC2:TGID_Z_EN: 0
; COMPUTE_PGM_RSRC2:TIDIG_COMP_CNT: 0
; COMPUTE_PGM_RSRC3_GFX90A:ACCUM_OFFSET: 0
; COMPUTE_PGM_RSRC3_GFX90A:TG_SPLIT: 0
	.section	.text._ZN7rocprim17ROCPRIM_400000_NS6detail17trampoline_kernelINS0_14default_configENS1_22reduce_config_selectorIsEEZNS1_11reduce_implILb1ES3_N6thrust23THRUST_200600_302600_NS6detail15normal_iteratorINS8_10device_ptrIsEEEEPiiNS8_4plusIiEEEE10hipError_tPvRmT1_T2_T3_mT4_P12ihipStream_tbEUlT_E0_NS1_11comp_targetILNS1_3genE4ELNS1_11target_archE910ELNS1_3gpuE8ELNS1_3repE0EEENS1_30default_config_static_selectorELNS0_4arch9wavefront6targetE1EEEvSK_,"axG",@progbits,_ZN7rocprim17ROCPRIM_400000_NS6detail17trampoline_kernelINS0_14default_configENS1_22reduce_config_selectorIsEEZNS1_11reduce_implILb1ES3_N6thrust23THRUST_200600_302600_NS6detail15normal_iteratorINS8_10device_ptrIsEEEEPiiNS8_4plusIiEEEE10hipError_tPvRmT1_T2_T3_mT4_P12ihipStream_tbEUlT_E0_NS1_11comp_targetILNS1_3genE4ELNS1_11target_archE910ELNS1_3gpuE8ELNS1_3repE0EEENS1_30default_config_static_selectorELNS0_4arch9wavefront6targetE1EEEvSK_,comdat
	.protected	_ZN7rocprim17ROCPRIM_400000_NS6detail17trampoline_kernelINS0_14default_configENS1_22reduce_config_selectorIsEEZNS1_11reduce_implILb1ES3_N6thrust23THRUST_200600_302600_NS6detail15normal_iteratorINS8_10device_ptrIsEEEEPiiNS8_4plusIiEEEE10hipError_tPvRmT1_T2_T3_mT4_P12ihipStream_tbEUlT_E0_NS1_11comp_targetILNS1_3genE4ELNS1_11target_archE910ELNS1_3gpuE8ELNS1_3repE0EEENS1_30default_config_static_selectorELNS0_4arch9wavefront6targetE1EEEvSK_ ; -- Begin function _ZN7rocprim17ROCPRIM_400000_NS6detail17trampoline_kernelINS0_14default_configENS1_22reduce_config_selectorIsEEZNS1_11reduce_implILb1ES3_N6thrust23THRUST_200600_302600_NS6detail15normal_iteratorINS8_10device_ptrIsEEEEPiiNS8_4plusIiEEEE10hipError_tPvRmT1_T2_T3_mT4_P12ihipStream_tbEUlT_E0_NS1_11comp_targetILNS1_3genE4ELNS1_11target_archE910ELNS1_3gpuE8ELNS1_3repE0EEENS1_30default_config_static_selectorELNS0_4arch9wavefront6targetE1EEEvSK_
	.globl	_ZN7rocprim17ROCPRIM_400000_NS6detail17trampoline_kernelINS0_14default_configENS1_22reduce_config_selectorIsEEZNS1_11reduce_implILb1ES3_N6thrust23THRUST_200600_302600_NS6detail15normal_iteratorINS8_10device_ptrIsEEEEPiiNS8_4plusIiEEEE10hipError_tPvRmT1_T2_T3_mT4_P12ihipStream_tbEUlT_E0_NS1_11comp_targetILNS1_3genE4ELNS1_11target_archE910ELNS1_3gpuE8ELNS1_3repE0EEENS1_30default_config_static_selectorELNS0_4arch9wavefront6targetE1EEEvSK_
	.p2align	8
	.type	_ZN7rocprim17ROCPRIM_400000_NS6detail17trampoline_kernelINS0_14default_configENS1_22reduce_config_selectorIsEEZNS1_11reduce_implILb1ES3_N6thrust23THRUST_200600_302600_NS6detail15normal_iteratorINS8_10device_ptrIsEEEEPiiNS8_4plusIiEEEE10hipError_tPvRmT1_T2_T3_mT4_P12ihipStream_tbEUlT_E0_NS1_11comp_targetILNS1_3genE4ELNS1_11target_archE910ELNS1_3gpuE8ELNS1_3repE0EEENS1_30default_config_static_selectorELNS0_4arch9wavefront6targetE1EEEvSK_,@function
_ZN7rocprim17ROCPRIM_400000_NS6detail17trampoline_kernelINS0_14default_configENS1_22reduce_config_selectorIsEEZNS1_11reduce_implILb1ES3_N6thrust23THRUST_200600_302600_NS6detail15normal_iteratorINS8_10device_ptrIsEEEEPiiNS8_4plusIiEEEE10hipError_tPvRmT1_T2_T3_mT4_P12ihipStream_tbEUlT_E0_NS1_11comp_targetILNS1_3genE4ELNS1_11target_archE910ELNS1_3gpuE8ELNS1_3repE0EEENS1_30default_config_static_selectorELNS0_4arch9wavefront6targetE1EEEvSK_: ; @_ZN7rocprim17ROCPRIM_400000_NS6detail17trampoline_kernelINS0_14default_configENS1_22reduce_config_selectorIsEEZNS1_11reduce_implILb1ES3_N6thrust23THRUST_200600_302600_NS6detail15normal_iteratorINS8_10device_ptrIsEEEEPiiNS8_4plusIiEEEE10hipError_tPvRmT1_T2_T3_mT4_P12ihipStream_tbEUlT_E0_NS1_11comp_targetILNS1_3genE4ELNS1_11target_archE910ELNS1_3gpuE8ELNS1_3repE0EEENS1_30default_config_static_selectorELNS0_4arch9wavefront6targetE1EEEvSK_
; %bb.0:
	.section	.rodata,"a",@progbits
	.p2align	6, 0x0
	.amdhsa_kernel _ZN7rocprim17ROCPRIM_400000_NS6detail17trampoline_kernelINS0_14default_configENS1_22reduce_config_selectorIsEEZNS1_11reduce_implILb1ES3_N6thrust23THRUST_200600_302600_NS6detail15normal_iteratorINS8_10device_ptrIsEEEEPiiNS8_4plusIiEEEE10hipError_tPvRmT1_T2_T3_mT4_P12ihipStream_tbEUlT_E0_NS1_11comp_targetILNS1_3genE4ELNS1_11target_archE910ELNS1_3gpuE8ELNS1_3repE0EEENS1_30default_config_static_selectorELNS0_4arch9wavefront6targetE1EEEvSK_
		.amdhsa_group_segment_fixed_size 0
		.amdhsa_private_segment_fixed_size 0
		.amdhsa_kernarg_size 56
		.amdhsa_user_sgpr_count 2
		.amdhsa_user_sgpr_dispatch_ptr 0
		.amdhsa_user_sgpr_queue_ptr 0
		.amdhsa_user_sgpr_kernarg_segment_ptr 1
		.amdhsa_user_sgpr_dispatch_id 0
		.amdhsa_user_sgpr_kernarg_preload_length 0
		.amdhsa_user_sgpr_kernarg_preload_offset 0
		.amdhsa_user_sgpr_private_segment_size 0
		.amdhsa_uses_dynamic_stack 0
		.amdhsa_enable_private_segment 0
		.amdhsa_system_sgpr_workgroup_id_x 1
		.amdhsa_system_sgpr_workgroup_id_y 0
		.amdhsa_system_sgpr_workgroup_id_z 0
		.amdhsa_system_sgpr_workgroup_info 0
		.amdhsa_system_vgpr_workitem_id 0
		.amdhsa_next_free_vgpr 1
		.amdhsa_next_free_sgpr 0
		.amdhsa_accum_offset 4
		.amdhsa_reserve_vcc 0
		.amdhsa_float_round_mode_32 0
		.amdhsa_float_round_mode_16_64 0
		.amdhsa_float_denorm_mode_32 3
		.amdhsa_float_denorm_mode_16_64 3
		.amdhsa_dx10_clamp 1
		.amdhsa_ieee_mode 1
		.amdhsa_fp16_overflow 0
		.amdhsa_tg_split 0
		.amdhsa_exception_fp_ieee_invalid_op 0
		.amdhsa_exception_fp_denorm_src 0
		.amdhsa_exception_fp_ieee_div_zero 0
		.amdhsa_exception_fp_ieee_overflow 0
		.amdhsa_exception_fp_ieee_underflow 0
		.amdhsa_exception_fp_ieee_inexact 0
		.amdhsa_exception_int_div_zero 0
	.end_amdhsa_kernel
	.section	.text._ZN7rocprim17ROCPRIM_400000_NS6detail17trampoline_kernelINS0_14default_configENS1_22reduce_config_selectorIsEEZNS1_11reduce_implILb1ES3_N6thrust23THRUST_200600_302600_NS6detail15normal_iteratorINS8_10device_ptrIsEEEEPiiNS8_4plusIiEEEE10hipError_tPvRmT1_T2_T3_mT4_P12ihipStream_tbEUlT_E0_NS1_11comp_targetILNS1_3genE4ELNS1_11target_archE910ELNS1_3gpuE8ELNS1_3repE0EEENS1_30default_config_static_selectorELNS0_4arch9wavefront6targetE1EEEvSK_,"axG",@progbits,_ZN7rocprim17ROCPRIM_400000_NS6detail17trampoline_kernelINS0_14default_configENS1_22reduce_config_selectorIsEEZNS1_11reduce_implILb1ES3_N6thrust23THRUST_200600_302600_NS6detail15normal_iteratorINS8_10device_ptrIsEEEEPiiNS8_4plusIiEEEE10hipError_tPvRmT1_T2_T3_mT4_P12ihipStream_tbEUlT_E0_NS1_11comp_targetILNS1_3genE4ELNS1_11target_archE910ELNS1_3gpuE8ELNS1_3repE0EEENS1_30default_config_static_selectorELNS0_4arch9wavefront6targetE1EEEvSK_,comdat
.Lfunc_end515:
	.size	_ZN7rocprim17ROCPRIM_400000_NS6detail17trampoline_kernelINS0_14default_configENS1_22reduce_config_selectorIsEEZNS1_11reduce_implILb1ES3_N6thrust23THRUST_200600_302600_NS6detail15normal_iteratorINS8_10device_ptrIsEEEEPiiNS8_4plusIiEEEE10hipError_tPvRmT1_T2_T3_mT4_P12ihipStream_tbEUlT_E0_NS1_11comp_targetILNS1_3genE4ELNS1_11target_archE910ELNS1_3gpuE8ELNS1_3repE0EEENS1_30default_config_static_selectorELNS0_4arch9wavefront6targetE1EEEvSK_, .Lfunc_end515-_ZN7rocprim17ROCPRIM_400000_NS6detail17trampoline_kernelINS0_14default_configENS1_22reduce_config_selectorIsEEZNS1_11reduce_implILb1ES3_N6thrust23THRUST_200600_302600_NS6detail15normal_iteratorINS8_10device_ptrIsEEEEPiiNS8_4plusIiEEEE10hipError_tPvRmT1_T2_T3_mT4_P12ihipStream_tbEUlT_E0_NS1_11comp_targetILNS1_3genE4ELNS1_11target_archE910ELNS1_3gpuE8ELNS1_3repE0EEENS1_30default_config_static_selectorELNS0_4arch9wavefront6targetE1EEEvSK_
                                        ; -- End function
	.set _ZN7rocprim17ROCPRIM_400000_NS6detail17trampoline_kernelINS0_14default_configENS1_22reduce_config_selectorIsEEZNS1_11reduce_implILb1ES3_N6thrust23THRUST_200600_302600_NS6detail15normal_iteratorINS8_10device_ptrIsEEEEPiiNS8_4plusIiEEEE10hipError_tPvRmT1_T2_T3_mT4_P12ihipStream_tbEUlT_E0_NS1_11comp_targetILNS1_3genE4ELNS1_11target_archE910ELNS1_3gpuE8ELNS1_3repE0EEENS1_30default_config_static_selectorELNS0_4arch9wavefront6targetE1EEEvSK_.num_vgpr, 0
	.set _ZN7rocprim17ROCPRIM_400000_NS6detail17trampoline_kernelINS0_14default_configENS1_22reduce_config_selectorIsEEZNS1_11reduce_implILb1ES3_N6thrust23THRUST_200600_302600_NS6detail15normal_iteratorINS8_10device_ptrIsEEEEPiiNS8_4plusIiEEEE10hipError_tPvRmT1_T2_T3_mT4_P12ihipStream_tbEUlT_E0_NS1_11comp_targetILNS1_3genE4ELNS1_11target_archE910ELNS1_3gpuE8ELNS1_3repE0EEENS1_30default_config_static_selectorELNS0_4arch9wavefront6targetE1EEEvSK_.num_agpr, 0
	.set _ZN7rocprim17ROCPRIM_400000_NS6detail17trampoline_kernelINS0_14default_configENS1_22reduce_config_selectorIsEEZNS1_11reduce_implILb1ES3_N6thrust23THRUST_200600_302600_NS6detail15normal_iteratorINS8_10device_ptrIsEEEEPiiNS8_4plusIiEEEE10hipError_tPvRmT1_T2_T3_mT4_P12ihipStream_tbEUlT_E0_NS1_11comp_targetILNS1_3genE4ELNS1_11target_archE910ELNS1_3gpuE8ELNS1_3repE0EEENS1_30default_config_static_selectorELNS0_4arch9wavefront6targetE1EEEvSK_.numbered_sgpr, 0
	.set _ZN7rocprim17ROCPRIM_400000_NS6detail17trampoline_kernelINS0_14default_configENS1_22reduce_config_selectorIsEEZNS1_11reduce_implILb1ES3_N6thrust23THRUST_200600_302600_NS6detail15normal_iteratorINS8_10device_ptrIsEEEEPiiNS8_4plusIiEEEE10hipError_tPvRmT1_T2_T3_mT4_P12ihipStream_tbEUlT_E0_NS1_11comp_targetILNS1_3genE4ELNS1_11target_archE910ELNS1_3gpuE8ELNS1_3repE0EEENS1_30default_config_static_selectorELNS0_4arch9wavefront6targetE1EEEvSK_.num_named_barrier, 0
	.set _ZN7rocprim17ROCPRIM_400000_NS6detail17trampoline_kernelINS0_14default_configENS1_22reduce_config_selectorIsEEZNS1_11reduce_implILb1ES3_N6thrust23THRUST_200600_302600_NS6detail15normal_iteratorINS8_10device_ptrIsEEEEPiiNS8_4plusIiEEEE10hipError_tPvRmT1_T2_T3_mT4_P12ihipStream_tbEUlT_E0_NS1_11comp_targetILNS1_3genE4ELNS1_11target_archE910ELNS1_3gpuE8ELNS1_3repE0EEENS1_30default_config_static_selectorELNS0_4arch9wavefront6targetE1EEEvSK_.private_seg_size, 0
	.set _ZN7rocprim17ROCPRIM_400000_NS6detail17trampoline_kernelINS0_14default_configENS1_22reduce_config_selectorIsEEZNS1_11reduce_implILb1ES3_N6thrust23THRUST_200600_302600_NS6detail15normal_iteratorINS8_10device_ptrIsEEEEPiiNS8_4plusIiEEEE10hipError_tPvRmT1_T2_T3_mT4_P12ihipStream_tbEUlT_E0_NS1_11comp_targetILNS1_3genE4ELNS1_11target_archE910ELNS1_3gpuE8ELNS1_3repE0EEENS1_30default_config_static_selectorELNS0_4arch9wavefront6targetE1EEEvSK_.uses_vcc, 0
	.set _ZN7rocprim17ROCPRIM_400000_NS6detail17trampoline_kernelINS0_14default_configENS1_22reduce_config_selectorIsEEZNS1_11reduce_implILb1ES3_N6thrust23THRUST_200600_302600_NS6detail15normal_iteratorINS8_10device_ptrIsEEEEPiiNS8_4plusIiEEEE10hipError_tPvRmT1_T2_T3_mT4_P12ihipStream_tbEUlT_E0_NS1_11comp_targetILNS1_3genE4ELNS1_11target_archE910ELNS1_3gpuE8ELNS1_3repE0EEENS1_30default_config_static_selectorELNS0_4arch9wavefront6targetE1EEEvSK_.uses_flat_scratch, 0
	.set _ZN7rocprim17ROCPRIM_400000_NS6detail17trampoline_kernelINS0_14default_configENS1_22reduce_config_selectorIsEEZNS1_11reduce_implILb1ES3_N6thrust23THRUST_200600_302600_NS6detail15normal_iteratorINS8_10device_ptrIsEEEEPiiNS8_4plusIiEEEE10hipError_tPvRmT1_T2_T3_mT4_P12ihipStream_tbEUlT_E0_NS1_11comp_targetILNS1_3genE4ELNS1_11target_archE910ELNS1_3gpuE8ELNS1_3repE0EEENS1_30default_config_static_selectorELNS0_4arch9wavefront6targetE1EEEvSK_.has_dyn_sized_stack, 0
	.set _ZN7rocprim17ROCPRIM_400000_NS6detail17trampoline_kernelINS0_14default_configENS1_22reduce_config_selectorIsEEZNS1_11reduce_implILb1ES3_N6thrust23THRUST_200600_302600_NS6detail15normal_iteratorINS8_10device_ptrIsEEEEPiiNS8_4plusIiEEEE10hipError_tPvRmT1_T2_T3_mT4_P12ihipStream_tbEUlT_E0_NS1_11comp_targetILNS1_3genE4ELNS1_11target_archE910ELNS1_3gpuE8ELNS1_3repE0EEENS1_30default_config_static_selectorELNS0_4arch9wavefront6targetE1EEEvSK_.has_recursion, 0
	.set _ZN7rocprim17ROCPRIM_400000_NS6detail17trampoline_kernelINS0_14default_configENS1_22reduce_config_selectorIsEEZNS1_11reduce_implILb1ES3_N6thrust23THRUST_200600_302600_NS6detail15normal_iteratorINS8_10device_ptrIsEEEEPiiNS8_4plusIiEEEE10hipError_tPvRmT1_T2_T3_mT4_P12ihipStream_tbEUlT_E0_NS1_11comp_targetILNS1_3genE4ELNS1_11target_archE910ELNS1_3gpuE8ELNS1_3repE0EEENS1_30default_config_static_selectorELNS0_4arch9wavefront6targetE1EEEvSK_.has_indirect_call, 0
	.section	.AMDGPU.csdata,"",@progbits
; Kernel info:
; codeLenInByte = 0
; TotalNumSgprs: 6
; NumVgprs: 0
; NumAgprs: 0
; TotalNumVgprs: 0
; ScratchSize: 0
; MemoryBound: 0
; FloatMode: 240
; IeeeMode: 1
; LDSByteSize: 0 bytes/workgroup (compile time only)
; SGPRBlocks: 0
; VGPRBlocks: 0
; NumSGPRsForWavesPerEU: 6
; NumVGPRsForWavesPerEU: 1
; AccumOffset: 4
; Occupancy: 8
; WaveLimiterHint : 0
; COMPUTE_PGM_RSRC2:SCRATCH_EN: 0
; COMPUTE_PGM_RSRC2:USER_SGPR: 2
; COMPUTE_PGM_RSRC2:TRAP_HANDLER: 0
; COMPUTE_PGM_RSRC2:TGID_X_EN: 1
; COMPUTE_PGM_RSRC2:TGID_Y_EN: 0
; COMPUTE_PGM_RSRC2:TGID_Z_EN: 0
; COMPUTE_PGM_RSRC2:TIDIG_COMP_CNT: 0
; COMPUTE_PGM_RSRC3_GFX90A:ACCUM_OFFSET: 0
; COMPUTE_PGM_RSRC3_GFX90A:TG_SPLIT: 0
	.section	.text._ZN7rocprim17ROCPRIM_400000_NS6detail17trampoline_kernelINS0_14default_configENS1_22reduce_config_selectorIsEEZNS1_11reduce_implILb1ES3_N6thrust23THRUST_200600_302600_NS6detail15normal_iteratorINS8_10device_ptrIsEEEEPiiNS8_4plusIiEEEE10hipError_tPvRmT1_T2_T3_mT4_P12ihipStream_tbEUlT_E0_NS1_11comp_targetILNS1_3genE3ELNS1_11target_archE908ELNS1_3gpuE7ELNS1_3repE0EEENS1_30default_config_static_selectorELNS0_4arch9wavefront6targetE1EEEvSK_,"axG",@progbits,_ZN7rocprim17ROCPRIM_400000_NS6detail17trampoline_kernelINS0_14default_configENS1_22reduce_config_selectorIsEEZNS1_11reduce_implILb1ES3_N6thrust23THRUST_200600_302600_NS6detail15normal_iteratorINS8_10device_ptrIsEEEEPiiNS8_4plusIiEEEE10hipError_tPvRmT1_T2_T3_mT4_P12ihipStream_tbEUlT_E0_NS1_11comp_targetILNS1_3genE3ELNS1_11target_archE908ELNS1_3gpuE7ELNS1_3repE0EEENS1_30default_config_static_selectorELNS0_4arch9wavefront6targetE1EEEvSK_,comdat
	.protected	_ZN7rocprim17ROCPRIM_400000_NS6detail17trampoline_kernelINS0_14default_configENS1_22reduce_config_selectorIsEEZNS1_11reduce_implILb1ES3_N6thrust23THRUST_200600_302600_NS6detail15normal_iteratorINS8_10device_ptrIsEEEEPiiNS8_4plusIiEEEE10hipError_tPvRmT1_T2_T3_mT4_P12ihipStream_tbEUlT_E0_NS1_11comp_targetILNS1_3genE3ELNS1_11target_archE908ELNS1_3gpuE7ELNS1_3repE0EEENS1_30default_config_static_selectorELNS0_4arch9wavefront6targetE1EEEvSK_ ; -- Begin function _ZN7rocprim17ROCPRIM_400000_NS6detail17trampoline_kernelINS0_14default_configENS1_22reduce_config_selectorIsEEZNS1_11reduce_implILb1ES3_N6thrust23THRUST_200600_302600_NS6detail15normal_iteratorINS8_10device_ptrIsEEEEPiiNS8_4plusIiEEEE10hipError_tPvRmT1_T2_T3_mT4_P12ihipStream_tbEUlT_E0_NS1_11comp_targetILNS1_3genE3ELNS1_11target_archE908ELNS1_3gpuE7ELNS1_3repE0EEENS1_30default_config_static_selectorELNS0_4arch9wavefront6targetE1EEEvSK_
	.globl	_ZN7rocprim17ROCPRIM_400000_NS6detail17trampoline_kernelINS0_14default_configENS1_22reduce_config_selectorIsEEZNS1_11reduce_implILb1ES3_N6thrust23THRUST_200600_302600_NS6detail15normal_iteratorINS8_10device_ptrIsEEEEPiiNS8_4plusIiEEEE10hipError_tPvRmT1_T2_T3_mT4_P12ihipStream_tbEUlT_E0_NS1_11comp_targetILNS1_3genE3ELNS1_11target_archE908ELNS1_3gpuE7ELNS1_3repE0EEENS1_30default_config_static_selectorELNS0_4arch9wavefront6targetE1EEEvSK_
	.p2align	8
	.type	_ZN7rocprim17ROCPRIM_400000_NS6detail17trampoline_kernelINS0_14default_configENS1_22reduce_config_selectorIsEEZNS1_11reduce_implILb1ES3_N6thrust23THRUST_200600_302600_NS6detail15normal_iteratorINS8_10device_ptrIsEEEEPiiNS8_4plusIiEEEE10hipError_tPvRmT1_T2_T3_mT4_P12ihipStream_tbEUlT_E0_NS1_11comp_targetILNS1_3genE3ELNS1_11target_archE908ELNS1_3gpuE7ELNS1_3repE0EEENS1_30default_config_static_selectorELNS0_4arch9wavefront6targetE1EEEvSK_,@function
_ZN7rocprim17ROCPRIM_400000_NS6detail17trampoline_kernelINS0_14default_configENS1_22reduce_config_selectorIsEEZNS1_11reduce_implILb1ES3_N6thrust23THRUST_200600_302600_NS6detail15normal_iteratorINS8_10device_ptrIsEEEEPiiNS8_4plusIiEEEE10hipError_tPvRmT1_T2_T3_mT4_P12ihipStream_tbEUlT_E0_NS1_11comp_targetILNS1_3genE3ELNS1_11target_archE908ELNS1_3gpuE7ELNS1_3repE0EEENS1_30default_config_static_selectorELNS0_4arch9wavefront6targetE1EEEvSK_: ; @_ZN7rocprim17ROCPRIM_400000_NS6detail17trampoline_kernelINS0_14default_configENS1_22reduce_config_selectorIsEEZNS1_11reduce_implILb1ES3_N6thrust23THRUST_200600_302600_NS6detail15normal_iteratorINS8_10device_ptrIsEEEEPiiNS8_4plusIiEEEE10hipError_tPvRmT1_T2_T3_mT4_P12ihipStream_tbEUlT_E0_NS1_11comp_targetILNS1_3genE3ELNS1_11target_archE908ELNS1_3gpuE7ELNS1_3repE0EEENS1_30default_config_static_selectorELNS0_4arch9wavefront6targetE1EEEvSK_
; %bb.0:
	.section	.rodata,"a",@progbits
	.p2align	6, 0x0
	.amdhsa_kernel _ZN7rocprim17ROCPRIM_400000_NS6detail17trampoline_kernelINS0_14default_configENS1_22reduce_config_selectorIsEEZNS1_11reduce_implILb1ES3_N6thrust23THRUST_200600_302600_NS6detail15normal_iteratorINS8_10device_ptrIsEEEEPiiNS8_4plusIiEEEE10hipError_tPvRmT1_T2_T3_mT4_P12ihipStream_tbEUlT_E0_NS1_11comp_targetILNS1_3genE3ELNS1_11target_archE908ELNS1_3gpuE7ELNS1_3repE0EEENS1_30default_config_static_selectorELNS0_4arch9wavefront6targetE1EEEvSK_
		.amdhsa_group_segment_fixed_size 0
		.amdhsa_private_segment_fixed_size 0
		.amdhsa_kernarg_size 56
		.amdhsa_user_sgpr_count 2
		.amdhsa_user_sgpr_dispatch_ptr 0
		.amdhsa_user_sgpr_queue_ptr 0
		.amdhsa_user_sgpr_kernarg_segment_ptr 1
		.amdhsa_user_sgpr_dispatch_id 0
		.amdhsa_user_sgpr_kernarg_preload_length 0
		.amdhsa_user_sgpr_kernarg_preload_offset 0
		.amdhsa_user_sgpr_private_segment_size 0
		.amdhsa_uses_dynamic_stack 0
		.amdhsa_enable_private_segment 0
		.amdhsa_system_sgpr_workgroup_id_x 1
		.amdhsa_system_sgpr_workgroup_id_y 0
		.amdhsa_system_sgpr_workgroup_id_z 0
		.amdhsa_system_sgpr_workgroup_info 0
		.amdhsa_system_vgpr_workitem_id 0
		.amdhsa_next_free_vgpr 1
		.amdhsa_next_free_sgpr 0
		.amdhsa_accum_offset 4
		.amdhsa_reserve_vcc 0
		.amdhsa_float_round_mode_32 0
		.amdhsa_float_round_mode_16_64 0
		.amdhsa_float_denorm_mode_32 3
		.amdhsa_float_denorm_mode_16_64 3
		.amdhsa_dx10_clamp 1
		.amdhsa_ieee_mode 1
		.amdhsa_fp16_overflow 0
		.amdhsa_tg_split 0
		.amdhsa_exception_fp_ieee_invalid_op 0
		.amdhsa_exception_fp_denorm_src 0
		.amdhsa_exception_fp_ieee_div_zero 0
		.amdhsa_exception_fp_ieee_overflow 0
		.amdhsa_exception_fp_ieee_underflow 0
		.amdhsa_exception_fp_ieee_inexact 0
		.amdhsa_exception_int_div_zero 0
	.end_amdhsa_kernel
	.section	.text._ZN7rocprim17ROCPRIM_400000_NS6detail17trampoline_kernelINS0_14default_configENS1_22reduce_config_selectorIsEEZNS1_11reduce_implILb1ES3_N6thrust23THRUST_200600_302600_NS6detail15normal_iteratorINS8_10device_ptrIsEEEEPiiNS8_4plusIiEEEE10hipError_tPvRmT1_T2_T3_mT4_P12ihipStream_tbEUlT_E0_NS1_11comp_targetILNS1_3genE3ELNS1_11target_archE908ELNS1_3gpuE7ELNS1_3repE0EEENS1_30default_config_static_selectorELNS0_4arch9wavefront6targetE1EEEvSK_,"axG",@progbits,_ZN7rocprim17ROCPRIM_400000_NS6detail17trampoline_kernelINS0_14default_configENS1_22reduce_config_selectorIsEEZNS1_11reduce_implILb1ES3_N6thrust23THRUST_200600_302600_NS6detail15normal_iteratorINS8_10device_ptrIsEEEEPiiNS8_4plusIiEEEE10hipError_tPvRmT1_T2_T3_mT4_P12ihipStream_tbEUlT_E0_NS1_11comp_targetILNS1_3genE3ELNS1_11target_archE908ELNS1_3gpuE7ELNS1_3repE0EEENS1_30default_config_static_selectorELNS0_4arch9wavefront6targetE1EEEvSK_,comdat
.Lfunc_end516:
	.size	_ZN7rocprim17ROCPRIM_400000_NS6detail17trampoline_kernelINS0_14default_configENS1_22reduce_config_selectorIsEEZNS1_11reduce_implILb1ES3_N6thrust23THRUST_200600_302600_NS6detail15normal_iteratorINS8_10device_ptrIsEEEEPiiNS8_4plusIiEEEE10hipError_tPvRmT1_T2_T3_mT4_P12ihipStream_tbEUlT_E0_NS1_11comp_targetILNS1_3genE3ELNS1_11target_archE908ELNS1_3gpuE7ELNS1_3repE0EEENS1_30default_config_static_selectorELNS0_4arch9wavefront6targetE1EEEvSK_, .Lfunc_end516-_ZN7rocprim17ROCPRIM_400000_NS6detail17trampoline_kernelINS0_14default_configENS1_22reduce_config_selectorIsEEZNS1_11reduce_implILb1ES3_N6thrust23THRUST_200600_302600_NS6detail15normal_iteratorINS8_10device_ptrIsEEEEPiiNS8_4plusIiEEEE10hipError_tPvRmT1_T2_T3_mT4_P12ihipStream_tbEUlT_E0_NS1_11comp_targetILNS1_3genE3ELNS1_11target_archE908ELNS1_3gpuE7ELNS1_3repE0EEENS1_30default_config_static_selectorELNS0_4arch9wavefront6targetE1EEEvSK_
                                        ; -- End function
	.set _ZN7rocprim17ROCPRIM_400000_NS6detail17trampoline_kernelINS0_14default_configENS1_22reduce_config_selectorIsEEZNS1_11reduce_implILb1ES3_N6thrust23THRUST_200600_302600_NS6detail15normal_iteratorINS8_10device_ptrIsEEEEPiiNS8_4plusIiEEEE10hipError_tPvRmT1_T2_T3_mT4_P12ihipStream_tbEUlT_E0_NS1_11comp_targetILNS1_3genE3ELNS1_11target_archE908ELNS1_3gpuE7ELNS1_3repE0EEENS1_30default_config_static_selectorELNS0_4arch9wavefront6targetE1EEEvSK_.num_vgpr, 0
	.set _ZN7rocprim17ROCPRIM_400000_NS6detail17trampoline_kernelINS0_14default_configENS1_22reduce_config_selectorIsEEZNS1_11reduce_implILb1ES3_N6thrust23THRUST_200600_302600_NS6detail15normal_iteratorINS8_10device_ptrIsEEEEPiiNS8_4plusIiEEEE10hipError_tPvRmT1_T2_T3_mT4_P12ihipStream_tbEUlT_E0_NS1_11comp_targetILNS1_3genE3ELNS1_11target_archE908ELNS1_3gpuE7ELNS1_3repE0EEENS1_30default_config_static_selectorELNS0_4arch9wavefront6targetE1EEEvSK_.num_agpr, 0
	.set _ZN7rocprim17ROCPRIM_400000_NS6detail17trampoline_kernelINS0_14default_configENS1_22reduce_config_selectorIsEEZNS1_11reduce_implILb1ES3_N6thrust23THRUST_200600_302600_NS6detail15normal_iteratorINS8_10device_ptrIsEEEEPiiNS8_4plusIiEEEE10hipError_tPvRmT1_T2_T3_mT4_P12ihipStream_tbEUlT_E0_NS1_11comp_targetILNS1_3genE3ELNS1_11target_archE908ELNS1_3gpuE7ELNS1_3repE0EEENS1_30default_config_static_selectorELNS0_4arch9wavefront6targetE1EEEvSK_.numbered_sgpr, 0
	.set _ZN7rocprim17ROCPRIM_400000_NS6detail17trampoline_kernelINS0_14default_configENS1_22reduce_config_selectorIsEEZNS1_11reduce_implILb1ES3_N6thrust23THRUST_200600_302600_NS6detail15normal_iteratorINS8_10device_ptrIsEEEEPiiNS8_4plusIiEEEE10hipError_tPvRmT1_T2_T3_mT4_P12ihipStream_tbEUlT_E0_NS1_11comp_targetILNS1_3genE3ELNS1_11target_archE908ELNS1_3gpuE7ELNS1_3repE0EEENS1_30default_config_static_selectorELNS0_4arch9wavefront6targetE1EEEvSK_.num_named_barrier, 0
	.set _ZN7rocprim17ROCPRIM_400000_NS6detail17trampoline_kernelINS0_14default_configENS1_22reduce_config_selectorIsEEZNS1_11reduce_implILb1ES3_N6thrust23THRUST_200600_302600_NS6detail15normal_iteratorINS8_10device_ptrIsEEEEPiiNS8_4plusIiEEEE10hipError_tPvRmT1_T2_T3_mT4_P12ihipStream_tbEUlT_E0_NS1_11comp_targetILNS1_3genE3ELNS1_11target_archE908ELNS1_3gpuE7ELNS1_3repE0EEENS1_30default_config_static_selectorELNS0_4arch9wavefront6targetE1EEEvSK_.private_seg_size, 0
	.set _ZN7rocprim17ROCPRIM_400000_NS6detail17trampoline_kernelINS0_14default_configENS1_22reduce_config_selectorIsEEZNS1_11reduce_implILb1ES3_N6thrust23THRUST_200600_302600_NS6detail15normal_iteratorINS8_10device_ptrIsEEEEPiiNS8_4plusIiEEEE10hipError_tPvRmT1_T2_T3_mT4_P12ihipStream_tbEUlT_E0_NS1_11comp_targetILNS1_3genE3ELNS1_11target_archE908ELNS1_3gpuE7ELNS1_3repE0EEENS1_30default_config_static_selectorELNS0_4arch9wavefront6targetE1EEEvSK_.uses_vcc, 0
	.set _ZN7rocprim17ROCPRIM_400000_NS6detail17trampoline_kernelINS0_14default_configENS1_22reduce_config_selectorIsEEZNS1_11reduce_implILb1ES3_N6thrust23THRUST_200600_302600_NS6detail15normal_iteratorINS8_10device_ptrIsEEEEPiiNS8_4plusIiEEEE10hipError_tPvRmT1_T2_T3_mT4_P12ihipStream_tbEUlT_E0_NS1_11comp_targetILNS1_3genE3ELNS1_11target_archE908ELNS1_3gpuE7ELNS1_3repE0EEENS1_30default_config_static_selectorELNS0_4arch9wavefront6targetE1EEEvSK_.uses_flat_scratch, 0
	.set _ZN7rocprim17ROCPRIM_400000_NS6detail17trampoline_kernelINS0_14default_configENS1_22reduce_config_selectorIsEEZNS1_11reduce_implILb1ES3_N6thrust23THRUST_200600_302600_NS6detail15normal_iteratorINS8_10device_ptrIsEEEEPiiNS8_4plusIiEEEE10hipError_tPvRmT1_T2_T3_mT4_P12ihipStream_tbEUlT_E0_NS1_11comp_targetILNS1_3genE3ELNS1_11target_archE908ELNS1_3gpuE7ELNS1_3repE0EEENS1_30default_config_static_selectorELNS0_4arch9wavefront6targetE1EEEvSK_.has_dyn_sized_stack, 0
	.set _ZN7rocprim17ROCPRIM_400000_NS6detail17trampoline_kernelINS0_14default_configENS1_22reduce_config_selectorIsEEZNS1_11reduce_implILb1ES3_N6thrust23THRUST_200600_302600_NS6detail15normal_iteratorINS8_10device_ptrIsEEEEPiiNS8_4plusIiEEEE10hipError_tPvRmT1_T2_T3_mT4_P12ihipStream_tbEUlT_E0_NS1_11comp_targetILNS1_3genE3ELNS1_11target_archE908ELNS1_3gpuE7ELNS1_3repE0EEENS1_30default_config_static_selectorELNS0_4arch9wavefront6targetE1EEEvSK_.has_recursion, 0
	.set _ZN7rocprim17ROCPRIM_400000_NS6detail17trampoline_kernelINS0_14default_configENS1_22reduce_config_selectorIsEEZNS1_11reduce_implILb1ES3_N6thrust23THRUST_200600_302600_NS6detail15normal_iteratorINS8_10device_ptrIsEEEEPiiNS8_4plusIiEEEE10hipError_tPvRmT1_T2_T3_mT4_P12ihipStream_tbEUlT_E0_NS1_11comp_targetILNS1_3genE3ELNS1_11target_archE908ELNS1_3gpuE7ELNS1_3repE0EEENS1_30default_config_static_selectorELNS0_4arch9wavefront6targetE1EEEvSK_.has_indirect_call, 0
	.section	.AMDGPU.csdata,"",@progbits
; Kernel info:
; codeLenInByte = 0
; TotalNumSgprs: 6
; NumVgprs: 0
; NumAgprs: 0
; TotalNumVgprs: 0
; ScratchSize: 0
; MemoryBound: 0
; FloatMode: 240
; IeeeMode: 1
; LDSByteSize: 0 bytes/workgroup (compile time only)
; SGPRBlocks: 0
; VGPRBlocks: 0
; NumSGPRsForWavesPerEU: 6
; NumVGPRsForWavesPerEU: 1
; AccumOffset: 4
; Occupancy: 8
; WaveLimiterHint : 0
; COMPUTE_PGM_RSRC2:SCRATCH_EN: 0
; COMPUTE_PGM_RSRC2:USER_SGPR: 2
; COMPUTE_PGM_RSRC2:TRAP_HANDLER: 0
; COMPUTE_PGM_RSRC2:TGID_X_EN: 1
; COMPUTE_PGM_RSRC2:TGID_Y_EN: 0
; COMPUTE_PGM_RSRC2:TGID_Z_EN: 0
; COMPUTE_PGM_RSRC2:TIDIG_COMP_CNT: 0
; COMPUTE_PGM_RSRC3_GFX90A:ACCUM_OFFSET: 0
; COMPUTE_PGM_RSRC3_GFX90A:TG_SPLIT: 0
	.section	.text._ZN7rocprim17ROCPRIM_400000_NS6detail17trampoline_kernelINS0_14default_configENS1_22reduce_config_selectorIsEEZNS1_11reduce_implILb1ES3_N6thrust23THRUST_200600_302600_NS6detail15normal_iteratorINS8_10device_ptrIsEEEEPiiNS8_4plusIiEEEE10hipError_tPvRmT1_T2_T3_mT4_P12ihipStream_tbEUlT_E0_NS1_11comp_targetILNS1_3genE2ELNS1_11target_archE906ELNS1_3gpuE6ELNS1_3repE0EEENS1_30default_config_static_selectorELNS0_4arch9wavefront6targetE1EEEvSK_,"axG",@progbits,_ZN7rocprim17ROCPRIM_400000_NS6detail17trampoline_kernelINS0_14default_configENS1_22reduce_config_selectorIsEEZNS1_11reduce_implILb1ES3_N6thrust23THRUST_200600_302600_NS6detail15normal_iteratorINS8_10device_ptrIsEEEEPiiNS8_4plusIiEEEE10hipError_tPvRmT1_T2_T3_mT4_P12ihipStream_tbEUlT_E0_NS1_11comp_targetILNS1_3genE2ELNS1_11target_archE906ELNS1_3gpuE6ELNS1_3repE0EEENS1_30default_config_static_selectorELNS0_4arch9wavefront6targetE1EEEvSK_,comdat
	.protected	_ZN7rocprim17ROCPRIM_400000_NS6detail17trampoline_kernelINS0_14default_configENS1_22reduce_config_selectorIsEEZNS1_11reduce_implILb1ES3_N6thrust23THRUST_200600_302600_NS6detail15normal_iteratorINS8_10device_ptrIsEEEEPiiNS8_4plusIiEEEE10hipError_tPvRmT1_T2_T3_mT4_P12ihipStream_tbEUlT_E0_NS1_11comp_targetILNS1_3genE2ELNS1_11target_archE906ELNS1_3gpuE6ELNS1_3repE0EEENS1_30default_config_static_selectorELNS0_4arch9wavefront6targetE1EEEvSK_ ; -- Begin function _ZN7rocprim17ROCPRIM_400000_NS6detail17trampoline_kernelINS0_14default_configENS1_22reduce_config_selectorIsEEZNS1_11reduce_implILb1ES3_N6thrust23THRUST_200600_302600_NS6detail15normal_iteratorINS8_10device_ptrIsEEEEPiiNS8_4plusIiEEEE10hipError_tPvRmT1_T2_T3_mT4_P12ihipStream_tbEUlT_E0_NS1_11comp_targetILNS1_3genE2ELNS1_11target_archE906ELNS1_3gpuE6ELNS1_3repE0EEENS1_30default_config_static_selectorELNS0_4arch9wavefront6targetE1EEEvSK_
	.globl	_ZN7rocprim17ROCPRIM_400000_NS6detail17trampoline_kernelINS0_14default_configENS1_22reduce_config_selectorIsEEZNS1_11reduce_implILb1ES3_N6thrust23THRUST_200600_302600_NS6detail15normal_iteratorINS8_10device_ptrIsEEEEPiiNS8_4plusIiEEEE10hipError_tPvRmT1_T2_T3_mT4_P12ihipStream_tbEUlT_E0_NS1_11comp_targetILNS1_3genE2ELNS1_11target_archE906ELNS1_3gpuE6ELNS1_3repE0EEENS1_30default_config_static_selectorELNS0_4arch9wavefront6targetE1EEEvSK_
	.p2align	8
	.type	_ZN7rocprim17ROCPRIM_400000_NS6detail17trampoline_kernelINS0_14default_configENS1_22reduce_config_selectorIsEEZNS1_11reduce_implILb1ES3_N6thrust23THRUST_200600_302600_NS6detail15normal_iteratorINS8_10device_ptrIsEEEEPiiNS8_4plusIiEEEE10hipError_tPvRmT1_T2_T3_mT4_P12ihipStream_tbEUlT_E0_NS1_11comp_targetILNS1_3genE2ELNS1_11target_archE906ELNS1_3gpuE6ELNS1_3repE0EEENS1_30default_config_static_selectorELNS0_4arch9wavefront6targetE1EEEvSK_,@function
_ZN7rocprim17ROCPRIM_400000_NS6detail17trampoline_kernelINS0_14default_configENS1_22reduce_config_selectorIsEEZNS1_11reduce_implILb1ES3_N6thrust23THRUST_200600_302600_NS6detail15normal_iteratorINS8_10device_ptrIsEEEEPiiNS8_4plusIiEEEE10hipError_tPvRmT1_T2_T3_mT4_P12ihipStream_tbEUlT_E0_NS1_11comp_targetILNS1_3genE2ELNS1_11target_archE906ELNS1_3gpuE6ELNS1_3repE0EEENS1_30default_config_static_selectorELNS0_4arch9wavefront6targetE1EEEvSK_: ; @_ZN7rocprim17ROCPRIM_400000_NS6detail17trampoline_kernelINS0_14default_configENS1_22reduce_config_selectorIsEEZNS1_11reduce_implILb1ES3_N6thrust23THRUST_200600_302600_NS6detail15normal_iteratorINS8_10device_ptrIsEEEEPiiNS8_4plusIiEEEE10hipError_tPvRmT1_T2_T3_mT4_P12ihipStream_tbEUlT_E0_NS1_11comp_targetILNS1_3genE2ELNS1_11target_archE906ELNS1_3gpuE6ELNS1_3repE0EEENS1_30default_config_static_selectorELNS0_4arch9wavefront6targetE1EEEvSK_
; %bb.0:
	.section	.rodata,"a",@progbits
	.p2align	6, 0x0
	.amdhsa_kernel _ZN7rocprim17ROCPRIM_400000_NS6detail17trampoline_kernelINS0_14default_configENS1_22reduce_config_selectorIsEEZNS1_11reduce_implILb1ES3_N6thrust23THRUST_200600_302600_NS6detail15normal_iteratorINS8_10device_ptrIsEEEEPiiNS8_4plusIiEEEE10hipError_tPvRmT1_T2_T3_mT4_P12ihipStream_tbEUlT_E0_NS1_11comp_targetILNS1_3genE2ELNS1_11target_archE906ELNS1_3gpuE6ELNS1_3repE0EEENS1_30default_config_static_selectorELNS0_4arch9wavefront6targetE1EEEvSK_
		.amdhsa_group_segment_fixed_size 0
		.amdhsa_private_segment_fixed_size 0
		.amdhsa_kernarg_size 56
		.amdhsa_user_sgpr_count 2
		.amdhsa_user_sgpr_dispatch_ptr 0
		.amdhsa_user_sgpr_queue_ptr 0
		.amdhsa_user_sgpr_kernarg_segment_ptr 1
		.amdhsa_user_sgpr_dispatch_id 0
		.amdhsa_user_sgpr_kernarg_preload_length 0
		.amdhsa_user_sgpr_kernarg_preload_offset 0
		.amdhsa_user_sgpr_private_segment_size 0
		.amdhsa_uses_dynamic_stack 0
		.amdhsa_enable_private_segment 0
		.amdhsa_system_sgpr_workgroup_id_x 1
		.amdhsa_system_sgpr_workgroup_id_y 0
		.amdhsa_system_sgpr_workgroup_id_z 0
		.amdhsa_system_sgpr_workgroup_info 0
		.amdhsa_system_vgpr_workitem_id 0
		.amdhsa_next_free_vgpr 1
		.amdhsa_next_free_sgpr 0
		.amdhsa_accum_offset 4
		.amdhsa_reserve_vcc 0
		.amdhsa_float_round_mode_32 0
		.amdhsa_float_round_mode_16_64 0
		.amdhsa_float_denorm_mode_32 3
		.amdhsa_float_denorm_mode_16_64 3
		.amdhsa_dx10_clamp 1
		.amdhsa_ieee_mode 1
		.amdhsa_fp16_overflow 0
		.amdhsa_tg_split 0
		.amdhsa_exception_fp_ieee_invalid_op 0
		.amdhsa_exception_fp_denorm_src 0
		.amdhsa_exception_fp_ieee_div_zero 0
		.amdhsa_exception_fp_ieee_overflow 0
		.amdhsa_exception_fp_ieee_underflow 0
		.amdhsa_exception_fp_ieee_inexact 0
		.amdhsa_exception_int_div_zero 0
	.end_amdhsa_kernel
	.section	.text._ZN7rocprim17ROCPRIM_400000_NS6detail17trampoline_kernelINS0_14default_configENS1_22reduce_config_selectorIsEEZNS1_11reduce_implILb1ES3_N6thrust23THRUST_200600_302600_NS6detail15normal_iteratorINS8_10device_ptrIsEEEEPiiNS8_4plusIiEEEE10hipError_tPvRmT1_T2_T3_mT4_P12ihipStream_tbEUlT_E0_NS1_11comp_targetILNS1_3genE2ELNS1_11target_archE906ELNS1_3gpuE6ELNS1_3repE0EEENS1_30default_config_static_selectorELNS0_4arch9wavefront6targetE1EEEvSK_,"axG",@progbits,_ZN7rocprim17ROCPRIM_400000_NS6detail17trampoline_kernelINS0_14default_configENS1_22reduce_config_selectorIsEEZNS1_11reduce_implILb1ES3_N6thrust23THRUST_200600_302600_NS6detail15normal_iteratorINS8_10device_ptrIsEEEEPiiNS8_4plusIiEEEE10hipError_tPvRmT1_T2_T3_mT4_P12ihipStream_tbEUlT_E0_NS1_11comp_targetILNS1_3genE2ELNS1_11target_archE906ELNS1_3gpuE6ELNS1_3repE0EEENS1_30default_config_static_selectorELNS0_4arch9wavefront6targetE1EEEvSK_,comdat
.Lfunc_end517:
	.size	_ZN7rocprim17ROCPRIM_400000_NS6detail17trampoline_kernelINS0_14default_configENS1_22reduce_config_selectorIsEEZNS1_11reduce_implILb1ES3_N6thrust23THRUST_200600_302600_NS6detail15normal_iteratorINS8_10device_ptrIsEEEEPiiNS8_4plusIiEEEE10hipError_tPvRmT1_T2_T3_mT4_P12ihipStream_tbEUlT_E0_NS1_11comp_targetILNS1_3genE2ELNS1_11target_archE906ELNS1_3gpuE6ELNS1_3repE0EEENS1_30default_config_static_selectorELNS0_4arch9wavefront6targetE1EEEvSK_, .Lfunc_end517-_ZN7rocprim17ROCPRIM_400000_NS6detail17trampoline_kernelINS0_14default_configENS1_22reduce_config_selectorIsEEZNS1_11reduce_implILb1ES3_N6thrust23THRUST_200600_302600_NS6detail15normal_iteratorINS8_10device_ptrIsEEEEPiiNS8_4plusIiEEEE10hipError_tPvRmT1_T2_T3_mT4_P12ihipStream_tbEUlT_E0_NS1_11comp_targetILNS1_3genE2ELNS1_11target_archE906ELNS1_3gpuE6ELNS1_3repE0EEENS1_30default_config_static_selectorELNS0_4arch9wavefront6targetE1EEEvSK_
                                        ; -- End function
	.set _ZN7rocprim17ROCPRIM_400000_NS6detail17trampoline_kernelINS0_14default_configENS1_22reduce_config_selectorIsEEZNS1_11reduce_implILb1ES3_N6thrust23THRUST_200600_302600_NS6detail15normal_iteratorINS8_10device_ptrIsEEEEPiiNS8_4plusIiEEEE10hipError_tPvRmT1_T2_T3_mT4_P12ihipStream_tbEUlT_E0_NS1_11comp_targetILNS1_3genE2ELNS1_11target_archE906ELNS1_3gpuE6ELNS1_3repE0EEENS1_30default_config_static_selectorELNS0_4arch9wavefront6targetE1EEEvSK_.num_vgpr, 0
	.set _ZN7rocprim17ROCPRIM_400000_NS6detail17trampoline_kernelINS0_14default_configENS1_22reduce_config_selectorIsEEZNS1_11reduce_implILb1ES3_N6thrust23THRUST_200600_302600_NS6detail15normal_iteratorINS8_10device_ptrIsEEEEPiiNS8_4plusIiEEEE10hipError_tPvRmT1_T2_T3_mT4_P12ihipStream_tbEUlT_E0_NS1_11comp_targetILNS1_3genE2ELNS1_11target_archE906ELNS1_3gpuE6ELNS1_3repE0EEENS1_30default_config_static_selectorELNS0_4arch9wavefront6targetE1EEEvSK_.num_agpr, 0
	.set _ZN7rocprim17ROCPRIM_400000_NS6detail17trampoline_kernelINS0_14default_configENS1_22reduce_config_selectorIsEEZNS1_11reduce_implILb1ES3_N6thrust23THRUST_200600_302600_NS6detail15normal_iteratorINS8_10device_ptrIsEEEEPiiNS8_4plusIiEEEE10hipError_tPvRmT1_T2_T3_mT4_P12ihipStream_tbEUlT_E0_NS1_11comp_targetILNS1_3genE2ELNS1_11target_archE906ELNS1_3gpuE6ELNS1_3repE0EEENS1_30default_config_static_selectorELNS0_4arch9wavefront6targetE1EEEvSK_.numbered_sgpr, 0
	.set _ZN7rocprim17ROCPRIM_400000_NS6detail17trampoline_kernelINS0_14default_configENS1_22reduce_config_selectorIsEEZNS1_11reduce_implILb1ES3_N6thrust23THRUST_200600_302600_NS6detail15normal_iteratorINS8_10device_ptrIsEEEEPiiNS8_4plusIiEEEE10hipError_tPvRmT1_T2_T3_mT4_P12ihipStream_tbEUlT_E0_NS1_11comp_targetILNS1_3genE2ELNS1_11target_archE906ELNS1_3gpuE6ELNS1_3repE0EEENS1_30default_config_static_selectorELNS0_4arch9wavefront6targetE1EEEvSK_.num_named_barrier, 0
	.set _ZN7rocprim17ROCPRIM_400000_NS6detail17trampoline_kernelINS0_14default_configENS1_22reduce_config_selectorIsEEZNS1_11reduce_implILb1ES3_N6thrust23THRUST_200600_302600_NS6detail15normal_iteratorINS8_10device_ptrIsEEEEPiiNS8_4plusIiEEEE10hipError_tPvRmT1_T2_T3_mT4_P12ihipStream_tbEUlT_E0_NS1_11comp_targetILNS1_3genE2ELNS1_11target_archE906ELNS1_3gpuE6ELNS1_3repE0EEENS1_30default_config_static_selectorELNS0_4arch9wavefront6targetE1EEEvSK_.private_seg_size, 0
	.set _ZN7rocprim17ROCPRIM_400000_NS6detail17trampoline_kernelINS0_14default_configENS1_22reduce_config_selectorIsEEZNS1_11reduce_implILb1ES3_N6thrust23THRUST_200600_302600_NS6detail15normal_iteratorINS8_10device_ptrIsEEEEPiiNS8_4plusIiEEEE10hipError_tPvRmT1_T2_T3_mT4_P12ihipStream_tbEUlT_E0_NS1_11comp_targetILNS1_3genE2ELNS1_11target_archE906ELNS1_3gpuE6ELNS1_3repE0EEENS1_30default_config_static_selectorELNS0_4arch9wavefront6targetE1EEEvSK_.uses_vcc, 0
	.set _ZN7rocprim17ROCPRIM_400000_NS6detail17trampoline_kernelINS0_14default_configENS1_22reduce_config_selectorIsEEZNS1_11reduce_implILb1ES3_N6thrust23THRUST_200600_302600_NS6detail15normal_iteratorINS8_10device_ptrIsEEEEPiiNS8_4plusIiEEEE10hipError_tPvRmT1_T2_T3_mT4_P12ihipStream_tbEUlT_E0_NS1_11comp_targetILNS1_3genE2ELNS1_11target_archE906ELNS1_3gpuE6ELNS1_3repE0EEENS1_30default_config_static_selectorELNS0_4arch9wavefront6targetE1EEEvSK_.uses_flat_scratch, 0
	.set _ZN7rocprim17ROCPRIM_400000_NS6detail17trampoline_kernelINS0_14default_configENS1_22reduce_config_selectorIsEEZNS1_11reduce_implILb1ES3_N6thrust23THRUST_200600_302600_NS6detail15normal_iteratorINS8_10device_ptrIsEEEEPiiNS8_4plusIiEEEE10hipError_tPvRmT1_T2_T3_mT4_P12ihipStream_tbEUlT_E0_NS1_11comp_targetILNS1_3genE2ELNS1_11target_archE906ELNS1_3gpuE6ELNS1_3repE0EEENS1_30default_config_static_selectorELNS0_4arch9wavefront6targetE1EEEvSK_.has_dyn_sized_stack, 0
	.set _ZN7rocprim17ROCPRIM_400000_NS6detail17trampoline_kernelINS0_14default_configENS1_22reduce_config_selectorIsEEZNS1_11reduce_implILb1ES3_N6thrust23THRUST_200600_302600_NS6detail15normal_iteratorINS8_10device_ptrIsEEEEPiiNS8_4plusIiEEEE10hipError_tPvRmT1_T2_T3_mT4_P12ihipStream_tbEUlT_E0_NS1_11comp_targetILNS1_3genE2ELNS1_11target_archE906ELNS1_3gpuE6ELNS1_3repE0EEENS1_30default_config_static_selectorELNS0_4arch9wavefront6targetE1EEEvSK_.has_recursion, 0
	.set _ZN7rocprim17ROCPRIM_400000_NS6detail17trampoline_kernelINS0_14default_configENS1_22reduce_config_selectorIsEEZNS1_11reduce_implILb1ES3_N6thrust23THRUST_200600_302600_NS6detail15normal_iteratorINS8_10device_ptrIsEEEEPiiNS8_4plusIiEEEE10hipError_tPvRmT1_T2_T3_mT4_P12ihipStream_tbEUlT_E0_NS1_11comp_targetILNS1_3genE2ELNS1_11target_archE906ELNS1_3gpuE6ELNS1_3repE0EEENS1_30default_config_static_selectorELNS0_4arch9wavefront6targetE1EEEvSK_.has_indirect_call, 0
	.section	.AMDGPU.csdata,"",@progbits
; Kernel info:
; codeLenInByte = 0
; TotalNumSgprs: 6
; NumVgprs: 0
; NumAgprs: 0
; TotalNumVgprs: 0
; ScratchSize: 0
; MemoryBound: 0
; FloatMode: 240
; IeeeMode: 1
; LDSByteSize: 0 bytes/workgroup (compile time only)
; SGPRBlocks: 0
; VGPRBlocks: 0
; NumSGPRsForWavesPerEU: 6
; NumVGPRsForWavesPerEU: 1
; AccumOffset: 4
; Occupancy: 8
; WaveLimiterHint : 0
; COMPUTE_PGM_RSRC2:SCRATCH_EN: 0
; COMPUTE_PGM_RSRC2:USER_SGPR: 2
; COMPUTE_PGM_RSRC2:TRAP_HANDLER: 0
; COMPUTE_PGM_RSRC2:TGID_X_EN: 1
; COMPUTE_PGM_RSRC2:TGID_Y_EN: 0
; COMPUTE_PGM_RSRC2:TGID_Z_EN: 0
; COMPUTE_PGM_RSRC2:TIDIG_COMP_CNT: 0
; COMPUTE_PGM_RSRC3_GFX90A:ACCUM_OFFSET: 0
; COMPUTE_PGM_RSRC3_GFX90A:TG_SPLIT: 0
	.section	.text._ZN7rocprim17ROCPRIM_400000_NS6detail17trampoline_kernelINS0_14default_configENS1_22reduce_config_selectorIsEEZNS1_11reduce_implILb1ES3_N6thrust23THRUST_200600_302600_NS6detail15normal_iteratorINS8_10device_ptrIsEEEEPiiNS8_4plusIiEEEE10hipError_tPvRmT1_T2_T3_mT4_P12ihipStream_tbEUlT_E0_NS1_11comp_targetILNS1_3genE10ELNS1_11target_archE1201ELNS1_3gpuE5ELNS1_3repE0EEENS1_30default_config_static_selectorELNS0_4arch9wavefront6targetE1EEEvSK_,"axG",@progbits,_ZN7rocprim17ROCPRIM_400000_NS6detail17trampoline_kernelINS0_14default_configENS1_22reduce_config_selectorIsEEZNS1_11reduce_implILb1ES3_N6thrust23THRUST_200600_302600_NS6detail15normal_iteratorINS8_10device_ptrIsEEEEPiiNS8_4plusIiEEEE10hipError_tPvRmT1_T2_T3_mT4_P12ihipStream_tbEUlT_E0_NS1_11comp_targetILNS1_3genE10ELNS1_11target_archE1201ELNS1_3gpuE5ELNS1_3repE0EEENS1_30default_config_static_selectorELNS0_4arch9wavefront6targetE1EEEvSK_,comdat
	.protected	_ZN7rocprim17ROCPRIM_400000_NS6detail17trampoline_kernelINS0_14default_configENS1_22reduce_config_selectorIsEEZNS1_11reduce_implILb1ES3_N6thrust23THRUST_200600_302600_NS6detail15normal_iteratorINS8_10device_ptrIsEEEEPiiNS8_4plusIiEEEE10hipError_tPvRmT1_T2_T3_mT4_P12ihipStream_tbEUlT_E0_NS1_11comp_targetILNS1_3genE10ELNS1_11target_archE1201ELNS1_3gpuE5ELNS1_3repE0EEENS1_30default_config_static_selectorELNS0_4arch9wavefront6targetE1EEEvSK_ ; -- Begin function _ZN7rocprim17ROCPRIM_400000_NS6detail17trampoline_kernelINS0_14default_configENS1_22reduce_config_selectorIsEEZNS1_11reduce_implILb1ES3_N6thrust23THRUST_200600_302600_NS6detail15normal_iteratorINS8_10device_ptrIsEEEEPiiNS8_4plusIiEEEE10hipError_tPvRmT1_T2_T3_mT4_P12ihipStream_tbEUlT_E0_NS1_11comp_targetILNS1_3genE10ELNS1_11target_archE1201ELNS1_3gpuE5ELNS1_3repE0EEENS1_30default_config_static_selectorELNS0_4arch9wavefront6targetE1EEEvSK_
	.globl	_ZN7rocprim17ROCPRIM_400000_NS6detail17trampoline_kernelINS0_14default_configENS1_22reduce_config_selectorIsEEZNS1_11reduce_implILb1ES3_N6thrust23THRUST_200600_302600_NS6detail15normal_iteratorINS8_10device_ptrIsEEEEPiiNS8_4plusIiEEEE10hipError_tPvRmT1_T2_T3_mT4_P12ihipStream_tbEUlT_E0_NS1_11comp_targetILNS1_3genE10ELNS1_11target_archE1201ELNS1_3gpuE5ELNS1_3repE0EEENS1_30default_config_static_selectorELNS0_4arch9wavefront6targetE1EEEvSK_
	.p2align	8
	.type	_ZN7rocprim17ROCPRIM_400000_NS6detail17trampoline_kernelINS0_14default_configENS1_22reduce_config_selectorIsEEZNS1_11reduce_implILb1ES3_N6thrust23THRUST_200600_302600_NS6detail15normal_iteratorINS8_10device_ptrIsEEEEPiiNS8_4plusIiEEEE10hipError_tPvRmT1_T2_T3_mT4_P12ihipStream_tbEUlT_E0_NS1_11comp_targetILNS1_3genE10ELNS1_11target_archE1201ELNS1_3gpuE5ELNS1_3repE0EEENS1_30default_config_static_selectorELNS0_4arch9wavefront6targetE1EEEvSK_,@function
_ZN7rocprim17ROCPRIM_400000_NS6detail17trampoline_kernelINS0_14default_configENS1_22reduce_config_selectorIsEEZNS1_11reduce_implILb1ES3_N6thrust23THRUST_200600_302600_NS6detail15normal_iteratorINS8_10device_ptrIsEEEEPiiNS8_4plusIiEEEE10hipError_tPvRmT1_T2_T3_mT4_P12ihipStream_tbEUlT_E0_NS1_11comp_targetILNS1_3genE10ELNS1_11target_archE1201ELNS1_3gpuE5ELNS1_3repE0EEENS1_30default_config_static_selectorELNS0_4arch9wavefront6targetE1EEEvSK_: ; @_ZN7rocprim17ROCPRIM_400000_NS6detail17trampoline_kernelINS0_14default_configENS1_22reduce_config_selectorIsEEZNS1_11reduce_implILb1ES3_N6thrust23THRUST_200600_302600_NS6detail15normal_iteratorINS8_10device_ptrIsEEEEPiiNS8_4plusIiEEEE10hipError_tPvRmT1_T2_T3_mT4_P12ihipStream_tbEUlT_E0_NS1_11comp_targetILNS1_3genE10ELNS1_11target_archE1201ELNS1_3gpuE5ELNS1_3repE0EEENS1_30default_config_static_selectorELNS0_4arch9wavefront6targetE1EEEvSK_
; %bb.0:
	.section	.rodata,"a",@progbits
	.p2align	6, 0x0
	.amdhsa_kernel _ZN7rocprim17ROCPRIM_400000_NS6detail17trampoline_kernelINS0_14default_configENS1_22reduce_config_selectorIsEEZNS1_11reduce_implILb1ES3_N6thrust23THRUST_200600_302600_NS6detail15normal_iteratorINS8_10device_ptrIsEEEEPiiNS8_4plusIiEEEE10hipError_tPvRmT1_T2_T3_mT4_P12ihipStream_tbEUlT_E0_NS1_11comp_targetILNS1_3genE10ELNS1_11target_archE1201ELNS1_3gpuE5ELNS1_3repE0EEENS1_30default_config_static_selectorELNS0_4arch9wavefront6targetE1EEEvSK_
		.amdhsa_group_segment_fixed_size 0
		.amdhsa_private_segment_fixed_size 0
		.amdhsa_kernarg_size 56
		.amdhsa_user_sgpr_count 2
		.amdhsa_user_sgpr_dispatch_ptr 0
		.amdhsa_user_sgpr_queue_ptr 0
		.amdhsa_user_sgpr_kernarg_segment_ptr 1
		.amdhsa_user_sgpr_dispatch_id 0
		.amdhsa_user_sgpr_kernarg_preload_length 0
		.amdhsa_user_sgpr_kernarg_preload_offset 0
		.amdhsa_user_sgpr_private_segment_size 0
		.amdhsa_uses_dynamic_stack 0
		.amdhsa_enable_private_segment 0
		.amdhsa_system_sgpr_workgroup_id_x 1
		.amdhsa_system_sgpr_workgroup_id_y 0
		.amdhsa_system_sgpr_workgroup_id_z 0
		.amdhsa_system_sgpr_workgroup_info 0
		.amdhsa_system_vgpr_workitem_id 0
		.amdhsa_next_free_vgpr 1
		.amdhsa_next_free_sgpr 0
		.amdhsa_accum_offset 4
		.amdhsa_reserve_vcc 0
		.amdhsa_float_round_mode_32 0
		.amdhsa_float_round_mode_16_64 0
		.amdhsa_float_denorm_mode_32 3
		.amdhsa_float_denorm_mode_16_64 3
		.amdhsa_dx10_clamp 1
		.amdhsa_ieee_mode 1
		.amdhsa_fp16_overflow 0
		.amdhsa_tg_split 0
		.amdhsa_exception_fp_ieee_invalid_op 0
		.amdhsa_exception_fp_denorm_src 0
		.amdhsa_exception_fp_ieee_div_zero 0
		.amdhsa_exception_fp_ieee_overflow 0
		.amdhsa_exception_fp_ieee_underflow 0
		.amdhsa_exception_fp_ieee_inexact 0
		.amdhsa_exception_int_div_zero 0
	.end_amdhsa_kernel
	.section	.text._ZN7rocprim17ROCPRIM_400000_NS6detail17trampoline_kernelINS0_14default_configENS1_22reduce_config_selectorIsEEZNS1_11reduce_implILb1ES3_N6thrust23THRUST_200600_302600_NS6detail15normal_iteratorINS8_10device_ptrIsEEEEPiiNS8_4plusIiEEEE10hipError_tPvRmT1_T2_T3_mT4_P12ihipStream_tbEUlT_E0_NS1_11comp_targetILNS1_3genE10ELNS1_11target_archE1201ELNS1_3gpuE5ELNS1_3repE0EEENS1_30default_config_static_selectorELNS0_4arch9wavefront6targetE1EEEvSK_,"axG",@progbits,_ZN7rocprim17ROCPRIM_400000_NS6detail17trampoline_kernelINS0_14default_configENS1_22reduce_config_selectorIsEEZNS1_11reduce_implILb1ES3_N6thrust23THRUST_200600_302600_NS6detail15normal_iteratorINS8_10device_ptrIsEEEEPiiNS8_4plusIiEEEE10hipError_tPvRmT1_T2_T3_mT4_P12ihipStream_tbEUlT_E0_NS1_11comp_targetILNS1_3genE10ELNS1_11target_archE1201ELNS1_3gpuE5ELNS1_3repE0EEENS1_30default_config_static_selectorELNS0_4arch9wavefront6targetE1EEEvSK_,comdat
.Lfunc_end518:
	.size	_ZN7rocprim17ROCPRIM_400000_NS6detail17trampoline_kernelINS0_14default_configENS1_22reduce_config_selectorIsEEZNS1_11reduce_implILb1ES3_N6thrust23THRUST_200600_302600_NS6detail15normal_iteratorINS8_10device_ptrIsEEEEPiiNS8_4plusIiEEEE10hipError_tPvRmT1_T2_T3_mT4_P12ihipStream_tbEUlT_E0_NS1_11comp_targetILNS1_3genE10ELNS1_11target_archE1201ELNS1_3gpuE5ELNS1_3repE0EEENS1_30default_config_static_selectorELNS0_4arch9wavefront6targetE1EEEvSK_, .Lfunc_end518-_ZN7rocprim17ROCPRIM_400000_NS6detail17trampoline_kernelINS0_14default_configENS1_22reduce_config_selectorIsEEZNS1_11reduce_implILb1ES3_N6thrust23THRUST_200600_302600_NS6detail15normal_iteratorINS8_10device_ptrIsEEEEPiiNS8_4plusIiEEEE10hipError_tPvRmT1_T2_T3_mT4_P12ihipStream_tbEUlT_E0_NS1_11comp_targetILNS1_3genE10ELNS1_11target_archE1201ELNS1_3gpuE5ELNS1_3repE0EEENS1_30default_config_static_selectorELNS0_4arch9wavefront6targetE1EEEvSK_
                                        ; -- End function
	.set _ZN7rocprim17ROCPRIM_400000_NS6detail17trampoline_kernelINS0_14default_configENS1_22reduce_config_selectorIsEEZNS1_11reduce_implILb1ES3_N6thrust23THRUST_200600_302600_NS6detail15normal_iteratorINS8_10device_ptrIsEEEEPiiNS8_4plusIiEEEE10hipError_tPvRmT1_T2_T3_mT4_P12ihipStream_tbEUlT_E0_NS1_11comp_targetILNS1_3genE10ELNS1_11target_archE1201ELNS1_3gpuE5ELNS1_3repE0EEENS1_30default_config_static_selectorELNS0_4arch9wavefront6targetE1EEEvSK_.num_vgpr, 0
	.set _ZN7rocprim17ROCPRIM_400000_NS6detail17trampoline_kernelINS0_14default_configENS1_22reduce_config_selectorIsEEZNS1_11reduce_implILb1ES3_N6thrust23THRUST_200600_302600_NS6detail15normal_iteratorINS8_10device_ptrIsEEEEPiiNS8_4plusIiEEEE10hipError_tPvRmT1_T2_T3_mT4_P12ihipStream_tbEUlT_E0_NS1_11comp_targetILNS1_3genE10ELNS1_11target_archE1201ELNS1_3gpuE5ELNS1_3repE0EEENS1_30default_config_static_selectorELNS0_4arch9wavefront6targetE1EEEvSK_.num_agpr, 0
	.set _ZN7rocprim17ROCPRIM_400000_NS6detail17trampoline_kernelINS0_14default_configENS1_22reduce_config_selectorIsEEZNS1_11reduce_implILb1ES3_N6thrust23THRUST_200600_302600_NS6detail15normal_iteratorINS8_10device_ptrIsEEEEPiiNS8_4plusIiEEEE10hipError_tPvRmT1_T2_T3_mT4_P12ihipStream_tbEUlT_E0_NS1_11comp_targetILNS1_3genE10ELNS1_11target_archE1201ELNS1_3gpuE5ELNS1_3repE0EEENS1_30default_config_static_selectorELNS0_4arch9wavefront6targetE1EEEvSK_.numbered_sgpr, 0
	.set _ZN7rocprim17ROCPRIM_400000_NS6detail17trampoline_kernelINS0_14default_configENS1_22reduce_config_selectorIsEEZNS1_11reduce_implILb1ES3_N6thrust23THRUST_200600_302600_NS6detail15normal_iteratorINS8_10device_ptrIsEEEEPiiNS8_4plusIiEEEE10hipError_tPvRmT1_T2_T3_mT4_P12ihipStream_tbEUlT_E0_NS1_11comp_targetILNS1_3genE10ELNS1_11target_archE1201ELNS1_3gpuE5ELNS1_3repE0EEENS1_30default_config_static_selectorELNS0_4arch9wavefront6targetE1EEEvSK_.num_named_barrier, 0
	.set _ZN7rocprim17ROCPRIM_400000_NS6detail17trampoline_kernelINS0_14default_configENS1_22reduce_config_selectorIsEEZNS1_11reduce_implILb1ES3_N6thrust23THRUST_200600_302600_NS6detail15normal_iteratorINS8_10device_ptrIsEEEEPiiNS8_4plusIiEEEE10hipError_tPvRmT1_T2_T3_mT4_P12ihipStream_tbEUlT_E0_NS1_11comp_targetILNS1_3genE10ELNS1_11target_archE1201ELNS1_3gpuE5ELNS1_3repE0EEENS1_30default_config_static_selectorELNS0_4arch9wavefront6targetE1EEEvSK_.private_seg_size, 0
	.set _ZN7rocprim17ROCPRIM_400000_NS6detail17trampoline_kernelINS0_14default_configENS1_22reduce_config_selectorIsEEZNS1_11reduce_implILb1ES3_N6thrust23THRUST_200600_302600_NS6detail15normal_iteratorINS8_10device_ptrIsEEEEPiiNS8_4plusIiEEEE10hipError_tPvRmT1_T2_T3_mT4_P12ihipStream_tbEUlT_E0_NS1_11comp_targetILNS1_3genE10ELNS1_11target_archE1201ELNS1_3gpuE5ELNS1_3repE0EEENS1_30default_config_static_selectorELNS0_4arch9wavefront6targetE1EEEvSK_.uses_vcc, 0
	.set _ZN7rocprim17ROCPRIM_400000_NS6detail17trampoline_kernelINS0_14default_configENS1_22reduce_config_selectorIsEEZNS1_11reduce_implILb1ES3_N6thrust23THRUST_200600_302600_NS6detail15normal_iteratorINS8_10device_ptrIsEEEEPiiNS8_4plusIiEEEE10hipError_tPvRmT1_T2_T3_mT4_P12ihipStream_tbEUlT_E0_NS1_11comp_targetILNS1_3genE10ELNS1_11target_archE1201ELNS1_3gpuE5ELNS1_3repE0EEENS1_30default_config_static_selectorELNS0_4arch9wavefront6targetE1EEEvSK_.uses_flat_scratch, 0
	.set _ZN7rocprim17ROCPRIM_400000_NS6detail17trampoline_kernelINS0_14default_configENS1_22reduce_config_selectorIsEEZNS1_11reduce_implILb1ES3_N6thrust23THRUST_200600_302600_NS6detail15normal_iteratorINS8_10device_ptrIsEEEEPiiNS8_4plusIiEEEE10hipError_tPvRmT1_T2_T3_mT4_P12ihipStream_tbEUlT_E0_NS1_11comp_targetILNS1_3genE10ELNS1_11target_archE1201ELNS1_3gpuE5ELNS1_3repE0EEENS1_30default_config_static_selectorELNS0_4arch9wavefront6targetE1EEEvSK_.has_dyn_sized_stack, 0
	.set _ZN7rocprim17ROCPRIM_400000_NS6detail17trampoline_kernelINS0_14default_configENS1_22reduce_config_selectorIsEEZNS1_11reduce_implILb1ES3_N6thrust23THRUST_200600_302600_NS6detail15normal_iteratorINS8_10device_ptrIsEEEEPiiNS8_4plusIiEEEE10hipError_tPvRmT1_T2_T3_mT4_P12ihipStream_tbEUlT_E0_NS1_11comp_targetILNS1_3genE10ELNS1_11target_archE1201ELNS1_3gpuE5ELNS1_3repE0EEENS1_30default_config_static_selectorELNS0_4arch9wavefront6targetE1EEEvSK_.has_recursion, 0
	.set _ZN7rocprim17ROCPRIM_400000_NS6detail17trampoline_kernelINS0_14default_configENS1_22reduce_config_selectorIsEEZNS1_11reduce_implILb1ES3_N6thrust23THRUST_200600_302600_NS6detail15normal_iteratorINS8_10device_ptrIsEEEEPiiNS8_4plusIiEEEE10hipError_tPvRmT1_T2_T3_mT4_P12ihipStream_tbEUlT_E0_NS1_11comp_targetILNS1_3genE10ELNS1_11target_archE1201ELNS1_3gpuE5ELNS1_3repE0EEENS1_30default_config_static_selectorELNS0_4arch9wavefront6targetE1EEEvSK_.has_indirect_call, 0
	.section	.AMDGPU.csdata,"",@progbits
; Kernel info:
; codeLenInByte = 0
; TotalNumSgprs: 6
; NumVgprs: 0
; NumAgprs: 0
; TotalNumVgprs: 0
; ScratchSize: 0
; MemoryBound: 0
; FloatMode: 240
; IeeeMode: 1
; LDSByteSize: 0 bytes/workgroup (compile time only)
; SGPRBlocks: 0
; VGPRBlocks: 0
; NumSGPRsForWavesPerEU: 6
; NumVGPRsForWavesPerEU: 1
; AccumOffset: 4
; Occupancy: 8
; WaveLimiterHint : 0
; COMPUTE_PGM_RSRC2:SCRATCH_EN: 0
; COMPUTE_PGM_RSRC2:USER_SGPR: 2
; COMPUTE_PGM_RSRC2:TRAP_HANDLER: 0
; COMPUTE_PGM_RSRC2:TGID_X_EN: 1
; COMPUTE_PGM_RSRC2:TGID_Y_EN: 0
; COMPUTE_PGM_RSRC2:TGID_Z_EN: 0
; COMPUTE_PGM_RSRC2:TIDIG_COMP_CNT: 0
; COMPUTE_PGM_RSRC3_GFX90A:ACCUM_OFFSET: 0
; COMPUTE_PGM_RSRC3_GFX90A:TG_SPLIT: 0
	.section	.text._ZN7rocprim17ROCPRIM_400000_NS6detail17trampoline_kernelINS0_14default_configENS1_22reduce_config_selectorIsEEZNS1_11reduce_implILb1ES3_N6thrust23THRUST_200600_302600_NS6detail15normal_iteratorINS8_10device_ptrIsEEEEPiiNS8_4plusIiEEEE10hipError_tPvRmT1_T2_T3_mT4_P12ihipStream_tbEUlT_E0_NS1_11comp_targetILNS1_3genE10ELNS1_11target_archE1200ELNS1_3gpuE4ELNS1_3repE0EEENS1_30default_config_static_selectorELNS0_4arch9wavefront6targetE1EEEvSK_,"axG",@progbits,_ZN7rocprim17ROCPRIM_400000_NS6detail17trampoline_kernelINS0_14default_configENS1_22reduce_config_selectorIsEEZNS1_11reduce_implILb1ES3_N6thrust23THRUST_200600_302600_NS6detail15normal_iteratorINS8_10device_ptrIsEEEEPiiNS8_4plusIiEEEE10hipError_tPvRmT1_T2_T3_mT4_P12ihipStream_tbEUlT_E0_NS1_11comp_targetILNS1_3genE10ELNS1_11target_archE1200ELNS1_3gpuE4ELNS1_3repE0EEENS1_30default_config_static_selectorELNS0_4arch9wavefront6targetE1EEEvSK_,comdat
	.protected	_ZN7rocprim17ROCPRIM_400000_NS6detail17trampoline_kernelINS0_14default_configENS1_22reduce_config_selectorIsEEZNS1_11reduce_implILb1ES3_N6thrust23THRUST_200600_302600_NS6detail15normal_iteratorINS8_10device_ptrIsEEEEPiiNS8_4plusIiEEEE10hipError_tPvRmT1_T2_T3_mT4_P12ihipStream_tbEUlT_E0_NS1_11comp_targetILNS1_3genE10ELNS1_11target_archE1200ELNS1_3gpuE4ELNS1_3repE0EEENS1_30default_config_static_selectorELNS0_4arch9wavefront6targetE1EEEvSK_ ; -- Begin function _ZN7rocprim17ROCPRIM_400000_NS6detail17trampoline_kernelINS0_14default_configENS1_22reduce_config_selectorIsEEZNS1_11reduce_implILb1ES3_N6thrust23THRUST_200600_302600_NS6detail15normal_iteratorINS8_10device_ptrIsEEEEPiiNS8_4plusIiEEEE10hipError_tPvRmT1_T2_T3_mT4_P12ihipStream_tbEUlT_E0_NS1_11comp_targetILNS1_3genE10ELNS1_11target_archE1200ELNS1_3gpuE4ELNS1_3repE0EEENS1_30default_config_static_selectorELNS0_4arch9wavefront6targetE1EEEvSK_
	.globl	_ZN7rocprim17ROCPRIM_400000_NS6detail17trampoline_kernelINS0_14default_configENS1_22reduce_config_selectorIsEEZNS1_11reduce_implILb1ES3_N6thrust23THRUST_200600_302600_NS6detail15normal_iteratorINS8_10device_ptrIsEEEEPiiNS8_4plusIiEEEE10hipError_tPvRmT1_T2_T3_mT4_P12ihipStream_tbEUlT_E0_NS1_11comp_targetILNS1_3genE10ELNS1_11target_archE1200ELNS1_3gpuE4ELNS1_3repE0EEENS1_30default_config_static_selectorELNS0_4arch9wavefront6targetE1EEEvSK_
	.p2align	8
	.type	_ZN7rocprim17ROCPRIM_400000_NS6detail17trampoline_kernelINS0_14default_configENS1_22reduce_config_selectorIsEEZNS1_11reduce_implILb1ES3_N6thrust23THRUST_200600_302600_NS6detail15normal_iteratorINS8_10device_ptrIsEEEEPiiNS8_4plusIiEEEE10hipError_tPvRmT1_T2_T3_mT4_P12ihipStream_tbEUlT_E0_NS1_11comp_targetILNS1_3genE10ELNS1_11target_archE1200ELNS1_3gpuE4ELNS1_3repE0EEENS1_30default_config_static_selectorELNS0_4arch9wavefront6targetE1EEEvSK_,@function
_ZN7rocprim17ROCPRIM_400000_NS6detail17trampoline_kernelINS0_14default_configENS1_22reduce_config_selectorIsEEZNS1_11reduce_implILb1ES3_N6thrust23THRUST_200600_302600_NS6detail15normal_iteratorINS8_10device_ptrIsEEEEPiiNS8_4plusIiEEEE10hipError_tPvRmT1_T2_T3_mT4_P12ihipStream_tbEUlT_E0_NS1_11comp_targetILNS1_3genE10ELNS1_11target_archE1200ELNS1_3gpuE4ELNS1_3repE0EEENS1_30default_config_static_selectorELNS0_4arch9wavefront6targetE1EEEvSK_: ; @_ZN7rocprim17ROCPRIM_400000_NS6detail17trampoline_kernelINS0_14default_configENS1_22reduce_config_selectorIsEEZNS1_11reduce_implILb1ES3_N6thrust23THRUST_200600_302600_NS6detail15normal_iteratorINS8_10device_ptrIsEEEEPiiNS8_4plusIiEEEE10hipError_tPvRmT1_T2_T3_mT4_P12ihipStream_tbEUlT_E0_NS1_11comp_targetILNS1_3genE10ELNS1_11target_archE1200ELNS1_3gpuE4ELNS1_3repE0EEENS1_30default_config_static_selectorELNS0_4arch9wavefront6targetE1EEEvSK_
; %bb.0:
	.section	.rodata,"a",@progbits
	.p2align	6, 0x0
	.amdhsa_kernel _ZN7rocprim17ROCPRIM_400000_NS6detail17trampoline_kernelINS0_14default_configENS1_22reduce_config_selectorIsEEZNS1_11reduce_implILb1ES3_N6thrust23THRUST_200600_302600_NS6detail15normal_iteratorINS8_10device_ptrIsEEEEPiiNS8_4plusIiEEEE10hipError_tPvRmT1_T2_T3_mT4_P12ihipStream_tbEUlT_E0_NS1_11comp_targetILNS1_3genE10ELNS1_11target_archE1200ELNS1_3gpuE4ELNS1_3repE0EEENS1_30default_config_static_selectorELNS0_4arch9wavefront6targetE1EEEvSK_
		.amdhsa_group_segment_fixed_size 0
		.amdhsa_private_segment_fixed_size 0
		.amdhsa_kernarg_size 56
		.amdhsa_user_sgpr_count 2
		.amdhsa_user_sgpr_dispatch_ptr 0
		.amdhsa_user_sgpr_queue_ptr 0
		.amdhsa_user_sgpr_kernarg_segment_ptr 1
		.amdhsa_user_sgpr_dispatch_id 0
		.amdhsa_user_sgpr_kernarg_preload_length 0
		.amdhsa_user_sgpr_kernarg_preload_offset 0
		.amdhsa_user_sgpr_private_segment_size 0
		.amdhsa_uses_dynamic_stack 0
		.amdhsa_enable_private_segment 0
		.amdhsa_system_sgpr_workgroup_id_x 1
		.amdhsa_system_sgpr_workgroup_id_y 0
		.amdhsa_system_sgpr_workgroup_id_z 0
		.amdhsa_system_sgpr_workgroup_info 0
		.amdhsa_system_vgpr_workitem_id 0
		.amdhsa_next_free_vgpr 1
		.amdhsa_next_free_sgpr 0
		.amdhsa_accum_offset 4
		.amdhsa_reserve_vcc 0
		.amdhsa_float_round_mode_32 0
		.amdhsa_float_round_mode_16_64 0
		.amdhsa_float_denorm_mode_32 3
		.amdhsa_float_denorm_mode_16_64 3
		.amdhsa_dx10_clamp 1
		.amdhsa_ieee_mode 1
		.amdhsa_fp16_overflow 0
		.amdhsa_tg_split 0
		.amdhsa_exception_fp_ieee_invalid_op 0
		.amdhsa_exception_fp_denorm_src 0
		.amdhsa_exception_fp_ieee_div_zero 0
		.amdhsa_exception_fp_ieee_overflow 0
		.amdhsa_exception_fp_ieee_underflow 0
		.amdhsa_exception_fp_ieee_inexact 0
		.amdhsa_exception_int_div_zero 0
	.end_amdhsa_kernel
	.section	.text._ZN7rocprim17ROCPRIM_400000_NS6detail17trampoline_kernelINS0_14default_configENS1_22reduce_config_selectorIsEEZNS1_11reduce_implILb1ES3_N6thrust23THRUST_200600_302600_NS6detail15normal_iteratorINS8_10device_ptrIsEEEEPiiNS8_4plusIiEEEE10hipError_tPvRmT1_T2_T3_mT4_P12ihipStream_tbEUlT_E0_NS1_11comp_targetILNS1_3genE10ELNS1_11target_archE1200ELNS1_3gpuE4ELNS1_3repE0EEENS1_30default_config_static_selectorELNS0_4arch9wavefront6targetE1EEEvSK_,"axG",@progbits,_ZN7rocprim17ROCPRIM_400000_NS6detail17trampoline_kernelINS0_14default_configENS1_22reduce_config_selectorIsEEZNS1_11reduce_implILb1ES3_N6thrust23THRUST_200600_302600_NS6detail15normal_iteratorINS8_10device_ptrIsEEEEPiiNS8_4plusIiEEEE10hipError_tPvRmT1_T2_T3_mT4_P12ihipStream_tbEUlT_E0_NS1_11comp_targetILNS1_3genE10ELNS1_11target_archE1200ELNS1_3gpuE4ELNS1_3repE0EEENS1_30default_config_static_selectorELNS0_4arch9wavefront6targetE1EEEvSK_,comdat
.Lfunc_end519:
	.size	_ZN7rocprim17ROCPRIM_400000_NS6detail17trampoline_kernelINS0_14default_configENS1_22reduce_config_selectorIsEEZNS1_11reduce_implILb1ES3_N6thrust23THRUST_200600_302600_NS6detail15normal_iteratorINS8_10device_ptrIsEEEEPiiNS8_4plusIiEEEE10hipError_tPvRmT1_T2_T3_mT4_P12ihipStream_tbEUlT_E0_NS1_11comp_targetILNS1_3genE10ELNS1_11target_archE1200ELNS1_3gpuE4ELNS1_3repE0EEENS1_30default_config_static_selectorELNS0_4arch9wavefront6targetE1EEEvSK_, .Lfunc_end519-_ZN7rocprim17ROCPRIM_400000_NS6detail17trampoline_kernelINS0_14default_configENS1_22reduce_config_selectorIsEEZNS1_11reduce_implILb1ES3_N6thrust23THRUST_200600_302600_NS6detail15normal_iteratorINS8_10device_ptrIsEEEEPiiNS8_4plusIiEEEE10hipError_tPvRmT1_T2_T3_mT4_P12ihipStream_tbEUlT_E0_NS1_11comp_targetILNS1_3genE10ELNS1_11target_archE1200ELNS1_3gpuE4ELNS1_3repE0EEENS1_30default_config_static_selectorELNS0_4arch9wavefront6targetE1EEEvSK_
                                        ; -- End function
	.set _ZN7rocprim17ROCPRIM_400000_NS6detail17trampoline_kernelINS0_14default_configENS1_22reduce_config_selectorIsEEZNS1_11reduce_implILb1ES3_N6thrust23THRUST_200600_302600_NS6detail15normal_iteratorINS8_10device_ptrIsEEEEPiiNS8_4plusIiEEEE10hipError_tPvRmT1_T2_T3_mT4_P12ihipStream_tbEUlT_E0_NS1_11comp_targetILNS1_3genE10ELNS1_11target_archE1200ELNS1_3gpuE4ELNS1_3repE0EEENS1_30default_config_static_selectorELNS0_4arch9wavefront6targetE1EEEvSK_.num_vgpr, 0
	.set _ZN7rocprim17ROCPRIM_400000_NS6detail17trampoline_kernelINS0_14default_configENS1_22reduce_config_selectorIsEEZNS1_11reduce_implILb1ES3_N6thrust23THRUST_200600_302600_NS6detail15normal_iteratorINS8_10device_ptrIsEEEEPiiNS8_4plusIiEEEE10hipError_tPvRmT1_T2_T3_mT4_P12ihipStream_tbEUlT_E0_NS1_11comp_targetILNS1_3genE10ELNS1_11target_archE1200ELNS1_3gpuE4ELNS1_3repE0EEENS1_30default_config_static_selectorELNS0_4arch9wavefront6targetE1EEEvSK_.num_agpr, 0
	.set _ZN7rocprim17ROCPRIM_400000_NS6detail17trampoline_kernelINS0_14default_configENS1_22reduce_config_selectorIsEEZNS1_11reduce_implILb1ES3_N6thrust23THRUST_200600_302600_NS6detail15normal_iteratorINS8_10device_ptrIsEEEEPiiNS8_4plusIiEEEE10hipError_tPvRmT1_T2_T3_mT4_P12ihipStream_tbEUlT_E0_NS1_11comp_targetILNS1_3genE10ELNS1_11target_archE1200ELNS1_3gpuE4ELNS1_3repE0EEENS1_30default_config_static_selectorELNS0_4arch9wavefront6targetE1EEEvSK_.numbered_sgpr, 0
	.set _ZN7rocprim17ROCPRIM_400000_NS6detail17trampoline_kernelINS0_14default_configENS1_22reduce_config_selectorIsEEZNS1_11reduce_implILb1ES3_N6thrust23THRUST_200600_302600_NS6detail15normal_iteratorINS8_10device_ptrIsEEEEPiiNS8_4plusIiEEEE10hipError_tPvRmT1_T2_T3_mT4_P12ihipStream_tbEUlT_E0_NS1_11comp_targetILNS1_3genE10ELNS1_11target_archE1200ELNS1_3gpuE4ELNS1_3repE0EEENS1_30default_config_static_selectorELNS0_4arch9wavefront6targetE1EEEvSK_.num_named_barrier, 0
	.set _ZN7rocprim17ROCPRIM_400000_NS6detail17trampoline_kernelINS0_14default_configENS1_22reduce_config_selectorIsEEZNS1_11reduce_implILb1ES3_N6thrust23THRUST_200600_302600_NS6detail15normal_iteratorINS8_10device_ptrIsEEEEPiiNS8_4plusIiEEEE10hipError_tPvRmT1_T2_T3_mT4_P12ihipStream_tbEUlT_E0_NS1_11comp_targetILNS1_3genE10ELNS1_11target_archE1200ELNS1_3gpuE4ELNS1_3repE0EEENS1_30default_config_static_selectorELNS0_4arch9wavefront6targetE1EEEvSK_.private_seg_size, 0
	.set _ZN7rocprim17ROCPRIM_400000_NS6detail17trampoline_kernelINS0_14default_configENS1_22reduce_config_selectorIsEEZNS1_11reduce_implILb1ES3_N6thrust23THRUST_200600_302600_NS6detail15normal_iteratorINS8_10device_ptrIsEEEEPiiNS8_4plusIiEEEE10hipError_tPvRmT1_T2_T3_mT4_P12ihipStream_tbEUlT_E0_NS1_11comp_targetILNS1_3genE10ELNS1_11target_archE1200ELNS1_3gpuE4ELNS1_3repE0EEENS1_30default_config_static_selectorELNS0_4arch9wavefront6targetE1EEEvSK_.uses_vcc, 0
	.set _ZN7rocprim17ROCPRIM_400000_NS6detail17trampoline_kernelINS0_14default_configENS1_22reduce_config_selectorIsEEZNS1_11reduce_implILb1ES3_N6thrust23THRUST_200600_302600_NS6detail15normal_iteratorINS8_10device_ptrIsEEEEPiiNS8_4plusIiEEEE10hipError_tPvRmT1_T2_T3_mT4_P12ihipStream_tbEUlT_E0_NS1_11comp_targetILNS1_3genE10ELNS1_11target_archE1200ELNS1_3gpuE4ELNS1_3repE0EEENS1_30default_config_static_selectorELNS0_4arch9wavefront6targetE1EEEvSK_.uses_flat_scratch, 0
	.set _ZN7rocprim17ROCPRIM_400000_NS6detail17trampoline_kernelINS0_14default_configENS1_22reduce_config_selectorIsEEZNS1_11reduce_implILb1ES3_N6thrust23THRUST_200600_302600_NS6detail15normal_iteratorINS8_10device_ptrIsEEEEPiiNS8_4plusIiEEEE10hipError_tPvRmT1_T2_T3_mT4_P12ihipStream_tbEUlT_E0_NS1_11comp_targetILNS1_3genE10ELNS1_11target_archE1200ELNS1_3gpuE4ELNS1_3repE0EEENS1_30default_config_static_selectorELNS0_4arch9wavefront6targetE1EEEvSK_.has_dyn_sized_stack, 0
	.set _ZN7rocprim17ROCPRIM_400000_NS6detail17trampoline_kernelINS0_14default_configENS1_22reduce_config_selectorIsEEZNS1_11reduce_implILb1ES3_N6thrust23THRUST_200600_302600_NS6detail15normal_iteratorINS8_10device_ptrIsEEEEPiiNS8_4plusIiEEEE10hipError_tPvRmT1_T2_T3_mT4_P12ihipStream_tbEUlT_E0_NS1_11comp_targetILNS1_3genE10ELNS1_11target_archE1200ELNS1_3gpuE4ELNS1_3repE0EEENS1_30default_config_static_selectorELNS0_4arch9wavefront6targetE1EEEvSK_.has_recursion, 0
	.set _ZN7rocprim17ROCPRIM_400000_NS6detail17trampoline_kernelINS0_14default_configENS1_22reduce_config_selectorIsEEZNS1_11reduce_implILb1ES3_N6thrust23THRUST_200600_302600_NS6detail15normal_iteratorINS8_10device_ptrIsEEEEPiiNS8_4plusIiEEEE10hipError_tPvRmT1_T2_T3_mT4_P12ihipStream_tbEUlT_E0_NS1_11comp_targetILNS1_3genE10ELNS1_11target_archE1200ELNS1_3gpuE4ELNS1_3repE0EEENS1_30default_config_static_selectorELNS0_4arch9wavefront6targetE1EEEvSK_.has_indirect_call, 0
	.section	.AMDGPU.csdata,"",@progbits
; Kernel info:
; codeLenInByte = 0
; TotalNumSgprs: 6
; NumVgprs: 0
; NumAgprs: 0
; TotalNumVgprs: 0
; ScratchSize: 0
; MemoryBound: 0
; FloatMode: 240
; IeeeMode: 1
; LDSByteSize: 0 bytes/workgroup (compile time only)
; SGPRBlocks: 0
; VGPRBlocks: 0
; NumSGPRsForWavesPerEU: 6
; NumVGPRsForWavesPerEU: 1
; AccumOffset: 4
; Occupancy: 8
; WaveLimiterHint : 0
; COMPUTE_PGM_RSRC2:SCRATCH_EN: 0
; COMPUTE_PGM_RSRC2:USER_SGPR: 2
; COMPUTE_PGM_RSRC2:TRAP_HANDLER: 0
; COMPUTE_PGM_RSRC2:TGID_X_EN: 1
; COMPUTE_PGM_RSRC2:TGID_Y_EN: 0
; COMPUTE_PGM_RSRC2:TGID_Z_EN: 0
; COMPUTE_PGM_RSRC2:TIDIG_COMP_CNT: 0
; COMPUTE_PGM_RSRC3_GFX90A:ACCUM_OFFSET: 0
; COMPUTE_PGM_RSRC3_GFX90A:TG_SPLIT: 0
	.section	.text._ZN7rocprim17ROCPRIM_400000_NS6detail17trampoline_kernelINS0_14default_configENS1_22reduce_config_selectorIsEEZNS1_11reduce_implILb1ES3_N6thrust23THRUST_200600_302600_NS6detail15normal_iteratorINS8_10device_ptrIsEEEEPiiNS8_4plusIiEEEE10hipError_tPvRmT1_T2_T3_mT4_P12ihipStream_tbEUlT_E0_NS1_11comp_targetILNS1_3genE9ELNS1_11target_archE1100ELNS1_3gpuE3ELNS1_3repE0EEENS1_30default_config_static_selectorELNS0_4arch9wavefront6targetE1EEEvSK_,"axG",@progbits,_ZN7rocprim17ROCPRIM_400000_NS6detail17trampoline_kernelINS0_14default_configENS1_22reduce_config_selectorIsEEZNS1_11reduce_implILb1ES3_N6thrust23THRUST_200600_302600_NS6detail15normal_iteratorINS8_10device_ptrIsEEEEPiiNS8_4plusIiEEEE10hipError_tPvRmT1_T2_T3_mT4_P12ihipStream_tbEUlT_E0_NS1_11comp_targetILNS1_3genE9ELNS1_11target_archE1100ELNS1_3gpuE3ELNS1_3repE0EEENS1_30default_config_static_selectorELNS0_4arch9wavefront6targetE1EEEvSK_,comdat
	.protected	_ZN7rocprim17ROCPRIM_400000_NS6detail17trampoline_kernelINS0_14default_configENS1_22reduce_config_selectorIsEEZNS1_11reduce_implILb1ES3_N6thrust23THRUST_200600_302600_NS6detail15normal_iteratorINS8_10device_ptrIsEEEEPiiNS8_4plusIiEEEE10hipError_tPvRmT1_T2_T3_mT4_P12ihipStream_tbEUlT_E0_NS1_11comp_targetILNS1_3genE9ELNS1_11target_archE1100ELNS1_3gpuE3ELNS1_3repE0EEENS1_30default_config_static_selectorELNS0_4arch9wavefront6targetE1EEEvSK_ ; -- Begin function _ZN7rocprim17ROCPRIM_400000_NS6detail17trampoline_kernelINS0_14default_configENS1_22reduce_config_selectorIsEEZNS1_11reduce_implILb1ES3_N6thrust23THRUST_200600_302600_NS6detail15normal_iteratorINS8_10device_ptrIsEEEEPiiNS8_4plusIiEEEE10hipError_tPvRmT1_T2_T3_mT4_P12ihipStream_tbEUlT_E0_NS1_11comp_targetILNS1_3genE9ELNS1_11target_archE1100ELNS1_3gpuE3ELNS1_3repE0EEENS1_30default_config_static_selectorELNS0_4arch9wavefront6targetE1EEEvSK_
	.globl	_ZN7rocprim17ROCPRIM_400000_NS6detail17trampoline_kernelINS0_14default_configENS1_22reduce_config_selectorIsEEZNS1_11reduce_implILb1ES3_N6thrust23THRUST_200600_302600_NS6detail15normal_iteratorINS8_10device_ptrIsEEEEPiiNS8_4plusIiEEEE10hipError_tPvRmT1_T2_T3_mT4_P12ihipStream_tbEUlT_E0_NS1_11comp_targetILNS1_3genE9ELNS1_11target_archE1100ELNS1_3gpuE3ELNS1_3repE0EEENS1_30default_config_static_selectorELNS0_4arch9wavefront6targetE1EEEvSK_
	.p2align	8
	.type	_ZN7rocprim17ROCPRIM_400000_NS6detail17trampoline_kernelINS0_14default_configENS1_22reduce_config_selectorIsEEZNS1_11reduce_implILb1ES3_N6thrust23THRUST_200600_302600_NS6detail15normal_iteratorINS8_10device_ptrIsEEEEPiiNS8_4plusIiEEEE10hipError_tPvRmT1_T2_T3_mT4_P12ihipStream_tbEUlT_E0_NS1_11comp_targetILNS1_3genE9ELNS1_11target_archE1100ELNS1_3gpuE3ELNS1_3repE0EEENS1_30default_config_static_selectorELNS0_4arch9wavefront6targetE1EEEvSK_,@function
_ZN7rocprim17ROCPRIM_400000_NS6detail17trampoline_kernelINS0_14default_configENS1_22reduce_config_selectorIsEEZNS1_11reduce_implILb1ES3_N6thrust23THRUST_200600_302600_NS6detail15normal_iteratorINS8_10device_ptrIsEEEEPiiNS8_4plusIiEEEE10hipError_tPvRmT1_T2_T3_mT4_P12ihipStream_tbEUlT_E0_NS1_11comp_targetILNS1_3genE9ELNS1_11target_archE1100ELNS1_3gpuE3ELNS1_3repE0EEENS1_30default_config_static_selectorELNS0_4arch9wavefront6targetE1EEEvSK_: ; @_ZN7rocprim17ROCPRIM_400000_NS6detail17trampoline_kernelINS0_14default_configENS1_22reduce_config_selectorIsEEZNS1_11reduce_implILb1ES3_N6thrust23THRUST_200600_302600_NS6detail15normal_iteratorINS8_10device_ptrIsEEEEPiiNS8_4plusIiEEEE10hipError_tPvRmT1_T2_T3_mT4_P12ihipStream_tbEUlT_E0_NS1_11comp_targetILNS1_3genE9ELNS1_11target_archE1100ELNS1_3gpuE3ELNS1_3repE0EEENS1_30default_config_static_selectorELNS0_4arch9wavefront6targetE1EEEvSK_
; %bb.0:
	.section	.rodata,"a",@progbits
	.p2align	6, 0x0
	.amdhsa_kernel _ZN7rocprim17ROCPRIM_400000_NS6detail17trampoline_kernelINS0_14default_configENS1_22reduce_config_selectorIsEEZNS1_11reduce_implILb1ES3_N6thrust23THRUST_200600_302600_NS6detail15normal_iteratorINS8_10device_ptrIsEEEEPiiNS8_4plusIiEEEE10hipError_tPvRmT1_T2_T3_mT4_P12ihipStream_tbEUlT_E0_NS1_11comp_targetILNS1_3genE9ELNS1_11target_archE1100ELNS1_3gpuE3ELNS1_3repE0EEENS1_30default_config_static_selectorELNS0_4arch9wavefront6targetE1EEEvSK_
		.amdhsa_group_segment_fixed_size 0
		.amdhsa_private_segment_fixed_size 0
		.amdhsa_kernarg_size 56
		.amdhsa_user_sgpr_count 2
		.amdhsa_user_sgpr_dispatch_ptr 0
		.amdhsa_user_sgpr_queue_ptr 0
		.amdhsa_user_sgpr_kernarg_segment_ptr 1
		.amdhsa_user_sgpr_dispatch_id 0
		.amdhsa_user_sgpr_kernarg_preload_length 0
		.amdhsa_user_sgpr_kernarg_preload_offset 0
		.amdhsa_user_sgpr_private_segment_size 0
		.amdhsa_uses_dynamic_stack 0
		.amdhsa_enable_private_segment 0
		.amdhsa_system_sgpr_workgroup_id_x 1
		.amdhsa_system_sgpr_workgroup_id_y 0
		.amdhsa_system_sgpr_workgroup_id_z 0
		.amdhsa_system_sgpr_workgroup_info 0
		.amdhsa_system_vgpr_workitem_id 0
		.amdhsa_next_free_vgpr 1
		.amdhsa_next_free_sgpr 0
		.amdhsa_accum_offset 4
		.amdhsa_reserve_vcc 0
		.amdhsa_float_round_mode_32 0
		.amdhsa_float_round_mode_16_64 0
		.amdhsa_float_denorm_mode_32 3
		.amdhsa_float_denorm_mode_16_64 3
		.amdhsa_dx10_clamp 1
		.amdhsa_ieee_mode 1
		.amdhsa_fp16_overflow 0
		.amdhsa_tg_split 0
		.amdhsa_exception_fp_ieee_invalid_op 0
		.amdhsa_exception_fp_denorm_src 0
		.amdhsa_exception_fp_ieee_div_zero 0
		.amdhsa_exception_fp_ieee_overflow 0
		.amdhsa_exception_fp_ieee_underflow 0
		.amdhsa_exception_fp_ieee_inexact 0
		.amdhsa_exception_int_div_zero 0
	.end_amdhsa_kernel
	.section	.text._ZN7rocprim17ROCPRIM_400000_NS6detail17trampoline_kernelINS0_14default_configENS1_22reduce_config_selectorIsEEZNS1_11reduce_implILb1ES3_N6thrust23THRUST_200600_302600_NS6detail15normal_iteratorINS8_10device_ptrIsEEEEPiiNS8_4plusIiEEEE10hipError_tPvRmT1_T2_T3_mT4_P12ihipStream_tbEUlT_E0_NS1_11comp_targetILNS1_3genE9ELNS1_11target_archE1100ELNS1_3gpuE3ELNS1_3repE0EEENS1_30default_config_static_selectorELNS0_4arch9wavefront6targetE1EEEvSK_,"axG",@progbits,_ZN7rocprim17ROCPRIM_400000_NS6detail17trampoline_kernelINS0_14default_configENS1_22reduce_config_selectorIsEEZNS1_11reduce_implILb1ES3_N6thrust23THRUST_200600_302600_NS6detail15normal_iteratorINS8_10device_ptrIsEEEEPiiNS8_4plusIiEEEE10hipError_tPvRmT1_T2_T3_mT4_P12ihipStream_tbEUlT_E0_NS1_11comp_targetILNS1_3genE9ELNS1_11target_archE1100ELNS1_3gpuE3ELNS1_3repE0EEENS1_30default_config_static_selectorELNS0_4arch9wavefront6targetE1EEEvSK_,comdat
.Lfunc_end520:
	.size	_ZN7rocprim17ROCPRIM_400000_NS6detail17trampoline_kernelINS0_14default_configENS1_22reduce_config_selectorIsEEZNS1_11reduce_implILb1ES3_N6thrust23THRUST_200600_302600_NS6detail15normal_iteratorINS8_10device_ptrIsEEEEPiiNS8_4plusIiEEEE10hipError_tPvRmT1_T2_T3_mT4_P12ihipStream_tbEUlT_E0_NS1_11comp_targetILNS1_3genE9ELNS1_11target_archE1100ELNS1_3gpuE3ELNS1_3repE0EEENS1_30default_config_static_selectorELNS0_4arch9wavefront6targetE1EEEvSK_, .Lfunc_end520-_ZN7rocprim17ROCPRIM_400000_NS6detail17trampoline_kernelINS0_14default_configENS1_22reduce_config_selectorIsEEZNS1_11reduce_implILb1ES3_N6thrust23THRUST_200600_302600_NS6detail15normal_iteratorINS8_10device_ptrIsEEEEPiiNS8_4plusIiEEEE10hipError_tPvRmT1_T2_T3_mT4_P12ihipStream_tbEUlT_E0_NS1_11comp_targetILNS1_3genE9ELNS1_11target_archE1100ELNS1_3gpuE3ELNS1_3repE0EEENS1_30default_config_static_selectorELNS0_4arch9wavefront6targetE1EEEvSK_
                                        ; -- End function
	.set _ZN7rocprim17ROCPRIM_400000_NS6detail17trampoline_kernelINS0_14default_configENS1_22reduce_config_selectorIsEEZNS1_11reduce_implILb1ES3_N6thrust23THRUST_200600_302600_NS6detail15normal_iteratorINS8_10device_ptrIsEEEEPiiNS8_4plusIiEEEE10hipError_tPvRmT1_T2_T3_mT4_P12ihipStream_tbEUlT_E0_NS1_11comp_targetILNS1_3genE9ELNS1_11target_archE1100ELNS1_3gpuE3ELNS1_3repE0EEENS1_30default_config_static_selectorELNS0_4arch9wavefront6targetE1EEEvSK_.num_vgpr, 0
	.set _ZN7rocprim17ROCPRIM_400000_NS6detail17trampoline_kernelINS0_14default_configENS1_22reduce_config_selectorIsEEZNS1_11reduce_implILb1ES3_N6thrust23THRUST_200600_302600_NS6detail15normal_iteratorINS8_10device_ptrIsEEEEPiiNS8_4plusIiEEEE10hipError_tPvRmT1_T2_T3_mT4_P12ihipStream_tbEUlT_E0_NS1_11comp_targetILNS1_3genE9ELNS1_11target_archE1100ELNS1_3gpuE3ELNS1_3repE0EEENS1_30default_config_static_selectorELNS0_4arch9wavefront6targetE1EEEvSK_.num_agpr, 0
	.set _ZN7rocprim17ROCPRIM_400000_NS6detail17trampoline_kernelINS0_14default_configENS1_22reduce_config_selectorIsEEZNS1_11reduce_implILb1ES3_N6thrust23THRUST_200600_302600_NS6detail15normal_iteratorINS8_10device_ptrIsEEEEPiiNS8_4plusIiEEEE10hipError_tPvRmT1_T2_T3_mT4_P12ihipStream_tbEUlT_E0_NS1_11comp_targetILNS1_3genE9ELNS1_11target_archE1100ELNS1_3gpuE3ELNS1_3repE0EEENS1_30default_config_static_selectorELNS0_4arch9wavefront6targetE1EEEvSK_.numbered_sgpr, 0
	.set _ZN7rocprim17ROCPRIM_400000_NS6detail17trampoline_kernelINS0_14default_configENS1_22reduce_config_selectorIsEEZNS1_11reduce_implILb1ES3_N6thrust23THRUST_200600_302600_NS6detail15normal_iteratorINS8_10device_ptrIsEEEEPiiNS8_4plusIiEEEE10hipError_tPvRmT1_T2_T3_mT4_P12ihipStream_tbEUlT_E0_NS1_11comp_targetILNS1_3genE9ELNS1_11target_archE1100ELNS1_3gpuE3ELNS1_3repE0EEENS1_30default_config_static_selectorELNS0_4arch9wavefront6targetE1EEEvSK_.num_named_barrier, 0
	.set _ZN7rocprim17ROCPRIM_400000_NS6detail17trampoline_kernelINS0_14default_configENS1_22reduce_config_selectorIsEEZNS1_11reduce_implILb1ES3_N6thrust23THRUST_200600_302600_NS6detail15normal_iteratorINS8_10device_ptrIsEEEEPiiNS8_4plusIiEEEE10hipError_tPvRmT1_T2_T3_mT4_P12ihipStream_tbEUlT_E0_NS1_11comp_targetILNS1_3genE9ELNS1_11target_archE1100ELNS1_3gpuE3ELNS1_3repE0EEENS1_30default_config_static_selectorELNS0_4arch9wavefront6targetE1EEEvSK_.private_seg_size, 0
	.set _ZN7rocprim17ROCPRIM_400000_NS6detail17trampoline_kernelINS0_14default_configENS1_22reduce_config_selectorIsEEZNS1_11reduce_implILb1ES3_N6thrust23THRUST_200600_302600_NS6detail15normal_iteratorINS8_10device_ptrIsEEEEPiiNS8_4plusIiEEEE10hipError_tPvRmT1_T2_T3_mT4_P12ihipStream_tbEUlT_E0_NS1_11comp_targetILNS1_3genE9ELNS1_11target_archE1100ELNS1_3gpuE3ELNS1_3repE0EEENS1_30default_config_static_selectorELNS0_4arch9wavefront6targetE1EEEvSK_.uses_vcc, 0
	.set _ZN7rocprim17ROCPRIM_400000_NS6detail17trampoline_kernelINS0_14default_configENS1_22reduce_config_selectorIsEEZNS1_11reduce_implILb1ES3_N6thrust23THRUST_200600_302600_NS6detail15normal_iteratorINS8_10device_ptrIsEEEEPiiNS8_4plusIiEEEE10hipError_tPvRmT1_T2_T3_mT4_P12ihipStream_tbEUlT_E0_NS1_11comp_targetILNS1_3genE9ELNS1_11target_archE1100ELNS1_3gpuE3ELNS1_3repE0EEENS1_30default_config_static_selectorELNS0_4arch9wavefront6targetE1EEEvSK_.uses_flat_scratch, 0
	.set _ZN7rocprim17ROCPRIM_400000_NS6detail17trampoline_kernelINS0_14default_configENS1_22reduce_config_selectorIsEEZNS1_11reduce_implILb1ES3_N6thrust23THRUST_200600_302600_NS6detail15normal_iteratorINS8_10device_ptrIsEEEEPiiNS8_4plusIiEEEE10hipError_tPvRmT1_T2_T3_mT4_P12ihipStream_tbEUlT_E0_NS1_11comp_targetILNS1_3genE9ELNS1_11target_archE1100ELNS1_3gpuE3ELNS1_3repE0EEENS1_30default_config_static_selectorELNS0_4arch9wavefront6targetE1EEEvSK_.has_dyn_sized_stack, 0
	.set _ZN7rocprim17ROCPRIM_400000_NS6detail17trampoline_kernelINS0_14default_configENS1_22reduce_config_selectorIsEEZNS1_11reduce_implILb1ES3_N6thrust23THRUST_200600_302600_NS6detail15normal_iteratorINS8_10device_ptrIsEEEEPiiNS8_4plusIiEEEE10hipError_tPvRmT1_T2_T3_mT4_P12ihipStream_tbEUlT_E0_NS1_11comp_targetILNS1_3genE9ELNS1_11target_archE1100ELNS1_3gpuE3ELNS1_3repE0EEENS1_30default_config_static_selectorELNS0_4arch9wavefront6targetE1EEEvSK_.has_recursion, 0
	.set _ZN7rocprim17ROCPRIM_400000_NS6detail17trampoline_kernelINS0_14default_configENS1_22reduce_config_selectorIsEEZNS1_11reduce_implILb1ES3_N6thrust23THRUST_200600_302600_NS6detail15normal_iteratorINS8_10device_ptrIsEEEEPiiNS8_4plusIiEEEE10hipError_tPvRmT1_T2_T3_mT4_P12ihipStream_tbEUlT_E0_NS1_11comp_targetILNS1_3genE9ELNS1_11target_archE1100ELNS1_3gpuE3ELNS1_3repE0EEENS1_30default_config_static_selectorELNS0_4arch9wavefront6targetE1EEEvSK_.has_indirect_call, 0
	.section	.AMDGPU.csdata,"",@progbits
; Kernel info:
; codeLenInByte = 0
; TotalNumSgprs: 6
; NumVgprs: 0
; NumAgprs: 0
; TotalNumVgprs: 0
; ScratchSize: 0
; MemoryBound: 0
; FloatMode: 240
; IeeeMode: 1
; LDSByteSize: 0 bytes/workgroup (compile time only)
; SGPRBlocks: 0
; VGPRBlocks: 0
; NumSGPRsForWavesPerEU: 6
; NumVGPRsForWavesPerEU: 1
; AccumOffset: 4
; Occupancy: 8
; WaveLimiterHint : 0
; COMPUTE_PGM_RSRC2:SCRATCH_EN: 0
; COMPUTE_PGM_RSRC2:USER_SGPR: 2
; COMPUTE_PGM_RSRC2:TRAP_HANDLER: 0
; COMPUTE_PGM_RSRC2:TGID_X_EN: 1
; COMPUTE_PGM_RSRC2:TGID_Y_EN: 0
; COMPUTE_PGM_RSRC2:TGID_Z_EN: 0
; COMPUTE_PGM_RSRC2:TIDIG_COMP_CNT: 0
; COMPUTE_PGM_RSRC3_GFX90A:ACCUM_OFFSET: 0
; COMPUTE_PGM_RSRC3_GFX90A:TG_SPLIT: 0
	.section	.text._ZN7rocprim17ROCPRIM_400000_NS6detail17trampoline_kernelINS0_14default_configENS1_22reduce_config_selectorIsEEZNS1_11reduce_implILb1ES3_N6thrust23THRUST_200600_302600_NS6detail15normal_iteratorINS8_10device_ptrIsEEEEPiiNS8_4plusIiEEEE10hipError_tPvRmT1_T2_T3_mT4_P12ihipStream_tbEUlT_E0_NS1_11comp_targetILNS1_3genE8ELNS1_11target_archE1030ELNS1_3gpuE2ELNS1_3repE0EEENS1_30default_config_static_selectorELNS0_4arch9wavefront6targetE1EEEvSK_,"axG",@progbits,_ZN7rocprim17ROCPRIM_400000_NS6detail17trampoline_kernelINS0_14default_configENS1_22reduce_config_selectorIsEEZNS1_11reduce_implILb1ES3_N6thrust23THRUST_200600_302600_NS6detail15normal_iteratorINS8_10device_ptrIsEEEEPiiNS8_4plusIiEEEE10hipError_tPvRmT1_T2_T3_mT4_P12ihipStream_tbEUlT_E0_NS1_11comp_targetILNS1_3genE8ELNS1_11target_archE1030ELNS1_3gpuE2ELNS1_3repE0EEENS1_30default_config_static_selectorELNS0_4arch9wavefront6targetE1EEEvSK_,comdat
	.protected	_ZN7rocprim17ROCPRIM_400000_NS6detail17trampoline_kernelINS0_14default_configENS1_22reduce_config_selectorIsEEZNS1_11reduce_implILb1ES3_N6thrust23THRUST_200600_302600_NS6detail15normal_iteratorINS8_10device_ptrIsEEEEPiiNS8_4plusIiEEEE10hipError_tPvRmT1_T2_T3_mT4_P12ihipStream_tbEUlT_E0_NS1_11comp_targetILNS1_3genE8ELNS1_11target_archE1030ELNS1_3gpuE2ELNS1_3repE0EEENS1_30default_config_static_selectorELNS0_4arch9wavefront6targetE1EEEvSK_ ; -- Begin function _ZN7rocprim17ROCPRIM_400000_NS6detail17trampoline_kernelINS0_14default_configENS1_22reduce_config_selectorIsEEZNS1_11reduce_implILb1ES3_N6thrust23THRUST_200600_302600_NS6detail15normal_iteratorINS8_10device_ptrIsEEEEPiiNS8_4plusIiEEEE10hipError_tPvRmT1_T2_T3_mT4_P12ihipStream_tbEUlT_E0_NS1_11comp_targetILNS1_3genE8ELNS1_11target_archE1030ELNS1_3gpuE2ELNS1_3repE0EEENS1_30default_config_static_selectorELNS0_4arch9wavefront6targetE1EEEvSK_
	.globl	_ZN7rocprim17ROCPRIM_400000_NS6detail17trampoline_kernelINS0_14default_configENS1_22reduce_config_selectorIsEEZNS1_11reduce_implILb1ES3_N6thrust23THRUST_200600_302600_NS6detail15normal_iteratorINS8_10device_ptrIsEEEEPiiNS8_4plusIiEEEE10hipError_tPvRmT1_T2_T3_mT4_P12ihipStream_tbEUlT_E0_NS1_11comp_targetILNS1_3genE8ELNS1_11target_archE1030ELNS1_3gpuE2ELNS1_3repE0EEENS1_30default_config_static_selectorELNS0_4arch9wavefront6targetE1EEEvSK_
	.p2align	8
	.type	_ZN7rocprim17ROCPRIM_400000_NS6detail17trampoline_kernelINS0_14default_configENS1_22reduce_config_selectorIsEEZNS1_11reduce_implILb1ES3_N6thrust23THRUST_200600_302600_NS6detail15normal_iteratorINS8_10device_ptrIsEEEEPiiNS8_4plusIiEEEE10hipError_tPvRmT1_T2_T3_mT4_P12ihipStream_tbEUlT_E0_NS1_11comp_targetILNS1_3genE8ELNS1_11target_archE1030ELNS1_3gpuE2ELNS1_3repE0EEENS1_30default_config_static_selectorELNS0_4arch9wavefront6targetE1EEEvSK_,@function
_ZN7rocprim17ROCPRIM_400000_NS6detail17trampoline_kernelINS0_14default_configENS1_22reduce_config_selectorIsEEZNS1_11reduce_implILb1ES3_N6thrust23THRUST_200600_302600_NS6detail15normal_iteratorINS8_10device_ptrIsEEEEPiiNS8_4plusIiEEEE10hipError_tPvRmT1_T2_T3_mT4_P12ihipStream_tbEUlT_E0_NS1_11comp_targetILNS1_3genE8ELNS1_11target_archE1030ELNS1_3gpuE2ELNS1_3repE0EEENS1_30default_config_static_selectorELNS0_4arch9wavefront6targetE1EEEvSK_: ; @_ZN7rocprim17ROCPRIM_400000_NS6detail17trampoline_kernelINS0_14default_configENS1_22reduce_config_selectorIsEEZNS1_11reduce_implILb1ES3_N6thrust23THRUST_200600_302600_NS6detail15normal_iteratorINS8_10device_ptrIsEEEEPiiNS8_4plusIiEEEE10hipError_tPvRmT1_T2_T3_mT4_P12ihipStream_tbEUlT_E0_NS1_11comp_targetILNS1_3genE8ELNS1_11target_archE1030ELNS1_3gpuE2ELNS1_3repE0EEENS1_30default_config_static_selectorELNS0_4arch9wavefront6targetE1EEEvSK_
; %bb.0:
	.section	.rodata,"a",@progbits
	.p2align	6, 0x0
	.amdhsa_kernel _ZN7rocprim17ROCPRIM_400000_NS6detail17trampoline_kernelINS0_14default_configENS1_22reduce_config_selectorIsEEZNS1_11reduce_implILb1ES3_N6thrust23THRUST_200600_302600_NS6detail15normal_iteratorINS8_10device_ptrIsEEEEPiiNS8_4plusIiEEEE10hipError_tPvRmT1_T2_T3_mT4_P12ihipStream_tbEUlT_E0_NS1_11comp_targetILNS1_3genE8ELNS1_11target_archE1030ELNS1_3gpuE2ELNS1_3repE0EEENS1_30default_config_static_selectorELNS0_4arch9wavefront6targetE1EEEvSK_
		.amdhsa_group_segment_fixed_size 0
		.amdhsa_private_segment_fixed_size 0
		.amdhsa_kernarg_size 56
		.amdhsa_user_sgpr_count 2
		.amdhsa_user_sgpr_dispatch_ptr 0
		.amdhsa_user_sgpr_queue_ptr 0
		.amdhsa_user_sgpr_kernarg_segment_ptr 1
		.amdhsa_user_sgpr_dispatch_id 0
		.amdhsa_user_sgpr_kernarg_preload_length 0
		.amdhsa_user_sgpr_kernarg_preload_offset 0
		.amdhsa_user_sgpr_private_segment_size 0
		.amdhsa_uses_dynamic_stack 0
		.amdhsa_enable_private_segment 0
		.amdhsa_system_sgpr_workgroup_id_x 1
		.amdhsa_system_sgpr_workgroup_id_y 0
		.amdhsa_system_sgpr_workgroup_id_z 0
		.amdhsa_system_sgpr_workgroup_info 0
		.amdhsa_system_vgpr_workitem_id 0
		.amdhsa_next_free_vgpr 1
		.amdhsa_next_free_sgpr 0
		.amdhsa_accum_offset 4
		.amdhsa_reserve_vcc 0
		.amdhsa_float_round_mode_32 0
		.amdhsa_float_round_mode_16_64 0
		.amdhsa_float_denorm_mode_32 3
		.amdhsa_float_denorm_mode_16_64 3
		.amdhsa_dx10_clamp 1
		.amdhsa_ieee_mode 1
		.amdhsa_fp16_overflow 0
		.amdhsa_tg_split 0
		.amdhsa_exception_fp_ieee_invalid_op 0
		.amdhsa_exception_fp_denorm_src 0
		.amdhsa_exception_fp_ieee_div_zero 0
		.amdhsa_exception_fp_ieee_overflow 0
		.amdhsa_exception_fp_ieee_underflow 0
		.amdhsa_exception_fp_ieee_inexact 0
		.amdhsa_exception_int_div_zero 0
	.end_amdhsa_kernel
	.section	.text._ZN7rocprim17ROCPRIM_400000_NS6detail17trampoline_kernelINS0_14default_configENS1_22reduce_config_selectorIsEEZNS1_11reduce_implILb1ES3_N6thrust23THRUST_200600_302600_NS6detail15normal_iteratorINS8_10device_ptrIsEEEEPiiNS8_4plusIiEEEE10hipError_tPvRmT1_T2_T3_mT4_P12ihipStream_tbEUlT_E0_NS1_11comp_targetILNS1_3genE8ELNS1_11target_archE1030ELNS1_3gpuE2ELNS1_3repE0EEENS1_30default_config_static_selectorELNS0_4arch9wavefront6targetE1EEEvSK_,"axG",@progbits,_ZN7rocprim17ROCPRIM_400000_NS6detail17trampoline_kernelINS0_14default_configENS1_22reduce_config_selectorIsEEZNS1_11reduce_implILb1ES3_N6thrust23THRUST_200600_302600_NS6detail15normal_iteratorINS8_10device_ptrIsEEEEPiiNS8_4plusIiEEEE10hipError_tPvRmT1_T2_T3_mT4_P12ihipStream_tbEUlT_E0_NS1_11comp_targetILNS1_3genE8ELNS1_11target_archE1030ELNS1_3gpuE2ELNS1_3repE0EEENS1_30default_config_static_selectorELNS0_4arch9wavefront6targetE1EEEvSK_,comdat
.Lfunc_end521:
	.size	_ZN7rocprim17ROCPRIM_400000_NS6detail17trampoline_kernelINS0_14default_configENS1_22reduce_config_selectorIsEEZNS1_11reduce_implILb1ES3_N6thrust23THRUST_200600_302600_NS6detail15normal_iteratorINS8_10device_ptrIsEEEEPiiNS8_4plusIiEEEE10hipError_tPvRmT1_T2_T3_mT4_P12ihipStream_tbEUlT_E0_NS1_11comp_targetILNS1_3genE8ELNS1_11target_archE1030ELNS1_3gpuE2ELNS1_3repE0EEENS1_30default_config_static_selectorELNS0_4arch9wavefront6targetE1EEEvSK_, .Lfunc_end521-_ZN7rocprim17ROCPRIM_400000_NS6detail17trampoline_kernelINS0_14default_configENS1_22reduce_config_selectorIsEEZNS1_11reduce_implILb1ES3_N6thrust23THRUST_200600_302600_NS6detail15normal_iteratorINS8_10device_ptrIsEEEEPiiNS8_4plusIiEEEE10hipError_tPvRmT1_T2_T3_mT4_P12ihipStream_tbEUlT_E0_NS1_11comp_targetILNS1_3genE8ELNS1_11target_archE1030ELNS1_3gpuE2ELNS1_3repE0EEENS1_30default_config_static_selectorELNS0_4arch9wavefront6targetE1EEEvSK_
                                        ; -- End function
	.set _ZN7rocprim17ROCPRIM_400000_NS6detail17trampoline_kernelINS0_14default_configENS1_22reduce_config_selectorIsEEZNS1_11reduce_implILb1ES3_N6thrust23THRUST_200600_302600_NS6detail15normal_iteratorINS8_10device_ptrIsEEEEPiiNS8_4plusIiEEEE10hipError_tPvRmT1_T2_T3_mT4_P12ihipStream_tbEUlT_E0_NS1_11comp_targetILNS1_3genE8ELNS1_11target_archE1030ELNS1_3gpuE2ELNS1_3repE0EEENS1_30default_config_static_selectorELNS0_4arch9wavefront6targetE1EEEvSK_.num_vgpr, 0
	.set _ZN7rocprim17ROCPRIM_400000_NS6detail17trampoline_kernelINS0_14default_configENS1_22reduce_config_selectorIsEEZNS1_11reduce_implILb1ES3_N6thrust23THRUST_200600_302600_NS6detail15normal_iteratorINS8_10device_ptrIsEEEEPiiNS8_4plusIiEEEE10hipError_tPvRmT1_T2_T3_mT4_P12ihipStream_tbEUlT_E0_NS1_11comp_targetILNS1_3genE8ELNS1_11target_archE1030ELNS1_3gpuE2ELNS1_3repE0EEENS1_30default_config_static_selectorELNS0_4arch9wavefront6targetE1EEEvSK_.num_agpr, 0
	.set _ZN7rocprim17ROCPRIM_400000_NS6detail17trampoline_kernelINS0_14default_configENS1_22reduce_config_selectorIsEEZNS1_11reduce_implILb1ES3_N6thrust23THRUST_200600_302600_NS6detail15normal_iteratorINS8_10device_ptrIsEEEEPiiNS8_4plusIiEEEE10hipError_tPvRmT1_T2_T3_mT4_P12ihipStream_tbEUlT_E0_NS1_11comp_targetILNS1_3genE8ELNS1_11target_archE1030ELNS1_3gpuE2ELNS1_3repE0EEENS1_30default_config_static_selectorELNS0_4arch9wavefront6targetE1EEEvSK_.numbered_sgpr, 0
	.set _ZN7rocprim17ROCPRIM_400000_NS6detail17trampoline_kernelINS0_14default_configENS1_22reduce_config_selectorIsEEZNS1_11reduce_implILb1ES3_N6thrust23THRUST_200600_302600_NS6detail15normal_iteratorINS8_10device_ptrIsEEEEPiiNS8_4plusIiEEEE10hipError_tPvRmT1_T2_T3_mT4_P12ihipStream_tbEUlT_E0_NS1_11comp_targetILNS1_3genE8ELNS1_11target_archE1030ELNS1_3gpuE2ELNS1_3repE0EEENS1_30default_config_static_selectorELNS0_4arch9wavefront6targetE1EEEvSK_.num_named_barrier, 0
	.set _ZN7rocprim17ROCPRIM_400000_NS6detail17trampoline_kernelINS0_14default_configENS1_22reduce_config_selectorIsEEZNS1_11reduce_implILb1ES3_N6thrust23THRUST_200600_302600_NS6detail15normal_iteratorINS8_10device_ptrIsEEEEPiiNS8_4plusIiEEEE10hipError_tPvRmT1_T2_T3_mT4_P12ihipStream_tbEUlT_E0_NS1_11comp_targetILNS1_3genE8ELNS1_11target_archE1030ELNS1_3gpuE2ELNS1_3repE0EEENS1_30default_config_static_selectorELNS0_4arch9wavefront6targetE1EEEvSK_.private_seg_size, 0
	.set _ZN7rocprim17ROCPRIM_400000_NS6detail17trampoline_kernelINS0_14default_configENS1_22reduce_config_selectorIsEEZNS1_11reduce_implILb1ES3_N6thrust23THRUST_200600_302600_NS6detail15normal_iteratorINS8_10device_ptrIsEEEEPiiNS8_4plusIiEEEE10hipError_tPvRmT1_T2_T3_mT4_P12ihipStream_tbEUlT_E0_NS1_11comp_targetILNS1_3genE8ELNS1_11target_archE1030ELNS1_3gpuE2ELNS1_3repE0EEENS1_30default_config_static_selectorELNS0_4arch9wavefront6targetE1EEEvSK_.uses_vcc, 0
	.set _ZN7rocprim17ROCPRIM_400000_NS6detail17trampoline_kernelINS0_14default_configENS1_22reduce_config_selectorIsEEZNS1_11reduce_implILb1ES3_N6thrust23THRUST_200600_302600_NS6detail15normal_iteratorINS8_10device_ptrIsEEEEPiiNS8_4plusIiEEEE10hipError_tPvRmT1_T2_T3_mT4_P12ihipStream_tbEUlT_E0_NS1_11comp_targetILNS1_3genE8ELNS1_11target_archE1030ELNS1_3gpuE2ELNS1_3repE0EEENS1_30default_config_static_selectorELNS0_4arch9wavefront6targetE1EEEvSK_.uses_flat_scratch, 0
	.set _ZN7rocprim17ROCPRIM_400000_NS6detail17trampoline_kernelINS0_14default_configENS1_22reduce_config_selectorIsEEZNS1_11reduce_implILb1ES3_N6thrust23THRUST_200600_302600_NS6detail15normal_iteratorINS8_10device_ptrIsEEEEPiiNS8_4plusIiEEEE10hipError_tPvRmT1_T2_T3_mT4_P12ihipStream_tbEUlT_E0_NS1_11comp_targetILNS1_3genE8ELNS1_11target_archE1030ELNS1_3gpuE2ELNS1_3repE0EEENS1_30default_config_static_selectorELNS0_4arch9wavefront6targetE1EEEvSK_.has_dyn_sized_stack, 0
	.set _ZN7rocprim17ROCPRIM_400000_NS6detail17trampoline_kernelINS0_14default_configENS1_22reduce_config_selectorIsEEZNS1_11reduce_implILb1ES3_N6thrust23THRUST_200600_302600_NS6detail15normal_iteratorINS8_10device_ptrIsEEEEPiiNS8_4plusIiEEEE10hipError_tPvRmT1_T2_T3_mT4_P12ihipStream_tbEUlT_E0_NS1_11comp_targetILNS1_3genE8ELNS1_11target_archE1030ELNS1_3gpuE2ELNS1_3repE0EEENS1_30default_config_static_selectorELNS0_4arch9wavefront6targetE1EEEvSK_.has_recursion, 0
	.set _ZN7rocprim17ROCPRIM_400000_NS6detail17trampoline_kernelINS0_14default_configENS1_22reduce_config_selectorIsEEZNS1_11reduce_implILb1ES3_N6thrust23THRUST_200600_302600_NS6detail15normal_iteratorINS8_10device_ptrIsEEEEPiiNS8_4plusIiEEEE10hipError_tPvRmT1_T2_T3_mT4_P12ihipStream_tbEUlT_E0_NS1_11comp_targetILNS1_3genE8ELNS1_11target_archE1030ELNS1_3gpuE2ELNS1_3repE0EEENS1_30default_config_static_selectorELNS0_4arch9wavefront6targetE1EEEvSK_.has_indirect_call, 0
	.section	.AMDGPU.csdata,"",@progbits
; Kernel info:
; codeLenInByte = 0
; TotalNumSgprs: 6
; NumVgprs: 0
; NumAgprs: 0
; TotalNumVgprs: 0
; ScratchSize: 0
; MemoryBound: 0
; FloatMode: 240
; IeeeMode: 1
; LDSByteSize: 0 bytes/workgroup (compile time only)
; SGPRBlocks: 0
; VGPRBlocks: 0
; NumSGPRsForWavesPerEU: 6
; NumVGPRsForWavesPerEU: 1
; AccumOffset: 4
; Occupancy: 8
; WaveLimiterHint : 0
; COMPUTE_PGM_RSRC2:SCRATCH_EN: 0
; COMPUTE_PGM_RSRC2:USER_SGPR: 2
; COMPUTE_PGM_RSRC2:TRAP_HANDLER: 0
; COMPUTE_PGM_RSRC2:TGID_X_EN: 1
; COMPUTE_PGM_RSRC2:TGID_Y_EN: 0
; COMPUTE_PGM_RSRC2:TGID_Z_EN: 0
; COMPUTE_PGM_RSRC2:TIDIG_COMP_CNT: 0
; COMPUTE_PGM_RSRC3_GFX90A:ACCUM_OFFSET: 0
; COMPUTE_PGM_RSRC3_GFX90A:TG_SPLIT: 0
	.section	.text._ZN7rocprim17ROCPRIM_400000_NS6detail17trampoline_kernelINS0_14default_configENS1_22reduce_config_selectorIsEEZNS1_11reduce_implILb1ES3_N6thrust23THRUST_200600_302600_NS6detail15normal_iteratorINS8_10device_ptrIsEEEEPiiNS8_4plusIiEEEE10hipError_tPvRmT1_T2_T3_mT4_P12ihipStream_tbEUlT_E1_NS1_11comp_targetILNS1_3genE0ELNS1_11target_archE4294967295ELNS1_3gpuE0ELNS1_3repE0EEENS1_30default_config_static_selectorELNS0_4arch9wavefront6targetE1EEEvSK_,"axG",@progbits,_ZN7rocprim17ROCPRIM_400000_NS6detail17trampoline_kernelINS0_14default_configENS1_22reduce_config_selectorIsEEZNS1_11reduce_implILb1ES3_N6thrust23THRUST_200600_302600_NS6detail15normal_iteratorINS8_10device_ptrIsEEEEPiiNS8_4plusIiEEEE10hipError_tPvRmT1_T2_T3_mT4_P12ihipStream_tbEUlT_E1_NS1_11comp_targetILNS1_3genE0ELNS1_11target_archE4294967295ELNS1_3gpuE0ELNS1_3repE0EEENS1_30default_config_static_selectorELNS0_4arch9wavefront6targetE1EEEvSK_,comdat
	.protected	_ZN7rocprim17ROCPRIM_400000_NS6detail17trampoline_kernelINS0_14default_configENS1_22reduce_config_selectorIsEEZNS1_11reduce_implILb1ES3_N6thrust23THRUST_200600_302600_NS6detail15normal_iteratorINS8_10device_ptrIsEEEEPiiNS8_4plusIiEEEE10hipError_tPvRmT1_T2_T3_mT4_P12ihipStream_tbEUlT_E1_NS1_11comp_targetILNS1_3genE0ELNS1_11target_archE4294967295ELNS1_3gpuE0ELNS1_3repE0EEENS1_30default_config_static_selectorELNS0_4arch9wavefront6targetE1EEEvSK_ ; -- Begin function _ZN7rocprim17ROCPRIM_400000_NS6detail17trampoline_kernelINS0_14default_configENS1_22reduce_config_selectorIsEEZNS1_11reduce_implILb1ES3_N6thrust23THRUST_200600_302600_NS6detail15normal_iteratorINS8_10device_ptrIsEEEEPiiNS8_4plusIiEEEE10hipError_tPvRmT1_T2_T3_mT4_P12ihipStream_tbEUlT_E1_NS1_11comp_targetILNS1_3genE0ELNS1_11target_archE4294967295ELNS1_3gpuE0ELNS1_3repE0EEENS1_30default_config_static_selectorELNS0_4arch9wavefront6targetE1EEEvSK_
	.globl	_ZN7rocprim17ROCPRIM_400000_NS6detail17trampoline_kernelINS0_14default_configENS1_22reduce_config_selectorIsEEZNS1_11reduce_implILb1ES3_N6thrust23THRUST_200600_302600_NS6detail15normal_iteratorINS8_10device_ptrIsEEEEPiiNS8_4plusIiEEEE10hipError_tPvRmT1_T2_T3_mT4_P12ihipStream_tbEUlT_E1_NS1_11comp_targetILNS1_3genE0ELNS1_11target_archE4294967295ELNS1_3gpuE0ELNS1_3repE0EEENS1_30default_config_static_selectorELNS0_4arch9wavefront6targetE1EEEvSK_
	.p2align	8
	.type	_ZN7rocprim17ROCPRIM_400000_NS6detail17trampoline_kernelINS0_14default_configENS1_22reduce_config_selectorIsEEZNS1_11reduce_implILb1ES3_N6thrust23THRUST_200600_302600_NS6detail15normal_iteratorINS8_10device_ptrIsEEEEPiiNS8_4plusIiEEEE10hipError_tPvRmT1_T2_T3_mT4_P12ihipStream_tbEUlT_E1_NS1_11comp_targetILNS1_3genE0ELNS1_11target_archE4294967295ELNS1_3gpuE0ELNS1_3repE0EEENS1_30default_config_static_selectorELNS0_4arch9wavefront6targetE1EEEvSK_,@function
_ZN7rocprim17ROCPRIM_400000_NS6detail17trampoline_kernelINS0_14default_configENS1_22reduce_config_selectorIsEEZNS1_11reduce_implILb1ES3_N6thrust23THRUST_200600_302600_NS6detail15normal_iteratorINS8_10device_ptrIsEEEEPiiNS8_4plusIiEEEE10hipError_tPvRmT1_T2_T3_mT4_P12ihipStream_tbEUlT_E1_NS1_11comp_targetILNS1_3genE0ELNS1_11target_archE4294967295ELNS1_3gpuE0ELNS1_3repE0EEENS1_30default_config_static_selectorELNS0_4arch9wavefront6targetE1EEEvSK_: ; @_ZN7rocprim17ROCPRIM_400000_NS6detail17trampoline_kernelINS0_14default_configENS1_22reduce_config_selectorIsEEZNS1_11reduce_implILb1ES3_N6thrust23THRUST_200600_302600_NS6detail15normal_iteratorINS8_10device_ptrIsEEEEPiiNS8_4plusIiEEEE10hipError_tPvRmT1_T2_T3_mT4_P12ihipStream_tbEUlT_E1_NS1_11comp_targetILNS1_3genE0ELNS1_11target_archE4294967295ELNS1_3gpuE0ELNS1_3repE0EEENS1_30default_config_static_selectorELNS0_4arch9wavefront6targetE1EEEvSK_
; %bb.0:
	s_load_dword s33, s[0:1], 0x4
	s_load_dwordx4 s[68:71], s[0:1], 0x8
	s_waitcnt lgkmcnt(0)
	s_cmp_lt_i32 s33, 8
	s_cbranch_scc1 .LBB522_12
; %bb.1:
	s_cmp_gt_i32 s33, 31
	s_cbranch_scc0 .LBB522_13
; %bb.2:
	s_cmp_gt_i32 s33, 63
	s_cbranch_scc0 .LBB522_22
; %bb.3:
	s_cmp_eq_u32 s33, 64
	s_mov_b64 s[4:5], 0
	s_cbranch_scc0 .LBB522_23
; %bb.4:
	s_mov_b32 s3, 0
	s_lshl_b32 s8, s2, 13
	s_mov_b32 s9, s3
	s_lshr_b64 s[10:11], s[70:71], 13
	s_lshl_b64 s[6:7], s[8:9], 1
	s_add_u32 s6, s68, s6
	s_addc_u32 s7, s69, s7
	s_cmp_lg_u64 s[10:11], s[2:3]
	s_cbranch_scc0 .LBB522_34
; %bb.5:
	v_lshlrev_b32_e32 v2, 1, v0
	global_load_sshort v1, v2, s[6:7]
	global_load_sshort v10, v2, s[6:7] offset:256
	global_load_sshort v11, v2, s[6:7] offset:512
	global_load_sshort v12, v2, s[6:7] offset:768
	global_load_sshort v13, v2, s[6:7] offset:1024
	global_load_sshort v14, v2, s[6:7] offset:1280
	global_load_sshort v15, v2, s[6:7] offset:1536
	global_load_sshort v16, v2, s[6:7] offset:1792
	global_load_sshort v17, v2, s[6:7] offset:2048
	v_mov_b32_e32 v3, 0
	v_lshl_add_u64 v[4:5], s[6:7], 0, v[2:3]
	s_movk_i32 s9, 0x1000
	v_add_co_u32_e32 v6, vcc, s9, v4
	s_movk_i32 s9, 0x2000
	s_nop 0
	v_addc_co_u32_e32 v7, vcc, 0, v5, vcc
	v_add_co_u32_e32 v8, vcc, s9, v4
	s_movk_i32 s9, 0x3000
	s_nop 0
	v_addc_co_u32_e32 v9, vcc, 0, v5, vcc
	global_load_sshort v18, v2, s[6:7] offset:2304
	global_load_sshort v19, v2, s[6:7] offset:2560
	;; [unrolled: 1-line block ×7, first 2 shown]
	global_load_sshort v25, v[8:9], off offset:-4096
	global_load_sshort v26, v[6:7], off offset:256
	global_load_sshort v27, v[6:7], off offset:512
	global_load_sshort v28, v[6:7], off offset:768
	global_load_sshort v29, v[6:7], off offset:1024
	global_load_sshort v30, v[6:7], off offset:1280
	global_load_sshort v31, v[6:7], off offset:1536
	global_load_sshort v32, v[6:7], off offset:1792
                                        ; kill: killed $vgpr2
	global_load_sshort v33, v[6:7], off offset:2048
	global_load_sshort v34, v[8:9], off
	global_load_sshort v35, v[8:9], off offset:256
	global_load_sshort v36, v[8:9], off offset:512
	;; [unrolled: 1-line block ×15, first 2 shown]
	v_add_co_u32_e32 v2, vcc, s9, v4
	s_waitcnt vmcnt(39)
	v_add_u32_e32 v1, v10, v1
	v_addc_co_u32_e32 v3, vcc, 0, v5, vcc
	global_load_sshort v4, v[6:7], off offset:2304
	global_load_sshort v5, v[6:7], off offset:2560
	;; [unrolled: 1-line block ×7, first 2 shown]
	global_load_sshort v53, v[2:3], off
	global_load_sshort v54, v[2:3], off offset:256
	global_load_sshort v55, v[2:3], off offset:512
	;; [unrolled: 1-line block ×7, first 2 shown]
                                        ; kill: killed $vgpr6 killed $vgpr7
	global_load_sshort v6, v[2:3], off offset:2048
	global_load_sshort v7, v[2:3], off offset:2304
	;; [unrolled: 1-line block ×8, first 2 shown]
	s_waitcnt vmcnt(60)
	v_add3_u32 v1, v1, v11, v12
	s_waitcnt vmcnt(58)
	v_add3_u32 v1, v1, v13, v14
	;; [unrolled: 2-line block ×11, first 2 shown]
	v_mbcnt_lo_u32_b32 v2, -1, 0
	v_mbcnt_hi_u32_b32 v2, -1, v2
	v_lshlrev_b32_e32 v3, 2, v2
	v_cmp_eq_u32_e32 vcc, 0, v2
	s_waitcnt vmcnt(22)
	v_add3_u32 v1, v1, v33, v4
	v_or_b32_e32 v4, 0xfc, v3
	s_waitcnt vmcnt(20)
	v_add3_u32 v1, v1, v5, v8
	s_waitcnt vmcnt(18)
	v_add3_u32 v1, v1, v9, v50
	;; [unrolled: 2-line block ×3, first 2 shown]
	v_add3_u32 v1, v1, v34, v35
	v_add3_u32 v1, v1, v36, v37
	;; [unrolled: 1-line block ×8, first 2 shown]
	s_waitcnt vmcnt(14)
	v_add3_u32 v1, v1, v53, v54
	s_waitcnt vmcnt(12)
	v_add3_u32 v1, v1, v55, v56
	;; [unrolled: 2-line block ×8, first 2 shown]
	s_nop 1
	v_add_u32_dpp v1, v1, v1 quad_perm:[1,0,3,2] row_mask:0xf bank_mask:0xf bound_ctrl:1
	s_nop 1
	v_add_u32_dpp v1, v1, v1 quad_perm:[2,3,0,1] row_mask:0xf bank_mask:0xf bound_ctrl:1
	s_nop 1
	v_add_u32_dpp v1, v1, v1 row_ror:4 row_mask:0xf bank_mask:0xf bound_ctrl:1
	s_nop 1
	v_add_u32_dpp v1, v1, v1 row_ror:8 row_mask:0xf bank_mask:0xf bound_ctrl:1
	s_nop 1
	v_add_u32_dpp v1, v1, v1 row_bcast:15 row_mask:0xf bank_mask:0xf bound_ctrl:1
	s_nop 1
	v_add_u32_dpp v1, v1, v1 row_bcast:31 row_mask:0xf bank_mask:0xf bound_ctrl:1
	ds_bpermute_b32 v1, v4, v1
	s_and_saveexec_b64 s[10:11], vcc
	s_cbranch_execz .LBB522_7
; %bb.6:
	v_lshrrev_b32_e32 v4, 4, v0
	v_and_b32_e32 v4, 4, v4
	s_waitcnt lgkmcnt(0)
	ds_write_b32 v4, v1 offset:40
.LBB522_7:
	s_or_b64 exec, exec, s[10:11]
	v_cmp_gt_u32_e32 vcc, 64, v0
	s_waitcnt lgkmcnt(0)
	s_barrier
	s_and_saveexec_b64 s[10:11], vcc
	s_cbranch_execz .LBB522_9
; %bb.8:
	v_and_b32_e32 v1, 1, v2
	v_lshlrev_b32_e32 v1, 2, v1
	ds_read_b32 v1, v1 offset:40
	v_or_b32_e32 v2, 4, v3
	s_waitcnt lgkmcnt(0)
	ds_bpermute_b32 v2, v2, v1
	s_waitcnt lgkmcnt(0)
	v_add_u32_e32 v1, v2, v1
.LBB522_9:
	s_or_b64 exec, exec, s[10:11]
.LBB522_10:
	v_cmp_eq_u32_e64 s[6:7], 0, v0
	s_and_b64 vcc, exec, s[4:5]
	s_cbranch_vccnz .LBB522_24
.LBB522_11:
	s_branch .LBB522_288
.LBB522_12:
	s_mov_b64 s[6:7], 0
                                        ; implicit-def: $vgpr1
	s_cbranch_execz .LBB522_371
	s_branch .LBB522_289
.LBB522_13:
	s_mov_b64 s[6:7], 0
                                        ; implicit-def: $vgpr1
	s_cbranch_execz .LBB522_288
; %bb.14:
	s_cmp_gt_i32 s33, 15
	s_cbranch_scc0 .LBB522_31
; %bb.15:
	s_cmp_eq_u32 s33, 16
	s_cbranch_scc0 .LBB522_32
; %bb.16:
	s_mov_b32 s3, 0
	s_lshl_b32 s4, s2, 11
	s_mov_b32 s5, s3
	s_lshr_b64 s[6:7], s[70:71], 11
	s_lshl_b64 s[8:9], s[4:5], 1
	s_add_u32 s34, s68, s8
	s_addc_u32 s35, s69, s9
	s_cmp_lg_u64 s[6:7], s[2:3]
	s_cbranch_scc0 .LBB522_168
; %bb.17:
	v_lshlrev_b32_e32 v1, 1, v0
	global_load_sshort v4, v1, s[34:35]
	global_load_sshort v5, v1, s[34:35] offset:256
	global_load_sshort v6, v1, s[34:35] offset:512
	;; [unrolled: 1-line block ×14, first 2 shown]
	s_nop 0
	global_load_sshort v1, v1, s[34:35] offset:3840
	v_mbcnt_lo_u32_b32 v2, -1, 0
	v_mbcnt_hi_u32_b32 v2, -1, v2
	v_lshlrev_b32_e32 v3, 2, v2
	v_cmp_eq_u32_e32 vcc, 0, v2
	s_waitcnt vmcnt(14)
	v_add_u32_e32 v4, v5, v4
	s_waitcnt vmcnt(12)
	v_add3_u32 v4, v4, v6, v7
	s_waitcnt vmcnt(10)
	v_add3_u32 v4, v4, v8, v9
	;; [unrolled: 2-line block ×7, first 2 shown]
	v_or_b32_e32 v4, 0xfc, v3
	s_nop 0
	v_add_u32_dpp v1, v1, v1 quad_perm:[1,0,3,2] row_mask:0xf bank_mask:0xf bound_ctrl:1
	s_nop 1
	v_add_u32_dpp v1, v1, v1 quad_perm:[2,3,0,1] row_mask:0xf bank_mask:0xf bound_ctrl:1
	s_nop 1
	v_add_u32_dpp v1, v1, v1 row_ror:4 row_mask:0xf bank_mask:0xf bound_ctrl:1
	s_nop 1
	v_add_u32_dpp v1, v1, v1 row_ror:8 row_mask:0xf bank_mask:0xf bound_ctrl:1
	s_nop 1
	v_add_u32_dpp v1, v1, v1 row_bcast:15 row_mask:0xf bank_mask:0xf bound_ctrl:1
	s_nop 1
	v_add_u32_dpp v1, v1, v1 row_bcast:31 row_mask:0xf bank_mask:0xf bound_ctrl:1
	ds_bpermute_b32 v1, v4, v1
	s_and_saveexec_b64 s[6:7], vcc
	s_cbranch_execz .LBB522_19
; %bb.18:
	v_lshrrev_b32_e32 v4, 4, v0
	v_and_b32_e32 v4, 4, v4
	s_waitcnt lgkmcnt(0)
	ds_write_b32 v4, v1
.LBB522_19:
	s_or_b64 exec, exec, s[6:7]
	v_cmp_gt_u32_e32 vcc, 64, v0
	s_waitcnt lgkmcnt(0)
	s_barrier
	s_and_saveexec_b64 s[6:7], vcc
	s_cbranch_execz .LBB522_21
; %bb.20:
	v_and_b32_e32 v1, 1, v2
	v_lshlrev_b32_e32 v1, 2, v1
	ds_read_b32 v1, v1
	v_or_b32_e32 v2, 4, v3
	s_waitcnt lgkmcnt(0)
	ds_bpermute_b32 v2, v2, v1
	s_waitcnt lgkmcnt(0)
	v_add_u32_e32 v1, v2, v1
.LBB522_21:
	s_or_b64 exec, exec, s[6:7]
	s_mov_b64 s[6:7], 0
	s_branch .LBB522_169
.LBB522_22:
	s_mov_b64 s[4:5], -1
.LBB522_23:
	s_mov_b64 s[6:7], 0
                                        ; implicit-def: $vgpr1
	s_and_b64 vcc, exec, s[4:5]
	s_cbranch_vccz .LBB522_11
.LBB522_24:
	s_cmp_eq_u32 s33, 32
	s_cbranch_scc0 .LBB522_33
; %bb.25:
	s_mov_b32 s3, 0
	s_lshl_b32 s4, s2, 12
	s_mov_b32 s5, s3
	s_lshr_b64 s[6:7], s[70:71], 12
	s_lshl_b64 s[8:9], s[4:5], 1
	s_add_u32 s66, s68, s8
	s_addc_u32 s67, s69, s9
	s_cmp_lg_u64 s[6:7], s[2:3]
	s_cbranch_scc0 .LBB522_216
; %bb.26:
	v_lshlrev_b32_e32 v2, 1, v0
	global_load_sshort v1, v2, s[66:67]
	global_load_sshort v6, v2, s[66:67] offset:256
	global_load_sshort v7, v2, s[66:67] offset:512
	;; [unrolled: 1-line block ×15, first 2 shown]
	v_mov_b32_e32 v3, 0
	v_lshl_add_u64 v[4:5], s[66:67], 0, v[2:3]
	s_movk_i32 s5, 0x1000
	v_add_co_u32_e32 v2, vcc, s5, v4
	s_waitcnt vmcnt(14)
	v_add_u32_e32 v1, v6, v1
	v_addc_co_u32_e32 v3, vcc, 0, v5, vcc
	global_load_sshort v4, v[2:3], off
	global_load_sshort v5, v[2:3], off offset:256
	global_load_sshort v21, v[2:3], off offset:512
	;; [unrolled: 1-line block ×15, first 2 shown]
	s_waitcnt vmcnt(28)
	v_add3_u32 v1, v1, v7, v8
	s_waitcnt vmcnt(26)
	v_add3_u32 v1, v1, v9, v10
	;; [unrolled: 2-line block ×3, first 2 shown]
	v_mbcnt_lo_u32_b32 v2, -1, 0
	s_waitcnt vmcnt(22)
	v_add3_u32 v1, v1, v13, v14
	v_mbcnt_hi_u32_b32 v2, -1, v2
	s_waitcnt vmcnt(20)
	v_add3_u32 v1, v1, v15, v16
	v_lshlrev_b32_e32 v3, 2, v2
	s_waitcnt vmcnt(18)
	v_add3_u32 v1, v1, v17, v18
	v_cmp_eq_u32_e32 vcc, 0, v2
	s_waitcnt vmcnt(16)
	v_add3_u32 v1, v1, v19, v20
	s_waitcnt vmcnt(14)
	v_add3_u32 v1, v1, v4, v5
	v_or_b32_e32 v4, 0xfc, v3
	s_waitcnt vmcnt(12)
	v_add3_u32 v1, v1, v21, v22
	s_waitcnt vmcnt(10)
	v_add3_u32 v1, v1, v23, v24
	;; [unrolled: 2-line block ×7, first 2 shown]
	s_nop 1
	v_add_u32_dpp v1, v1, v1 quad_perm:[1,0,3,2] row_mask:0xf bank_mask:0xf bound_ctrl:1
	s_nop 1
	v_add_u32_dpp v1, v1, v1 quad_perm:[2,3,0,1] row_mask:0xf bank_mask:0xf bound_ctrl:1
	s_nop 1
	v_add_u32_dpp v1, v1, v1 row_ror:4 row_mask:0xf bank_mask:0xf bound_ctrl:1
	s_nop 1
	v_add_u32_dpp v1, v1, v1 row_ror:8 row_mask:0xf bank_mask:0xf bound_ctrl:1
	s_nop 1
	v_add_u32_dpp v1, v1, v1 row_bcast:15 row_mask:0xf bank_mask:0xf bound_ctrl:1
	s_nop 1
	v_add_u32_dpp v1, v1, v1 row_bcast:31 row_mask:0xf bank_mask:0xf bound_ctrl:1
	ds_bpermute_b32 v1, v4, v1
	s_and_saveexec_b64 s[6:7], vcc
	s_cbranch_execz .LBB522_28
; %bb.27:
	v_lshrrev_b32_e32 v4, 4, v0
	v_and_b32_e32 v4, 4, v4
	s_waitcnt lgkmcnt(0)
	ds_write_b32 v4, v1 offset:24
.LBB522_28:
	s_or_b64 exec, exec, s[6:7]
	v_cmp_gt_u32_e32 vcc, 64, v0
	s_waitcnt lgkmcnt(0)
	s_barrier
	s_and_saveexec_b64 s[6:7], vcc
	s_cbranch_execz .LBB522_30
; %bb.29:
	v_and_b32_e32 v1, 1, v2
	v_lshlrev_b32_e32 v1, 2, v1
	ds_read_b32 v1, v1 offset:24
	v_or_b32_e32 v2, 4, v3
	s_waitcnt lgkmcnt(0)
	ds_bpermute_b32 v2, v2, v1
	s_waitcnt lgkmcnt(0)
	v_add_u32_e32 v1, v2, v1
.LBB522_30:
	s_or_b64 exec, exec, s[6:7]
	s_mov_b64 s[6:7], 0
	s_branch .LBB522_217
.LBB522_31:
                                        ; implicit-def: $vgpr1
	s_cbranch_execz .LBB522_288
	s_branch .LBB522_208
.LBB522_32:
                                        ; implicit-def: $vgpr1
	s_branch .LBB522_288
.LBB522_33:
                                        ; implicit-def: $vgpr1
	s_branch .LBB522_288
.LBB522_34:
                                        ; implicit-def: $vgpr1
	s_cbranch_execz .LBB522_10
; %bb.35:
	s_sub_i32 s10, s70, s8
	v_cmp_gt_u32_e32 vcc, s10, v0
                                        ; implicit-def: $vgpr1
	s_and_saveexec_b64 s[8:9], vcc
	s_cbranch_execz .LBB522_37
; %bb.36:
	v_lshlrev_b32_e32 v1, 1, v0
	global_load_sshort v1, v1, s[6:7]
.LBB522_37:
	s_or_b64 exec, exec, s[8:9]
	v_or_b32_e32 v2, 0x80, v0
	v_cmp_gt_u32_e32 vcc, s10, v2
	v_mov_b32_e32 v2, 0
	v_mov_b32_e32 v3, 0
	s_and_saveexec_b64 s[8:9], vcc
	s_cbranch_execz .LBB522_39
; %bb.38:
	v_lshlrev_b32_e32 v3, 1, v0
	global_load_sshort v3, v3, s[6:7] offset:256
.LBB522_39:
	s_or_b64 exec, exec, s[8:9]
	v_or_b32_e32 v4, 0x100, v0
	v_cmp_gt_u32_e32 vcc, s10, v4
	s_and_saveexec_b64 s[8:9], vcc
	s_cbranch_execz .LBB522_41
; %bb.40:
	v_lshlrev_b32_e32 v2, 1, v0
	global_load_sshort v2, v2, s[6:7] offset:512
.LBB522_41:
	s_or_b64 exec, exec, s[8:9]
	v_or_b32_e32 v4, 0x180, v0
	v_cmp_gt_u32_e32 vcc, s10, v4
	v_mov_b32_e32 v4, 0
	v_mov_b32_e32 v5, 0
	s_and_saveexec_b64 s[8:9], vcc
	s_cbranch_execz .LBB522_43
; %bb.42:
	v_lshlrev_b32_e32 v5, 1, v0
	global_load_sshort v5, v5, s[6:7] offset:768
.LBB522_43:
	s_or_b64 exec, exec, s[8:9]
	v_or_b32_e32 v6, 0x200, v0
	v_cmp_gt_u32_e32 vcc, s10, v6
	s_and_saveexec_b64 s[8:9], vcc
	s_cbranch_execz .LBB522_45
; %bb.44:
	v_lshlrev_b32_e32 v4, 1, v0
	global_load_sshort v4, v4, s[6:7] offset:1024
.LBB522_45:
	;; [unrolled: 20-line block ×7, first 2 shown]
	s_or_b64 exec, exec, s[8:9]
	v_or_b32_e32 v16, 0x780, v0
	v_cmp_gt_u32_e32 vcc, s10, v16
	v_mov_b32_e32 v16, 0
	v_mov_b32_e32 v17, 0
	s_and_saveexec_b64 s[8:9], vcc
	s_cbranch_execz .LBB522_67
; %bb.66:
	v_lshlrev_b32_e32 v17, 1, v0
	global_load_sshort v17, v17, s[6:7] offset:3840
.LBB522_67:
	s_or_b64 exec, exec, s[8:9]
	v_or_b32_e32 v18, 0x800, v0
	v_cmp_gt_u32_e32 vcc, s10, v18
	s_and_saveexec_b64 s[8:9], vcc
	s_cbranch_execz .LBB522_69
; %bb.68:
	v_lshlrev_b32_e32 v16, 1, v18
	global_load_sshort v16, v16, s[6:7]
.LBB522_69:
	s_or_b64 exec, exec, s[8:9]
	v_or_b32_e32 v20, 0x880, v0
	v_cmp_gt_u32_e32 vcc, s10, v20
	v_mov_b32_e32 v18, 0
	v_mov_b32_e32 v19, 0
	s_and_saveexec_b64 s[8:9], vcc
	s_cbranch_execz .LBB522_71
; %bb.70:
	v_lshlrev_b32_e32 v19, 1, v20
	global_load_sshort v19, v19, s[6:7]
.LBB522_71:
	s_or_b64 exec, exec, s[8:9]
	v_or_b32_e32 v20, 0x900, v0
	v_cmp_gt_u32_e32 vcc, s10, v20
	s_and_saveexec_b64 s[8:9], vcc
	s_cbranch_execz .LBB522_73
; %bb.72:
	v_lshlrev_b32_e32 v18, 1, v20
	global_load_sshort v18, v18, s[6:7]
.LBB522_73:
	s_or_b64 exec, exec, s[8:9]
	v_or_b32_e32 v22, 0x980, v0
	v_cmp_gt_u32_e32 vcc, s10, v22
	v_mov_b32_e32 v20, 0
	v_mov_b32_e32 v21, 0
	s_and_saveexec_b64 s[8:9], vcc
	s_cbranch_execz .LBB522_75
; %bb.74:
	v_lshlrev_b32_e32 v21, 1, v22
	global_load_sshort v21, v21, s[6:7]
.LBB522_75:
	;; [unrolled: 20-line block ×23, first 2 shown]
	s_or_b64 exec, exec, s[8:9]
	v_or_b32_e32 v64, 0x1f00, v0
	v_cmp_gt_u32_e32 vcc, s10, v64
	s_and_saveexec_b64 s[8:9], vcc
	s_cbranch_execz .LBB522_161
; %bb.160:
	v_lshlrev_b32_e32 v62, 1, v64
	global_load_sshort v62, v62, s[6:7]
.LBB522_161:
	s_or_b64 exec, exec, s[8:9]
	v_or_b32_e32 v65, 0x1f80, v0
	v_cmp_gt_u32_e32 vcc, s10, v65
	v_mov_b32_e32 v64, 0
	s_and_saveexec_b64 s[8:9], vcc
	s_cbranch_execz .LBB522_163
; %bb.162:
	v_lshlrev_b32_e32 v64, 1, v65
	global_load_sshort v64, v64, s[6:7]
.LBB522_163:
	s_or_b64 exec, exec, s[8:9]
	s_waitcnt vmcnt(0)
	v_add_u32_e32 v1, v3, v1
	v_add3_u32 v1, v1, v2, v5
	v_add3_u32 v1, v1, v4, v7
	;; [unrolled: 1-line block ×26, first 2 shown]
	v_mbcnt_lo_u32_b32 v2, -1, 0
	v_add3_u32 v1, v1, v54, v57
	v_mbcnt_hi_u32_b32 v2, -1, v2
	v_add3_u32 v1, v1, v56, v59
	v_and_b32_e32 v4, 63, v2
	v_add3_u32 v1, v1, v58, v61
	v_cmp_ne_u32_e32 vcc, 63, v4
	v_add3_u32 v1, v1, v60, v63
	v_add3_u32 v1, v1, v62, v64
	v_addc_co_u32_e32 v3, vcc, 0, v2, vcc
	v_lshlrev_b32_e32 v3, 2, v3
	ds_bpermute_b32 v3, v3, v1
	s_min_u32 s8, s10, 0x80
	v_and_b32_e32 v5, 64, v0
	v_sub_u32_e64 v5, s8, v5 clamp
	v_add_u32_e32 v6, 1, v4
	v_cmp_lt_u32_e32 vcc, v6, v5
	v_add_u32_e32 v6, 2, v4
	s_waitcnt lgkmcnt(0)
	v_cndmask_b32_e32 v3, 0, v3, vcc
	v_cmp_gt_u32_e32 vcc, 62, v4
	v_add_u32_e32 v1, v3, v1
	s_nop 0
	v_cndmask_b32_e64 v3, 0, 2, vcc
	v_add_lshl_u32 v3, v3, v2, 2
	ds_bpermute_b32 v3, v3, v1
	v_cmp_lt_u32_e32 vcc, v6, v5
	v_add_u32_e32 v6, 4, v4
	s_waitcnt lgkmcnt(0)
	v_cndmask_b32_e32 v3, 0, v3, vcc
	v_cmp_gt_u32_e32 vcc, 60, v4
	v_add_u32_e32 v1, v1, v3
	s_nop 0
	v_cndmask_b32_e64 v3, 0, 4, vcc
	v_add_lshl_u32 v3, v3, v2, 2
	ds_bpermute_b32 v3, v3, v1
	;; [unrolled: 10-line block ×3, first 2 shown]
	v_cmp_lt_u32_e32 vcc, v6, v5
	v_add_u32_e32 v6, 16, v4
	s_waitcnt lgkmcnt(0)
	v_cndmask_b32_e32 v3, 0, v3, vcc
	v_cmp_gt_u32_e32 vcc, 48, v4
	v_add_u32_e32 v1, v1, v3
	v_add_u32_e32 v4, 32, v4
	v_cndmask_b32_e64 v3, 0, 16, vcc
	v_add_lshl_u32 v3, v3, v2, 2
	ds_bpermute_b32 v3, v3, v1
	v_cmp_lt_u32_e32 vcc, v6, v5
	s_waitcnt lgkmcnt(0)
	s_nop 0
	v_cndmask_b32_e32 v3, 0, v3, vcc
	v_add_u32_e32 v1, v1, v3
	v_lshlrev_b32_e32 v3, 2, v2
	v_or_b32_e32 v6, 0x80, v3
	ds_bpermute_b32 v6, v6, v1
	v_cmp_lt_u32_e32 vcc, v4, v5
	s_waitcnt lgkmcnt(0)
	s_nop 0
	v_cndmask_b32_e32 v4, 0, v6, vcc
	v_add_u32_e32 v1, v1, v4
	v_cmp_eq_u32_e32 vcc, 0, v2
	s_and_saveexec_b64 s[6:7], vcc
; %bb.164:
	v_lshrrev_b32_e32 v4, 4, v0
	v_and_b32_e32 v4, 4, v4
	ds_write_b32 v4, v1 offset:56
; %bb.165:
	s_or_b64 exec, exec, s[6:7]
	v_cmp_gt_u32_e32 vcc, 2, v0
	s_waitcnt lgkmcnt(0)
	s_barrier
	s_and_saveexec_b64 s[6:7], vcc
	s_cbranch_execz .LBB522_167
; %bb.166:
	ds_read_b32 v1, v3 offset:56
	v_or_b32_e32 v3, 4, v3
	v_and_b32_e32 v2, 1, v2
	s_add_i32 s8, s8, 63
	v_add_u32_e32 v2, 1, v2
	s_waitcnt lgkmcnt(0)
	ds_bpermute_b32 v3, v3, v1
	s_lshr_b32 s8, s8, 6
	v_cmp_gt_u32_e32 vcc, s8, v2
	s_waitcnt lgkmcnt(0)
	s_nop 0
	v_cndmask_b32_e32 v2, 0, v3, vcc
	v_add_u32_e32 v1, v2, v1
.LBB522_167:
	s_or_b64 exec, exec, s[6:7]
	v_cmp_eq_u32_e64 s[6:7], 0, v0
	s_and_b64 vcc, exec, s[4:5]
	s_cbranch_vccnz .LBB522_24
	s_branch .LBB522_11
.LBB522_168:
	s_mov_b64 s[6:7], -1
                                        ; implicit-def: $vgpr1
.LBB522_169:
	s_and_b64 vcc, exec, s[6:7]
	s_cbranch_vccz .LBB522_207
; %bb.170:
	s_sub_i32 s38, s70, s4
	v_mov_b32_e32 v2, 0
	v_cmp_gt_u32_e32 vcc, s38, v0
	v_mov_b32_e32 v3, v2
	v_mov_b32_e32 v4, v2
	;; [unrolled: 1-line block ×15, first 2 shown]
	s_and_saveexec_b64 s[4:5], vcc
	s_cbranch_execz .LBB522_172
; %bb.171:
	v_lshlrev_b32_e32 v1, 1, v0
	global_load_sshort v4, v1, s[34:35]
	v_mov_b32_e32 v5, v2
	v_mov_b32_e32 v6, v2
	;; [unrolled: 1-line block ×15, first 2 shown]
	s_waitcnt vmcnt(0)
	v_mov_b64_e32 v[2:3], v[4:5]
	v_mov_b64_e32 v[4:5], v[6:7]
	;; [unrolled: 1-line block ×8, first 2 shown]
.LBB522_172:
	s_or_b64 exec, exec, s[4:5]
	v_or_b32_e32 v1, 0x80, v0
	v_cmp_gt_u32_e32 vcc, s38, v1
	s_and_saveexec_b64 s[4:5], vcc
	s_cbranch_execz .LBB522_174
; %bb.173:
	v_lshlrev_b32_e32 v1, 1, v0
	global_load_sshort v3, v1, s[34:35] offset:256
.LBB522_174:
	s_or_b64 exec, exec, s[4:5]
	v_or_b32_e32 v1, 0x100, v0
	v_cmp_gt_u32_e64 s[4:5], s38, v1
	s_and_saveexec_b64 s[6:7], s[4:5]
	s_cbranch_execz .LBB522_176
; %bb.175:
	v_lshlrev_b32_e32 v1, 1, v0
	global_load_sshort v4, v1, s[34:35] offset:512
.LBB522_176:
	s_or_b64 exec, exec, s[6:7]
	v_or_b32_e32 v1, 0x180, v0
	v_cmp_gt_u32_e64 s[6:7], s38, v1
	s_and_saveexec_b64 s[8:9], s[6:7]
	;; [unrolled: 9-line block ×14, first 2 shown]
	s_cbranch_execz .LBB522_202
; %bb.201:
	v_lshlrev_b32_e32 v1, 1, v0
	global_load_sshort v17, v1, s[34:35] offset:3840
.LBB522_202:
	s_or_b64 exec, exec, s[36:37]
	s_waitcnt vmcnt(0)
	v_cndmask_b32_e32 v1, 0, v3, vcc
	v_add_u32_e32 v1, v1, v2
	v_cndmask_b32_e64 v2, 0, v4, s[4:5]
	v_cndmask_b32_e64 v3, 0, v5, s[6:7]
	v_add3_u32 v1, v1, v2, v3
	v_cndmask_b32_e64 v2, 0, v6, s[8:9]
	v_cndmask_b32_e64 v3, 0, v7, s[10:11]
	v_add3_u32 v1, v1, v2, v3
	;; [unrolled: 3-line block ×7, first 2 shown]
	v_mbcnt_lo_u32_b32 v2, -1, 0
	v_mbcnt_hi_u32_b32 v2, -1, v2
	v_and_b32_e32 v4, 63, v2
	v_cmp_ne_u32_e32 vcc, 63, v4
	s_min_u32 s6, s38, 0x80
	v_and_b32_e32 v5, 64, v0
	v_addc_co_u32_e32 v3, vcc, 0, v2, vcc
	v_lshlrev_b32_e32 v3, 2, v3
	ds_bpermute_b32 v3, v3, v1
	v_sub_u32_e64 v5, s6, v5 clamp
	v_add_u32_e32 v6, 1, v4
	v_cmp_lt_u32_e32 vcc, v6, v5
	v_add_u32_e32 v6, 2, v4
	s_waitcnt lgkmcnt(0)
	v_cndmask_b32_e32 v3, 0, v3, vcc
	v_cmp_gt_u32_e32 vcc, 62, v4
	v_add_u32_e32 v1, v1, v3
	s_nop 0
	v_cndmask_b32_e64 v3, 0, 2, vcc
	v_add_lshl_u32 v3, v3, v2, 2
	ds_bpermute_b32 v3, v3, v1
	v_cmp_lt_u32_e32 vcc, v6, v5
	v_add_u32_e32 v6, 4, v4
	s_waitcnt lgkmcnt(0)
	v_cndmask_b32_e32 v3, 0, v3, vcc
	v_cmp_gt_u32_e32 vcc, 60, v4
	v_add_u32_e32 v1, v1, v3
	s_nop 0
	v_cndmask_b32_e64 v3, 0, 4, vcc
	v_add_lshl_u32 v3, v3, v2, 2
	ds_bpermute_b32 v3, v3, v1
	;; [unrolled: 10-line block ×3, first 2 shown]
	v_cmp_lt_u32_e32 vcc, v6, v5
	v_add_u32_e32 v6, 16, v4
	s_waitcnt lgkmcnt(0)
	v_cndmask_b32_e32 v3, 0, v3, vcc
	v_cmp_gt_u32_e32 vcc, 48, v4
	v_add_u32_e32 v1, v1, v3
	v_add_u32_e32 v4, 32, v4
	v_cndmask_b32_e64 v3, 0, 16, vcc
	v_add_lshl_u32 v3, v3, v2, 2
	ds_bpermute_b32 v3, v3, v1
	v_cmp_lt_u32_e32 vcc, v6, v5
	s_waitcnt lgkmcnt(0)
	s_nop 0
	v_cndmask_b32_e32 v3, 0, v3, vcc
	v_add_u32_e32 v1, v1, v3
	v_lshlrev_b32_e32 v3, 2, v2
	v_or_b32_e32 v6, 0x80, v3
	ds_bpermute_b32 v6, v6, v1
	v_cmp_lt_u32_e32 vcc, v4, v5
	s_waitcnt lgkmcnt(0)
	s_nop 0
	v_cndmask_b32_e32 v4, 0, v6, vcc
	v_add_u32_e32 v1, v1, v4
	v_cmp_eq_u32_e32 vcc, 0, v2
	s_and_saveexec_b64 s[4:5], vcc
; %bb.203:
	v_lshrrev_b32_e32 v4, 4, v0
	v_and_b32_e32 v4, 4, v4
	ds_write_b32 v4, v1 offset:56
; %bb.204:
	s_or_b64 exec, exec, s[4:5]
	v_cmp_gt_u32_e32 vcc, 2, v0
	s_waitcnt lgkmcnt(0)
	s_barrier
	s_and_saveexec_b64 s[4:5], vcc
	s_cbranch_execz .LBB522_206
; %bb.205:
	ds_read_b32 v1, v3 offset:56
	v_or_b32_e32 v3, 4, v3
	v_and_b32_e32 v2, 1, v2
	s_add_i32 s6, s6, 63
	v_add_u32_e32 v2, 1, v2
	s_waitcnt lgkmcnt(0)
	ds_bpermute_b32 v3, v3, v1
	s_lshr_b32 s6, s6, 6
	v_cmp_gt_u32_e32 vcc, s6, v2
	s_waitcnt lgkmcnt(0)
	s_nop 0
	v_cndmask_b32_e32 v2, 0, v3, vcc
	v_add_u32_e32 v1, v2, v1
.LBB522_206:
	s_or_b64 exec, exec, s[4:5]
.LBB522_207:
	v_cmp_eq_u32_e64 s[6:7], 0, v0
	s_branch .LBB522_288
.LBB522_208:
	s_cmp_eq_u32 s33, 8
	s_cbranch_scc0 .LBB522_215
; %bb.209:
	s_mov_b32 s3, 0
	s_lshl_b32 s4, s2, 10
	s_mov_b32 s5, s3
	s_lshr_b64 s[6:7], s[70:71], 10
	s_lshl_b64 s[8:9], s[4:5], 1
	s_add_u32 s16, s68, s8
	s_addc_u32 s17, s69, s9
	s_cmp_lg_u64 s[6:7], s[2:3]
	s_cbranch_scc0 .LBB522_309
; %bb.210:
	v_lshlrev_b32_e32 v1, 1, v0
	global_load_sshort v4, v1, s[16:17]
	global_load_sshort v5, v1, s[16:17] offset:256
	global_load_sshort v6, v1, s[16:17] offset:512
	;; [unrolled: 1-line block ×7, first 2 shown]
	v_mbcnt_lo_u32_b32 v1, -1, 0
	v_mbcnt_hi_u32_b32 v2, -1, v1
	v_lshlrev_b32_e32 v3, 2, v2
	v_cmp_eq_u32_e32 vcc, 0, v2
	s_waitcnt vmcnt(6)
	v_add_u32_e32 v1, v5, v4
	v_or_b32_e32 v4, 0xfc, v3
	s_waitcnt vmcnt(4)
	v_add3_u32 v1, v1, v6, v7
	s_waitcnt vmcnt(2)
	v_add3_u32 v1, v1, v8, v9
	;; [unrolled: 2-line block ×3, first 2 shown]
	s_nop 1
	v_add_u32_dpp v1, v1, v1 quad_perm:[1,0,3,2] row_mask:0xf bank_mask:0xf bound_ctrl:1
	s_nop 1
	v_add_u32_dpp v1, v1, v1 quad_perm:[2,3,0,1] row_mask:0xf bank_mask:0xf bound_ctrl:1
	s_nop 1
	v_add_u32_dpp v1, v1, v1 row_ror:4 row_mask:0xf bank_mask:0xf bound_ctrl:1
	s_nop 1
	v_add_u32_dpp v1, v1, v1 row_ror:8 row_mask:0xf bank_mask:0xf bound_ctrl:1
	s_nop 1
	v_add_u32_dpp v1, v1, v1 row_bcast:15 row_mask:0xf bank_mask:0xf bound_ctrl:1
	s_nop 1
	v_add_u32_dpp v1, v1, v1 row_bcast:31 row_mask:0xf bank_mask:0xf bound_ctrl:1
	ds_bpermute_b32 v1, v4, v1
	s_and_saveexec_b64 s[6:7], vcc
	s_cbranch_execz .LBB522_212
; %bb.211:
	v_lshrrev_b32_e32 v4, 4, v0
	v_and_b32_e32 v4, 4, v4
	s_waitcnt lgkmcnt(0)
	ds_write_b32 v4, v1 offset:48
.LBB522_212:
	s_or_b64 exec, exec, s[6:7]
	v_cmp_gt_u32_e32 vcc, 64, v0
	s_waitcnt lgkmcnt(0)
	s_barrier
	s_and_saveexec_b64 s[6:7], vcc
	s_cbranch_execz .LBB522_214
; %bb.213:
	v_and_b32_e32 v1, 1, v2
	v_lshlrev_b32_e32 v1, 2, v1
	ds_read_b32 v1, v1 offset:48
	v_or_b32_e32 v2, 4, v3
	s_waitcnt lgkmcnt(0)
	ds_bpermute_b32 v2, v2, v1
	s_waitcnt lgkmcnt(0)
	v_add_u32_e32 v1, v2, v1
.LBB522_214:
	s_or_b64 exec, exec, s[6:7]
	s_mov_b64 s[6:7], 0
	s_branch .LBB522_310
.LBB522_215:
                                        ; implicit-def: $vgpr1
	s_branch .LBB522_371
.LBB522_216:
	s_mov_b64 s[6:7], -1
                                        ; implicit-def: $vgpr1
.LBB522_217:
	s_and_b64 vcc, exec, s[6:7]
	s_cbranch_vccz .LBB522_287
; %bb.218:
	s_sub_i32 s74, s70, s4
	v_mov_b32_e32 v2, 0
	v_cmp_gt_u32_e32 vcc, s74, v0
	v_mov_b32_e32 v3, v2
	v_mov_b32_e32 v4, v2
	;; [unrolled: 1-line block ×31, first 2 shown]
	s_and_saveexec_b64 s[4:5], vcc
	s_cbranch_execz .LBB522_220
; %bb.219:
	v_lshlrev_b32_e32 v1, 1, v0
	global_load_sshort v4, v1, s[66:67]
	v_mov_b32_e32 v5, v2
	v_mov_b32_e32 v6, v2
	;; [unrolled: 1-line block ×31, first 2 shown]
	s_waitcnt vmcnt(0)
	v_mov_b64_e32 v[2:3], v[4:5]
	v_mov_b64_e32 v[4:5], v[6:7]
	;; [unrolled: 1-line block ×16, first 2 shown]
.LBB522_220:
	s_or_b64 exec, exec, s[4:5]
	v_or_b32_e32 v1, 0x80, v0
	v_cmp_gt_u32_e32 vcc, s74, v1
	s_and_saveexec_b64 s[4:5], vcc
	s_cbranch_execz .LBB522_222
; %bb.221:
	v_lshlrev_b32_e32 v1, 1, v0
	global_load_sshort v3, v1, s[66:67] offset:256
.LBB522_222:
	s_or_b64 exec, exec, s[4:5]
	v_or_b32_e32 v1, 0x100, v0
	v_cmp_gt_u32_e64 s[4:5], s74, v1
	s_and_saveexec_b64 s[6:7], s[4:5]
	s_cbranch_execz .LBB522_224
; %bb.223:
	v_lshlrev_b32_e32 v1, 1, v0
	global_load_sshort v4, v1, s[66:67] offset:512
.LBB522_224:
	s_or_b64 exec, exec, s[6:7]
	v_or_b32_e32 v1, 0x180, v0
	v_cmp_gt_u32_e64 s[6:7], s74, v1
	s_and_saveexec_b64 s[8:9], s[6:7]
	;; [unrolled: 9-line block ×15, first 2 shown]
	s_cbranch_execz .LBB522_252
; %bb.251:
	v_lshlrev_b32_e32 v1, 1, v1
	global_load_sshort v18, v1, s[66:67]
.LBB522_252:
	s_or_b64 exec, exec, s[36:37]
	v_or_b32_e32 v1, 0x880, v0
	v_cmp_gt_u32_e64 s[36:37], s74, v1
	s_and_saveexec_b64 s[38:39], s[36:37]
	s_cbranch_execz .LBB522_254
; %bb.253:
	v_lshlrev_b32_e32 v1, 1, v1
	global_load_sshort v19, v1, s[66:67]
.LBB522_254:
	s_or_b64 exec, exec, s[38:39]
	v_or_b32_e32 v1, 0x900, v0
	v_cmp_gt_u32_e64 s[38:39], s74, v1
	s_and_saveexec_b64 s[40:41], s[38:39]
	;; [unrolled: 9-line block ×15, first 2 shown]
	s_cbranch_execz .LBB522_282
; %bb.281:
	v_lshlrev_b32_e32 v1, 1, v1
	global_load_sshort v33, v1, s[66:67]
.LBB522_282:
	s_or_b64 exec, exec, s[72:73]
	s_waitcnt vmcnt(0)
	v_cndmask_b32_e32 v1, 0, v3, vcc
	v_add_u32_e32 v1, v1, v2
	v_cndmask_b32_e64 v2, 0, v4, s[4:5]
	v_cndmask_b32_e64 v3, 0, v5, s[6:7]
	v_add3_u32 v1, v1, v2, v3
	v_cndmask_b32_e64 v2, 0, v6, s[8:9]
	v_cndmask_b32_e64 v3, 0, v7, s[10:11]
	v_add3_u32 v1, v1, v2, v3
	;; [unrolled: 3-line block ×15, first 2 shown]
	v_mbcnt_lo_u32_b32 v2, -1, 0
	v_mbcnt_hi_u32_b32 v2, -1, v2
	v_and_b32_e32 v4, 63, v2
	v_cmp_ne_u32_e32 vcc, 63, v4
	s_min_u32 s6, s74, 0x80
	v_and_b32_e32 v5, 64, v0
	v_addc_co_u32_e32 v3, vcc, 0, v2, vcc
	v_lshlrev_b32_e32 v3, 2, v3
	ds_bpermute_b32 v3, v3, v1
	v_sub_u32_e64 v5, s6, v5 clamp
	v_add_u32_e32 v6, 1, v4
	v_cmp_lt_u32_e32 vcc, v6, v5
	v_add_u32_e32 v6, 2, v4
	s_waitcnt lgkmcnt(0)
	v_cndmask_b32_e32 v3, 0, v3, vcc
	v_cmp_gt_u32_e32 vcc, 62, v4
	v_add_u32_e32 v1, v1, v3
	s_nop 0
	v_cndmask_b32_e64 v3, 0, 2, vcc
	v_add_lshl_u32 v3, v3, v2, 2
	ds_bpermute_b32 v3, v3, v1
	v_cmp_lt_u32_e32 vcc, v6, v5
	v_add_u32_e32 v6, 4, v4
	s_waitcnt lgkmcnt(0)
	v_cndmask_b32_e32 v3, 0, v3, vcc
	v_cmp_gt_u32_e32 vcc, 60, v4
	v_add_u32_e32 v1, v1, v3
	s_nop 0
	v_cndmask_b32_e64 v3, 0, 4, vcc
	v_add_lshl_u32 v3, v3, v2, 2
	ds_bpermute_b32 v3, v3, v1
	v_cmp_lt_u32_e32 vcc, v6, v5
	v_add_u32_e32 v6, 8, v4
	s_waitcnt lgkmcnt(0)
	v_cndmask_b32_e32 v3, 0, v3, vcc
	v_cmp_gt_u32_e32 vcc, 56, v4
	v_add_u32_e32 v1, v1, v3
	s_nop 0
	v_cndmask_b32_e64 v3, 0, 8, vcc
	v_add_lshl_u32 v3, v3, v2, 2
	ds_bpermute_b32 v3, v3, v1
	v_cmp_lt_u32_e32 vcc, v6, v5
	v_add_u32_e32 v6, 16, v4
	s_waitcnt lgkmcnt(0)
	v_cndmask_b32_e32 v3, 0, v3, vcc
	v_cmp_gt_u32_e32 vcc, 48, v4
	v_add_u32_e32 v1, v1, v3
	v_add_u32_e32 v4, 32, v4
	v_cndmask_b32_e64 v3, 0, 16, vcc
	v_add_lshl_u32 v3, v3, v2, 2
	ds_bpermute_b32 v3, v3, v1
	v_cmp_lt_u32_e32 vcc, v6, v5
	s_waitcnt lgkmcnt(0)
	s_nop 0
	v_cndmask_b32_e32 v3, 0, v3, vcc
	v_add_u32_e32 v1, v1, v3
	v_lshlrev_b32_e32 v3, 2, v2
	v_or_b32_e32 v6, 0x80, v3
	ds_bpermute_b32 v6, v6, v1
	v_cmp_lt_u32_e32 vcc, v4, v5
	s_waitcnt lgkmcnt(0)
	s_nop 0
	v_cndmask_b32_e32 v4, 0, v6, vcc
	v_add_u32_e32 v1, v1, v4
	v_cmp_eq_u32_e32 vcc, 0, v2
	s_and_saveexec_b64 s[4:5], vcc
; %bb.283:
	v_lshrrev_b32_e32 v4, 4, v0
	v_and_b32_e32 v4, 4, v4
	ds_write_b32 v4, v1 offset:56
; %bb.284:
	s_or_b64 exec, exec, s[4:5]
	v_cmp_gt_u32_e32 vcc, 2, v0
	s_waitcnt lgkmcnt(0)
	s_barrier
	s_and_saveexec_b64 s[4:5], vcc
	s_cbranch_execz .LBB522_286
; %bb.285:
	ds_read_b32 v1, v3 offset:56
	v_or_b32_e32 v3, 4, v3
	v_and_b32_e32 v2, 1, v2
	s_add_i32 s6, s6, 63
	v_add_u32_e32 v2, 1, v2
	s_waitcnt lgkmcnt(0)
	ds_bpermute_b32 v3, v3, v1
	s_lshr_b32 s6, s6, 6
	v_cmp_gt_u32_e32 vcc, s6, v2
	s_waitcnt lgkmcnt(0)
	s_nop 0
	v_cndmask_b32_e32 v2, 0, v3, vcc
	v_add_u32_e32 v1, v2, v1
.LBB522_286:
	s_or_b64 exec, exec, s[4:5]
.LBB522_287:
	v_cmp_eq_u32_e64 s[6:7], 0, v0
.LBB522_288:
	s_branch .LBB522_371
.LBB522_289:
	s_cmp_gt_i32 s33, 1
	s_cbranch_scc0 .LBB522_298
; %bb.290:
	s_cmp_gt_i32 s33, 3
	s_cbranch_scc0 .LBB522_299
; %bb.291:
	s_cmp_eq_u32 s33, 4
	s_cbranch_scc0 .LBB522_307
; %bb.292:
	s_mov_b32 s3, 0
	s_lshl_b32 s4, s2, 9
	s_mov_b32 s5, s3
	s_lshr_b64 s[6:7], s[70:71], 9
	s_lshl_b64 s[8:9], s[4:5], 1
	s_add_u32 s8, s68, s8
	s_addc_u32 s9, s69, s9
	s_cmp_lg_u64 s[6:7], s[2:3]
	s_cbranch_scc0 .LBB522_333
; %bb.293:
	v_lshlrev_b32_e32 v1, 1, v0
	global_load_sshort v4, v1, s[8:9]
	global_load_sshort v5, v1, s[8:9] offset:256
	global_load_sshort v6, v1, s[8:9] offset:512
	;; [unrolled: 1-line block ×3, first 2 shown]
	v_mbcnt_lo_u32_b32 v1, -1, 0
	v_mbcnt_hi_u32_b32 v2, -1, v1
	v_lshlrev_b32_e32 v3, 2, v2
	v_cmp_eq_u32_e32 vcc, 0, v2
	s_waitcnt vmcnt(2)
	v_add_u32_e32 v1, v5, v4
	v_or_b32_e32 v4, 0xfc, v3
	s_waitcnt vmcnt(0)
	v_add3_u32 v1, v1, v6, v7
	s_nop 1
	v_add_u32_dpp v1, v1, v1 quad_perm:[1,0,3,2] row_mask:0xf bank_mask:0xf bound_ctrl:1
	s_nop 1
	v_add_u32_dpp v1, v1, v1 quad_perm:[2,3,0,1] row_mask:0xf bank_mask:0xf bound_ctrl:1
	s_nop 1
	v_add_u32_dpp v1, v1, v1 row_ror:4 row_mask:0xf bank_mask:0xf bound_ctrl:1
	s_nop 1
	v_add_u32_dpp v1, v1, v1 row_ror:8 row_mask:0xf bank_mask:0xf bound_ctrl:1
	s_nop 1
	v_add_u32_dpp v1, v1, v1 row_bcast:15 row_mask:0xf bank_mask:0xf bound_ctrl:1
	s_nop 1
	v_add_u32_dpp v1, v1, v1 row_bcast:31 row_mask:0xf bank_mask:0xf bound_ctrl:1
	ds_bpermute_b32 v1, v4, v1
	s_and_saveexec_b64 s[6:7], vcc
	s_cbranch_execz .LBB522_295
; %bb.294:
	v_lshrrev_b32_e32 v4, 4, v0
	v_and_b32_e32 v4, 4, v4
	s_waitcnt lgkmcnt(0)
	ds_write_b32 v4, v1 offset:32
.LBB522_295:
	s_or_b64 exec, exec, s[6:7]
	v_cmp_gt_u32_e32 vcc, 64, v0
	s_waitcnt lgkmcnt(0)
	s_barrier
	s_and_saveexec_b64 s[6:7], vcc
	s_cbranch_execz .LBB522_297
; %bb.296:
	v_and_b32_e32 v1, 1, v2
	v_lshlrev_b32_e32 v1, 2, v1
	ds_read_b32 v1, v1 offset:32
	v_or_b32_e32 v2, 4, v3
	s_waitcnt lgkmcnt(0)
	ds_bpermute_b32 v2, v2, v1
	s_waitcnt lgkmcnt(0)
	v_add_u32_e32 v1, v2, v1
.LBB522_297:
	s_or_b64 exec, exec, s[6:7]
	s_mov_b64 s[6:7], 0
	s_branch .LBB522_334
.LBB522_298:
                                        ; implicit-def: $vgpr1
	s_cbranch_execnz .LBB522_362
	s_branch .LBB522_371
.LBB522_299:
                                        ; implicit-def: $vgpr1
	s_cbranch_execz .LBB522_349
; %bb.300:
	s_cmp_eq_u32 s33, 2
	s_cbranch_scc0 .LBB522_308
; %bb.301:
	s_mov_b32 s3, 0
	s_lshl_b32 s6, s2, 8
	s_mov_b32 s7, s3
	s_lshr_b64 s[8:9], s[70:71], 8
	s_lshl_b64 s[4:5], s[6:7], 1
	s_add_u32 s4, s68, s4
	s_addc_u32 s5, s69, s5
	s_cmp_lg_u64 s[8:9], s[2:3]
	s_cbranch_scc0 .LBB522_350
; %bb.302:
	v_lshlrev_b32_e32 v1, 1, v0
	global_load_sshort v4, v1, s[4:5]
	global_load_sshort v5, v1, s[4:5] offset:256
	v_mbcnt_lo_u32_b32 v1, -1, 0
	v_mbcnt_hi_u32_b32 v2, -1, v1
	v_lshlrev_b32_e32 v3, 2, v2
	v_cmp_eq_u32_e32 vcc, 0, v2
	s_waitcnt vmcnt(0)
	v_add_u32_e32 v1, v5, v4
	s_nop 1
	v_add_u32_dpp v1, v1, v1 quad_perm:[1,0,3,2] row_mask:0xf bank_mask:0xf bound_ctrl:1
	v_or_b32_e32 v4, 0xfc, v3
	s_nop 0
	v_add_u32_dpp v1, v1, v1 quad_perm:[2,3,0,1] row_mask:0xf bank_mask:0xf bound_ctrl:1
	s_nop 1
	v_add_u32_dpp v1, v1, v1 row_ror:4 row_mask:0xf bank_mask:0xf bound_ctrl:1
	s_nop 1
	v_add_u32_dpp v1, v1, v1 row_ror:8 row_mask:0xf bank_mask:0xf bound_ctrl:1
	s_nop 1
	v_add_u32_dpp v1, v1, v1 row_bcast:15 row_mask:0xf bank_mask:0xf bound_ctrl:1
	s_nop 1
	v_add_u32_dpp v1, v1, v1 row_bcast:31 row_mask:0xf bank_mask:0xf bound_ctrl:1
	ds_bpermute_b32 v1, v4, v1
	s_and_saveexec_b64 s[8:9], vcc
	s_cbranch_execz .LBB522_304
; %bb.303:
	v_lshrrev_b32_e32 v4, 4, v0
	v_and_b32_e32 v4, 4, v4
	s_waitcnt lgkmcnt(0)
	ds_write_b32 v4, v1 offset:16
.LBB522_304:
	s_or_b64 exec, exec, s[8:9]
	v_cmp_gt_u32_e32 vcc, 64, v0
	s_waitcnt lgkmcnt(0)
	s_barrier
	s_and_saveexec_b64 s[8:9], vcc
	s_cbranch_execz .LBB522_306
; %bb.305:
	v_and_b32_e32 v1, 1, v2
	v_lshlrev_b32_e32 v1, 2, v1
	ds_read_b32 v1, v1 offset:16
	v_or_b32_e32 v2, 4, v3
	s_waitcnt lgkmcnt(0)
	ds_bpermute_b32 v2, v2, v1
	s_waitcnt lgkmcnt(0)
	v_add_u32_e32 v1, v2, v1
.LBB522_306:
	s_or_b64 exec, exec, s[8:9]
	s_mov_b64 s[8:9], 0
	s_branch .LBB522_351
.LBB522_307:
                                        ; implicit-def: $vgpr1
	s_branch .LBB522_349
.LBB522_308:
                                        ; implicit-def: $vgpr1
	s_branch .LBB522_371
.LBB522_309:
	s_mov_b64 s[6:7], -1
                                        ; implicit-def: $vgpr1
.LBB522_310:
	s_and_b64 vcc, exec, s[6:7]
	s_cbranch_vccz .LBB522_332
; %bb.311:
	s_sub_i32 s20, s70, s4
	v_mov_b32_e32 v2, 0
	v_cmp_gt_u32_e32 vcc, s20, v0
	v_mov_b32_e32 v3, v2
	v_mov_b32_e32 v4, v2
	;; [unrolled: 1-line block ×7, first 2 shown]
	s_and_saveexec_b64 s[4:5], vcc
	s_cbranch_execz .LBB522_313
; %bb.312:
	v_lshlrev_b32_e32 v1, 1, v0
	global_load_sshort v4, v1, s[16:17]
	v_mov_b32_e32 v5, v2
	v_mov_b32_e32 v6, v2
	;; [unrolled: 1-line block ×7, first 2 shown]
	s_waitcnt vmcnt(0)
	v_mov_b64_e32 v[2:3], v[4:5]
	v_mov_b64_e32 v[4:5], v[6:7]
	;; [unrolled: 1-line block ×4, first 2 shown]
.LBB522_313:
	s_or_b64 exec, exec, s[4:5]
	v_or_b32_e32 v1, 0x80, v0
	v_cmp_gt_u32_e32 vcc, s20, v1
	s_and_saveexec_b64 s[4:5], vcc
	s_cbranch_execz .LBB522_315
; %bb.314:
	v_lshlrev_b32_e32 v1, 1, v0
	global_load_sshort v3, v1, s[16:17] offset:256
.LBB522_315:
	s_or_b64 exec, exec, s[4:5]
	v_or_b32_e32 v1, 0x100, v0
	v_cmp_gt_u32_e64 s[4:5], s20, v1
	s_and_saveexec_b64 s[6:7], s[4:5]
	s_cbranch_execz .LBB522_317
; %bb.316:
	v_lshlrev_b32_e32 v1, 1, v0
	global_load_sshort v4, v1, s[16:17] offset:512
.LBB522_317:
	s_or_b64 exec, exec, s[6:7]
	v_or_b32_e32 v1, 0x180, v0
	v_cmp_gt_u32_e64 s[6:7], s20, v1
	s_and_saveexec_b64 s[8:9], s[6:7]
	;; [unrolled: 9-line block ×6, first 2 shown]
	s_cbranch_execz .LBB522_327
; %bb.326:
	v_lshlrev_b32_e32 v1, 1, v0
	global_load_sshort v9, v1, s[16:17] offset:1792
.LBB522_327:
	s_or_b64 exec, exec, s[18:19]
	s_waitcnt vmcnt(0)
	v_cndmask_b32_e32 v1, 0, v3, vcc
	v_add_u32_e32 v1, v1, v2
	v_cndmask_b32_e64 v2, 0, v4, s[4:5]
	v_cndmask_b32_e64 v3, 0, v5, s[6:7]
	v_add3_u32 v1, v1, v2, v3
	v_cndmask_b32_e64 v2, 0, v6, s[8:9]
	v_cndmask_b32_e64 v3, 0, v7, s[10:11]
	v_add3_u32 v1, v1, v2, v3
	;; [unrolled: 3-line block ×3, first 2 shown]
	v_mbcnt_lo_u32_b32 v2, -1, 0
	v_mbcnt_hi_u32_b32 v2, -1, v2
	v_and_b32_e32 v4, 63, v2
	v_cmp_ne_u32_e32 vcc, 63, v4
	s_min_u32 s6, s20, 0x80
	v_and_b32_e32 v5, 64, v0
	v_addc_co_u32_e32 v3, vcc, 0, v2, vcc
	v_lshlrev_b32_e32 v3, 2, v3
	ds_bpermute_b32 v3, v3, v1
	v_sub_u32_e64 v5, s6, v5 clamp
	v_add_u32_e32 v6, 1, v4
	v_cmp_lt_u32_e32 vcc, v6, v5
	v_add_u32_e32 v6, 2, v4
	s_waitcnt lgkmcnt(0)
	v_cndmask_b32_e32 v3, 0, v3, vcc
	v_cmp_gt_u32_e32 vcc, 62, v4
	v_add_u32_e32 v1, v1, v3
	s_nop 0
	v_cndmask_b32_e64 v3, 0, 2, vcc
	v_add_lshl_u32 v3, v3, v2, 2
	ds_bpermute_b32 v3, v3, v1
	v_cmp_lt_u32_e32 vcc, v6, v5
	v_add_u32_e32 v6, 4, v4
	s_waitcnt lgkmcnt(0)
	v_cndmask_b32_e32 v3, 0, v3, vcc
	v_cmp_gt_u32_e32 vcc, 60, v4
	v_add_u32_e32 v1, v1, v3
	s_nop 0
	v_cndmask_b32_e64 v3, 0, 4, vcc
	v_add_lshl_u32 v3, v3, v2, 2
	ds_bpermute_b32 v3, v3, v1
	;; [unrolled: 10-line block ×3, first 2 shown]
	v_cmp_lt_u32_e32 vcc, v6, v5
	v_add_u32_e32 v6, 16, v4
	s_waitcnt lgkmcnt(0)
	v_cndmask_b32_e32 v3, 0, v3, vcc
	v_cmp_gt_u32_e32 vcc, 48, v4
	v_add_u32_e32 v1, v1, v3
	v_add_u32_e32 v4, 32, v4
	v_cndmask_b32_e64 v3, 0, 16, vcc
	v_add_lshl_u32 v3, v3, v2, 2
	ds_bpermute_b32 v3, v3, v1
	v_cmp_lt_u32_e32 vcc, v6, v5
	s_waitcnt lgkmcnt(0)
	s_nop 0
	v_cndmask_b32_e32 v3, 0, v3, vcc
	v_add_u32_e32 v1, v1, v3
	v_lshlrev_b32_e32 v3, 2, v2
	v_or_b32_e32 v6, 0x80, v3
	ds_bpermute_b32 v6, v6, v1
	v_cmp_lt_u32_e32 vcc, v4, v5
	s_waitcnt lgkmcnt(0)
	s_nop 0
	v_cndmask_b32_e32 v4, 0, v6, vcc
	v_add_u32_e32 v1, v1, v4
	v_cmp_eq_u32_e32 vcc, 0, v2
	s_and_saveexec_b64 s[4:5], vcc
; %bb.328:
	v_lshrrev_b32_e32 v4, 4, v0
	v_and_b32_e32 v4, 4, v4
	ds_write_b32 v4, v1 offset:56
; %bb.329:
	s_or_b64 exec, exec, s[4:5]
	v_cmp_gt_u32_e32 vcc, 2, v0
	s_waitcnt lgkmcnt(0)
	s_barrier
	s_and_saveexec_b64 s[4:5], vcc
	s_cbranch_execz .LBB522_331
; %bb.330:
	ds_read_b32 v1, v3 offset:56
	v_or_b32_e32 v3, 4, v3
	v_and_b32_e32 v2, 1, v2
	s_add_i32 s6, s6, 63
	v_add_u32_e32 v2, 1, v2
	s_waitcnt lgkmcnt(0)
	ds_bpermute_b32 v3, v3, v1
	s_lshr_b32 s6, s6, 6
	v_cmp_gt_u32_e32 vcc, s6, v2
	s_waitcnt lgkmcnt(0)
	s_nop 0
	v_cndmask_b32_e32 v2, 0, v3, vcc
	v_add_u32_e32 v1, v2, v1
.LBB522_331:
	s_or_b64 exec, exec, s[4:5]
.LBB522_332:
	v_cmp_eq_u32_e64 s[6:7], 0, v0
	s_branch .LBB522_371
.LBB522_333:
	s_mov_b64 s[6:7], -1
                                        ; implicit-def: $vgpr1
.LBB522_334:
	s_and_b64 vcc, exec, s[6:7]
	s_cbranch_vccz .LBB522_348
; %bb.335:
	s_sub_i32 s12, s70, s4
	v_mov_b32_e32 v2, 0
	v_cmp_gt_u32_e32 vcc, s12, v0
	v_mov_b32_e32 v3, v2
	v_mov_b32_e32 v4, v2
	;; [unrolled: 1-line block ×3, first 2 shown]
	s_and_saveexec_b64 s[4:5], vcc
	s_cbranch_execz .LBB522_337
; %bb.336:
	v_lshlrev_b32_e32 v1, 1, v0
	global_load_sshort v4, v1, s[8:9]
	v_mov_b32_e32 v5, v2
	v_mov_b32_e32 v6, v2
	;; [unrolled: 1-line block ×3, first 2 shown]
	s_waitcnt vmcnt(0)
	v_mov_b64_e32 v[2:3], v[4:5]
	v_mov_b64_e32 v[4:5], v[6:7]
.LBB522_337:
	s_or_b64 exec, exec, s[4:5]
	v_or_b32_e32 v1, 0x80, v0
	v_cmp_gt_u32_e32 vcc, s12, v1
	s_and_saveexec_b64 s[4:5], vcc
	s_cbranch_execz .LBB522_339
; %bb.338:
	v_lshlrev_b32_e32 v1, 1, v0
	global_load_sshort v3, v1, s[8:9] offset:256
.LBB522_339:
	s_or_b64 exec, exec, s[4:5]
	v_or_b32_e32 v1, 0x100, v0
	v_cmp_gt_u32_e64 s[4:5], s12, v1
	s_and_saveexec_b64 s[6:7], s[4:5]
	s_cbranch_execz .LBB522_341
; %bb.340:
	v_lshlrev_b32_e32 v1, 1, v0
	global_load_sshort v4, v1, s[8:9] offset:512
.LBB522_341:
	s_or_b64 exec, exec, s[6:7]
	v_or_b32_e32 v1, 0x180, v0
	v_cmp_gt_u32_e64 s[6:7], s12, v1
	s_and_saveexec_b64 s[10:11], s[6:7]
	s_cbranch_execz .LBB522_343
; %bb.342:
	v_lshlrev_b32_e32 v1, 1, v0
	global_load_sshort v5, v1, s[8:9] offset:768
.LBB522_343:
	s_or_b64 exec, exec, s[10:11]
	s_waitcnt vmcnt(0)
	v_cndmask_b32_e32 v1, 0, v3, vcc
	v_add_u32_e32 v1, v1, v2
	v_cndmask_b32_e64 v2, 0, v4, s[4:5]
	v_cndmask_b32_e64 v3, 0, v5, s[6:7]
	v_add3_u32 v1, v1, v2, v3
	v_mbcnt_lo_u32_b32 v2, -1, 0
	v_mbcnt_hi_u32_b32 v2, -1, v2
	v_and_b32_e32 v4, 63, v2
	v_cmp_ne_u32_e32 vcc, 63, v4
	s_min_u32 s6, s12, 0x80
	v_and_b32_e32 v5, 64, v0
	v_addc_co_u32_e32 v3, vcc, 0, v2, vcc
	v_lshlrev_b32_e32 v3, 2, v3
	ds_bpermute_b32 v3, v3, v1
	v_sub_u32_e64 v5, s6, v5 clamp
	v_add_u32_e32 v6, 1, v4
	v_cmp_lt_u32_e32 vcc, v6, v5
	v_add_u32_e32 v6, 2, v4
	s_waitcnt lgkmcnt(0)
	v_cndmask_b32_e32 v3, 0, v3, vcc
	v_cmp_gt_u32_e32 vcc, 62, v4
	v_add_u32_e32 v1, v3, v1
	s_nop 0
	v_cndmask_b32_e64 v3, 0, 2, vcc
	v_add_lshl_u32 v3, v3, v2, 2
	ds_bpermute_b32 v3, v3, v1
	v_cmp_lt_u32_e32 vcc, v6, v5
	v_add_u32_e32 v6, 4, v4
	s_waitcnt lgkmcnt(0)
	v_cndmask_b32_e32 v3, 0, v3, vcc
	v_cmp_gt_u32_e32 vcc, 60, v4
	v_add_u32_e32 v1, v1, v3
	s_nop 0
	v_cndmask_b32_e64 v3, 0, 4, vcc
	v_add_lshl_u32 v3, v3, v2, 2
	ds_bpermute_b32 v3, v3, v1
	;; [unrolled: 10-line block ×3, first 2 shown]
	v_cmp_lt_u32_e32 vcc, v6, v5
	v_add_u32_e32 v6, 16, v4
	s_waitcnt lgkmcnt(0)
	v_cndmask_b32_e32 v3, 0, v3, vcc
	v_cmp_gt_u32_e32 vcc, 48, v4
	v_add_u32_e32 v1, v1, v3
	v_add_u32_e32 v4, 32, v4
	v_cndmask_b32_e64 v3, 0, 16, vcc
	v_add_lshl_u32 v3, v3, v2, 2
	ds_bpermute_b32 v3, v3, v1
	v_cmp_lt_u32_e32 vcc, v6, v5
	s_waitcnt lgkmcnt(0)
	s_nop 0
	v_cndmask_b32_e32 v3, 0, v3, vcc
	v_add_u32_e32 v1, v1, v3
	v_lshlrev_b32_e32 v3, 2, v2
	v_or_b32_e32 v6, 0x80, v3
	ds_bpermute_b32 v6, v6, v1
	v_cmp_lt_u32_e32 vcc, v4, v5
	s_waitcnt lgkmcnt(0)
	s_nop 0
	v_cndmask_b32_e32 v4, 0, v6, vcc
	v_add_u32_e32 v1, v1, v4
	v_cmp_eq_u32_e32 vcc, 0, v2
	s_and_saveexec_b64 s[4:5], vcc
; %bb.344:
	v_lshrrev_b32_e32 v4, 4, v0
	v_and_b32_e32 v4, 4, v4
	ds_write_b32 v4, v1 offset:56
; %bb.345:
	s_or_b64 exec, exec, s[4:5]
	v_cmp_gt_u32_e32 vcc, 2, v0
	s_waitcnt lgkmcnt(0)
	s_barrier
	s_and_saveexec_b64 s[4:5], vcc
	s_cbranch_execz .LBB522_347
; %bb.346:
	ds_read_b32 v1, v3 offset:56
	v_or_b32_e32 v3, 4, v3
	v_and_b32_e32 v2, 1, v2
	s_add_i32 s6, s6, 63
	v_add_u32_e32 v2, 1, v2
	s_waitcnt lgkmcnt(0)
	ds_bpermute_b32 v3, v3, v1
	s_lshr_b32 s6, s6, 6
	v_cmp_gt_u32_e32 vcc, s6, v2
	s_waitcnt lgkmcnt(0)
	s_nop 0
	v_cndmask_b32_e32 v2, 0, v3, vcc
	v_add_u32_e32 v1, v2, v1
.LBB522_347:
	s_or_b64 exec, exec, s[4:5]
.LBB522_348:
	v_cmp_eq_u32_e64 s[6:7], 0, v0
.LBB522_349:
	s_branch .LBB522_371
.LBB522_350:
	s_mov_b64 s[8:9], -1
                                        ; implicit-def: $vgpr1
.LBB522_351:
	s_and_b64 vcc, exec, s[8:9]
	s_cbranch_vccz .LBB522_361
; %bb.352:
	s_sub_i32 s8, s70, s6
	v_mov_b32_e32 v2, 0
	v_cmp_gt_u32_e32 vcc, s8, v0
	v_mov_b32_e32 v3, v2
	s_and_saveexec_b64 s[6:7], vcc
	s_cbranch_execz .LBB522_354
; %bb.353:
	v_lshlrev_b32_e32 v1, 1, v0
	global_load_sshort v4, v1, s[4:5]
	v_mov_b32_e32 v5, v2
	s_waitcnt vmcnt(0)
	v_mov_b64_e32 v[2:3], v[4:5]
.LBB522_354:
	s_or_b64 exec, exec, s[6:7]
	v_or_b32_e32 v1, 0x80, v0
	v_cmp_gt_u32_e32 vcc, s8, v1
	s_and_saveexec_b64 s[6:7], vcc
	s_cbranch_execz .LBB522_356
; %bb.355:
	v_lshlrev_b32_e32 v1, 1, v0
	global_load_sshort v3, v1, s[4:5] offset:256
.LBB522_356:
	s_or_b64 exec, exec, s[6:7]
	s_waitcnt vmcnt(0)
	v_cndmask_b32_e32 v1, 0, v3, vcc
	v_add_u32_e32 v1, v1, v2
	v_mbcnt_lo_u32_b32 v2, -1, 0
	v_mbcnt_hi_u32_b32 v2, -1, v2
	v_and_b32_e32 v4, 63, v2
	v_cmp_ne_u32_e32 vcc, 63, v4
	s_min_u32 s6, s8, 0x80
	v_and_b32_e32 v5, 64, v0
	v_addc_co_u32_e32 v3, vcc, 0, v2, vcc
	v_lshlrev_b32_e32 v3, 2, v3
	ds_bpermute_b32 v3, v3, v1
	v_sub_u32_e64 v5, s6, v5 clamp
	v_add_u32_e32 v6, 1, v4
	v_cmp_lt_u32_e32 vcc, v6, v5
	v_add_u32_e32 v6, 2, v4
	s_waitcnt lgkmcnt(0)
	v_cndmask_b32_e32 v3, 0, v3, vcc
	v_cmp_gt_u32_e32 vcc, 62, v4
	v_add_u32_e32 v1, v3, v1
	s_nop 0
	v_cndmask_b32_e64 v3, 0, 2, vcc
	v_add_lshl_u32 v3, v3, v2, 2
	ds_bpermute_b32 v3, v3, v1
	v_cmp_lt_u32_e32 vcc, v6, v5
	v_add_u32_e32 v6, 4, v4
	s_waitcnt lgkmcnt(0)
	v_cndmask_b32_e32 v3, 0, v3, vcc
	v_cmp_gt_u32_e32 vcc, 60, v4
	v_add_u32_e32 v1, v1, v3
	s_nop 0
	v_cndmask_b32_e64 v3, 0, 4, vcc
	v_add_lshl_u32 v3, v3, v2, 2
	ds_bpermute_b32 v3, v3, v1
	;; [unrolled: 10-line block ×3, first 2 shown]
	v_cmp_lt_u32_e32 vcc, v6, v5
	v_add_u32_e32 v6, 16, v4
	s_waitcnt lgkmcnt(0)
	v_cndmask_b32_e32 v3, 0, v3, vcc
	v_cmp_gt_u32_e32 vcc, 48, v4
	v_add_u32_e32 v1, v1, v3
	v_add_u32_e32 v4, 32, v4
	v_cndmask_b32_e64 v3, 0, 16, vcc
	v_add_lshl_u32 v3, v3, v2, 2
	ds_bpermute_b32 v3, v3, v1
	v_cmp_lt_u32_e32 vcc, v6, v5
	s_waitcnt lgkmcnt(0)
	s_nop 0
	v_cndmask_b32_e32 v3, 0, v3, vcc
	v_add_u32_e32 v1, v1, v3
	v_lshlrev_b32_e32 v3, 2, v2
	v_or_b32_e32 v6, 0x80, v3
	ds_bpermute_b32 v6, v6, v1
	v_cmp_lt_u32_e32 vcc, v4, v5
	s_waitcnt lgkmcnt(0)
	s_nop 0
	v_cndmask_b32_e32 v4, 0, v6, vcc
	v_add_u32_e32 v1, v1, v4
	v_cmp_eq_u32_e32 vcc, 0, v2
	s_and_saveexec_b64 s[4:5], vcc
; %bb.357:
	v_lshrrev_b32_e32 v4, 4, v0
	v_and_b32_e32 v4, 4, v4
	ds_write_b32 v4, v1 offset:56
; %bb.358:
	s_or_b64 exec, exec, s[4:5]
	v_cmp_gt_u32_e32 vcc, 2, v0
	s_waitcnt lgkmcnt(0)
	s_barrier
	s_and_saveexec_b64 s[4:5], vcc
	s_cbranch_execz .LBB522_360
; %bb.359:
	ds_read_b32 v1, v3 offset:56
	v_or_b32_e32 v3, 4, v3
	v_and_b32_e32 v2, 1, v2
	s_add_i32 s6, s6, 63
	v_add_u32_e32 v2, 1, v2
	s_waitcnt lgkmcnt(0)
	ds_bpermute_b32 v3, v3, v1
	s_lshr_b32 s6, s6, 6
	v_cmp_gt_u32_e32 vcc, s6, v2
	s_waitcnt lgkmcnt(0)
	s_nop 0
	v_cndmask_b32_e32 v2, 0, v3, vcc
	v_add_u32_e32 v1, v2, v1
.LBB522_360:
	s_or_b64 exec, exec, s[4:5]
.LBB522_361:
	v_cmp_eq_u32_e64 s[6:7], 0, v0
	s_branch .LBB522_371
.LBB522_362:
	s_cmp_eq_u32 s33, 1
	s_cbranch_scc0 .LBB522_370
; %bb.363:
	s_mov_b32 s5, 0
	s_lshl_b32 s4, s2, 7
	s_mov_b32 s3, s5
	s_lshr_b64 s[6:7], s[70:71], 7
	s_cmp_lg_u64 s[6:7], s[2:3]
	v_mbcnt_lo_u32_b32 v2, -1, 0
	s_cbranch_scc0 .LBB522_374
; %bb.364:
	s_lshl_b64 s[6:7], s[4:5], 1
	s_add_u32 s6, s68, s6
	s_addc_u32 s7, s69, s7
	v_lshlrev_b32_e32 v1, 1, v0
	global_load_sshort v1, v1, s[6:7]
	v_mbcnt_hi_u32_b32 v3, -1, v2
	v_lshlrev_b32_e32 v4, 2, v3
	v_or_b32_e32 v5, 0xfc, v4
	v_cmp_eq_u32_e32 vcc, 0, v3
	s_waitcnt vmcnt(0)
	v_add_u32_dpp v1, v1, v1 quad_perm:[1,0,3,2] row_mask:0xf bank_mask:0xf bound_ctrl:1
	s_nop 1
	v_add_u32_dpp v1, v1, v1 quad_perm:[2,3,0,1] row_mask:0xf bank_mask:0xf bound_ctrl:1
	s_nop 1
	v_add_u32_dpp v1, v1, v1 row_ror:4 row_mask:0xf bank_mask:0xf bound_ctrl:1
	s_nop 1
	v_add_u32_dpp v1, v1, v1 row_ror:8 row_mask:0xf bank_mask:0xf bound_ctrl:1
	s_nop 1
	v_add_u32_dpp v1, v1, v1 row_bcast:15 row_mask:0xf bank_mask:0xf bound_ctrl:1
	s_nop 1
	v_add_u32_dpp v1, v1, v1 row_bcast:31 row_mask:0xf bank_mask:0xf bound_ctrl:1
	ds_bpermute_b32 v1, v5, v1
	s_and_saveexec_b64 s[6:7], vcc
	s_cbranch_execz .LBB522_366
; %bb.365:
	v_lshrrev_b32_e32 v5, 4, v0
	v_and_b32_e32 v5, 4, v5
	s_waitcnt lgkmcnt(0)
	ds_write_b32 v5, v1 offset:8
.LBB522_366:
	s_or_b64 exec, exec, s[6:7]
	v_cmp_gt_u32_e32 vcc, 64, v0
	s_waitcnt lgkmcnt(0)
	s_barrier
	s_and_saveexec_b64 s[6:7], vcc
	s_cbranch_execz .LBB522_368
; %bb.367:
	v_and_b32_e32 v1, 1, v3
	v_lshlrev_b32_e32 v1, 2, v1
	ds_read_b32 v1, v1 offset:8
	v_or_b32_e32 v3, 4, v4
	s_waitcnt lgkmcnt(0)
	ds_bpermute_b32 v3, v3, v1
	s_waitcnt lgkmcnt(0)
	v_add_u32_e32 v1, v3, v1
.LBB522_368:
	s_or_b64 exec, exec, s[6:7]
.LBB522_369:
	v_cmp_eq_u32_e64 s[6:7], 0, v0
	s_and_saveexec_b64 s[4:5], s[6:7]
	s_cbranch_execnz .LBB522_372
	s_branch .LBB522_373
.LBB522_370:
                                        ; implicit-def: $vgpr1
                                        ; implicit-def: $sgpr2_sgpr3
.LBB522_371:
	s_and_saveexec_b64 s[4:5], s[6:7]
	s_cbranch_execz .LBB522_373
.LBB522_372:
	s_load_dwordx2 s[4:5], s[0:1], 0x18
	s_load_dword s6, s[0:1], 0x20
	s_lshl_b64 s[0:1], s[2:3], 2
	v_mov_b32_e32 v0, 0
	s_waitcnt lgkmcnt(0)
	s_add_u32 s0, s4, s0
	s_addc_u32 s1, s5, s1
	s_cmp_lg_u64 s[70:71], 0
	s_cselect_b64 vcc, -1, 0
	v_cndmask_b32_e32 v1, 0, v1, vcc
	v_add_u32_e32 v1, s6, v1
	global_store_dword v0, v1, s[0:1]
.LBB522_373:
	s_endpgm
.LBB522_374:
                                        ; implicit-def: $vgpr1
	s_cbranch_execz .LBB522_369
; %bb.375:
	s_sub_i32 s8, s70, s4
	v_cmp_gt_u32_e32 vcc, s8, v0
                                        ; implicit-def: $vgpr1
	s_and_saveexec_b64 s[6:7], vcc
	s_cbranch_execz .LBB522_377
; %bb.376:
	s_lshl_b64 s[4:5], s[4:5], 1
	s_add_u32 s4, s68, s4
	s_addc_u32 s5, s69, s5
	v_lshlrev_b32_e32 v1, 1, v0
	global_load_sshort v1, v1, s[4:5]
.LBB522_377:
	s_or_b64 exec, exec, s[6:7]
	v_mbcnt_hi_u32_b32 v2, -1, v2
	v_and_b32_e32 v4, 63, v2
	v_cmp_ne_u32_e32 vcc, 63, v4
	s_min_u32 s6, s8, 0x80
	v_and_b32_e32 v5, 64, v0
	v_addc_co_u32_e32 v3, vcc, 0, v2, vcc
	v_lshlrev_b32_e32 v3, 2, v3
	s_waitcnt vmcnt(0)
	ds_bpermute_b32 v3, v3, v1
	v_sub_u32_e64 v5, s6, v5 clamp
	v_add_u32_e32 v6, 1, v4
	v_cmp_lt_u32_e32 vcc, v6, v5
	v_add_u32_e32 v6, 2, v4
	s_waitcnt lgkmcnt(0)
	v_cndmask_b32_e32 v3, 0, v3, vcc
	v_cmp_gt_u32_e32 vcc, 62, v4
	v_add_u32_e32 v1, v3, v1
	s_nop 0
	v_cndmask_b32_e64 v3, 0, 2, vcc
	v_add_lshl_u32 v3, v3, v2, 2
	ds_bpermute_b32 v3, v3, v1
	v_cmp_lt_u32_e32 vcc, v6, v5
	v_add_u32_e32 v6, 4, v4
	s_waitcnt lgkmcnt(0)
	v_cndmask_b32_e32 v3, 0, v3, vcc
	v_cmp_gt_u32_e32 vcc, 60, v4
	v_add_u32_e32 v1, v1, v3
	s_nop 0
	v_cndmask_b32_e64 v3, 0, 4, vcc
	v_add_lshl_u32 v3, v3, v2, 2
	ds_bpermute_b32 v3, v3, v1
	;; [unrolled: 10-line block ×3, first 2 shown]
	v_cmp_lt_u32_e32 vcc, v6, v5
	v_add_u32_e32 v6, 16, v4
	s_waitcnt lgkmcnt(0)
	v_cndmask_b32_e32 v3, 0, v3, vcc
	v_cmp_gt_u32_e32 vcc, 48, v4
	v_add_u32_e32 v1, v1, v3
	v_add_u32_e32 v4, 32, v4
	v_cndmask_b32_e64 v3, 0, 16, vcc
	v_add_lshl_u32 v3, v3, v2, 2
	ds_bpermute_b32 v3, v3, v1
	v_cmp_lt_u32_e32 vcc, v6, v5
	s_waitcnt lgkmcnt(0)
	s_nop 0
	v_cndmask_b32_e32 v3, 0, v3, vcc
	v_add_u32_e32 v1, v1, v3
	v_lshlrev_b32_e32 v3, 2, v2
	v_or_b32_e32 v6, 0x80, v3
	ds_bpermute_b32 v6, v6, v1
	v_cmp_lt_u32_e32 vcc, v4, v5
	s_waitcnt lgkmcnt(0)
	s_nop 0
	v_cndmask_b32_e32 v4, 0, v6, vcc
	v_add_u32_e32 v1, v1, v4
	v_cmp_eq_u32_e32 vcc, 0, v2
	s_and_saveexec_b64 s[4:5], vcc
; %bb.378:
	v_lshrrev_b32_e32 v4, 4, v0
	v_and_b32_e32 v4, 4, v4
	ds_write_b32 v4, v1 offset:56
; %bb.379:
	s_or_b64 exec, exec, s[4:5]
	v_cmp_gt_u32_e32 vcc, 2, v0
	s_waitcnt lgkmcnt(0)
	s_barrier
	s_and_saveexec_b64 s[4:5], vcc
	s_cbranch_execz .LBB522_381
; %bb.380:
	ds_read_b32 v1, v3 offset:56
	v_or_b32_e32 v3, 4, v3
	v_and_b32_e32 v2, 1, v2
	s_add_i32 s6, s6, 63
	v_add_u32_e32 v2, 1, v2
	s_waitcnt lgkmcnt(0)
	ds_bpermute_b32 v3, v3, v1
	s_lshr_b32 s6, s6, 6
	v_cmp_gt_u32_e32 vcc, s6, v2
	s_waitcnt lgkmcnt(0)
	s_nop 0
	v_cndmask_b32_e32 v2, 0, v3, vcc
	v_add_u32_e32 v1, v2, v1
.LBB522_381:
	s_or_b64 exec, exec, s[4:5]
	v_cmp_eq_u32_e64 s[6:7], 0, v0
	s_and_saveexec_b64 s[4:5], s[6:7]
	s_cbranch_execnz .LBB522_372
	s_branch .LBB522_373
	.section	.rodata,"a",@progbits
	.p2align	6, 0x0
	.amdhsa_kernel _ZN7rocprim17ROCPRIM_400000_NS6detail17trampoline_kernelINS0_14default_configENS1_22reduce_config_selectorIsEEZNS1_11reduce_implILb1ES3_N6thrust23THRUST_200600_302600_NS6detail15normal_iteratorINS8_10device_ptrIsEEEEPiiNS8_4plusIiEEEE10hipError_tPvRmT1_T2_T3_mT4_P12ihipStream_tbEUlT_E1_NS1_11comp_targetILNS1_3genE0ELNS1_11target_archE4294967295ELNS1_3gpuE0ELNS1_3repE0EEENS1_30default_config_static_selectorELNS0_4arch9wavefront6targetE1EEEvSK_
		.amdhsa_group_segment_fixed_size 64
		.amdhsa_private_segment_fixed_size 0
		.amdhsa_kernarg_size 40
		.amdhsa_user_sgpr_count 2
		.amdhsa_user_sgpr_dispatch_ptr 0
		.amdhsa_user_sgpr_queue_ptr 0
		.amdhsa_user_sgpr_kernarg_segment_ptr 1
		.amdhsa_user_sgpr_dispatch_id 0
		.amdhsa_user_sgpr_kernarg_preload_length 0
		.amdhsa_user_sgpr_kernarg_preload_offset 0
		.amdhsa_user_sgpr_private_segment_size 0
		.amdhsa_uses_dynamic_stack 0
		.amdhsa_enable_private_segment 0
		.amdhsa_system_sgpr_workgroup_id_x 1
		.amdhsa_system_sgpr_workgroup_id_y 0
		.amdhsa_system_sgpr_workgroup_id_z 0
		.amdhsa_system_sgpr_workgroup_info 0
		.amdhsa_system_vgpr_workitem_id 0
		.amdhsa_next_free_vgpr 67
		.amdhsa_next_free_sgpr 75
		.amdhsa_accum_offset 68
		.amdhsa_reserve_vcc 1
		.amdhsa_float_round_mode_32 0
		.amdhsa_float_round_mode_16_64 0
		.amdhsa_float_denorm_mode_32 3
		.amdhsa_float_denorm_mode_16_64 3
		.amdhsa_dx10_clamp 1
		.amdhsa_ieee_mode 1
		.amdhsa_fp16_overflow 0
		.amdhsa_tg_split 0
		.amdhsa_exception_fp_ieee_invalid_op 0
		.amdhsa_exception_fp_denorm_src 0
		.amdhsa_exception_fp_ieee_div_zero 0
		.amdhsa_exception_fp_ieee_overflow 0
		.amdhsa_exception_fp_ieee_underflow 0
		.amdhsa_exception_fp_ieee_inexact 0
		.amdhsa_exception_int_div_zero 0
	.end_amdhsa_kernel
	.section	.text._ZN7rocprim17ROCPRIM_400000_NS6detail17trampoline_kernelINS0_14default_configENS1_22reduce_config_selectorIsEEZNS1_11reduce_implILb1ES3_N6thrust23THRUST_200600_302600_NS6detail15normal_iteratorINS8_10device_ptrIsEEEEPiiNS8_4plusIiEEEE10hipError_tPvRmT1_T2_T3_mT4_P12ihipStream_tbEUlT_E1_NS1_11comp_targetILNS1_3genE0ELNS1_11target_archE4294967295ELNS1_3gpuE0ELNS1_3repE0EEENS1_30default_config_static_selectorELNS0_4arch9wavefront6targetE1EEEvSK_,"axG",@progbits,_ZN7rocprim17ROCPRIM_400000_NS6detail17trampoline_kernelINS0_14default_configENS1_22reduce_config_selectorIsEEZNS1_11reduce_implILb1ES3_N6thrust23THRUST_200600_302600_NS6detail15normal_iteratorINS8_10device_ptrIsEEEEPiiNS8_4plusIiEEEE10hipError_tPvRmT1_T2_T3_mT4_P12ihipStream_tbEUlT_E1_NS1_11comp_targetILNS1_3genE0ELNS1_11target_archE4294967295ELNS1_3gpuE0ELNS1_3repE0EEENS1_30default_config_static_selectorELNS0_4arch9wavefront6targetE1EEEvSK_,comdat
.Lfunc_end522:
	.size	_ZN7rocprim17ROCPRIM_400000_NS6detail17trampoline_kernelINS0_14default_configENS1_22reduce_config_selectorIsEEZNS1_11reduce_implILb1ES3_N6thrust23THRUST_200600_302600_NS6detail15normal_iteratorINS8_10device_ptrIsEEEEPiiNS8_4plusIiEEEE10hipError_tPvRmT1_T2_T3_mT4_P12ihipStream_tbEUlT_E1_NS1_11comp_targetILNS1_3genE0ELNS1_11target_archE4294967295ELNS1_3gpuE0ELNS1_3repE0EEENS1_30default_config_static_selectorELNS0_4arch9wavefront6targetE1EEEvSK_, .Lfunc_end522-_ZN7rocprim17ROCPRIM_400000_NS6detail17trampoline_kernelINS0_14default_configENS1_22reduce_config_selectorIsEEZNS1_11reduce_implILb1ES3_N6thrust23THRUST_200600_302600_NS6detail15normal_iteratorINS8_10device_ptrIsEEEEPiiNS8_4plusIiEEEE10hipError_tPvRmT1_T2_T3_mT4_P12ihipStream_tbEUlT_E1_NS1_11comp_targetILNS1_3genE0ELNS1_11target_archE4294967295ELNS1_3gpuE0ELNS1_3repE0EEENS1_30default_config_static_selectorELNS0_4arch9wavefront6targetE1EEEvSK_
                                        ; -- End function
	.set _ZN7rocprim17ROCPRIM_400000_NS6detail17trampoline_kernelINS0_14default_configENS1_22reduce_config_selectorIsEEZNS1_11reduce_implILb1ES3_N6thrust23THRUST_200600_302600_NS6detail15normal_iteratorINS8_10device_ptrIsEEEEPiiNS8_4plusIiEEEE10hipError_tPvRmT1_T2_T3_mT4_P12ihipStream_tbEUlT_E1_NS1_11comp_targetILNS1_3genE0ELNS1_11target_archE4294967295ELNS1_3gpuE0ELNS1_3repE0EEENS1_30default_config_static_selectorELNS0_4arch9wavefront6targetE1EEEvSK_.num_vgpr, 67
	.set _ZN7rocprim17ROCPRIM_400000_NS6detail17trampoline_kernelINS0_14default_configENS1_22reduce_config_selectorIsEEZNS1_11reduce_implILb1ES3_N6thrust23THRUST_200600_302600_NS6detail15normal_iteratorINS8_10device_ptrIsEEEEPiiNS8_4plusIiEEEE10hipError_tPvRmT1_T2_T3_mT4_P12ihipStream_tbEUlT_E1_NS1_11comp_targetILNS1_3genE0ELNS1_11target_archE4294967295ELNS1_3gpuE0ELNS1_3repE0EEENS1_30default_config_static_selectorELNS0_4arch9wavefront6targetE1EEEvSK_.num_agpr, 0
	.set _ZN7rocprim17ROCPRIM_400000_NS6detail17trampoline_kernelINS0_14default_configENS1_22reduce_config_selectorIsEEZNS1_11reduce_implILb1ES3_N6thrust23THRUST_200600_302600_NS6detail15normal_iteratorINS8_10device_ptrIsEEEEPiiNS8_4plusIiEEEE10hipError_tPvRmT1_T2_T3_mT4_P12ihipStream_tbEUlT_E1_NS1_11comp_targetILNS1_3genE0ELNS1_11target_archE4294967295ELNS1_3gpuE0ELNS1_3repE0EEENS1_30default_config_static_selectorELNS0_4arch9wavefront6targetE1EEEvSK_.numbered_sgpr, 75
	.set _ZN7rocprim17ROCPRIM_400000_NS6detail17trampoline_kernelINS0_14default_configENS1_22reduce_config_selectorIsEEZNS1_11reduce_implILb1ES3_N6thrust23THRUST_200600_302600_NS6detail15normal_iteratorINS8_10device_ptrIsEEEEPiiNS8_4plusIiEEEE10hipError_tPvRmT1_T2_T3_mT4_P12ihipStream_tbEUlT_E1_NS1_11comp_targetILNS1_3genE0ELNS1_11target_archE4294967295ELNS1_3gpuE0ELNS1_3repE0EEENS1_30default_config_static_selectorELNS0_4arch9wavefront6targetE1EEEvSK_.num_named_barrier, 0
	.set _ZN7rocprim17ROCPRIM_400000_NS6detail17trampoline_kernelINS0_14default_configENS1_22reduce_config_selectorIsEEZNS1_11reduce_implILb1ES3_N6thrust23THRUST_200600_302600_NS6detail15normal_iteratorINS8_10device_ptrIsEEEEPiiNS8_4plusIiEEEE10hipError_tPvRmT1_T2_T3_mT4_P12ihipStream_tbEUlT_E1_NS1_11comp_targetILNS1_3genE0ELNS1_11target_archE4294967295ELNS1_3gpuE0ELNS1_3repE0EEENS1_30default_config_static_selectorELNS0_4arch9wavefront6targetE1EEEvSK_.private_seg_size, 0
	.set _ZN7rocprim17ROCPRIM_400000_NS6detail17trampoline_kernelINS0_14default_configENS1_22reduce_config_selectorIsEEZNS1_11reduce_implILb1ES3_N6thrust23THRUST_200600_302600_NS6detail15normal_iteratorINS8_10device_ptrIsEEEEPiiNS8_4plusIiEEEE10hipError_tPvRmT1_T2_T3_mT4_P12ihipStream_tbEUlT_E1_NS1_11comp_targetILNS1_3genE0ELNS1_11target_archE4294967295ELNS1_3gpuE0ELNS1_3repE0EEENS1_30default_config_static_selectorELNS0_4arch9wavefront6targetE1EEEvSK_.uses_vcc, 1
	.set _ZN7rocprim17ROCPRIM_400000_NS6detail17trampoline_kernelINS0_14default_configENS1_22reduce_config_selectorIsEEZNS1_11reduce_implILb1ES3_N6thrust23THRUST_200600_302600_NS6detail15normal_iteratorINS8_10device_ptrIsEEEEPiiNS8_4plusIiEEEE10hipError_tPvRmT1_T2_T3_mT4_P12ihipStream_tbEUlT_E1_NS1_11comp_targetILNS1_3genE0ELNS1_11target_archE4294967295ELNS1_3gpuE0ELNS1_3repE0EEENS1_30default_config_static_selectorELNS0_4arch9wavefront6targetE1EEEvSK_.uses_flat_scratch, 0
	.set _ZN7rocprim17ROCPRIM_400000_NS6detail17trampoline_kernelINS0_14default_configENS1_22reduce_config_selectorIsEEZNS1_11reduce_implILb1ES3_N6thrust23THRUST_200600_302600_NS6detail15normal_iteratorINS8_10device_ptrIsEEEEPiiNS8_4plusIiEEEE10hipError_tPvRmT1_T2_T3_mT4_P12ihipStream_tbEUlT_E1_NS1_11comp_targetILNS1_3genE0ELNS1_11target_archE4294967295ELNS1_3gpuE0ELNS1_3repE0EEENS1_30default_config_static_selectorELNS0_4arch9wavefront6targetE1EEEvSK_.has_dyn_sized_stack, 0
	.set _ZN7rocprim17ROCPRIM_400000_NS6detail17trampoline_kernelINS0_14default_configENS1_22reduce_config_selectorIsEEZNS1_11reduce_implILb1ES3_N6thrust23THRUST_200600_302600_NS6detail15normal_iteratorINS8_10device_ptrIsEEEEPiiNS8_4plusIiEEEE10hipError_tPvRmT1_T2_T3_mT4_P12ihipStream_tbEUlT_E1_NS1_11comp_targetILNS1_3genE0ELNS1_11target_archE4294967295ELNS1_3gpuE0ELNS1_3repE0EEENS1_30default_config_static_selectorELNS0_4arch9wavefront6targetE1EEEvSK_.has_recursion, 0
	.set _ZN7rocprim17ROCPRIM_400000_NS6detail17trampoline_kernelINS0_14default_configENS1_22reduce_config_selectorIsEEZNS1_11reduce_implILb1ES3_N6thrust23THRUST_200600_302600_NS6detail15normal_iteratorINS8_10device_ptrIsEEEEPiiNS8_4plusIiEEEE10hipError_tPvRmT1_T2_T3_mT4_P12ihipStream_tbEUlT_E1_NS1_11comp_targetILNS1_3genE0ELNS1_11target_archE4294967295ELNS1_3gpuE0ELNS1_3repE0EEENS1_30default_config_static_selectorELNS0_4arch9wavefront6targetE1EEEvSK_.has_indirect_call, 0
	.section	.AMDGPU.csdata,"",@progbits
; Kernel info:
; codeLenInByte = 13740
; TotalNumSgprs: 81
; NumVgprs: 67
; NumAgprs: 0
; TotalNumVgprs: 67
; ScratchSize: 0
; MemoryBound: 0
; FloatMode: 240
; IeeeMode: 1
; LDSByteSize: 64 bytes/workgroup (compile time only)
; SGPRBlocks: 10
; VGPRBlocks: 8
; NumSGPRsForWavesPerEU: 81
; NumVGPRsForWavesPerEU: 67
; AccumOffset: 68
; Occupancy: 7
; WaveLimiterHint : 1
; COMPUTE_PGM_RSRC2:SCRATCH_EN: 0
; COMPUTE_PGM_RSRC2:USER_SGPR: 2
; COMPUTE_PGM_RSRC2:TRAP_HANDLER: 0
; COMPUTE_PGM_RSRC2:TGID_X_EN: 1
; COMPUTE_PGM_RSRC2:TGID_Y_EN: 0
; COMPUTE_PGM_RSRC2:TGID_Z_EN: 0
; COMPUTE_PGM_RSRC2:TIDIG_COMP_CNT: 0
; COMPUTE_PGM_RSRC3_GFX90A:ACCUM_OFFSET: 16
; COMPUTE_PGM_RSRC3_GFX90A:TG_SPLIT: 0
	.section	.text._ZN7rocprim17ROCPRIM_400000_NS6detail17trampoline_kernelINS0_14default_configENS1_22reduce_config_selectorIsEEZNS1_11reduce_implILb1ES3_N6thrust23THRUST_200600_302600_NS6detail15normal_iteratorINS8_10device_ptrIsEEEEPiiNS8_4plusIiEEEE10hipError_tPvRmT1_T2_T3_mT4_P12ihipStream_tbEUlT_E1_NS1_11comp_targetILNS1_3genE5ELNS1_11target_archE942ELNS1_3gpuE9ELNS1_3repE0EEENS1_30default_config_static_selectorELNS0_4arch9wavefront6targetE1EEEvSK_,"axG",@progbits,_ZN7rocprim17ROCPRIM_400000_NS6detail17trampoline_kernelINS0_14default_configENS1_22reduce_config_selectorIsEEZNS1_11reduce_implILb1ES3_N6thrust23THRUST_200600_302600_NS6detail15normal_iteratorINS8_10device_ptrIsEEEEPiiNS8_4plusIiEEEE10hipError_tPvRmT1_T2_T3_mT4_P12ihipStream_tbEUlT_E1_NS1_11comp_targetILNS1_3genE5ELNS1_11target_archE942ELNS1_3gpuE9ELNS1_3repE0EEENS1_30default_config_static_selectorELNS0_4arch9wavefront6targetE1EEEvSK_,comdat
	.protected	_ZN7rocprim17ROCPRIM_400000_NS6detail17trampoline_kernelINS0_14default_configENS1_22reduce_config_selectorIsEEZNS1_11reduce_implILb1ES3_N6thrust23THRUST_200600_302600_NS6detail15normal_iteratorINS8_10device_ptrIsEEEEPiiNS8_4plusIiEEEE10hipError_tPvRmT1_T2_T3_mT4_P12ihipStream_tbEUlT_E1_NS1_11comp_targetILNS1_3genE5ELNS1_11target_archE942ELNS1_3gpuE9ELNS1_3repE0EEENS1_30default_config_static_selectorELNS0_4arch9wavefront6targetE1EEEvSK_ ; -- Begin function _ZN7rocprim17ROCPRIM_400000_NS6detail17trampoline_kernelINS0_14default_configENS1_22reduce_config_selectorIsEEZNS1_11reduce_implILb1ES3_N6thrust23THRUST_200600_302600_NS6detail15normal_iteratorINS8_10device_ptrIsEEEEPiiNS8_4plusIiEEEE10hipError_tPvRmT1_T2_T3_mT4_P12ihipStream_tbEUlT_E1_NS1_11comp_targetILNS1_3genE5ELNS1_11target_archE942ELNS1_3gpuE9ELNS1_3repE0EEENS1_30default_config_static_selectorELNS0_4arch9wavefront6targetE1EEEvSK_
	.globl	_ZN7rocprim17ROCPRIM_400000_NS6detail17trampoline_kernelINS0_14default_configENS1_22reduce_config_selectorIsEEZNS1_11reduce_implILb1ES3_N6thrust23THRUST_200600_302600_NS6detail15normal_iteratorINS8_10device_ptrIsEEEEPiiNS8_4plusIiEEEE10hipError_tPvRmT1_T2_T3_mT4_P12ihipStream_tbEUlT_E1_NS1_11comp_targetILNS1_3genE5ELNS1_11target_archE942ELNS1_3gpuE9ELNS1_3repE0EEENS1_30default_config_static_selectorELNS0_4arch9wavefront6targetE1EEEvSK_
	.p2align	8
	.type	_ZN7rocprim17ROCPRIM_400000_NS6detail17trampoline_kernelINS0_14default_configENS1_22reduce_config_selectorIsEEZNS1_11reduce_implILb1ES3_N6thrust23THRUST_200600_302600_NS6detail15normal_iteratorINS8_10device_ptrIsEEEEPiiNS8_4plusIiEEEE10hipError_tPvRmT1_T2_T3_mT4_P12ihipStream_tbEUlT_E1_NS1_11comp_targetILNS1_3genE5ELNS1_11target_archE942ELNS1_3gpuE9ELNS1_3repE0EEENS1_30default_config_static_selectorELNS0_4arch9wavefront6targetE1EEEvSK_,@function
_ZN7rocprim17ROCPRIM_400000_NS6detail17trampoline_kernelINS0_14default_configENS1_22reduce_config_selectorIsEEZNS1_11reduce_implILb1ES3_N6thrust23THRUST_200600_302600_NS6detail15normal_iteratorINS8_10device_ptrIsEEEEPiiNS8_4plusIiEEEE10hipError_tPvRmT1_T2_T3_mT4_P12ihipStream_tbEUlT_E1_NS1_11comp_targetILNS1_3genE5ELNS1_11target_archE942ELNS1_3gpuE9ELNS1_3repE0EEENS1_30default_config_static_selectorELNS0_4arch9wavefront6targetE1EEEvSK_: ; @_ZN7rocprim17ROCPRIM_400000_NS6detail17trampoline_kernelINS0_14default_configENS1_22reduce_config_selectorIsEEZNS1_11reduce_implILb1ES3_N6thrust23THRUST_200600_302600_NS6detail15normal_iteratorINS8_10device_ptrIsEEEEPiiNS8_4plusIiEEEE10hipError_tPvRmT1_T2_T3_mT4_P12ihipStream_tbEUlT_E1_NS1_11comp_targetILNS1_3genE5ELNS1_11target_archE942ELNS1_3gpuE9ELNS1_3repE0EEENS1_30default_config_static_selectorELNS0_4arch9wavefront6targetE1EEEvSK_
; %bb.0:
	.section	.rodata,"a",@progbits
	.p2align	6, 0x0
	.amdhsa_kernel _ZN7rocprim17ROCPRIM_400000_NS6detail17trampoline_kernelINS0_14default_configENS1_22reduce_config_selectorIsEEZNS1_11reduce_implILb1ES3_N6thrust23THRUST_200600_302600_NS6detail15normal_iteratorINS8_10device_ptrIsEEEEPiiNS8_4plusIiEEEE10hipError_tPvRmT1_T2_T3_mT4_P12ihipStream_tbEUlT_E1_NS1_11comp_targetILNS1_3genE5ELNS1_11target_archE942ELNS1_3gpuE9ELNS1_3repE0EEENS1_30default_config_static_selectorELNS0_4arch9wavefront6targetE1EEEvSK_
		.amdhsa_group_segment_fixed_size 0
		.amdhsa_private_segment_fixed_size 0
		.amdhsa_kernarg_size 40
		.amdhsa_user_sgpr_count 2
		.amdhsa_user_sgpr_dispatch_ptr 0
		.amdhsa_user_sgpr_queue_ptr 0
		.amdhsa_user_sgpr_kernarg_segment_ptr 1
		.amdhsa_user_sgpr_dispatch_id 0
		.amdhsa_user_sgpr_kernarg_preload_length 0
		.amdhsa_user_sgpr_kernarg_preload_offset 0
		.amdhsa_user_sgpr_private_segment_size 0
		.amdhsa_uses_dynamic_stack 0
		.amdhsa_enable_private_segment 0
		.amdhsa_system_sgpr_workgroup_id_x 1
		.amdhsa_system_sgpr_workgroup_id_y 0
		.amdhsa_system_sgpr_workgroup_id_z 0
		.amdhsa_system_sgpr_workgroup_info 0
		.amdhsa_system_vgpr_workitem_id 0
		.amdhsa_next_free_vgpr 1
		.amdhsa_next_free_sgpr 0
		.amdhsa_accum_offset 4
		.amdhsa_reserve_vcc 0
		.amdhsa_float_round_mode_32 0
		.amdhsa_float_round_mode_16_64 0
		.amdhsa_float_denorm_mode_32 3
		.amdhsa_float_denorm_mode_16_64 3
		.amdhsa_dx10_clamp 1
		.amdhsa_ieee_mode 1
		.amdhsa_fp16_overflow 0
		.amdhsa_tg_split 0
		.amdhsa_exception_fp_ieee_invalid_op 0
		.amdhsa_exception_fp_denorm_src 0
		.amdhsa_exception_fp_ieee_div_zero 0
		.amdhsa_exception_fp_ieee_overflow 0
		.amdhsa_exception_fp_ieee_underflow 0
		.amdhsa_exception_fp_ieee_inexact 0
		.amdhsa_exception_int_div_zero 0
	.end_amdhsa_kernel
	.section	.text._ZN7rocprim17ROCPRIM_400000_NS6detail17trampoline_kernelINS0_14default_configENS1_22reduce_config_selectorIsEEZNS1_11reduce_implILb1ES3_N6thrust23THRUST_200600_302600_NS6detail15normal_iteratorINS8_10device_ptrIsEEEEPiiNS8_4plusIiEEEE10hipError_tPvRmT1_T2_T3_mT4_P12ihipStream_tbEUlT_E1_NS1_11comp_targetILNS1_3genE5ELNS1_11target_archE942ELNS1_3gpuE9ELNS1_3repE0EEENS1_30default_config_static_selectorELNS0_4arch9wavefront6targetE1EEEvSK_,"axG",@progbits,_ZN7rocprim17ROCPRIM_400000_NS6detail17trampoline_kernelINS0_14default_configENS1_22reduce_config_selectorIsEEZNS1_11reduce_implILb1ES3_N6thrust23THRUST_200600_302600_NS6detail15normal_iteratorINS8_10device_ptrIsEEEEPiiNS8_4plusIiEEEE10hipError_tPvRmT1_T2_T3_mT4_P12ihipStream_tbEUlT_E1_NS1_11comp_targetILNS1_3genE5ELNS1_11target_archE942ELNS1_3gpuE9ELNS1_3repE0EEENS1_30default_config_static_selectorELNS0_4arch9wavefront6targetE1EEEvSK_,comdat
.Lfunc_end523:
	.size	_ZN7rocprim17ROCPRIM_400000_NS6detail17trampoline_kernelINS0_14default_configENS1_22reduce_config_selectorIsEEZNS1_11reduce_implILb1ES3_N6thrust23THRUST_200600_302600_NS6detail15normal_iteratorINS8_10device_ptrIsEEEEPiiNS8_4plusIiEEEE10hipError_tPvRmT1_T2_T3_mT4_P12ihipStream_tbEUlT_E1_NS1_11comp_targetILNS1_3genE5ELNS1_11target_archE942ELNS1_3gpuE9ELNS1_3repE0EEENS1_30default_config_static_selectorELNS0_4arch9wavefront6targetE1EEEvSK_, .Lfunc_end523-_ZN7rocprim17ROCPRIM_400000_NS6detail17trampoline_kernelINS0_14default_configENS1_22reduce_config_selectorIsEEZNS1_11reduce_implILb1ES3_N6thrust23THRUST_200600_302600_NS6detail15normal_iteratorINS8_10device_ptrIsEEEEPiiNS8_4plusIiEEEE10hipError_tPvRmT1_T2_T3_mT4_P12ihipStream_tbEUlT_E1_NS1_11comp_targetILNS1_3genE5ELNS1_11target_archE942ELNS1_3gpuE9ELNS1_3repE0EEENS1_30default_config_static_selectorELNS0_4arch9wavefront6targetE1EEEvSK_
                                        ; -- End function
	.set _ZN7rocprim17ROCPRIM_400000_NS6detail17trampoline_kernelINS0_14default_configENS1_22reduce_config_selectorIsEEZNS1_11reduce_implILb1ES3_N6thrust23THRUST_200600_302600_NS6detail15normal_iteratorINS8_10device_ptrIsEEEEPiiNS8_4plusIiEEEE10hipError_tPvRmT1_T2_T3_mT4_P12ihipStream_tbEUlT_E1_NS1_11comp_targetILNS1_3genE5ELNS1_11target_archE942ELNS1_3gpuE9ELNS1_3repE0EEENS1_30default_config_static_selectorELNS0_4arch9wavefront6targetE1EEEvSK_.num_vgpr, 0
	.set _ZN7rocprim17ROCPRIM_400000_NS6detail17trampoline_kernelINS0_14default_configENS1_22reduce_config_selectorIsEEZNS1_11reduce_implILb1ES3_N6thrust23THRUST_200600_302600_NS6detail15normal_iteratorINS8_10device_ptrIsEEEEPiiNS8_4plusIiEEEE10hipError_tPvRmT1_T2_T3_mT4_P12ihipStream_tbEUlT_E1_NS1_11comp_targetILNS1_3genE5ELNS1_11target_archE942ELNS1_3gpuE9ELNS1_3repE0EEENS1_30default_config_static_selectorELNS0_4arch9wavefront6targetE1EEEvSK_.num_agpr, 0
	.set _ZN7rocprim17ROCPRIM_400000_NS6detail17trampoline_kernelINS0_14default_configENS1_22reduce_config_selectorIsEEZNS1_11reduce_implILb1ES3_N6thrust23THRUST_200600_302600_NS6detail15normal_iteratorINS8_10device_ptrIsEEEEPiiNS8_4plusIiEEEE10hipError_tPvRmT1_T2_T3_mT4_P12ihipStream_tbEUlT_E1_NS1_11comp_targetILNS1_3genE5ELNS1_11target_archE942ELNS1_3gpuE9ELNS1_3repE0EEENS1_30default_config_static_selectorELNS0_4arch9wavefront6targetE1EEEvSK_.numbered_sgpr, 0
	.set _ZN7rocprim17ROCPRIM_400000_NS6detail17trampoline_kernelINS0_14default_configENS1_22reduce_config_selectorIsEEZNS1_11reduce_implILb1ES3_N6thrust23THRUST_200600_302600_NS6detail15normal_iteratorINS8_10device_ptrIsEEEEPiiNS8_4plusIiEEEE10hipError_tPvRmT1_T2_T3_mT4_P12ihipStream_tbEUlT_E1_NS1_11comp_targetILNS1_3genE5ELNS1_11target_archE942ELNS1_3gpuE9ELNS1_3repE0EEENS1_30default_config_static_selectorELNS0_4arch9wavefront6targetE1EEEvSK_.num_named_barrier, 0
	.set _ZN7rocprim17ROCPRIM_400000_NS6detail17trampoline_kernelINS0_14default_configENS1_22reduce_config_selectorIsEEZNS1_11reduce_implILb1ES3_N6thrust23THRUST_200600_302600_NS6detail15normal_iteratorINS8_10device_ptrIsEEEEPiiNS8_4plusIiEEEE10hipError_tPvRmT1_T2_T3_mT4_P12ihipStream_tbEUlT_E1_NS1_11comp_targetILNS1_3genE5ELNS1_11target_archE942ELNS1_3gpuE9ELNS1_3repE0EEENS1_30default_config_static_selectorELNS0_4arch9wavefront6targetE1EEEvSK_.private_seg_size, 0
	.set _ZN7rocprim17ROCPRIM_400000_NS6detail17trampoline_kernelINS0_14default_configENS1_22reduce_config_selectorIsEEZNS1_11reduce_implILb1ES3_N6thrust23THRUST_200600_302600_NS6detail15normal_iteratorINS8_10device_ptrIsEEEEPiiNS8_4plusIiEEEE10hipError_tPvRmT1_T2_T3_mT4_P12ihipStream_tbEUlT_E1_NS1_11comp_targetILNS1_3genE5ELNS1_11target_archE942ELNS1_3gpuE9ELNS1_3repE0EEENS1_30default_config_static_selectorELNS0_4arch9wavefront6targetE1EEEvSK_.uses_vcc, 0
	.set _ZN7rocprim17ROCPRIM_400000_NS6detail17trampoline_kernelINS0_14default_configENS1_22reduce_config_selectorIsEEZNS1_11reduce_implILb1ES3_N6thrust23THRUST_200600_302600_NS6detail15normal_iteratorINS8_10device_ptrIsEEEEPiiNS8_4plusIiEEEE10hipError_tPvRmT1_T2_T3_mT4_P12ihipStream_tbEUlT_E1_NS1_11comp_targetILNS1_3genE5ELNS1_11target_archE942ELNS1_3gpuE9ELNS1_3repE0EEENS1_30default_config_static_selectorELNS0_4arch9wavefront6targetE1EEEvSK_.uses_flat_scratch, 0
	.set _ZN7rocprim17ROCPRIM_400000_NS6detail17trampoline_kernelINS0_14default_configENS1_22reduce_config_selectorIsEEZNS1_11reduce_implILb1ES3_N6thrust23THRUST_200600_302600_NS6detail15normal_iteratorINS8_10device_ptrIsEEEEPiiNS8_4plusIiEEEE10hipError_tPvRmT1_T2_T3_mT4_P12ihipStream_tbEUlT_E1_NS1_11comp_targetILNS1_3genE5ELNS1_11target_archE942ELNS1_3gpuE9ELNS1_3repE0EEENS1_30default_config_static_selectorELNS0_4arch9wavefront6targetE1EEEvSK_.has_dyn_sized_stack, 0
	.set _ZN7rocprim17ROCPRIM_400000_NS6detail17trampoline_kernelINS0_14default_configENS1_22reduce_config_selectorIsEEZNS1_11reduce_implILb1ES3_N6thrust23THRUST_200600_302600_NS6detail15normal_iteratorINS8_10device_ptrIsEEEEPiiNS8_4plusIiEEEE10hipError_tPvRmT1_T2_T3_mT4_P12ihipStream_tbEUlT_E1_NS1_11comp_targetILNS1_3genE5ELNS1_11target_archE942ELNS1_3gpuE9ELNS1_3repE0EEENS1_30default_config_static_selectorELNS0_4arch9wavefront6targetE1EEEvSK_.has_recursion, 0
	.set _ZN7rocprim17ROCPRIM_400000_NS6detail17trampoline_kernelINS0_14default_configENS1_22reduce_config_selectorIsEEZNS1_11reduce_implILb1ES3_N6thrust23THRUST_200600_302600_NS6detail15normal_iteratorINS8_10device_ptrIsEEEEPiiNS8_4plusIiEEEE10hipError_tPvRmT1_T2_T3_mT4_P12ihipStream_tbEUlT_E1_NS1_11comp_targetILNS1_3genE5ELNS1_11target_archE942ELNS1_3gpuE9ELNS1_3repE0EEENS1_30default_config_static_selectorELNS0_4arch9wavefront6targetE1EEEvSK_.has_indirect_call, 0
	.section	.AMDGPU.csdata,"",@progbits
; Kernel info:
; codeLenInByte = 0
; TotalNumSgprs: 6
; NumVgprs: 0
; NumAgprs: 0
; TotalNumVgprs: 0
; ScratchSize: 0
; MemoryBound: 0
; FloatMode: 240
; IeeeMode: 1
; LDSByteSize: 0 bytes/workgroup (compile time only)
; SGPRBlocks: 0
; VGPRBlocks: 0
; NumSGPRsForWavesPerEU: 6
; NumVGPRsForWavesPerEU: 1
; AccumOffset: 4
; Occupancy: 8
; WaveLimiterHint : 0
; COMPUTE_PGM_RSRC2:SCRATCH_EN: 0
; COMPUTE_PGM_RSRC2:USER_SGPR: 2
; COMPUTE_PGM_RSRC2:TRAP_HANDLER: 0
; COMPUTE_PGM_RSRC2:TGID_X_EN: 1
; COMPUTE_PGM_RSRC2:TGID_Y_EN: 0
; COMPUTE_PGM_RSRC2:TGID_Z_EN: 0
; COMPUTE_PGM_RSRC2:TIDIG_COMP_CNT: 0
; COMPUTE_PGM_RSRC3_GFX90A:ACCUM_OFFSET: 0
; COMPUTE_PGM_RSRC3_GFX90A:TG_SPLIT: 0
	.section	.text._ZN7rocprim17ROCPRIM_400000_NS6detail17trampoline_kernelINS0_14default_configENS1_22reduce_config_selectorIsEEZNS1_11reduce_implILb1ES3_N6thrust23THRUST_200600_302600_NS6detail15normal_iteratorINS8_10device_ptrIsEEEEPiiNS8_4plusIiEEEE10hipError_tPvRmT1_T2_T3_mT4_P12ihipStream_tbEUlT_E1_NS1_11comp_targetILNS1_3genE4ELNS1_11target_archE910ELNS1_3gpuE8ELNS1_3repE0EEENS1_30default_config_static_selectorELNS0_4arch9wavefront6targetE1EEEvSK_,"axG",@progbits,_ZN7rocprim17ROCPRIM_400000_NS6detail17trampoline_kernelINS0_14default_configENS1_22reduce_config_selectorIsEEZNS1_11reduce_implILb1ES3_N6thrust23THRUST_200600_302600_NS6detail15normal_iteratorINS8_10device_ptrIsEEEEPiiNS8_4plusIiEEEE10hipError_tPvRmT1_T2_T3_mT4_P12ihipStream_tbEUlT_E1_NS1_11comp_targetILNS1_3genE4ELNS1_11target_archE910ELNS1_3gpuE8ELNS1_3repE0EEENS1_30default_config_static_selectorELNS0_4arch9wavefront6targetE1EEEvSK_,comdat
	.protected	_ZN7rocprim17ROCPRIM_400000_NS6detail17trampoline_kernelINS0_14default_configENS1_22reduce_config_selectorIsEEZNS1_11reduce_implILb1ES3_N6thrust23THRUST_200600_302600_NS6detail15normal_iteratorINS8_10device_ptrIsEEEEPiiNS8_4plusIiEEEE10hipError_tPvRmT1_T2_T3_mT4_P12ihipStream_tbEUlT_E1_NS1_11comp_targetILNS1_3genE4ELNS1_11target_archE910ELNS1_3gpuE8ELNS1_3repE0EEENS1_30default_config_static_selectorELNS0_4arch9wavefront6targetE1EEEvSK_ ; -- Begin function _ZN7rocprim17ROCPRIM_400000_NS6detail17trampoline_kernelINS0_14default_configENS1_22reduce_config_selectorIsEEZNS1_11reduce_implILb1ES3_N6thrust23THRUST_200600_302600_NS6detail15normal_iteratorINS8_10device_ptrIsEEEEPiiNS8_4plusIiEEEE10hipError_tPvRmT1_T2_T3_mT4_P12ihipStream_tbEUlT_E1_NS1_11comp_targetILNS1_3genE4ELNS1_11target_archE910ELNS1_3gpuE8ELNS1_3repE0EEENS1_30default_config_static_selectorELNS0_4arch9wavefront6targetE1EEEvSK_
	.globl	_ZN7rocprim17ROCPRIM_400000_NS6detail17trampoline_kernelINS0_14default_configENS1_22reduce_config_selectorIsEEZNS1_11reduce_implILb1ES3_N6thrust23THRUST_200600_302600_NS6detail15normal_iteratorINS8_10device_ptrIsEEEEPiiNS8_4plusIiEEEE10hipError_tPvRmT1_T2_T3_mT4_P12ihipStream_tbEUlT_E1_NS1_11comp_targetILNS1_3genE4ELNS1_11target_archE910ELNS1_3gpuE8ELNS1_3repE0EEENS1_30default_config_static_selectorELNS0_4arch9wavefront6targetE1EEEvSK_
	.p2align	8
	.type	_ZN7rocprim17ROCPRIM_400000_NS6detail17trampoline_kernelINS0_14default_configENS1_22reduce_config_selectorIsEEZNS1_11reduce_implILb1ES3_N6thrust23THRUST_200600_302600_NS6detail15normal_iteratorINS8_10device_ptrIsEEEEPiiNS8_4plusIiEEEE10hipError_tPvRmT1_T2_T3_mT4_P12ihipStream_tbEUlT_E1_NS1_11comp_targetILNS1_3genE4ELNS1_11target_archE910ELNS1_3gpuE8ELNS1_3repE0EEENS1_30default_config_static_selectorELNS0_4arch9wavefront6targetE1EEEvSK_,@function
_ZN7rocprim17ROCPRIM_400000_NS6detail17trampoline_kernelINS0_14default_configENS1_22reduce_config_selectorIsEEZNS1_11reduce_implILb1ES3_N6thrust23THRUST_200600_302600_NS6detail15normal_iteratorINS8_10device_ptrIsEEEEPiiNS8_4plusIiEEEE10hipError_tPvRmT1_T2_T3_mT4_P12ihipStream_tbEUlT_E1_NS1_11comp_targetILNS1_3genE4ELNS1_11target_archE910ELNS1_3gpuE8ELNS1_3repE0EEENS1_30default_config_static_selectorELNS0_4arch9wavefront6targetE1EEEvSK_: ; @_ZN7rocprim17ROCPRIM_400000_NS6detail17trampoline_kernelINS0_14default_configENS1_22reduce_config_selectorIsEEZNS1_11reduce_implILb1ES3_N6thrust23THRUST_200600_302600_NS6detail15normal_iteratorINS8_10device_ptrIsEEEEPiiNS8_4plusIiEEEE10hipError_tPvRmT1_T2_T3_mT4_P12ihipStream_tbEUlT_E1_NS1_11comp_targetILNS1_3genE4ELNS1_11target_archE910ELNS1_3gpuE8ELNS1_3repE0EEENS1_30default_config_static_selectorELNS0_4arch9wavefront6targetE1EEEvSK_
; %bb.0:
	.section	.rodata,"a",@progbits
	.p2align	6, 0x0
	.amdhsa_kernel _ZN7rocprim17ROCPRIM_400000_NS6detail17trampoline_kernelINS0_14default_configENS1_22reduce_config_selectorIsEEZNS1_11reduce_implILb1ES3_N6thrust23THRUST_200600_302600_NS6detail15normal_iteratorINS8_10device_ptrIsEEEEPiiNS8_4plusIiEEEE10hipError_tPvRmT1_T2_T3_mT4_P12ihipStream_tbEUlT_E1_NS1_11comp_targetILNS1_3genE4ELNS1_11target_archE910ELNS1_3gpuE8ELNS1_3repE0EEENS1_30default_config_static_selectorELNS0_4arch9wavefront6targetE1EEEvSK_
		.amdhsa_group_segment_fixed_size 0
		.amdhsa_private_segment_fixed_size 0
		.amdhsa_kernarg_size 40
		.amdhsa_user_sgpr_count 2
		.amdhsa_user_sgpr_dispatch_ptr 0
		.amdhsa_user_sgpr_queue_ptr 0
		.amdhsa_user_sgpr_kernarg_segment_ptr 1
		.amdhsa_user_sgpr_dispatch_id 0
		.amdhsa_user_sgpr_kernarg_preload_length 0
		.amdhsa_user_sgpr_kernarg_preload_offset 0
		.amdhsa_user_sgpr_private_segment_size 0
		.amdhsa_uses_dynamic_stack 0
		.amdhsa_enable_private_segment 0
		.amdhsa_system_sgpr_workgroup_id_x 1
		.amdhsa_system_sgpr_workgroup_id_y 0
		.amdhsa_system_sgpr_workgroup_id_z 0
		.amdhsa_system_sgpr_workgroup_info 0
		.amdhsa_system_vgpr_workitem_id 0
		.amdhsa_next_free_vgpr 1
		.amdhsa_next_free_sgpr 0
		.amdhsa_accum_offset 4
		.amdhsa_reserve_vcc 0
		.amdhsa_float_round_mode_32 0
		.amdhsa_float_round_mode_16_64 0
		.amdhsa_float_denorm_mode_32 3
		.amdhsa_float_denorm_mode_16_64 3
		.amdhsa_dx10_clamp 1
		.amdhsa_ieee_mode 1
		.amdhsa_fp16_overflow 0
		.amdhsa_tg_split 0
		.amdhsa_exception_fp_ieee_invalid_op 0
		.amdhsa_exception_fp_denorm_src 0
		.amdhsa_exception_fp_ieee_div_zero 0
		.amdhsa_exception_fp_ieee_overflow 0
		.amdhsa_exception_fp_ieee_underflow 0
		.amdhsa_exception_fp_ieee_inexact 0
		.amdhsa_exception_int_div_zero 0
	.end_amdhsa_kernel
	.section	.text._ZN7rocprim17ROCPRIM_400000_NS6detail17trampoline_kernelINS0_14default_configENS1_22reduce_config_selectorIsEEZNS1_11reduce_implILb1ES3_N6thrust23THRUST_200600_302600_NS6detail15normal_iteratorINS8_10device_ptrIsEEEEPiiNS8_4plusIiEEEE10hipError_tPvRmT1_T2_T3_mT4_P12ihipStream_tbEUlT_E1_NS1_11comp_targetILNS1_3genE4ELNS1_11target_archE910ELNS1_3gpuE8ELNS1_3repE0EEENS1_30default_config_static_selectorELNS0_4arch9wavefront6targetE1EEEvSK_,"axG",@progbits,_ZN7rocprim17ROCPRIM_400000_NS6detail17trampoline_kernelINS0_14default_configENS1_22reduce_config_selectorIsEEZNS1_11reduce_implILb1ES3_N6thrust23THRUST_200600_302600_NS6detail15normal_iteratorINS8_10device_ptrIsEEEEPiiNS8_4plusIiEEEE10hipError_tPvRmT1_T2_T3_mT4_P12ihipStream_tbEUlT_E1_NS1_11comp_targetILNS1_3genE4ELNS1_11target_archE910ELNS1_3gpuE8ELNS1_3repE0EEENS1_30default_config_static_selectorELNS0_4arch9wavefront6targetE1EEEvSK_,comdat
.Lfunc_end524:
	.size	_ZN7rocprim17ROCPRIM_400000_NS6detail17trampoline_kernelINS0_14default_configENS1_22reduce_config_selectorIsEEZNS1_11reduce_implILb1ES3_N6thrust23THRUST_200600_302600_NS6detail15normal_iteratorINS8_10device_ptrIsEEEEPiiNS8_4plusIiEEEE10hipError_tPvRmT1_T2_T3_mT4_P12ihipStream_tbEUlT_E1_NS1_11comp_targetILNS1_3genE4ELNS1_11target_archE910ELNS1_3gpuE8ELNS1_3repE0EEENS1_30default_config_static_selectorELNS0_4arch9wavefront6targetE1EEEvSK_, .Lfunc_end524-_ZN7rocprim17ROCPRIM_400000_NS6detail17trampoline_kernelINS0_14default_configENS1_22reduce_config_selectorIsEEZNS1_11reduce_implILb1ES3_N6thrust23THRUST_200600_302600_NS6detail15normal_iteratorINS8_10device_ptrIsEEEEPiiNS8_4plusIiEEEE10hipError_tPvRmT1_T2_T3_mT4_P12ihipStream_tbEUlT_E1_NS1_11comp_targetILNS1_3genE4ELNS1_11target_archE910ELNS1_3gpuE8ELNS1_3repE0EEENS1_30default_config_static_selectorELNS0_4arch9wavefront6targetE1EEEvSK_
                                        ; -- End function
	.set _ZN7rocprim17ROCPRIM_400000_NS6detail17trampoline_kernelINS0_14default_configENS1_22reduce_config_selectorIsEEZNS1_11reduce_implILb1ES3_N6thrust23THRUST_200600_302600_NS6detail15normal_iteratorINS8_10device_ptrIsEEEEPiiNS8_4plusIiEEEE10hipError_tPvRmT1_T2_T3_mT4_P12ihipStream_tbEUlT_E1_NS1_11comp_targetILNS1_3genE4ELNS1_11target_archE910ELNS1_3gpuE8ELNS1_3repE0EEENS1_30default_config_static_selectorELNS0_4arch9wavefront6targetE1EEEvSK_.num_vgpr, 0
	.set _ZN7rocprim17ROCPRIM_400000_NS6detail17trampoline_kernelINS0_14default_configENS1_22reduce_config_selectorIsEEZNS1_11reduce_implILb1ES3_N6thrust23THRUST_200600_302600_NS6detail15normal_iteratorINS8_10device_ptrIsEEEEPiiNS8_4plusIiEEEE10hipError_tPvRmT1_T2_T3_mT4_P12ihipStream_tbEUlT_E1_NS1_11comp_targetILNS1_3genE4ELNS1_11target_archE910ELNS1_3gpuE8ELNS1_3repE0EEENS1_30default_config_static_selectorELNS0_4arch9wavefront6targetE1EEEvSK_.num_agpr, 0
	.set _ZN7rocprim17ROCPRIM_400000_NS6detail17trampoline_kernelINS0_14default_configENS1_22reduce_config_selectorIsEEZNS1_11reduce_implILb1ES3_N6thrust23THRUST_200600_302600_NS6detail15normal_iteratorINS8_10device_ptrIsEEEEPiiNS8_4plusIiEEEE10hipError_tPvRmT1_T2_T3_mT4_P12ihipStream_tbEUlT_E1_NS1_11comp_targetILNS1_3genE4ELNS1_11target_archE910ELNS1_3gpuE8ELNS1_3repE0EEENS1_30default_config_static_selectorELNS0_4arch9wavefront6targetE1EEEvSK_.numbered_sgpr, 0
	.set _ZN7rocprim17ROCPRIM_400000_NS6detail17trampoline_kernelINS0_14default_configENS1_22reduce_config_selectorIsEEZNS1_11reduce_implILb1ES3_N6thrust23THRUST_200600_302600_NS6detail15normal_iteratorINS8_10device_ptrIsEEEEPiiNS8_4plusIiEEEE10hipError_tPvRmT1_T2_T3_mT4_P12ihipStream_tbEUlT_E1_NS1_11comp_targetILNS1_3genE4ELNS1_11target_archE910ELNS1_3gpuE8ELNS1_3repE0EEENS1_30default_config_static_selectorELNS0_4arch9wavefront6targetE1EEEvSK_.num_named_barrier, 0
	.set _ZN7rocprim17ROCPRIM_400000_NS6detail17trampoline_kernelINS0_14default_configENS1_22reduce_config_selectorIsEEZNS1_11reduce_implILb1ES3_N6thrust23THRUST_200600_302600_NS6detail15normal_iteratorINS8_10device_ptrIsEEEEPiiNS8_4plusIiEEEE10hipError_tPvRmT1_T2_T3_mT4_P12ihipStream_tbEUlT_E1_NS1_11comp_targetILNS1_3genE4ELNS1_11target_archE910ELNS1_3gpuE8ELNS1_3repE0EEENS1_30default_config_static_selectorELNS0_4arch9wavefront6targetE1EEEvSK_.private_seg_size, 0
	.set _ZN7rocprim17ROCPRIM_400000_NS6detail17trampoline_kernelINS0_14default_configENS1_22reduce_config_selectorIsEEZNS1_11reduce_implILb1ES3_N6thrust23THRUST_200600_302600_NS6detail15normal_iteratorINS8_10device_ptrIsEEEEPiiNS8_4plusIiEEEE10hipError_tPvRmT1_T2_T3_mT4_P12ihipStream_tbEUlT_E1_NS1_11comp_targetILNS1_3genE4ELNS1_11target_archE910ELNS1_3gpuE8ELNS1_3repE0EEENS1_30default_config_static_selectorELNS0_4arch9wavefront6targetE1EEEvSK_.uses_vcc, 0
	.set _ZN7rocprim17ROCPRIM_400000_NS6detail17trampoline_kernelINS0_14default_configENS1_22reduce_config_selectorIsEEZNS1_11reduce_implILb1ES3_N6thrust23THRUST_200600_302600_NS6detail15normal_iteratorINS8_10device_ptrIsEEEEPiiNS8_4plusIiEEEE10hipError_tPvRmT1_T2_T3_mT4_P12ihipStream_tbEUlT_E1_NS1_11comp_targetILNS1_3genE4ELNS1_11target_archE910ELNS1_3gpuE8ELNS1_3repE0EEENS1_30default_config_static_selectorELNS0_4arch9wavefront6targetE1EEEvSK_.uses_flat_scratch, 0
	.set _ZN7rocprim17ROCPRIM_400000_NS6detail17trampoline_kernelINS0_14default_configENS1_22reduce_config_selectorIsEEZNS1_11reduce_implILb1ES3_N6thrust23THRUST_200600_302600_NS6detail15normal_iteratorINS8_10device_ptrIsEEEEPiiNS8_4plusIiEEEE10hipError_tPvRmT1_T2_T3_mT4_P12ihipStream_tbEUlT_E1_NS1_11comp_targetILNS1_3genE4ELNS1_11target_archE910ELNS1_3gpuE8ELNS1_3repE0EEENS1_30default_config_static_selectorELNS0_4arch9wavefront6targetE1EEEvSK_.has_dyn_sized_stack, 0
	.set _ZN7rocprim17ROCPRIM_400000_NS6detail17trampoline_kernelINS0_14default_configENS1_22reduce_config_selectorIsEEZNS1_11reduce_implILb1ES3_N6thrust23THRUST_200600_302600_NS6detail15normal_iteratorINS8_10device_ptrIsEEEEPiiNS8_4plusIiEEEE10hipError_tPvRmT1_T2_T3_mT4_P12ihipStream_tbEUlT_E1_NS1_11comp_targetILNS1_3genE4ELNS1_11target_archE910ELNS1_3gpuE8ELNS1_3repE0EEENS1_30default_config_static_selectorELNS0_4arch9wavefront6targetE1EEEvSK_.has_recursion, 0
	.set _ZN7rocprim17ROCPRIM_400000_NS6detail17trampoline_kernelINS0_14default_configENS1_22reduce_config_selectorIsEEZNS1_11reduce_implILb1ES3_N6thrust23THRUST_200600_302600_NS6detail15normal_iteratorINS8_10device_ptrIsEEEEPiiNS8_4plusIiEEEE10hipError_tPvRmT1_T2_T3_mT4_P12ihipStream_tbEUlT_E1_NS1_11comp_targetILNS1_3genE4ELNS1_11target_archE910ELNS1_3gpuE8ELNS1_3repE0EEENS1_30default_config_static_selectorELNS0_4arch9wavefront6targetE1EEEvSK_.has_indirect_call, 0
	.section	.AMDGPU.csdata,"",@progbits
; Kernel info:
; codeLenInByte = 0
; TotalNumSgprs: 6
; NumVgprs: 0
; NumAgprs: 0
; TotalNumVgprs: 0
; ScratchSize: 0
; MemoryBound: 0
; FloatMode: 240
; IeeeMode: 1
; LDSByteSize: 0 bytes/workgroup (compile time only)
; SGPRBlocks: 0
; VGPRBlocks: 0
; NumSGPRsForWavesPerEU: 6
; NumVGPRsForWavesPerEU: 1
; AccumOffset: 4
; Occupancy: 8
; WaveLimiterHint : 0
; COMPUTE_PGM_RSRC2:SCRATCH_EN: 0
; COMPUTE_PGM_RSRC2:USER_SGPR: 2
; COMPUTE_PGM_RSRC2:TRAP_HANDLER: 0
; COMPUTE_PGM_RSRC2:TGID_X_EN: 1
; COMPUTE_PGM_RSRC2:TGID_Y_EN: 0
; COMPUTE_PGM_RSRC2:TGID_Z_EN: 0
; COMPUTE_PGM_RSRC2:TIDIG_COMP_CNT: 0
; COMPUTE_PGM_RSRC3_GFX90A:ACCUM_OFFSET: 0
; COMPUTE_PGM_RSRC3_GFX90A:TG_SPLIT: 0
	.section	.text._ZN7rocprim17ROCPRIM_400000_NS6detail17trampoline_kernelINS0_14default_configENS1_22reduce_config_selectorIsEEZNS1_11reduce_implILb1ES3_N6thrust23THRUST_200600_302600_NS6detail15normal_iteratorINS8_10device_ptrIsEEEEPiiNS8_4plusIiEEEE10hipError_tPvRmT1_T2_T3_mT4_P12ihipStream_tbEUlT_E1_NS1_11comp_targetILNS1_3genE3ELNS1_11target_archE908ELNS1_3gpuE7ELNS1_3repE0EEENS1_30default_config_static_selectorELNS0_4arch9wavefront6targetE1EEEvSK_,"axG",@progbits,_ZN7rocprim17ROCPRIM_400000_NS6detail17trampoline_kernelINS0_14default_configENS1_22reduce_config_selectorIsEEZNS1_11reduce_implILb1ES3_N6thrust23THRUST_200600_302600_NS6detail15normal_iteratorINS8_10device_ptrIsEEEEPiiNS8_4plusIiEEEE10hipError_tPvRmT1_T2_T3_mT4_P12ihipStream_tbEUlT_E1_NS1_11comp_targetILNS1_3genE3ELNS1_11target_archE908ELNS1_3gpuE7ELNS1_3repE0EEENS1_30default_config_static_selectorELNS0_4arch9wavefront6targetE1EEEvSK_,comdat
	.protected	_ZN7rocprim17ROCPRIM_400000_NS6detail17trampoline_kernelINS0_14default_configENS1_22reduce_config_selectorIsEEZNS1_11reduce_implILb1ES3_N6thrust23THRUST_200600_302600_NS6detail15normal_iteratorINS8_10device_ptrIsEEEEPiiNS8_4plusIiEEEE10hipError_tPvRmT1_T2_T3_mT4_P12ihipStream_tbEUlT_E1_NS1_11comp_targetILNS1_3genE3ELNS1_11target_archE908ELNS1_3gpuE7ELNS1_3repE0EEENS1_30default_config_static_selectorELNS0_4arch9wavefront6targetE1EEEvSK_ ; -- Begin function _ZN7rocprim17ROCPRIM_400000_NS6detail17trampoline_kernelINS0_14default_configENS1_22reduce_config_selectorIsEEZNS1_11reduce_implILb1ES3_N6thrust23THRUST_200600_302600_NS6detail15normal_iteratorINS8_10device_ptrIsEEEEPiiNS8_4plusIiEEEE10hipError_tPvRmT1_T2_T3_mT4_P12ihipStream_tbEUlT_E1_NS1_11comp_targetILNS1_3genE3ELNS1_11target_archE908ELNS1_3gpuE7ELNS1_3repE0EEENS1_30default_config_static_selectorELNS0_4arch9wavefront6targetE1EEEvSK_
	.globl	_ZN7rocprim17ROCPRIM_400000_NS6detail17trampoline_kernelINS0_14default_configENS1_22reduce_config_selectorIsEEZNS1_11reduce_implILb1ES3_N6thrust23THRUST_200600_302600_NS6detail15normal_iteratorINS8_10device_ptrIsEEEEPiiNS8_4plusIiEEEE10hipError_tPvRmT1_T2_T3_mT4_P12ihipStream_tbEUlT_E1_NS1_11comp_targetILNS1_3genE3ELNS1_11target_archE908ELNS1_3gpuE7ELNS1_3repE0EEENS1_30default_config_static_selectorELNS0_4arch9wavefront6targetE1EEEvSK_
	.p2align	8
	.type	_ZN7rocprim17ROCPRIM_400000_NS6detail17trampoline_kernelINS0_14default_configENS1_22reduce_config_selectorIsEEZNS1_11reduce_implILb1ES3_N6thrust23THRUST_200600_302600_NS6detail15normal_iteratorINS8_10device_ptrIsEEEEPiiNS8_4plusIiEEEE10hipError_tPvRmT1_T2_T3_mT4_P12ihipStream_tbEUlT_E1_NS1_11comp_targetILNS1_3genE3ELNS1_11target_archE908ELNS1_3gpuE7ELNS1_3repE0EEENS1_30default_config_static_selectorELNS0_4arch9wavefront6targetE1EEEvSK_,@function
_ZN7rocprim17ROCPRIM_400000_NS6detail17trampoline_kernelINS0_14default_configENS1_22reduce_config_selectorIsEEZNS1_11reduce_implILb1ES3_N6thrust23THRUST_200600_302600_NS6detail15normal_iteratorINS8_10device_ptrIsEEEEPiiNS8_4plusIiEEEE10hipError_tPvRmT1_T2_T3_mT4_P12ihipStream_tbEUlT_E1_NS1_11comp_targetILNS1_3genE3ELNS1_11target_archE908ELNS1_3gpuE7ELNS1_3repE0EEENS1_30default_config_static_selectorELNS0_4arch9wavefront6targetE1EEEvSK_: ; @_ZN7rocprim17ROCPRIM_400000_NS6detail17trampoline_kernelINS0_14default_configENS1_22reduce_config_selectorIsEEZNS1_11reduce_implILb1ES3_N6thrust23THRUST_200600_302600_NS6detail15normal_iteratorINS8_10device_ptrIsEEEEPiiNS8_4plusIiEEEE10hipError_tPvRmT1_T2_T3_mT4_P12ihipStream_tbEUlT_E1_NS1_11comp_targetILNS1_3genE3ELNS1_11target_archE908ELNS1_3gpuE7ELNS1_3repE0EEENS1_30default_config_static_selectorELNS0_4arch9wavefront6targetE1EEEvSK_
; %bb.0:
	.section	.rodata,"a",@progbits
	.p2align	6, 0x0
	.amdhsa_kernel _ZN7rocprim17ROCPRIM_400000_NS6detail17trampoline_kernelINS0_14default_configENS1_22reduce_config_selectorIsEEZNS1_11reduce_implILb1ES3_N6thrust23THRUST_200600_302600_NS6detail15normal_iteratorINS8_10device_ptrIsEEEEPiiNS8_4plusIiEEEE10hipError_tPvRmT1_T2_T3_mT4_P12ihipStream_tbEUlT_E1_NS1_11comp_targetILNS1_3genE3ELNS1_11target_archE908ELNS1_3gpuE7ELNS1_3repE0EEENS1_30default_config_static_selectorELNS0_4arch9wavefront6targetE1EEEvSK_
		.amdhsa_group_segment_fixed_size 0
		.amdhsa_private_segment_fixed_size 0
		.amdhsa_kernarg_size 40
		.amdhsa_user_sgpr_count 2
		.amdhsa_user_sgpr_dispatch_ptr 0
		.amdhsa_user_sgpr_queue_ptr 0
		.amdhsa_user_sgpr_kernarg_segment_ptr 1
		.amdhsa_user_sgpr_dispatch_id 0
		.amdhsa_user_sgpr_kernarg_preload_length 0
		.amdhsa_user_sgpr_kernarg_preload_offset 0
		.amdhsa_user_sgpr_private_segment_size 0
		.amdhsa_uses_dynamic_stack 0
		.amdhsa_enable_private_segment 0
		.amdhsa_system_sgpr_workgroup_id_x 1
		.amdhsa_system_sgpr_workgroup_id_y 0
		.amdhsa_system_sgpr_workgroup_id_z 0
		.amdhsa_system_sgpr_workgroup_info 0
		.amdhsa_system_vgpr_workitem_id 0
		.amdhsa_next_free_vgpr 1
		.amdhsa_next_free_sgpr 0
		.amdhsa_accum_offset 4
		.amdhsa_reserve_vcc 0
		.amdhsa_float_round_mode_32 0
		.amdhsa_float_round_mode_16_64 0
		.amdhsa_float_denorm_mode_32 3
		.amdhsa_float_denorm_mode_16_64 3
		.amdhsa_dx10_clamp 1
		.amdhsa_ieee_mode 1
		.amdhsa_fp16_overflow 0
		.amdhsa_tg_split 0
		.amdhsa_exception_fp_ieee_invalid_op 0
		.amdhsa_exception_fp_denorm_src 0
		.amdhsa_exception_fp_ieee_div_zero 0
		.amdhsa_exception_fp_ieee_overflow 0
		.amdhsa_exception_fp_ieee_underflow 0
		.amdhsa_exception_fp_ieee_inexact 0
		.amdhsa_exception_int_div_zero 0
	.end_amdhsa_kernel
	.section	.text._ZN7rocprim17ROCPRIM_400000_NS6detail17trampoline_kernelINS0_14default_configENS1_22reduce_config_selectorIsEEZNS1_11reduce_implILb1ES3_N6thrust23THRUST_200600_302600_NS6detail15normal_iteratorINS8_10device_ptrIsEEEEPiiNS8_4plusIiEEEE10hipError_tPvRmT1_T2_T3_mT4_P12ihipStream_tbEUlT_E1_NS1_11comp_targetILNS1_3genE3ELNS1_11target_archE908ELNS1_3gpuE7ELNS1_3repE0EEENS1_30default_config_static_selectorELNS0_4arch9wavefront6targetE1EEEvSK_,"axG",@progbits,_ZN7rocprim17ROCPRIM_400000_NS6detail17trampoline_kernelINS0_14default_configENS1_22reduce_config_selectorIsEEZNS1_11reduce_implILb1ES3_N6thrust23THRUST_200600_302600_NS6detail15normal_iteratorINS8_10device_ptrIsEEEEPiiNS8_4plusIiEEEE10hipError_tPvRmT1_T2_T3_mT4_P12ihipStream_tbEUlT_E1_NS1_11comp_targetILNS1_3genE3ELNS1_11target_archE908ELNS1_3gpuE7ELNS1_3repE0EEENS1_30default_config_static_selectorELNS0_4arch9wavefront6targetE1EEEvSK_,comdat
.Lfunc_end525:
	.size	_ZN7rocprim17ROCPRIM_400000_NS6detail17trampoline_kernelINS0_14default_configENS1_22reduce_config_selectorIsEEZNS1_11reduce_implILb1ES3_N6thrust23THRUST_200600_302600_NS6detail15normal_iteratorINS8_10device_ptrIsEEEEPiiNS8_4plusIiEEEE10hipError_tPvRmT1_T2_T3_mT4_P12ihipStream_tbEUlT_E1_NS1_11comp_targetILNS1_3genE3ELNS1_11target_archE908ELNS1_3gpuE7ELNS1_3repE0EEENS1_30default_config_static_selectorELNS0_4arch9wavefront6targetE1EEEvSK_, .Lfunc_end525-_ZN7rocprim17ROCPRIM_400000_NS6detail17trampoline_kernelINS0_14default_configENS1_22reduce_config_selectorIsEEZNS1_11reduce_implILb1ES3_N6thrust23THRUST_200600_302600_NS6detail15normal_iteratorINS8_10device_ptrIsEEEEPiiNS8_4plusIiEEEE10hipError_tPvRmT1_T2_T3_mT4_P12ihipStream_tbEUlT_E1_NS1_11comp_targetILNS1_3genE3ELNS1_11target_archE908ELNS1_3gpuE7ELNS1_3repE0EEENS1_30default_config_static_selectorELNS0_4arch9wavefront6targetE1EEEvSK_
                                        ; -- End function
	.set _ZN7rocprim17ROCPRIM_400000_NS6detail17trampoline_kernelINS0_14default_configENS1_22reduce_config_selectorIsEEZNS1_11reduce_implILb1ES3_N6thrust23THRUST_200600_302600_NS6detail15normal_iteratorINS8_10device_ptrIsEEEEPiiNS8_4plusIiEEEE10hipError_tPvRmT1_T2_T3_mT4_P12ihipStream_tbEUlT_E1_NS1_11comp_targetILNS1_3genE3ELNS1_11target_archE908ELNS1_3gpuE7ELNS1_3repE0EEENS1_30default_config_static_selectorELNS0_4arch9wavefront6targetE1EEEvSK_.num_vgpr, 0
	.set _ZN7rocprim17ROCPRIM_400000_NS6detail17trampoline_kernelINS0_14default_configENS1_22reduce_config_selectorIsEEZNS1_11reduce_implILb1ES3_N6thrust23THRUST_200600_302600_NS6detail15normal_iteratorINS8_10device_ptrIsEEEEPiiNS8_4plusIiEEEE10hipError_tPvRmT1_T2_T3_mT4_P12ihipStream_tbEUlT_E1_NS1_11comp_targetILNS1_3genE3ELNS1_11target_archE908ELNS1_3gpuE7ELNS1_3repE0EEENS1_30default_config_static_selectorELNS0_4arch9wavefront6targetE1EEEvSK_.num_agpr, 0
	.set _ZN7rocprim17ROCPRIM_400000_NS6detail17trampoline_kernelINS0_14default_configENS1_22reduce_config_selectorIsEEZNS1_11reduce_implILb1ES3_N6thrust23THRUST_200600_302600_NS6detail15normal_iteratorINS8_10device_ptrIsEEEEPiiNS8_4plusIiEEEE10hipError_tPvRmT1_T2_T3_mT4_P12ihipStream_tbEUlT_E1_NS1_11comp_targetILNS1_3genE3ELNS1_11target_archE908ELNS1_3gpuE7ELNS1_3repE0EEENS1_30default_config_static_selectorELNS0_4arch9wavefront6targetE1EEEvSK_.numbered_sgpr, 0
	.set _ZN7rocprim17ROCPRIM_400000_NS6detail17trampoline_kernelINS0_14default_configENS1_22reduce_config_selectorIsEEZNS1_11reduce_implILb1ES3_N6thrust23THRUST_200600_302600_NS6detail15normal_iteratorINS8_10device_ptrIsEEEEPiiNS8_4plusIiEEEE10hipError_tPvRmT1_T2_T3_mT4_P12ihipStream_tbEUlT_E1_NS1_11comp_targetILNS1_3genE3ELNS1_11target_archE908ELNS1_3gpuE7ELNS1_3repE0EEENS1_30default_config_static_selectorELNS0_4arch9wavefront6targetE1EEEvSK_.num_named_barrier, 0
	.set _ZN7rocprim17ROCPRIM_400000_NS6detail17trampoline_kernelINS0_14default_configENS1_22reduce_config_selectorIsEEZNS1_11reduce_implILb1ES3_N6thrust23THRUST_200600_302600_NS6detail15normal_iteratorINS8_10device_ptrIsEEEEPiiNS8_4plusIiEEEE10hipError_tPvRmT1_T2_T3_mT4_P12ihipStream_tbEUlT_E1_NS1_11comp_targetILNS1_3genE3ELNS1_11target_archE908ELNS1_3gpuE7ELNS1_3repE0EEENS1_30default_config_static_selectorELNS0_4arch9wavefront6targetE1EEEvSK_.private_seg_size, 0
	.set _ZN7rocprim17ROCPRIM_400000_NS6detail17trampoline_kernelINS0_14default_configENS1_22reduce_config_selectorIsEEZNS1_11reduce_implILb1ES3_N6thrust23THRUST_200600_302600_NS6detail15normal_iteratorINS8_10device_ptrIsEEEEPiiNS8_4plusIiEEEE10hipError_tPvRmT1_T2_T3_mT4_P12ihipStream_tbEUlT_E1_NS1_11comp_targetILNS1_3genE3ELNS1_11target_archE908ELNS1_3gpuE7ELNS1_3repE0EEENS1_30default_config_static_selectorELNS0_4arch9wavefront6targetE1EEEvSK_.uses_vcc, 0
	.set _ZN7rocprim17ROCPRIM_400000_NS6detail17trampoline_kernelINS0_14default_configENS1_22reduce_config_selectorIsEEZNS1_11reduce_implILb1ES3_N6thrust23THRUST_200600_302600_NS6detail15normal_iteratorINS8_10device_ptrIsEEEEPiiNS8_4plusIiEEEE10hipError_tPvRmT1_T2_T3_mT4_P12ihipStream_tbEUlT_E1_NS1_11comp_targetILNS1_3genE3ELNS1_11target_archE908ELNS1_3gpuE7ELNS1_3repE0EEENS1_30default_config_static_selectorELNS0_4arch9wavefront6targetE1EEEvSK_.uses_flat_scratch, 0
	.set _ZN7rocprim17ROCPRIM_400000_NS6detail17trampoline_kernelINS0_14default_configENS1_22reduce_config_selectorIsEEZNS1_11reduce_implILb1ES3_N6thrust23THRUST_200600_302600_NS6detail15normal_iteratorINS8_10device_ptrIsEEEEPiiNS8_4plusIiEEEE10hipError_tPvRmT1_T2_T3_mT4_P12ihipStream_tbEUlT_E1_NS1_11comp_targetILNS1_3genE3ELNS1_11target_archE908ELNS1_3gpuE7ELNS1_3repE0EEENS1_30default_config_static_selectorELNS0_4arch9wavefront6targetE1EEEvSK_.has_dyn_sized_stack, 0
	.set _ZN7rocprim17ROCPRIM_400000_NS6detail17trampoline_kernelINS0_14default_configENS1_22reduce_config_selectorIsEEZNS1_11reduce_implILb1ES3_N6thrust23THRUST_200600_302600_NS6detail15normal_iteratorINS8_10device_ptrIsEEEEPiiNS8_4plusIiEEEE10hipError_tPvRmT1_T2_T3_mT4_P12ihipStream_tbEUlT_E1_NS1_11comp_targetILNS1_3genE3ELNS1_11target_archE908ELNS1_3gpuE7ELNS1_3repE0EEENS1_30default_config_static_selectorELNS0_4arch9wavefront6targetE1EEEvSK_.has_recursion, 0
	.set _ZN7rocprim17ROCPRIM_400000_NS6detail17trampoline_kernelINS0_14default_configENS1_22reduce_config_selectorIsEEZNS1_11reduce_implILb1ES3_N6thrust23THRUST_200600_302600_NS6detail15normal_iteratorINS8_10device_ptrIsEEEEPiiNS8_4plusIiEEEE10hipError_tPvRmT1_T2_T3_mT4_P12ihipStream_tbEUlT_E1_NS1_11comp_targetILNS1_3genE3ELNS1_11target_archE908ELNS1_3gpuE7ELNS1_3repE0EEENS1_30default_config_static_selectorELNS0_4arch9wavefront6targetE1EEEvSK_.has_indirect_call, 0
	.section	.AMDGPU.csdata,"",@progbits
; Kernel info:
; codeLenInByte = 0
; TotalNumSgprs: 6
; NumVgprs: 0
; NumAgprs: 0
; TotalNumVgprs: 0
; ScratchSize: 0
; MemoryBound: 0
; FloatMode: 240
; IeeeMode: 1
; LDSByteSize: 0 bytes/workgroup (compile time only)
; SGPRBlocks: 0
; VGPRBlocks: 0
; NumSGPRsForWavesPerEU: 6
; NumVGPRsForWavesPerEU: 1
; AccumOffset: 4
; Occupancy: 8
; WaveLimiterHint : 0
; COMPUTE_PGM_RSRC2:SCRATCH_EN: 0
; COMPUTE_PGM_RSRC2:USER_SGPR: 2
; COMPUTE_PGM_RSRC2:TRAP_HANDLER: 0
; COMPUTE_PGM_RSRC2:TGID_X_EN: 1
; COMPUTE_PGM_RSRC2:TGID_Y_EN: 0
; COMPUTE_PGM_RSRC2:TGID_Z_EN: 0
; COMPUTE_PGM_RSRC2:TIDIG_COMP_CNT: 0
; COMPUTE_PGM_RSRC3_GFX90A:ACCUM_OFFSET: 0
; COMPUTE_PGM_RSRC3_GFX90A:TG_SPLIT: 0
	.section	.text._ZN7rocprim17ROCPRIM_400000_NS6detail17trampoline_kernelINS0_14default_configENS1_22reduce_config_selectorIsEEZNS1_11reduce_implILb1ES3_N6thrust23THRUST_200600_302600_NS6detail15normal_iteratorINS8_10device_ptrIsEEEEPiiNS8_4plusIiEEEE10hipError_tPvRmT1_T2_T3_mT4_P12ihipStream_tbEUlT_E1_NS1_11comp_targetILNS1_3genE2ELNS1_11target_archE906ELNS1_3gpuE6ELNS1_3repE0EEENS1_30default_config_static_selectorELNS0_4arch9wavefront6targetE1EEEvSK_,"axG",@progbits,_ZN7rocprim17ROCPRIM_400000_NS6detail17trampoline_kernelINS0_14default_configENS1_22reduce_config_selectorIsEEZNS1_11reduce_implILb1ES3_N6thrust23THRUST_200600_302600_NS6detail15normal_iteratorINS8_10device_ptrIsEEEEPiiNS8_4plusIiEEEE10hipError_tPvRmT1_T2_T3_mT4_P12ihipStream_tbEUlT_E1_NS1_11comp_targetILNS1_3genE2ELNS1_11target_archE906ELNS1_3gpuE6ELNS1_3repE0EEENS1_30default_config_static_selectorELNS0_4arch9wavefront6targetE1EEEvSK_,comdat
	.protected	_ZN7rocprim17ROCPRIM_400000_NS6detail17trampoline_kernelINS0_14default_configENS1_22reduce_config_selectorIsEEZNS1_11reduce_implILb1ES3_N6thrust23THRUST_200600_302600_NS6detail15normal_iteratorINS8_10device_ptrIsEEEEPiiNS8_4plusIiEEEE10hipError_tPvRmT1_T2_T3_mT4_P12ihipStream_tbEUlT_E1_NS1_11comp_targetILNS1_3genE2ELNS1_11target_archE906ELNS1_3gpuE6ELNS1_3repE0EEENS1_30default_config_static_selectorELNS0_4arch9wavefront6targetE1EEEvSK_ ; -- Begin function _ZN7rocprim17ROCPRIM_400000_NS6detail17trampoline_kernelINS0_14default_configENS1_22reduce_config_selectorIsEEZNS1_11reduce_implILb1ES3_N6thrust23THRUST_200600_302600_NS6detail15normal_iteratorINS8_10device_ptrIsEEEEPiiNS8_4plusIiEEEE10hipError_tPvRmT1_T2_T3_mT4_P12ihipStream_tbEUlT_E1_NS1_11comp_targetILNS1_3genE2ELNS1_11target_archE906ELNS1_3gpuE6ELNS1_3repE0EEENS1_30default_config_static_selectorELNS0_4arch9wavefront6targetE1EEEvSK_
	.globl	_ZN7rocprim17ROCPRIM_400000_NS6detail17trampoline_kernelINS0_14default_configENS1_22reduce_config_selectorIsEEZNS1_11reduce_implILb1ES3_N6thrust23THRUST_200600_302600_NS6detail15normal_iteratorINS8_10device_ptrIsEEEEPiiNS8_4plusIiEEEE10hipError_tPvRmT1_T2_T3_mT4_P12ihipStream_tbEUlT_E1_NS1_11comp_targetILNS1_3genE2ELNS1_11target_archE906ELNS1_3gpuE6ELNS1_3repE0EEENS1_30default_config_static_selectorELNS0_4arch9wavefront6targetE1EEEvSK_
	.p2align	8
	.type	_ZN7rocprim17ROCPRIM_400000_NS6detail17trampoline_kernelINS0_14default_configENS1_22reduce_config_selectorIsEEZNS1_11reduce_implILb1ES3_N6thrust23THRUST_200600_302600_NS6detail15normal_iteratorINS8_10device_ptrIsEEEEPiiNS8_4plusIiEEEE10hipError_tPvRmT1_T2_T3_mT4_P12ihipStream_tbEUlT_E1_NS1_11comp_targetILNS1_3genE2ELNS1_11target_archE906ELNS1_3gpuE6ELNS1_3repE0EEENS1_30default_config_static_selectorELNS0_4arch9wavefront6targetE1EEEvSK_,@function
_ZN7rocprim17ROCPRIM_400000_NS6detail17trampoline_kernelINS0_14default_configENS1_22reduce_config_selectorIsEEZNS1_11reduce_implILb1ES3_N6thrust23THRUST_200600_302600_NS6detail15normal_iteratorINS8_10device_ptrIsEEEEPiiNS8_4plusIiEEEE10hipError_tPvRmT1_T2_T3_mT4_P12ihipStream_tbEUlT_E1_NS1_11comp_targetILNS1_3genE2ELNS1_11target_archE906ELNS1_3gpuE6ELNS1_3repE0EEENS1_30default_config_static_selectorELNS0_4arch9wavefront6targetE1EEEvSK_: ; @_ZN7rocprim17ROCPRIM_400000_NS6detail17trampoline_kernelINS0_14default_configENS1_22reduce_config_selectorIsEEZNS1_11reduce_implILb1ES3_N6thrust23THRUST_200600_302600_NS6detail15normal_iteratorINS8_10device_ptrIsEEEEPiiNS8_4plusIiEEEE10hipError_tPvRmT1_T2_T3_mT4_P12ihipStream_tbEUlT_E1_NS1_11comp_targetILNS1_3genE2ELNS1_11target_archE906ELNS1_3gpuE6ELNS1_3repE0EEENS1_30default_config_static_selectorELNS0_4arch9wavefront6targetE1EEEvSK_
; %bb.0:
	.section	.rodata,"a",@progbits
	.p2align	6, 0x0
	.amdhsa_kernel _ZN7rocprim17ROCPRIM_400000_NS6detail17trampoline_kernelINS0_14default_configENS1_22reduce_config_selectorIsEEZNS1_11reduce_implILb1ES3_N6thrust23THRUST_200600_302600_NS6detail15normal_iteratorINS8_10device_ptrIsEEEEPiiNS8_4plusIiEEEE10hipError_tPvRmT1_T2_T3_mT4_P12ihipStream_tbEUlT_E1_NS1_11comp_targetILNS1_3genE2ELNS1_11target_archE906ELNS1_3gpuE6ELNS1_3repE0EEENS1_30default_config_static_selectorELNS0_4arch9wavefront6targetE1EEEvSK_
		.amdhsa_group_segment_fixed_size 0
		.amdhsa_private_segment_fixed_size 0
		.amdhsa_kernarg_size 40
		.amdhsa_user_sgpr_count 2
		.amdhsa_user_sgpr_dispatch_ptr 0
		.amdhsa_user_sgpr_queue_ptr 0
		.amdhsa_user_sgpr_kernarg_segment_ptr 1
		.amdhsa_user_sgpr_dispatch_id 0
		.amdhsa_user_sgpr_kernarg_preload_length 0
		.amdhsa_user_sgpr_kernarg_preload_offset 0
		.amdhsa_user_sgpr_private_segment_size 0
		.amdhsa_uses_dynamic_stack 0
		.amdhsa_enable_private_segment 0
		.amdhsa_system_sgpr_workgroup_id_x 1
		.amdhsa_system_sgpr_workgroup_id_y 0
		.amdhsa_system_sgpr_workgroup_id_z 0
		.amdhsa_system_sgpr_workgroup_info 0
		.amdhsa_system_vgpr_workitem_id 0
		.amdhsa_next_free_vgpr 1
		.amdhsa_next_free_sgpr 0
		.amdhsa_accum_offset 4
		.amdhsa_reserve_vcc 0
		.amdhsa_float_round_mode_32 0
		.amdhsa_float_round_mode_16_64 0
		.amdhsa_float_denorm_mode_32 3
		.amdhsa_float_denorm_mode_16_64 3
		.amdhsa_dx10_clamp 1
		.amdhsa_ieee_mode 1
		.amdhsa_fp16_overflow 0
		.amdhsa_tg_split 0
		.amdhsa_exception_fp_ieee_invalid_op 0
		.amdhsa_exception_fp_denorm_src 0
		.amdhsa_exception_fp_ieee_div_zero 0
		.amdhsa_exception_fp_ieee_overflow 0
		.amdhsa_exception_fp_ieee_underflow 0
		.amdhsa_exception_fp_ieee_inexact 0
		.amdhsa_exception_int_div_zero 0
	.end_amdhsa_kernel
	.section	.text._ZN7rocprim17ROCPRIM_400000_NS6detail17trampoline_kernelINS0_14default_configENS1_22reduce_config_selectorIsEEZNS1_11reduce_implILb1ES3_N6thrust23THRUST_200600_302600_NS6detail15normal_iteratorINS8_10device_ptrIsEEEEPiiNS8_4plusIiEEEE10hipError_tPvRmT1_T2_T3_mT4_P12ihipStream_tbEUlT_E1_NS1_11comp_targetILNS1_3genE2ELNS1_11target_archE906ELNS1_3gpuE6ELNS1_3repE0EEENS1_30default_config_static_selectorELNS0_4arch9wavefront6targetE1EEEvSK_,"axG",@progbits,_ZN7rocprim17ROCPRIM_400000_NS6detail17trampoline_kernelINS0_14default_configENS1_22reduce_config_selectorIsEEZNS1_11reduce_implILb1ES3_N6thrust23THRUST_200600_302600_NS6detail15normal_iteratorINS8_10device_ptrIsEEEEPiiNS8_4plusIiEEEE10hipError_tPvRmT1_T2_T3_mT4_P12ihipStream_tbEUlT_E1_NS1_11comp_targetILNS1_3genE2ELNS1_11target_archE906ELNS1_3gpuE6ELNS1_3repE0EEENS1_30default_config_static_selectorELNS0_4arch9wavefront6targetE1EEEvSK_,comdat
.Lfunc_end526:
	.size	_ZN7rocprim17ROCPRIM_400000_NS6detail17trampoline_kernelINS0_14default_configENS1_22reduce_config_selectorIsEEZNS1_11reduce_implILb1ES3_N6thrust23THRUST_200600_302600_NS6detail15normal_iteratorINS8_10device_ptrIsEEEEPiiNS8_4plusIiEEEE10hipError_tPvRmT1_T2_T3_mT4_P12ihipStream_tbEUlT_E1_NS1_11comp_targetILNS1_3genE2ELNS1_11target_archE906ELNS1_3gpuE6ELNS1_3repE0EEENS1_30default_config_static_selectorELNS0_4arch9wavefront6targetE1EEEvSK_, .Lfunc_end526-_ZN7rocprim17ROCPRIM_400000_NS6detail17trampoline_kernelINS0_14default_configENS1_22reduce_config_selectorIsEEZNS1_11reduce_implILb1ES3_N6thrust23THRUST_200600_302600_NS6detail15normal_iteratorINS8_10device_ptrIsEEEEPiiNS8_4plusIiEEEE10hipError_tPvRmT1_T2_T3_mT4_P12ihipStream_tbEUlT_E1_NS1_11comp_targetILNS1_3genE2ELNS1_11target_archE906ELNS1_3gpuE6ELNS1_3repE0EEENS1_30default_config_static_selectorELNS0_4arch9wavefront6targetE1EEEvSK_
                                        ; -- End function
	.set _ZN7rocprim17ROCPRIM_400000_NS6detail17trampoline_kernelINS0_14default_configENS1_22reduce_config_selectorIsEEZNS1_11reduce_implILb1ES3_N6thrust23THRUST_200600_302600_NS6detail15normal_iteratorINS8_10device_ptrIsEEEEPiiNS8_4plusIiEEEE10hipError_tPvRmT1_T2_T3_mT4_P12ihipStream_tbEUlT_E1_NS1_11comp_targetILNS1_3genE2ELNS1_11target_archE906ELNS1_3gpuE6ELNS1_3repE0EEENS1_30default_config_static_selectorELNS0_4arch9wavefront6targetE1EEEvSK_.num_vgpr, 0
	.set _ZN7rocprim17ROCPRIM_400000_NS6detail17trampoline_kernelINS0_14default_configENS1_22reduce_config_selectorIsEEZNS1_11reduce_implILb1ES3_N6thrust23THRUST_200600_302600_NS6detail15normal_iteratorINS8_10device_ptrIsEEEEPiiNS8_4plusIiEEEE10hipError_tPvRmT1_T2_T3_mT4_P12ihipStream_tbEUlT_E1_NS1_11comp_targetILNS1_3genE2ELNS1_11target_archE906ELNS1_3gpuE6ELNS1_3repE0EEENS1_30default_config_static_selectorELNS0_4arch9wavefront6targetE1EEEvSK_.num_agpr, 0
	.set _ZN7rocprim17ROCPRIM_400000_NS6detail17trampoline_kernelINS0_14default_configENS1_22reduce_config_selectorIsEEZNS1_11reduce_implILb1ES3_N6thrust23THRUST_200600_302600_NS6detail15normal_iteratorINS8_10device_ptrIsEEEEPiiNS8_4plusIiEEEE10hipError_tPvRmT1_T2_T3_mT4_P12ihipStream_tbEUlT_E1_NS1_11comp_targetILNS1_3genE2ELNS1_11target_archE906ELNS1_3gpuE6ELNS1_3repE0EEENS1_30default_config_static_selectorELNS0_4arch9wavefront6targetE1EEEvSK_.numbered_sgpr, 0
	.set _ZN7rocprim17ROCPRIM_400000_NS6detail17trampoline_kernelINS0_14default_configENS1_22reduce_config_selectorIsEEZNS1_11reduce_implILb1ES3_N6thrust23THRUST_200600_302600_NS6detail15normal_iteratorINS8_10device_ptrIsEEEEPiiNS8_4plusIiEEEE10hipError_tPvRmT1_T2_T3_mT4_P12ihipStream_tbEUlT_E1_NS1_11comp_targetILNS1_3genE2ELNS1_11target_archE906ELNS1_3gpuE6ELNS1_3repE0EEENS1_30default_config_static_selectorELNS0_4arch9wavefront6targetE1EEEvSK_.num_named_barrier, 0
	.set _ZN7rocprim17ROCPRIM_400000_NS6detail17trampoline_kernelINS0_14default_configENS1_22reduce_config_selectorIsEEZNS1_11reduce_implILb1ES3_N6thrust23THRUST_200600_302600_NS6detail15normal_iteratorINS8_10device_ptrIsEEEEPiiNS8_4plusIiEEEE10hipError_tPvRmT1_T2_T3_mT4_P12ihipStream_tbEUlT_E1_NS1_11comp_targetILNS1_3genE2ELNS1_11target_archE906ELNS1_3gpuE6ELNS1_3repE0EEENS1_30default_config_static_selectorELNS0_4arch9wavefront6targetE1EEEvSK_.private_seg_size, 0
	.set _ZN7rocprim17ROCPRIM_400000_NS6detail17trampoline_kernelINS0_14default_configENS1_22reduce_config_selectorIsEEZNS1_11reduce_implILb1ES3_N6thrust23THRUST_200600_302600_NS6detail15normal_iteratorINS8_10device_ptrIsEEEEPiiNS8_4plusIiEEEE10hipError_tPvRmT1_T2_T3_mT4_P12ihipStream_tbEUlT_E1_NS1_11comp_targetILNS1_3genE2ELNS1_11target_archE906ELNS1_3gpuE6ELNS1_3repE0EEENS1_30default_config_static_selectorELNS0_4arch9wavefront6targetE1EEEvSK_.uses_vcc, 0
	.set _ZN7rocprim17ROCPRIM_400000_NS6detail17trampoline_kernelINS0_14default_configENS1_22reduce_config_selectorIsEEZNS1_11reduce_implILb1ES3_N6thrust23THRUST_200600_302600_NS6detail15normal_iteratorINS8_10device_ptrIsEEEEPiiNS8_4plusIiEEEE10hipError_tPvRmT1_T2_T3_mT4_P12ihipStream_tbEUlT_E1_NS1_11comp_targetILNS1_3genE2ELNS1_11target_archE906ELNS1_3gpuE6ELNS1_3repE0EEENS1_30default_config_static_selectorELNS0_4arch9wavefront6targetE1EEEvSK_.uses_flat_scratch, 0
	.set _ZN7rocprim17ROCPRIM_400000_NS6detail17trampoline_kernelINS0_14default_configENS1_22reduce_config_selectorIsEEZNS1_11reduce_implILb1ES3_N6thrust23THRUST_200600_302600_NS6detail15normal_iteratorINS8_10device_ptrIsEEEEPiiNS8_4plusIiEEEE10hipError_tPvRmT1_T2_T3_mT4_P12ihipStream_tbEUlT_E1_NS1_11comp_targetILNS1_3genE2ELNS1_11target_archE906ELNS1_3gpuE6ELNS1_3repE0EEENS1_30default_config_static_selectorELNS0_4arch9wavefront6targetE1EEEvSK_.has_dyn_sized_stack, 0
	.set _ZN7rocprim17ROCPRIM_400000_NS6detail17trampoline_kernelINS0_14default_configENS1_22reduce_config_selectorIsEEZNS1_11reduce_implILb1ES3_N6thrust23THRUST_200600_302600_NS6detail15normal_iteratorINS8_10device_ptrIsEEEEPiiNS8_4plusIiEEEE10hipError_tPvRmT1_T2_T3_mT4_P12ihipStream_tbEUlT_E1_NS1_11comp_targetILNS1_3genE2ELNS1_11target_archE906ELNS1_3gpuE6ELNS1_3repE0EEENS1_30default_config_static_selectorELNS0_4arch9wavefront6targetE1EEEvSK_.has_recursion, 0
	.set _ZN7rocprim17ROCPRIM_400000_NS6detail17trampoline_kernelINS0_14default_configENS1_22reduce_config_selectorIsEEZNS1_11reduce_implILb1ES3_N6thrust23THRUST_200600_302600_NS6detail15normal_iteratorINS8_10device_ptrIsEEEEPiiNS8_4plusIiEEEE10hipError_tPvRmT1_T2_T3_mT4_P12ihipStream_tbEUlT_E1_NS1_11comp_targetILNS1_3genE2ELNS1_11target_archE906ELNS1_3gpuE6ELNS1_3repE0EEENS1_30default_config_static_selectorELNS0_4arch9wavefront6targetE1EEEvSK_.has_indirect_call, 0
	.section	.AMDGPU.csdata,"",@progbits
; Kernel info:
; codeLenInByte = 0
; TotalNumSgprs: 6
; NumVgprs: 0
; NumAgprs: 0
; TotalNumVgprs: 0
; ScratchSize: 0
; MemoryBound: 0
; FloatMode: 240
; IeeeMode: 1
; LDSByteSize: 0 bytes/workgroup (compile time only)
; SGPRBlocks: 0
; VGPRBlocks: 0
; NumSGPRsForWavesPerEU: 6
; NumVGPRsForWavesPerEU: 1
; AccumOffset: 4
; Occupancy: 8
; WaveLimiterHint : 0
; COMPUTE_PGM_RSRC2:SCRATCH_EN: 0
; COMPUTE_PGM_RSRC2:USER_SGPR: 2
; COMPUTE_PGM_RSRC2:TRAP_HANDLER: 0
; COMPUTE_PGM_RSRC2:TGID_X_EN: 1
; COMPUTE_PGM_RSRC2:TGID_Y_EN: 0
; COMPUTE_PGM_RSRC2:TGID_Z_EN: 0
; COMPUTE_PGM_RSRC2:TIDIG_COMP_CNT: 0
; COMPUTE_PGM_RSRC3_GFX90A:ACCUM_OFFSET: 0
; COMPUTE_PGM_RSRC3_GFX90A:TG_SPLIT: 0
	.section	.text._ZN7rocprim17ROCPRIM_400000_NS6detail17trampoline_kernelINS0_14default_configENS1_22reduce_config_selectorIsEEZNS1_11reduce_implILb1ES3_N6thrust23THRUST_200600_302600_NS6detail15normal_iteratorINS8_10device_ptrIsEEEEPiiNS8_4plusIiEEEE10hipError_tPvRmT1_T2_T3_mT4_P12ihipStream_tbEUlT_E1_NS1_11comp_targetILNS1_3genE10ELNS1_11target_archE1201ELNS1_3gpuE5ELNS1_3repE0EEENS1_30default_config_static_selectorELNS0_4arch9wavefront6targetE1EEEvSK_,"axG",@progbits,_ZN7rocprim17ROCPRIM_400000_NS6detail17trampoline_kernelINS0_14default_configENS1_22reduce_config_selectorIsEEZNS1_11reduce_implILb1ES3_N6thrust23THRUST_200600_302600_NS6detail15normal_iteratorINS8_10device_ptrIsEEEEPiiNS8_4plusIiEEEE10hipError_tPvRmT1_T2_T3_mT4_P12ihipStream_tbEUlT_E1_NS1_11comp_targetILNS1_3genE10ELNS1_11target_archE1201ELNS1_3gpuE5ELNS1_3repE0EEENS1_30default_config_static_selectorELNS0_4arch9wavefront6targetE1EEEvSK_,comdat
	.protected	_ZN7rocprim17ROCPRIM_400000_NS6detail17trampoline_kernelINS0_14default_configENS1_22reduce_config_selectorIsEEZNS1_11reduce_implILb1ES3_N6thrust23THRUST_200600_302600_NS6detail15normal_iteratorINS8_10device_ptrIsEEEEPiiNS8_4plusIiEEEE10hipError_tPvRmT1_T2_T3_mT4_P12ihipStream_tbEUlT_E1_NS1_11comp_targetILNS1_3genE10ELNS1_11target_archE1201ELNS1_3gpuE5ELNS1_3repE0EEENS1_30default_config_static_selectorELNS0_4arch9wavefront6targetE1EEEvSK_ ; -- Begin function _ZN7rocprim17ROCPRIM_400000_NS6detail17trampoline_kernelINS0_14default_configENS1_22reduce_config_selectorIsEEZNS1_11reduce_implILb1ES3_N6thrust23THRUST_200600_302600_NS6detail15normal_iteratorINS8_10device_ptrIsEEEEPiiNS8_4plusIiEEEE10hipError_tPvRmT1_T2_T3_mT4_P12ihipStream_tbEUlT_E1_NS1_11comp_targetILNS1_3genE10ELNS1_11target_archE1201ELNS1_3gpuE5ELNS1_3repE0EEENS1_30default_config_static_selectorELNS0_4arch9wavefront6targetE1EEEvSK_
	.globl	_ZN7rocprim17ROCPRIM_400000_NS6detail17trampoline_kernelINS0_14default_configENS1_22reduce_config_selectorIsEEZNS1_11reduce_implILb1ES3_N6thrust23THRUST_200600_302600_NS6detail15normal_iteratorINS8_10device_ptrIsEEEEPiiNS8_4plusIiEEEE10hipError_tPvRmT1_T2_T3_mT4_P12ihipStream_tbEUlT_E1_NS1_11comp_targetILNS1_3genE10ELNS1_11target_archE1201ELNS1_3gpuE5ELNS1_3repE0EEENS1_30default_config_static_selectorELNS0_4arch9wavefront6targetE1EEEvSK_
	.p2align	8
	.type	_ZN7rocprim17ROCPRIM_400000_NS6detail17trampoline_kernelINS0_14default_configENS1_22reduce_config_selectorIsEEZNS1_11reduce_implILb1ES3_N6thrust23THRUST_200600_302600_NS6detail15normal_iteratorINS8_10device_ptrIsEEEEPiiNS8_4plusIiEEEE10hipError_tPvRmT1_T2_T3_mT4_P12ihipStream_tbEUlT_E1_NS1_11comp_targetILNS1_3genE10ELNS1_11target_archE1201ELNS1_3gpuE5ELNS1_3repE0EEENS1_30default_config_static_selectorELNS0_4arch9wavefront6targetE1EEEvSK_,@function
_ZN7rocprim17ROCPRIM_400000_NS6detail17trampoline_kernelINS0_14default_configENS1_22reduce_config_selectorIsEEZNS1_11reduce_implILb1ES3_N6thrust23THRUST_200600_302600_NS6detail15normal_iteratorINS8_10device_ptrIsEEEEPiiNS8_4plusIiEEEE10hipError_tPvRmT1_T2_T3_mT4_P12ihipStream_tbEUlT_E1_NS1_11comp_targetILNS1_3genE10ELNS1_11target_archE1201ELNS1_3gpuE5ELNS1_3repE0EEENS1_30default_config_static_selectorELNS0_4arch9wavefront6targetE1EEEvSK_: ; @_ZN7rocprim17ROCPRIM_400000_NS6detail17trampoline_kernelINS0_14default_configENS1_22reduce_config_selectorIsEEZNS1_11reduce_implILb1ES3_N6thrust23THRUST_200600_302600_NS6detail15normal_iteratorINS8_10device_ptrIsEEEEPiiNS8_4plusIiEEEE10hipError_tPvRmT1_T2_T3_mT4_P12ihipStream_tbEUlT_E1_NS1_11comp_targetILNS1_3genE10ELNS1_11target_archE1201ELNS1_3gpuE5ELNS1_3repE0EEENS1_30default_config_static_selectorELNS0_4arch9wavefront6targetE1EEEvSK_
; %bb.0:
	.section	.rodata,"a",@progbits
	.p2align	6, 0x0
	.amdhsa_kernel _ZN7rocprim17ROCPRIM_400000_NS6detail17trampoline_kernelINS0_14default_configENS1_22reduce_config_selectorIsEEZNS1_11reduce_implILb1ES3_N6thrust23THRUST_200600_302600_NS6detail15normal_iteratorINS8_10device_ptrIsEEEEPiiNS8_4plusIiEEEE10hipError_tPvRmT1_T2_T3_mT4_P12ihipStream_tbEUlT_E1_NS1_11comp_targetILNS1_3genE10ELNS1_11target_archE1201ELNS1_3gpuE5ELNS1_3repE0EEENS1_30default_config_static_selectorELNS0_4arch9wavefront6targetE1EEEvSK_
		.amdhsa_group_segment_fixed_size 0
		.amdhsa_private_segment_fixed_size 0
		.amdhsa_kernarg_size 40
		.amdhsa_user_sgpr_count 2
		.amdhsa_user_sgpr_dispatch_ptr 0
		.amdhsa_user_sgpr_queue_ptr 0
		.amdhsa_user_sgpr_kernarg_segment_ptr 1
		.amdhsa_user_sgpr_dispatch_id 0
		.amdhsa_user_sgpr_kernarg_preload_length 0
		.amdhsa_user_sgpr_kernarg_preload_offset 0
		.amdhsa_user_sgpr_private_segment_size 0
		.amdhsa_uses_dynamic_stack 0
		.amdhsa_enable_private_segment 0
		.amdhsa_system_sgpr_workgroup_id_x 1
		.amdhsa_system_sgpr_workgroup_id_y 0
		.amdhsa_system_sgpr_workgroup_id_z 0
		.amdhsa_system_sgpr_workgroup_info 0
		.amdhsa_system_vgpr_workitem_id 0
		.amdhsa_next_free_vgpr 1
		.amdhsa_next_free_sgpr 0
		.amdhsa_accum_offset 4
		.amdhsa_reserve_vcc 0
		.amdhsa_float_round_mode_32 0
		.amdhsa_float_round_mode_16_64 0
		.amdhsa_float_denorm_mode_32 3
		.amdhsa_float_denorm_mode_16_64 3
		.amdhsa_dx10_clamp 1
		.amdhsa_ieee_mode 1
		.amdhsa_fp16_overflow 0
		.amdhsa_tg_split 0
		.amdhsa_exception_fp_ieee_invalid_op 0
		.amdhsa_exception_fp_denorm_src 0
		.amdhsa_exception_fp_ieee_div_zero 0
		.amdhsa_exception_fp_ieee_overflow 0
		.amdhsa_exception_fp_ieee_underflow 0
		.amdhsa_exception_fp_ieee_inexact 0
		.amdhsa_exception_int_div_zero 0
	.end_amdhsa_kernel
	.section	.text._ZN7rocprim17ROCPRIM_400000_NS6detail17trampoline_kernelINS0_14default_configENS1_22reduce_config_selectorIsEEZNS1_11reduce_implILb1ES3_N6thrust23THRUST_200600_302600_NS6detail15normal_iteratorINS8_10device_ptrIsEEEEPiiNS8_4plusIiEEEE10hipError_tPvRmT1_T2_T3_mT4_P12ihipStream_tbEUlT_E1_NS1_11comp_targetILNS1_3genE10ELNS1_11target_archE1201ELNS1_3gpuE5ELNS1_3repE0EEENS1_30default_config_static_selectorELNS0_4arch9wavefront6targetE1EEEvSK_,"axG",@progbits,_ZN7rocprim17ROCPRIM_400000_NS6detail17trampoline_kernelINS0_14default_configENS1_22reduce_config_selectorIsEEZNS1_11reduce_implILb1ES3_N6thrust23THRUST_200600_302600_NS6detail15normal_iteratorINS8_10device_ptrIsEEEEPiiNS8_4plusIiEEEE10hipError_tPvRmT1_T2_T3_mT4_P12ihipStream_tbEUlT_E1_NS1_11comp_targetILNS1_3genE10ELNS1_11target_archE1201ELNS1_3gpuE5ELNS1_3repE0EEENS1_30default_config_static_selectorELNS0_4arch9wavefront6targetE1EEEvSK_,comdat
.Lfunc_end527:
	.size	_ZN7rocprim17ROCPRIM_400000_NS6detail17trampoline_kernelINS0_14default_configENS1_22reduce_config_selectorIsEEZNS1_11reduce_implILb1ES3_N6thrust23THRUST_200600_302600_NS6detail15normal_iteratorINS8_10device_ptrIsEEEEPiiNS8_4plusIiEEEE10hipError_tPvRmT1_T2_T3_mT4_P12ihipStream_tbEUlT_E1_NS1_11comp_targetILNS1_3genE10ELNS1_11target_archE1201ELNS1_3gpuE5ELNS1_3repE0EEENS1_30default_config_static_selectorELNS0_4arch9wavefront6targetE1EEEvSK_, .Lfunc_end527-_ZN7rocprim17ROCPRIM_400000_NS6detail17trampoline_kernelINS0_14default_configENS1_22reduce_config_selectorIsEEZNS1_11reduce_implILb1ES3_N6thrust23THRUST_200600_302600_NS6detail15normal_iteratorINS8_10device_ptrIsEEEEPiiNS8_4plusIiEEEE10hipError_tPvRmT1_T2_T3_mT4_P12ihipStream_tbEUlT_E1_NS1_11comp_targetILNS1_3genE10ELNS1_11target_archE1201ELNS1_3gpuE5ELNS1_3repE0EEENS1_30default_config_static_selectorELNS0_4arch9wavefront6targetE1EEEvSK_
                                        ; -- End function
	.set _ZN7rocprim17ROCPRIM_400000_NS6detail17trampoline_kernelINS0_14default_configENS1_22reduce_config_selectorIsEEZNS1_11reduce_implILb1ES3_N6thrust23THRUST_200600_302600_NS6detail15normal_iteratorINS8_10device_ptrIsEEEEPiiNS8_4plusIiEEEE10hipError_tPvRmT1_T2_T3_mT4_P12ihipStream_tbEUlT_E1_NS1_11comp_targetILNS1_3genE10ELNS1_11target_archE1201ELNS1_3gpuE5ELNS1_3repE0EEENS1_30default_config_static_selectorELNS0_4arch9wavefront6targetE1EEEvSK_.num_vgpr, 0
	.set _ZN7rocprim17ROCPRIM_400000_NS6detail17trampoline_kernelINS0_14default_configENS1_22reduce_config_selectorIsEEZNS1_11reduce_implILb1ES3_N6thrust23THRUST_200600_302600_NS6detail15normal_iteratorINS8_10device_ptrIsEEEEPiiNS8_4plusIiEEEE10hipError_tPvRmT1_T2_T3_mT4_P12ihipStream_tbEUlT_E1_NS1_11comp_targetILNS1_3genE10ELNS1_11target_archE1201ELNS1_3gpuE5ELNS1_3repE0EEENS1_30default_config_static_selectorELNS0_4arch9wavefront6targetE1EEEvSK_.num_agpr, 0
	.set _ZN7rocprim17ROCPRIM_400000_NS6detail17trampoline_kernelINS0_14default_configENS1_22reduce_config_selectorIsEEZNS1_11reduce_implILb1ES3_N6thrust23THRUST_200600_302600_NS6detail15normal_iteratorINS8_10device_ptrIsEEEEPiiNS8_4plusIiEEEE10hipError_tPvRmT1_T2_T3_mT4_P12ihipStream_tbEUlT_E1_NS1_11comp_targetILNS1_3genE10ELNS1_11target_archE1201ELNS1_3gpuE5ELNS1_3repE0EEENS1_30default_config_static_selectorELNS0_4arch9wavefront6targetE1EEEvSK_.numbered_sgpr, 0
	.set _ZN7rocprim17ROCPRIM_400000_NS6detail17trampoline_kernelINS0_14default_configENS1_22reduce_config_selectorIsEEZNS1_11reduce_implILb1ES3_N6thrust23THRUST_200600_302600_NS6detail15normal_iteratorINS8_10device_ptrIsEEEEPiiNS8_4plusIiEEEE10hipError_tPvRmT1_T2_T3_mT4_P12ihipStream_tbEUlT_E1_NS1_11comp_targetILNS1_3genE10ELNS1_11target_archE1201ELNS1_3gpuE5ELNS1_3repE0EEENS1_30default_config_static_selectorELNS0_4arch9wavefront6targetE1EEEvSK_.num_named_barrier, 0
	.set _ZN7rocprim17ROCPRIM_400000_NS6detail17trampoline_kernelINS0_14default_configENS1_22reduce_config_selectorIsEEZNS1_11reduce_implILb1ES3_N6thrust23THRUST_200600_302600_NS6detail15normal_iteratorINS8_10device_ptrIsEEEEPiiNS8_4plusIiEEEE10hipError_tPvRmT1_T2_T3_mT4_P12ihipStream_tbEUlT_E1_NS1_11comp_targetILNS1_3genE10ELNS1_11target_archE1201ELNS1_3gpuE5ELNS1_3repE0EEENS1_30default_config_static_selectorELNS0_4arch9wavefront6targetE1EEEvSK_.private_seg_size, 0
	.set _ZN7rocprim17ROCPRIM_400000_NS6detail17trampoline_kernelINS0_14default_configENS1_22reduce_config_selectorIsEEZNS1_11reduce_implILb1ES3_N6thrust23THRUST_200600_302600_NS6detail15normal_iteratorINS8_10device_ptrIsEEEEPiiNS8_4plusIiEEEE10hipError_tPvRmT1_T2_T3_mT4_P12ihipStream_tbEUlT_E1_NS1_11comp_targetILNS1_3genE10ELNS1_11target_archE1201ELNS1_3gpuE5ELNS1_3repE0EEENS1_30default_config_static_selectorELNS0_4arch9wavefront6targetE1EEEvSK_.uses_vcc, 0
	.set _ZN7rocprim17ROCPRIM_400000_NS6detail17trampoline_kernelINS0_14default_configENS1_22reduce_config_selectorIsEEZNS1_11reduce_implILb1ES3_N6thrust23THRUST_200600_302600_NS6detail15normal_iteratorINS8_10device_ptrIsEEEEPiiNS8_4plusIiEEEE10hipError_tPvRmT1_T2_T3_mT4_P12ihipStream_tbEUlT_E1_NS1_11comp_targetILNS1_3genE10ELNS1_11target_archE1201ELNS1_3gpuE5ELNS1_3repE0EEENS1_30default_config_static_selectorELNS0_4arch9wavefront6targetE1EEEvSK_.uses_flat_scratch, 0
	.set _ZN7rocprim17ROCPRIM_400000_NS6detail17trampoline_kernelINS0_14default_configENS1_22reduce_config_selectorIsEEZNS1_11reduce_implILb1ES3_N6thrust23THRUST_200600_302600_NS6detail15normal_iteratorINS8_10device_ptrIsEEEEPiiNS8_4plusIiEEEE10hipError_tPvRmT1_T2_T3_mT4_P12ihipStream_tbEUlT_E1_NS1_11comp_targetILNS1_3genE10ELNS1_11target_archE1201ELNS1_3gpuE5ELNS1_3repE0EEENS1_30default_config_static_selectorELNS0_4arch9wavefront6targetE1EEEvSK_.has_dyn_sized_stack, 0
	.set _ZN7rocprim17ROCPRIM_400000_NS6detail17trampoline_kernelINS0_14default_configENS1_22reduce_config_selectorIsEEZNS1_11reduce_implILb1ES3_N6thrust23THRUST_200600_302600_NS6detail15normal_iteratorINS8_10device_ptrIsEEEEPiiNS8_4plusIiEEEE10hipError_tPvRmT1_T2_T3_mT4_P12ihipStream_tbEUlT_E1_NS1_11comp_targetILNS1_3genE10ELNS1_11target_archE1201ELNS1_3gpuE5ELNS1_3repE0EEENS1_30default_config_static_selectorELNS0_4arch9wavefront6targetE1EEEvSK_.has_recursion, 0
	.set _ZN7rocprim17ROCPRIM_400000_NS6detail17trampoline_kernelINS0_14default_configENS1_22reduce_config_selectorIsEEZNS1_11reduce_implILb1ES3_N6thrust23THRUST_200600_302600_NS6detail15normal_iteratorINS8_10device_ptrIsEEEEPiiNS8_4plusIiEEEE10hipError_tPvRmT1_T2_T3_mT4_P12ihipStream_tbEUlT_E1_NS1_11comp_targetILNS1_3genE10ELNS1_11target_archE1201ELNS1_3gpuE5ELNS1_3repE0EEENS1_30default_config_static_selectorELNS0_4arch9wavefront6targetE1EEEvSK_.has_indirect_call, 0
	.section	.AMDGPU.csdata,"",@progbits
; Kernel info:
; codeLenInByte = 0
; TotalNumSgprs: 6
; NumVgprs: 0
; NumAgprs: 0
; TotalNumVgprs: 0
; ScratchSize: 0
; MemoryBound: 0
; FloatMode: 240
; IeeeMode: 1
; LDSByteSize: 0 bytes/workgroup (compile time only)
; SGPRBlocks: 0
; VGPRBlocks: 0
; NumSGPRsForWavesPerEU: 6
; NumVGPRsForWavesPerEU: 1
; AccumOffset: 4
; Occupancy: 8
; WaveLimiterHint : 0
; COMPUTE_PGM_RSRC2:SCRATCH_EN: 0
; COMPUTE_PGM_RSRC2:USER_SGPR: 2
; COMPUTE_PGM_RSRC2:TRAP_HANDLER: 0
; COMPUTE_PGM_RSRC2:TGID_X_EN: 1
; COMPUTE_PGM_RSRC2:TGID_Y_EN: 0
; COMPUTE_PGM_RSRC2:TGID_Z_EN: 0
; COMPUTE_PGM_RSRC2:TIDIG_COMP_CNT: 0
; COMPUTE_PGM_RSRC3_GFX90A:ACCUM_OFFSET: 0
; COMPUTE_PGM_RSRC3_GFX90A:TG_SPLIT: 0
	.section	.text._ZN7rocprim17ROCPRIM_400000_NS6detail17trampoline_kernelINS0_14default_configENS1_22reduce_config_selectorIsEEZNS1_11reduce_implILb1ES3_N6thrust23THRUST_200600_302600_NS6detail15normal_iteratorINS8_10device_ptrIsEEEEPiiNS8_4plusIiEEEE10hipError_tPvRmT1_T2_T3_mT4_P12ihipStream_tbEUlT_E1_NS1_11comp_targetILNS1_3genE10ELNS1_11target_archE1200ELNS1_3gpuE4ELNS1_3repE0EEENS1_30default_config_static_selectorELNS0_4arch9wavefront6targetE1EEEvSK_,"axG",@progbits,_ZN7rocprim17ROCPRIM_400000_NS6detail17trampoline_kernelINS0_14default_configENS1_22reduce_config_selectorIsEEZNS1_11reduce_implILb1ES3_N6thrust23THRUST_200600_302600_NS6detail15normal_iteratorINS8_10device_ptrIsEEEEPiiNS8_4plusIiEEEE10hipError_tPvRmT1_T2_T3_mT4_P12ihipStream_tbEUlT_E1_NS1_11comp_targetILNS1_3genE10ELNS1_11target_archE1200ELNS1_3gpuE4ELNS1_3repE0EEENS1_30default_config_static_selectorELNS0_4arch9wavefront6targetE1EEEvSK_,comdat
	.protected	_ZN7rocprim17ROCPRIM_400000_NS6detail17trampoline_kernelINS0_14default_configENS1_22reduce_config_selectorIsEEZNS1_11reduce_implILb1ES3_N6thrust23THRUST_200600_302600_NS6detail15normal_iteratorINS8_10device_ptrIsEEEEPiiNS8_4plusIiEEEE10hipError_tPvRmT1_T2_T3_mT4_P12ihipStream_tbEUlT_E1_NS1_11comp_targetILNS1_3genE10ELNS1_11target_archE1200ELNS1_3gpuE4ELNS1_3repE0EEENS1_30default_config_static_selectorELNS0_4arch9wavefront6targetE1EEEvSK_ ; -- Begin function _ZN7rocprim17ROCPRIM_400000_NS6detail17trampoline_kernelINS0_14default_configENS1_22reduce_config_selectorIsEEZNS1_11reduce_implILb1ES3_N6thrust23THRUST_200600_302600_NS6detail15normal_iteratorINS8_10device_ptrIsEEEEPiiNS8_4plusIiEEEE10hipError_tPvRmT1_T2_T3_mT4_P12ihipStream_tbEUlT_E1_NS1_11comp_targetILNS1_3genE10ELNS1_11target_archE1200ELNS1_3gpuE4ELNS1_3repE0EEENS1_30default_config_static_selectorELNS0_4arch9wavefront6targetE1EEEvSK_
	.globl	_ZN7rocprim17ROCPRIM_400000_NS6detail17trampoline_kernelINS0_14default_configENS1_22reduce_config_selectorIsEEZNS1_11reduce_implILb1ES3_N6thrust23THRUST_200600_302600_NS6detail15normal_iteratorINS8_10device_ptrIsEEEEPiiNS8_4plusIiEEEE10hipError_tPvRmT1_T2_T3_mT4_P12ihipStream_tbEUlT_E1_NS1_11comp_targetILNS1_3genE10ELNS1_11target_archE1200ELNS1_3gpuE4ELNS1_3repE0EEENS1_30default_config_static_selectorELNS0_4arch9wavefront6targetE1EEEvSK_
	.p2align	8
	.type	_ZN7rocprim17ROCPRIM_400000_NS6detail17trampoline_kernelINS0_14default_configENS1_22reduce_config_selectorIsEEZNS1_11reduce_implILb1ES3_N6thrust23THRUST_200600_302600_NS6detail15normal_iteratorINS8_10device_ptrIsEEEEPiiNS8_4plusIiEEEE10hipError_tPvRmT1_T2_T3_mT4_P12ihipStream_tbEUlT_E1_NS1_11comp_targetILNS1_3genE10ELNS1_11target_archE1200ELNS1_3gpuE4ELNS1_3repE0EEENS1_30default_config_static_selectorELNS0_4arch9wavefront6targetE1EEEvSK_,@function
_ZN7rocprim17ROCPRIM_400000_NS6detail17trampoline_kernelINS0_14default_configENS1_22reduce_config_selectorIsEEZNS1_11reduce_implILb1ES3_N6thrust23THRUST_200600_302600_NS6detail15normal_iteratorINS8_10device_ptrIsEEEEPiiNS8_4plusIiEEEE10hipError_tPvRmT1_T2_T3_mT4_P12ihipStream_tbEUlT_E1_NS1_11comp_targetILNS1_3genE10ELNS1_11target_archE1200ELNS1_3gpuE4ELNS1_3repE0EEENS1_30default_config_static_selectorELNS0_4arch9wavefront6targetE1EEEvSK_: ; @_ZN7rocprim17ROCPRIM_400000_NS6detail17trampoline_kernelINS0_14default_configENS1_22reduce_config_selectorIsEEZNS1_11reduce_implILb1ES3_N6thrust23THRUST_200600_302600_NS6detail15normal_iteratorINS8_10device_ptrIsEEEEPiiNS8_4plusIiEEEE10hipError_tPvRmT1_T2_T3_mT4_P12ihipStream_tbEUlT_E1_NS1_11comp_targetILNS1_3genE10ELNS1_11target_archE1200ELNS1_3gpuE4ELNS1_3repE0EEENS1_30default_config_static_selectorELNS0_4arch9wavefront6targetE1EEEvSK_
; %bb.0:
	.section	.rodata,"a",@progbits
	.p2align	6, 0x0
	.amdhsa_kernel _ZN7rocprim17ROCPRIM_400000_NS6detail17trampoline_kernelINS0_14default_configENS1_22reduce_config_selectorIsEEZNS1_11reduce_implILb1ES3_N6thrust23THRUST_200600_302600_NS6detail15normal_iteratorINS8_10device_ptrIsEEEEPiiNS8_4plusIiEEEE10hipError_tPvRmT1_T2_T3_mT4_P12ihipStream_tbEUlT_E1_NS1_11comp_targetILNS1_3genE10ELNS1_11target_archE1200ELNS1_3gpuE4ELNS1_3repE0EEENS1_30default_config_static_selectorELNS0_4arch9wavefront6targetE1EEEvSK_
		.amdhsa_group_segment_fixed_size 0
		.amdhsa_private_segment_fixed_size 0
		.amdhsa_kernarg_size 40
		.amdhsa_user_sgpr_count 2
		.amdhsa_user_sgpr_dispatch_ptr 0
		.amdhsa_user_sgpr_queue_ptr 0
		.amdhsa_user_sgpr_kernarg_segment_ptr 1
		.amdhsa_user_sgpr_dispatch_id 0
		.amdhsa_user_sgpr_kernarg_preload_length 0
		.amdhsa_user_sgpr_kernarg_preload_offset 0
		.amdhsa_user_sgpr_private_segment_size 0
		.amdhsa_uses_dynamic_stack 0
		.amdhsa_enable_private_segment 0
		.amdhsa_system_sgpr_workgroup_id_x 1
		.amdhsa_system_sgpr_workgroup_id_y 0
		.amdhsa_system_sgpr_workgroup_id_z 0
		.amdhsa_system_sgpr_workgroup_info 0
		.amdhsa_system_vgpr_workitem_id 0
		.amdhsa_next_free_vgpr 1
		.amdhsa_next_free_sgpr 0
		.amdhsa_accum_offset 4
		.amdhsa_reserve_vcc 0
		.amdhsa_float_round_mode_32 0
		.amdhsa_float_round_mode_16_64 0
		.amdhsa_float_denorm_mode_32 3
		.amdhsa_float_denorm_mode_16_64 3
		.amdhsa_dx10_clamp 1
		.amdhsa_ieee_mode 1
		.amdhsa_fp16_overflow 0
		.amdhsa_tg_split 0
		.amdhsa_exception_fp_ieee_invalid_op 0
		.amdhsa_exception_fp_denorm_src 0
		.amdhsa_exception_fp_ieee_div_zero 0
		.amdhsa_exception_fp_ieee_overflow 0
		.amdhsa_exception_fp_ieee_underflow 0
		.amdhsa_exception_fp_ieee_inexact 0
		.amdhsa_exception_int_div_zero 0
	.end_amdhsa_kernel
	.section	.text._ZN7rocprim17ROCPRIM_400000_NS6detail17trampoline_kernelINS0_14default_configENS1_22reduce_config_selectorIsEEZNS1_11reduce_implILb1ES3_N6thrust23THRUST_200600_302600_NS6detail15normal_iteratorINS8_10device_ptrIsEEEEPiiNS8_4plusIiEEEE10hipError_tPvRmT1_T2_T3_mT4_P12ihipStream_tbEUlT_E1_NS1_11comp_targetILNS1_3genE10ELNS1_11target_archE1200ELNS1_3gpuE4ELNS1_3repE0EEENS1_30default_config_static_selectorELNS0_4arch9wavefront6targetE1EEEvSK_,"axG",@progbits,_ZN7rocprim17ROCPRIM_400000_NS6detail17trampoline_kernelINS0_14default_configENS1_22reduce_config_selectorIsEEZNS1_11reduce_implILb1ES3_N6thrust23THRUST_200600_302600_NS6detail15normal_iteratorINS8_10device_ptrIsEEEEPiiNS8_4plusIiEEEE10hipError_tPvRmT1_T2_T3_mT4_P12ihipStream_tbEUlT_E1_NS1_11comp_targetILNS1_3genE10ELNS1_11target_archE1200ELNS1_3gpuE4ELNS1_3repE0EEENS1_30default_config_static_selectorELNS0_4arch9wavefront6targetE1EEEvSK_,comdat
.Lfunc_end528:
	.size	_ZN7rocprim17ROCPRIM_400000_NS6detail17trampoline_kernelINS0_14default_configENS1_22reduce_config_selectorIsEEZNS1_11reduce_implILb1ES3_N6thrust23THRUST_200600_302600_NS6detail15normal_iteratorINS8_10device_ptrIsEEEEPiiNS8_4plusIiEEEE10hipError_tPvRmT1_T2_T3_mT4_P12ihipStream_tbEUlT_E1_NS1_11comp_targetILNS1_3genE10ELNS1_11target_archE1200ELNS1_3gpuE4ELNS1_3repE0EEENS1_30default_config_static_selectorELNS0_4arch9wavefront6targetE1EEEvSK_, .Lfunc_end528-_ZN7rocprim17ROCPRIM_400000_NS6detail17trampoline_kernelINS0_14default_configENS1_22reduce_config_selectorIsEEZNS1_11reduce_implILb1ES3_N6thrust23THRUST_200600_302600_NS6detail15normal_iteratorINS8_10device_ptrIsEEEEPiiNS8_4plusIiEEEE10hipError_tPvRmT1_T2_T3_mT4_P12ihipStream_tbEUlT_E1_NS1_11comp_targetILNS1_3genE10ELNS1_11target_archE1200ELNS1_3gpuE4ELNS1_3repE0EEENS1_30default_config_static_selectorELNS0_4arch9wavefront6targetE1EEEvSK_
                                        ; -- End function
	.set _ZN7rocprim17ROCPRIM_400000_NS6detail17trampoline_kernelINS0_14default_configENS1_22reduce_config_selectorIsEEZNS1_11reduce_implILb1ES3_N6thrust23THRUST_200600_302600_NS6detail15normal_iteratorINS8_10device_ptrIsEEEEPiiNS8_4plusIiEEEE10hipError_tPvRmT1_T2_T3_mT4_P12ihipStream_tbEUlT_E1_NS1_11comp_targetILNS1_3genE10ELNS1_11target_archE1200ELNS1_3gpuE4ELNS1_3repE0EEENS1_30default_config_static_selectorELNS0_4arch9wavefront6targetE1EEEvSK_.num_vgpr, 0
	.set _ZN7rocprim17ROCPRIM_400000_NS6detail17trampoline_kernelINS0_14default_configENS1_22reduce_config_selectorIsEEZNS1_11reduce_implILb1ES3_N6thrust23THRUST_200600_302600_NS6detail15normal_iteratorINS8_10device_ptrIsEEEEPiiNS8_4plusIiEEEE10hipError_tPvRmT1_T2_T3_mT4_P12ihipStream_tbEUlT_E1_NS1_11comp_targetILNS1_3genE10ELNS1_11target_archE1200ELNS1_3gpuE4ELNS1_3repE0EEENS1_30default_config_static_selectorELNS0_4arch9wavefront6targetE1EEEvSK_.num_agpr, 0
	.set _ZN7rocprim17ROCPRIM_400000_NS6detail17trampoline_kernelINS0_14default_configENS1_22reduce_config_selectorIsEEZNS1_11reduce_implILb1ES3_N6thrust23THRUST_200600_302600_NS6detail15normal_iteratorINS8_10device_ptrIsEEEEPiiNS8_4plusIiEEEE10hipError_tPvRmT1_T2_T3_mT4_P12ihipStream_tbEUlT_E1_NS1_11comp_targetILNS1_3genE10ELNS1_11target_archE1200ELNS1_3gpuE4ELNS1_3repE0EEENS1_30default_config_static_selectorELNS0_4arch9wavefront6targetE1EEEvSK_.numbered_sgpr, 0
	.set _ZN7rocprim17ROCPRIM_400000_NS6detail17trampoline_kernelINS0_14default_configENS1_22reduce_config_selectorIsEEZNS1_11reduce_implILb1ES3_N6thrust23THRUST_200600_302600_NS6detail15normal_iteratorINS8_10device_ptrIsEEEEPiiNS8_4plusIiEEEE10hipError_tPvRmT1_T2_T3_mT4_P12ihipStream_tbEUlT_E1_NS1_11comp_targetILNS1_3genE10ELNS1_11target_archE1200ELNS1_3gpuE4ELNS1_3repE0EEENS1_30default_config_static_selectorELNS0_4arch9wavefront6targetE1EEEvSK_.num_named_barrier, 0
	.set _ZN7rocprim17ROCPRIM_400000_NS6detail17trampoline_kernelINS0_14default_configENS1_22reduce_config_selectorIsEEZNS1_11reduce_implILb1ES3_N6thrust23THRUST_200600_302600_NS6detail15normal_iteratorINS8_10device_ptrIsEEEEPiiNS8_4plusIiEEEE10hipError_tPvRmT1_T2_T3_mT4_P12ihipStream_tbEUlT_E1_NS1_11comp_targetILNS1_3genE10ELNS1_11target_archE1200ELNS1_3gpuE4ELNS1_3repE0EEENS1_30default_config_static_selectorELNS0_4arch9wavefront6targetE1EEEvSK_.private_seg_size, 0
	.set _ZN7rocprim17ROCPRIM_400000_NS6detail17trampoline_kernelINS0_14default_configENS1_22reduce_config_selectorIsEEZNS1_11reduce_implILb1ES3_N6thrust23THRUST_200600_302600_NS6detail15normal_iteratorINS8_10device_ptrIsEEEEPiiNS8_4plusIiEEEE10hipError_tPvRmT1_T2_T3_mT4_P12ihipStream_tbEUlT_E1_NS1_11comp_targetILNS1_3genE10ELNS1_11target_archE1200ELNS1_3gpuE4ELNS1_3repE0EEENS1_30default_config_static_selectorELNS0_4arch9wavefront6targetE1EEEvSK_.uses_vcc, 0
	.set _ZN7rocprim17ROCPRIM_400000_NS6detail17trampoline_kernelINS0_14default_configENS1_22reduce_config_selectorIsEEZNS1_11reduce_implILb1ES3_N6thrust23THRUST_200600_302600_NS6detail15normal_iteratorINS8_10device_ptrIsEEEEPiiNS8_4plusIiEEEE10hipError_tPvRmT1_T2_T3_mT4_P12ihipStream_tbEUlT_E1_NS1_11comp_targetILNS1_3genE10ELNS1_11target_archE1200ELNS1_3gpuE4ELNS1_3repE0EEENS1_30default_config_static_selectorELNS0_4arch9wavefront6targetE1EEEvSK_.uses_flat_scratch, 0
	.set _ZN7rocprim17ROCPRIM_400000_NS6detail17trampoline_kernelINS0_14default_configENS1_22reduce_config_selectorIsEEZNS1_11reduce_implILb1ES3_N6thrust23THRUST_200600_302600_NS6detail15normal_iteratorINS8_10device_ptrIsEEEEPiiNS8_4plusIiEEEE10hipError_tPvRmT1_T2_T3_mT4_P12ihipStream_tbEUlT_E1_NS1_11comp_targetILNS1_3genE10ELNS1_11target_archE1200ELNS1_3gpuE4ELNS1_3repE0EEENS1_30default_config_static_selectorELNS0_4arch9wavefront6targetE1EEEvSK_.has_dyn_sized_stack, 0
	.set _ZN7rocprim17ROCPRIM_400000_NS6detail17trampoline_kernelINS0_14default_configENS1_22reduce_config_selectorIsEEZNS1_11reduce_implILb1ES3_N6thrust23THRUST_200600_302600_NS6detail15normal_iteratorINS8_10device_ptrIsEEEEPiiNS8_4plusIiEEEE10hipError_tPvRmT1_T2_T3_mT4_P12ihipStream_tbEUlT_E1_NS1_11comp_targetILNS1_3genE10ELNS1_11target_archE1200ELNS1_3gpuE4ELNS1_3repE0EEENS1_30default_config_static_selectorELNS0_4arch9wavefront6targetE1EEEvSK_.has_recursion, 0
	.set _ZN7rocprim17ROCPRIM_400000_NS6detail17trampoline_kernelINS0_14default_configENS1_22reduce_config_selectorIsEEZNS1_11reduce_implILb1ES3_N6thrust23THRUST_200600_302600_NS6detail15normal_iteratorINS8_10device_ptrIsEEEEPiiNS8_4plusIiEEEE10hipError_tPvRmT1_T2_T3_mT4_P12ihipStream_tbEUlT_E1_NS1_11comp_targetILNS1_3genE10ELNS1_11target_archE1200ELNS1_3gpuE4ELNS1_3repE0EEENS1_30default_config_static_selectorELNS0_4arch9wavefront6targetE1EEEvSK_.has_indirect_call, 0
	.section	.AMDGPU.csdata,"",@progbits
; Kernel info:
; codeLenInByte = 0
; TotalNumSgprs: 6
; NumVgprs: 0
; NumAgprs: 0
; TotalNumVgprs: 0
; ScratchSize: 0
; MemoryBound: 0
; FloatMode: 240
; IeeeMode: 1
; LDSByteSize: 0 bytes/workgroup (compile time only)
; SGPRBlocks: 0
; VGPRBlocks: 0
; NumSGPRsForWavesPerEU: 6
; NumVGPRsForWavesPerEU: 1
; AccumOffset: 4
; Occupancy: 8
; WaveLimiterHint : 0
; COMPUTE_PGM_RSRC2:SCRATCH_EN: 0
; COMPUTE_PGM_RSRC2:USER_SGPR: 2
; COMPUTE_PGM_RSRC2:TRAP_HANDLER: 0
; COMPUTE_PGM_RSRC2:TGID_X_EN: 1
; COMPUTE_PGM_RSRC2:TGID_Y_EN: 0
; COMPUTE_PGM_RSRC2:TGID_Z_EN: 0
; COMPUTE_PGM_RSRC2:TIDIG_COMP_CNT: 0
; COMPUTE_PGM_RSRC3_GFX90A:ACCUM_OFFSET: 0
; COMPUTE_PGM_RSRC3_GFX90A:TG_SPLIT: 0
	.section	.text._ZN7rocprim17ROCPRIM_400000_NS6detail17trampoline_kernelINS0_14default_configENS1_22reduce_config_selectorIsEEZNS1_11reduce_implILb1ES3_N6thrust23THRUST_200600_302600_NS6detail15normal_iteratorINS8_10device_ptrIsEEEEPiiNS8_4plusIiEEEE10hipError_tPvRmT1_T2_T3_mT4_P12ihipStream_tbEUlT_E1_NS1_11comp_targetILNS1_3genE9ELNS1_11target_archE1100ELNS1_3gpuE3ELNS1_3repE0EEENS1_30default_config_static_selectorELNS0_4arch9wavefront6targetE1EEEvSK_,"axG",@progbits,_ZN7rocprim17ROCPRIM_400000_NS6detail17trampoline_kernelINS0_14default_configENS1_22reduce_config_selectorIsEEZNS1_11reduce_implILb1ES3_N6thrust23THRUST_200600_302600_NS6detail15normal_iteratorINS8_10device_ptrIsEEEEPiiNS8_4plusIiEEEE10hipError_tPvRmT1_T2_T3_mT4_P12ihipStream_tbEUlT_E1_NS1_11comp_targetILNS1_3genE9ELNS1_11target_archE1100ELNS1_3gpuE3ELNS1_3repE0EEENS1_30default_config_static_selectorELNS0_4arch9wavefront6targetE1EEEvSK_,comdat
	.protected	_ZN7rocprim17ROCPRIM_400000_NS6detail17trampoline_kernelINS0_14default_configENS1_22reduce_config_selectorIsEEZNS1_11reduce_implILb1ES3_N6thrust23THRUST_200600_302600_NS6detail15normal_iteratorINS8_10device_ptrIsEEEEPiiNS8_4plusIiEEEE10hipError_tPvRmT1_T2_T3_mT4_P12ihipStream_tbEUlT_E1_NS1_11comp_targetILNS1_3genE9ELNS1_11target_archE1100ELNS1_3gpuE3ELNS1_3repE0EEENS1_30default_config_static_selectorELNS0_4arch9wavefront6targetE1EEEvSK_ ; -- Begin function _ZN7rocprim17ROCPRIM_400000_NS6detail17trampoline_kernelINS0_14default_configENS1_22reduce_config_selectorIsEEZNS1_11reduce_implILb1ES3_N6thrust23THRUST_200600_302600_NS6detail15normal_iteratorINS8_10device_ptrIsEEEEPiiNS8_4plusIiEEEE10hipError_tPvRmT1_T2_T3_mT4_P12ihipStream_tbEUlT_E1_NS1_11comp_targetILNS1_3genE9ELNS1_11target_archE1100ELNS1_3gpuE3ELNS1_3repE0EEENS1_30default_config_static_selectorELNS0_4arch9wavefront6targetE1EEEvSK_
	.globl	_ZN7rocprim17ROCPRIM_400000_NS6detail17trampoline_kernelINS0_14default_configENS1_22reduce_config_selectorIsEEZNS1_11reduce_implILb1ES3_N6thrust23THRUST_200600_302600_NS6detail15normal_iteratorINS8_10device_ptrIsEEEEPiiNS8_4plusIiEEEE10hipError_tPvRmT1_T2_T3_mT4_P12ihipStream_tbEUlT_E1_NS1_11comp_targetILNS1_3genE9ELNS1_11target_archE1100ELNS1_3gpuE3ELNS1_3repE0EEENS1_30default_config_static_selectorELNS0_4arch9wavefront6targetE1EEEvSK_
	.p2align	8
	.type	_ZN7rocprim17ROCPRIM_400000_NS6detail17trampoline_kernelINS0_14default_configENS1_22reduce_config_selectorIsEEZNS1_11reduce_implILb1ES3_N6thrust23THRUST_200600_302600_NS6detail15normal_iteratorINS8_10device_ptrIsEEEEPiiNS8_4plusIiEEEE10hipError_tPvRmT1_T2_T3_mT4_P12ihipStream_tbEUlT_E1_NS1_11comp_targetILNS1_3genE9ELNS1_11target_archE1100ELNS1_3gpuE3ELNS1_3repE0EEENS1_30default_config_static_selectorELNS0_4arch9wavefront6targetE1EEEvSK_,@function
_ZN7rocprim17ROCPRIM_400000_NS6detail17trampoline_kernelINS0_14default_configENS1_22reduce_config_selectorIsEEZNS1_11reduce_implILb1ES3_N6thrust23THRUST_200600_302600_NS6detail15normal_iteratorINS8_10device_ptrIsEEEEPiiNS8_4plusIiEEEE10hipError_tPvRmT1_T2_T3_mT4_P12ihipStream_tbEUlT_E1_NS1_11comp_targetILNS1_3genE9ELNS1_11target_archE1100ELNS1_3gpuE3ELNS1_3repE0EEENS1_30default_config_static_selectorELNS0_4arch9wavefront6targetE1EEEvSK_: ; @_ZN7rocprim17ROCPRIM_400000_NS6detail17trampoline_kernelINS0_14default_configENS1_22reduce_config_selectorIsEEZNS1_11reduce_implILb1ES3_N6thrust23THRUST_200600_302600_NS6detail15normal_iteratorINS8_10device_ptrIsEEEEPiiNS8_4plusIiEEEE10hipError_tPvRmT1_T2_T3_mT4_P12ihipStream_tbEUlT_E1_NS1_11comp_targetILNS1_3genE9ELNS1_11target_archE1100ELNS1_3gpuE3ELNS1_3repE0EEENS1_30default_config_static_selectorELNS0_4arch9wavefront6targetE1EEEvSK_
; %bb.0:
	.section	.rodata,"a",@progbits
	.p2align	6, 0x0
	.amdhsa_kernel _ZN7rocprim17ROCPRIM_400000_NS6detail17trampoline_kernelINS0_14default_configENS1_22reduce_config_selectorIsEEZNS1_11reduce_implILb1ES3_N6thrust23THRUST_200600_302600_NS6detail15normal_iteratorINS8_10device_ptrIsEEEEPiiNS8_4plusIiEEEE10hipError_tPvRmT1_T2_T3_mT4_P12ihipStream_tbEUlT_E1_NS1_11comp_targetILNS1_3genE9ELNS1_11target_archE1100ELNS1_3gpuE3ELNS1_3repE0EEENS1_30default_config_static_selectorELNS0_4arch9wavefront6targetE1EEEvSK_
		.amdhsa_group_segment_fixed_size 0
		.amdhsa_private_segment_fixed_size 0
		.amdhsa_kernarg_size 40
		.amdhsa_user_sgpr_count 2
		.amdhsa_user_sgpr_dispatch_ptr 0
		.amdhsa_user_sgpr_queue_ptr 0
		.amdhsa_user_sgpr_kernarg_segment_ptr 1
		.amdhsa_user_sgpr_dispatch_id 0
		.amdhsa_user_sgpr_kernarg_preload_length 0
		.amdhsa_user_sgpr_kernarg_preload_offset 0
		.amdhsa_user_sgpr_private_segment_size 0
		.amdhsa_uses_dynamic_stack 0
		.amdhsa_enable_private_segment 0
		.amdhsa_system_sgpr_workgroup_id_x 1
		.amdhsa_system_sgpr_workgroup_id_y 0
		.amdhsa_system_sgpr_workgroup_id_z 0
		.amdhsa_system_sgpr_workgroup_info 0
		.amdhsa_system_vgpr_workitem_id 0
		.amdhsa_next_free_vgpr 1
		.amdhsa_next_free_sgpr 0
		.amdhsa_accum_offset 4
		.amdhsa_reserve_vcc 0
		.amdhsa_float_round_mode_32 0
		.amdhsa_float_round_mode_16_64 0
		.amdhsa_float_denorm_mode_32 3
		.amdhsa_float_denorm_mode_16_64 3
		.amdhsa_dx10_clamp 1
		.amdhsa_ieee_mode 1
		.amdhsa_fp16_overflow 0
		.amdhsa_tg_split 0
		.amdhsa_exception_fp_ieee_invalid_op 0
		.amdhsa_exception_fp_denorm_src 0
		.amdhsa_exception_fp_ieee_div_zero 0
		.amdhsa_exception_fp_ieee_overflow 0
		.amdhsa_exception_fp_ieee_underflow 0
		.amdhsa_exception_fp_ieee_inexact 0
		.amdhsa_exception_int_div_zero 0
	.end_amdhsa_kernel
	.section	.text._ZN7rocprim17ROCPRIM_400000_NS6detail17trampoline_kernelINS0_14default_configENS1_22reduce_config_selectorIsEEZNS1_11reduce_implILb1ES3_N6thrust23THRUST_200600_302600_NS6detail15normal_iteratorINS8_10device_ptrIsEEEEPiiNS8_4plusIiEEEE10hipError_tPvRmT1_T2_T3_mT4_P12ihipStream_tbEUlT_E1_NS1_11comp_targetILNS1_3genE9ELNS1_11target_archE1100ELNS1_3gpuE3ELNS1_3repE0EEENS1_30default_config_static_selectorELNS0_4arch9wavefront6targetE1EEEvSK_,"axG",@progbits,_ZN7rocprim17ROCPRIM_400000_NS6detail17trampoline_kernelINS0_14default_configENS1_22reduce_config_selectorIsEEZNS1_11reduce_implILb1ES3_N6thrust23THRUST_200600_302600_NS6detail15normal_iteratorINS8_10device_ptrIsEEEEPiiNS8_4plusIiEEEE10hipError_tPvRmT1_T2_T3_mT4_P12ihipStream_tbEUlT_E1_NS1_11comp_targetILNS1_3genE9ELNS1_11target_archE1100ELNS1_3gpuE3ELNS1_3repE0EEENS1_30default_config_static_selectorELNS0_4arch9wavefront6targetE1EEEvSK_,comdat
.Lfunc_end529:
	.size	_ZN7rocprim17ROCPRIM_400000_NS6detail17trampoline_kernelINS0_14default_configENS1_22reduce_config_selectorIsEEZNS1_11reduce_implILb1ES3_N6thrust23THRUST_200600_302600_NS6detail15normal_iteratorINS8_10device_ptrIsEEEEPiiNS8_4plusIiEEEE10hipError_tPvRmT1_T2_T3_mT4_P12ihipStream_tbEUlT_E1_NS1_11comp_targetILNS1_3genE9ELNS1_11target_archE1100ELNS1_3gpuE3ELNS1_3repE0EEENS1_30default_config_static_selectorELNS0_4arch9wavefront6targetE1EEEvSK_, .Lfunc_end529-_ZN7rocprim17ROCPRIM_400000_NS6detail17trampoline_kernelINS0_14default_configENS1_22reduce_config_selectorIsEEZNS1_11reduce_implILb1ES3_N6thrust23THRUST_200600_302600_NS6detail15normal_iteratorINS8_10device_ptrIsEEEEPiiNS8_4plusIiEEEE10hipError_tPvRmT1_T2_T3_mT4_P12ihipStream_tbEUlT_E1_NS1_11comp_targetILNS1_3genE9ELNS1_11target_archE1100ELNS1_3gpuE3ELNS1_3repE0EEENS1_30default_config_static_selectorELNS0_4arch9wavefront6targetE1EEEvSK_
                                        ; -- End function
	.set _ZN7rocprim17ROCPRIM_400000_NS6detail17trampoline_kernelINS0_14default_configENS1_22reduce_config_selectorIsEEZNS1_11reduce_implILb1ES3_N6thrust23THRUST_200600_302600_NS6detail15normal_iteratorINS8_10device_ptrIsEEEEPiiNS8_4plusIiEEEE10hipError_tPvRmT1_T2_T3_mT4_P12ihipStream_tbEUlT_E1_NS1_11comp_targetILNS1_3genE9ELNS1_11target_archE1100ELNS1_3gpuE3ELNS1_3repE0EEENS1_30default_config_static_selectorELNS0_4arch9wavefront6targetE1EEEvSK_.num_vgpr, 0
	.set _ZN7rocprim17ROCPRIM_400000_NS6detail17trampoline_kernelINS0_14default_configENS1_22reduce_config_selectorIsEEZNS1_11reduce_implILb1ES3_N6thrust23THRUST_200600_302600_NS6detail15normal_iteratorINS8_10device_ptrIsEEEEPiiNS8_4plusIiEEEE10hipError_tPvRmT1_T2_T3_mT4_P12ihipStream_tbEUlT_E1_NS1_11comp_targetILNS1_3genE9ELNS1_11target_archE1100ELNS1_3gpuE3ELNS1_3repE0EEENS1_30default_config_static_selectorELNS0_4arch9wavefront6targetE1EEEvSK_.num_agpr, 0
	.set _ZN7rocprim17ROCPRIM_400000_NS6detail17trampoline_kernelINS0_14default_configENS1_22reduce_config_selectorIsEEZNS1_11reduce_implILb1ES3_N6thrust23THRUST_200600_302600_NS6detail15normal_iteratorINS8_10device_ptrIsEEEEPiiNS8_4plusIiEEEE10hipError_tPvRmT1_T2_T3_mT4_P12ihipStream_tbEUlT_E1_NS1_11comp_targetILNS1_3genE9ELNS1_11target_archE1100ELNS1_3gpuE3ELNS1_3repE0EEENS1_30default_config_static_selectorELNS0_4arch9wavefront6targetE1EEEvSK_.numbered_sgpr, 0
	.set _ZN7rocprim17ROCPRIM_400000_NS6detail17trampoline_kernelINS0_14default_configENS1_22reduce_config_selectorIsEEZNS1_11reduce_implILb1ES3_N6thrust23THRUST_200600_302600_NS6detail15normal_iteratorINS8_10device_ptrIsEEEEPiiNS8_4plusIiEEEE10hipError_tPvRmT1_T2_T3_mT4_P12ihipStream_tbEUlT_E1_NS1_11comp_targetILNS1_3genE9ELNS1_11target_archE1100ELNS1_3gpuE3ELNS1_3repE0EEENS1_30default_config_static_selectorELNS0_4arch9wavefront6targetE1EEEvSK_.num_named_barrier, 0
	.set _ZN7rocprim17ROCPRIM_400000_NS6detail17trampoline_kernelINS0_14default_configENS1_22reduce_config_selectorIsEEZNS1_11reduce_implILb1ES3_N6thrust23THRUST_200600_302600_NS6detail15normal_iteratorINS8_10device_ptrIsEEEEPiiNS8_4plusIiEEEE10hipError_tPvRmT1_T2_T3_mT4_P12ihipStream_tbEUlT_E1_NS1_11comp_targetILNS1_3genE9ELNS1_11target_archE1100ELNS1_3gpuE3ELNS1_3repE0EEENS1_30default_config_static_selectorELNS0_4arch9wavefront6targetE1EEEvSK_.private_seg_size, 0
	.set _ZN7rocprim17ROCPRIM_400000_NS6detail17trampoline_kernelINS0_14default_configENS1_22reduce_config_selectorIsEEZNS1_11reduce_implILb1ES3_N6thrust23THRUST_200600_302600_NS6detail15normal_iteratorINS8_10device_ptrIsEEEEPiiNS8_4plusIiEEEE10hipError_tPvRmT1_T2_T3_mT4_P12ihipStream_tbEUlT_E1_NS1_11comp_targetILNS1_3genE9ELNS1_11target_archE1100ELNS1_3gpuE3ELNS1_3repE0EEENS1_30default_config_static_selectorELNS0_4arch9wavefront6targetE1EEEvSK_.uses_vcc, 0
	.set _ZN7rocprim17ROCPRIM_400000_NS6detail17trampoline_kernelINS0_14default_configENS1_22reduce_config_selectorIsEEZNS1_11reduce_implILb1ES3_N6thrust23THRUST_200600_302600_NS6detail15normal_iteratorINS8_10device_ptrIsEEEEPiiNS8_4plusIiEEEE10hipError_tPvRmT1_T2_T3_mT4_P12ihipStream_tbEUlT_E1_NS1_11comp_targetILNS1_3genE9ELNS1_11target_archE1100ELNS1_3gpuE3ELNS1_3repE0EEENS1_30default_config_static_selectorELNS0_4arch9wavefront6targetE1EEEvSK_.uses_flat_scratch, 0
	.set _ZN7rocprim17ROCPRIM_400000_NS6detail17trampoline_kernelINS0_14default_configENS1_22reduce_config_selectorIsEEZNS1_11reduce_implILb1ES3_N6thrust23THRUST_200600_302600_NS6detail15normal_iteratorINS8_10device_ptrIsEEEEPiiNS8_4plusIiEEEE10hipError_tPvRmT1_T2_T3_mT4_P12ihipStream_tbEUlT_E1_NS1_11comp_targetILNS1_3genE9ELNS1_11target_archE1100ELNS1_3gpuE3ELNS1_3repE0EEENS1_30default_config_static_selectorELNS0_4arch9wavefront6targetE1EEEvSK_.has_dyn_sized_stack, 0
	.set _ZN7rocprim17ROCPRIM_400000_NS6detail17trampoline_kernelINS0_14default_configENS1_22reduce_config_selectorIsEEZNS1_11reduce_implILb1ES3_N6thrust23THRUST_200600_302600_NS6detail15normal_iteratorINS8_10device_ptrIsEEEEPiiNS8_4plusIiEEEE10hipError_tPvRmT1_T2_T3_mT4_P12ihipStream_tbEUlT_E1_NS1_11comp_targetILNS1_3genE9ELNS1_11target_archE1100ELNS1_3gpuE3ELNS1_3repE0EEENS1_30default_config_static_selectorELNS0_4arch9wavefront6targetE1EEEvSK_.has_recursion, 0
	.set _ZN7rocprim17ROCPRIM_400000_NS6detail17trampoline_kernelINS0_14default_configENS1_22reduce_config_selectorIsEEZNS1_11reduce_implILb1ES3_N6thrust23THRUST_200600_302600_NS6detail15normal_iteratorINS8_10device_ptrIsEEEEPiiNS8_4plusIiEEEE10hipError_tPvRmT1_T2_T3_mT4_P12ihipStream_tbEUlT_E1_NS1_11comp_targetILNS1_3genE9ELNS1_11target_archE1100ELNS1_3gpuE3ELNS1_3repE0EEENS1_30default_config_static_selectorELNS0_4arch9wavefront6targetE1EEEvSK_.has_indirect_call, 0
	.section	.AMDGPU.csdata,"",@progbits
; Kernel info:
; codeLenInByte = 0
; TotalNumSgprs: 6
; NumVgprs: 0
; NumAgprs: 0
; TotalNumVgprs: 0
; ScratchSize: 0
; MemoryBound: 0
; FloatMode: 240
; IeeeMode: 1
; LDSByteSize: 0 bytes/workgroup (compile time only)
; SGPRBlocks: 0
; VGPRBlocks: 0
; NumSGPRsForWavesPerEU: 6
; NumVGPRsForWavesPerEU: 1
; AccumOffset: 4
; Occupancy: 8
; WaveLimiterHint : 0
; COMPUTE_PGM_RSRC2:SCRATCH_EN: 0
; COMPUTE_PGM_RSRC2:USER_SGPR: 2
; COMPUTE_PGM_RSRC2:TRAP_HANDLER: 0
; COMPUTE_PGM_RSRC2:TGID_X_EN: 1
; COMPUTE_PGM_RSRC2:TGID_Y_EN: 0
; COMPUTE_PGM_RSRC2:TGID_Z_EN: 0
; COMPUTE_PGM_RSRC2:TIDIG_COMP_CNT: 0
; COMPUTE_PGM_RSRC3_GFX90A:ACCUM_OFFSET: 0
; COMPUTE_PGM_RSRC3_GFX90A:TG_SPLIT: 0
	.section	.text._ZN7rocprim17ROCPRIM_400000_NS6detail17trampoline_kernelINS0_14default_configENS1_22reduce_config_selectorIsEEZNS1_11reduce_implILb1ES3_N6thrust23THRUST_200600_302600_NS6detail15normal_iteratorINS8_10device_ptrIsEEEEPiiNS8_4plusIiEEEE10hipError_tPvRmT1_T2_T3_mT4_P12ihipStream_tbEUlT_E1_NS1_11comp_targetILNS1_3genE8ELNS1_11target_archE1030ELNS1_3gpuE2ELNS1_3repE0EEENS1_30default_config_static_selectorELNS0_4arch9wavefront6targetE1EEEvSK_,"axG",@progbits,_ZN7rocprim17ROCPRIM_400000_NS6detail17trampoline_kernelINS0_14default_configENS1_22reduce_config_selectorIsEEZNS1_11reduce_implILb1ES3_N6thrust23THRUST_200600_302600_NS6detail15normal_iteratorINS8_10device_ptrIsEEEEPiiNS8_4plusIiEEEE10hipError_tPvRmT1_T2_T3_mT4_P12ihipStream_tbEUlT_E1_NS1_11comp_targetILNS1_3genE8ELNS1_11target_archE1030ELNS1_3gpuE2ELNS1_3repE0EEENS1_30default_config_static_selectorELNS0_4arch9wavefront6targetE1EEEvSK_,comdat
	.protected	_ZN7rocprim17ROCPRIM_400000_NS6detail17trampoline_kernelINS0_14default_configENS1_22reduce_config_selectorIsEEZNS1_11reduce_implILb1ES3_N6thrust23THRUST_200600_302600_NS6detail15normal_iteratorINS8_10device_ptrIsEEEEPiiNS8_4plusIiEEEE10hipError_tPvRmT1_T2_T3_mT4_P12ihipStream_tbEUlT_E1_NS1_11comp_targetILNS1_3genE8ELNS1_11target_archE1030ELNS1_3gpuE2ELNS1_3repE0EEENS1_30default_config_static_selectorELNS0_4arch9wavefront6targetE1EEEvSK_ ; -- Begin function _ZN7rocprim17ROCPRIM_400000_NS6detail17trampoline_kernelINS0_14default_configENS1_22reduce_config_selectorIsEEZNS1_11reduce_implILb1ES3_N6thrust23THRUST_200600_302600_NS6detail15normal_iteratorINS8_10device_ptrIsEEEEPiiNS8_4plusIiEEEE10hipError_tPvRmT1_T2_T3_mT4_P12ihipStream_tbEUlT_E1_NS1_11comp_targetILNS1_3genE8ELNS1_11target_archE1030ELNS1_3gpuE2ELNS1_3repE0EEENS1_30default_config_static_selectorELNS0_4arch9wavefront6targetE1EEEvSK_
	.globl	_ZN7rocprim17ROCPRIM_400000_NS6detail17trampoline_kernelINS0_14default_configENS1_22reduce_config_selectorIsEEZNS1_11reduce_implILb1ES3_N6thrust23THRUST_200600_302600_NS6detail15normal_iteratorINS8_10device_ptrIsEEEEPiiNS8_4plusIiEEEE10hipError_tPvRmT1_T2_T3_mT4_P12ihipStream_tbEUlT_E1_NS1_11comp_targetILNS1_3genE8ELNS1_11target_archE1030ELNS1_3gpuE2ELNS1_3repE0EEENS1_30default_config_static_selectorELNS0_4arch9wavefront6targetE1EEEvSK_
	.p2align	8
	.type	_ZN7rocprim17ROCPRIM_400000_NS6detail17trampoline_kernelINS0_14default_configENS1_22reduce_config_selectorIsEEZNS1_11reduce_implILb1ES3_N6thrust23THRUST_200600_302600_NS6detail15normal_iteratorINS8_10device_ptrIsEEEEPiiNS8_4plusIiEEEE10hipError_tPvRmT1_T2_T3_mT4_P12ihipStream_tbEUlT_E1_NS1_11comp_targetILNS1_3genE8ELNS1_11target_archE1030ELNS1_3gpuE2ELNS1_3repE0EEENS1_30default_config_static_selectorELNS0_4arch9wavefront6targetE1EEEvSK_,@function
_ZN7rocprim17ROCPRIM_400000_NS6detail17trampoline_kernelINS0_14default_configENS1_22reduce_config_selectorIsEEZNS1_11reduce_implILb1ES3_N6thrust23THRUST_200600_302600_NS6detail15normal_iteratorINS8_10device_ptrIsEEEEPiiNS8_4plusIiEEEE10hipError_tPvRmT1_T2_T3_mT4_P12ihipStream_tbEUlT_E1_NS1_11comp_targetILNS1_3genE8ELNS1_11target_archE1030ELNS1_3gpuE2ELNS1_3repE0EEENS1_30default_config_static_selectorELNS0_4arch9wavefront6targetE1EEEvSK_: ; @_ZN7rocprim17ROCPRIM_400000_NS6detail17trampoline_kernelINS0_14default_configENS1_22reduce_config_selectorIsEEZNS1_11reduce_implILb1ES3_N6thrust23THRUST_200600_302600_NS6detail15normal_iteratorINS8_10device_ptrIsEEEEPiiNS8_4plusIiEEEE10hipError_tPvRmT1_T2_T3_mT4_P12ihipStream_tbEUlT_E1_NS1_11comp_targetILNS1_3genE8ELNS1_11target_archE1030ELNS1_3gpuE2ELNS1_3repE0EEENS1_30default_config_static_selectorELNS0_4arch9wavefront6targetE1EEEvSK_
; %bb.0:
	.section	.rodata,"a",@progbits
	.p2align	6, 0x0
	.amdhsa_kernel _ZN7rocprim17ROCPRIM_400000_NS6detail17trampoline_kernelINS0_14default_configENS1_22reduce_config_selectorIsEEZNS1_11reduce_implILb1ES3_N6thrust23THRUST_200600_302600_NS6detail15normal_iteratorINS8_10device_ptrIsEEEEPiiNS8_4plusIiEEEE10hipError_tPvRmT1_T2_T3_mT4_P12ihipStream_tbEUlT_E1_NS1_11comp_targetILNS1_3genE8ELNS1_11target_archE1030ELNS1_3gpuE2ELNS1_3repE0EEENS1_30default_config_static_selectorELNS0_4arch9wavefront6targetE1EEEvSK_
		.amdhsa_group_segment_fixed_size 0
		.amdhsa_private_segment_fixed_size 0
		.amdhsa_kernarg_size 40
		.amdhsa_user_sgpr_count 2
		.amdhsa_user_sgpr_dispatch_ptr 0
		.amdhsa_user_sgpr_queue_ptr 0
		.amdhsa_user_sgpr_kernarg_segment_ptr 1
		.amdhsa_user_sgpr_dispatch_id 0
		.amdhsa_user_sgpr_kernarg_preload_length 0
		.amdhsa_user_sgpr_kernarg_preload_offset 0
		.amdhsa_user_sgpr_private_segment_size 0
		.amdhsa_uses_dynamic_stack 0
		.amdhsa_enable_private_segment 0
		.amdhsa_system_sgpr_workgroup_id_x 1
		.amdhsa_system_sgpr_workgroup_id_y 0
		.amdhsa_system_sgpr_workgroup_id_z 0
		.amdhsa_system_sgpr_workgroup_info 0
		.amdhsa_system_vgpr_workitem_id 0
		.amdhsa_next_free_vgpr 1
		.amdhsa_next_free_sgpr 0
		.amdhsa_accum_offset 4
		.amdhsa_reserve_vcc 0
		.amdhsa_float_round_mode_32 0
		.amdhsa_float_round_mode_16_64 0
		.amdhsa_float_denorm_mode_32 3
		.amdhsa_float_denorm_mode_16_64 3
		.amdhsa_dx10_clamp 1
		.amdhsa_ieee_mode 1
		.amdhsa_fp16_overflow 0
		.amdhsa_tg_split 0
		.amdhsa_exception_fp_ieee_invalid_op 0
		.amdhsa_exception_fp_denorm_src 0
		.amdhsa_exception_fp_ieee_div_zero 0
		.amdhsa_exception_fp_ieee_overflow 0
		.amdhsa_exception_fp_ieee_underflow 0
		.amdhsa_exception_fp_ieee_inexact 0
		.amdhsa_exception_int_div_zero 0
	.end_amdhsa_kernel
	.section	.text._ZN7rocprim17ROCPRIM_400000_NS6detail17trampoline_kernelINS0_14default_configENS1_22reduce_config_selectorIsEEZNS1_11reduce_implILb1ES3_N6thrust23THRUST_200600_302600_NS6detail15normal_iteratorINS8_10device_ptrIsEEEEPiiNS8_4plusIiEEEE10hipError_tPvRmT1_T2_T3_mT4_P12ihipStream_tbEUlT_E1_NS1_11comp_targetILNS1_3genE8ELNS1_11target_archE1030ELNS1_3gpuE2ELNS1_3repE0EEENS1_30default_config_static_selectorELNS0_4arch9wavefront6targetE1EEEvSK_,"axG",@progbits,_ZN7rocprim17ROCPRIM_400000_NS6detail17trampoline_kernelINS0_14default_configENS1_22reduce_config_selectorIsEEZNS1_11reduce_implILb1ES3_N6thrust23THRUST_200600_302600_NS6detail15normal_iteratorINS8_10device_ptrIsEEEEPiiNS8_4plusIiEEEE10hipError_tPvRmT1_T2_T3_mT4_P12ihipStream_tbEUlT_E1_NS1_11comp_targetILNS1_3genE8ELNS1_11target_archE1030ELNS1_3gpuE2ELNS1_3repE0EEENS1_30default_config_static_selectorELNS0_4arch9wavefront6targetE1EEEvSK_,comdat
.Lfunc_end530:
	.size	_ZN7rocprim17ROCPRIM_400000_NS6detail17trampoline_kernelINS0_14default_configENS1_22reduce_config_selectorIsEEZNS1_11reduce_implILb1ES3_N6thrust23THRUST_200600_302600_NS6detail15normal_iteratorINS8_10device_ptrIsEEEEPiiNS8_4plusIiEEEE10hipError_tPvRmT1_T2_T3_mT4_P12ihipStream_tbEUlT_E1_NS1_11comp_targetILNS1_3genE8ELNS1_11target_archE1030ELNS1_3gpuE2ELNS1_3repE0EEENS1_30default_config_static_selectorELNS0_4arch9wavefront6targetE1EEEvSK_, .Lfunc_end530-_ZN7rocprim17ROCPRIM_400000_NS6detail17trampoline_kernelINS0_14default_configENS1_22reduce_config_selectorIsEEZNS1_11reduce_implILb1ES3_N6thrust23THRUST_200600_302600_NS6detail15normal_iteratorINS8_10device_ptrIsEEEEPiiNS8_4plusIiEEEE10hipError_tPvRmT1_T2_T3_mT4_P12ihipStream_tbEUlT_E1_NS1_11comp_targetILNS1_3genE8ELNS1_11target_archE1030ELNS1_3gpuE2ELNS1_3repE0EEENS1_30default_config_static_selectorELNS0_4arch9wavefront6targetE1EEEvSK_
                                        ; -- End function
	.set _ZN7rocprim17ROCPRIM_400000_NS6detail17trampoline_kernelINS0_14default_configENS1_22reduce_config_selectorIsEEZNS1_11reduce_implILb1ES3_N6thrust23THRUST_200600_302600_NS6detail15normal_iteratorINS8_10device_ptrIsEEEEPiiNS8_4plusIiEEEE10hipError_tPvRmT1_T2_T3_mT4_P12ihipStream_tbEUlT_E1_NS1_11comp_targetILNS1_3genE8ELNS1_11target_archE1030ELNS1_3gpuE2ELNS1_3repE0EEENS1_30default_config_static_selectorELNS0_4arch9wavefront6targetE1EEEvSK_.num_vgpr, 0
	.set _ZN7rocprim17ROCPRIM_400000_NS6detail17trampoline_kernelINS0_14default_configENS1_22reduce_config_selectorIsEEZNS1_11reduce_implILb1ES3_N6thrust23THRUST_200600_302600_NS6detail15normal_iteratorINS8_10device_ptrIsEEEEPiiNS8_4plusIiEEEE10hipError_tPvRmT1_T2_T3_mT4_P12ihipStream_tbEUlT_E1_NS1_11comp_targetILNS1_3genE8ELNS1_11target_archE1030ELNS1_3gpuE2ELNS1_3repE0EEENS1_30default_config_static_selectorELNS0_4arch9wavefront6targetE1EEEvSK_.num_agpr, 0
	.set _ZN7rocprim17ROCPRIM_400000_NS6detail17trampoline_kernelINS0_14default_configENS1_22reduce_config_selectorIsEEZNS1_11reduce_implILb1ES3_N6thrust23THRUST_200600_302600_NS6detail15normal_iteratorINS8_10device_ptrIsEEEEPiiNS8_4plusIiEEEE10hipError_tPvRmT1_T2_T3_mT4_P12ihipStream_tbEUlT_E1_NS1_11comp_targetILNS1_3genE8ELNS1_11target_archE1030ELNS1_3gpuE2ELNS1_3repE0EEENS1_30default_config_static_selectorELNS0_4arch9wavefront6targetE1EEEvSK_.numbered_sgpr, 0
	.set _ZN7rocprim17ROCPRIM_400000_NS6detail17trampoline_kernelINS0_14default_configENS1_22reduce_config_selectorIsEEZNS1_11reduce_implILb1ES3_N6thrust23THRUST_200600_302600_NS6detail15normal_iteratorINS8_10device_ptrIsEEEEPiiNS8_4plusIiEEEE10hipError_tPvRmT1_T2_T3_mT4_P12ihipStream_tbEUlT_E1_NS1_11comp_targetILNS1_3genE8ELNS1_11target_archE1030ELNS1_3gpuE2ELNS1_3repE0EEENS1_30default_config_static_selectorELNS0_4arch9wavefront6targetE1EEEvSK_.num_named_barrier, 0
	.set _ZN7rocprim17ROCPRIM_400000_NS6detail17trampoline_kernelINS0_14default_configENS1_22reduce_config_selectorIsEEZNS1_11reduce_implILb1ES3_N6thrust23THRUST_200600_302600_NS6detail15normal_iteratorINS8_10device_ptrIsEEEEPiiNS8_4plusIiEEEE10hipError_tPvRmT1_T2_T3_mT4_P12ihipStream_tbEUlT_E1_NS1_11comp_targetILNS1_3genE8ELNS1_11target_archE1030ELNS1_3gpuE2ELNS1_3repE0EEENS1_30default_config_static_selectorELNS0_4arch9wavefront6targetE1EEEvSK_.private_seg_size, 0
	.set _ZN7rocprim17ROCPRIM_400000_NS6detail17trampoline_kernelINS0_14default_configENS1_22reduce_config_selectorIsEEZNS1_11reduce_implILb1ES3_N6thrust23THRUST_200600_302600_NS6detail15normal_iteratorINS8_10device_ptrIsEEEEPiiNS8_4plusIiEEEE10hipError_tPvRmT1_T2_T3_mT4_P12ihipStream_tbEUlT_E1_NS1_11comp_targetILNS1_3genE8ELNS1_11target_archE1030ELNS1_3gpuE2ELNS1_3repE0EEENS1_30default_config_static_selectorELNS0_4arch9wavefront6targetE1EEEvSK_.uses_vcc, 0
	.set _ZN7rocprim17ROCPRIM_400000_NS6detail17trampoline_kernelINS0_14default_configENS1_22reduce_config_selectorIsEEZNS1_11reduce_implILb1ES3_N6thrust23THRUST_200600_302600_NS6detail15normal_iteratorINS8_10device_ptrIsEEEEPiiNS8_4plusIiEEEE10hipError_tPvRmT1_T2_T3_mT4_P12ihipStream_tbEUlT_E1_NS1_11comp_targetILNS1_3genE8ELNS1_11target_archE1030ELNS1_3gpuE2ELNS1_3repE0EEENS1_30default_config_static_selectorELNS0_4arch9wavefront6targetE1EEEvSK_.uses_flat_scratch, 0
	.set _ZN7rocprim17ROCPRIM_400000_NS6detail17trampoline_kernelINS0_14default_configENS1_22reduce_config_selectorIsEEZNS1_11reduce_implILb1ES3_N6thrust23THRUST_200600_302600_NS6detail15normal_iteratorINS8_10device_ptrIsEEEEPiiNS8_4plusIiEEEE10hipError_tPvRmT1_T2_T3_mT4_P12ihipStream_tbEUlT_E1_NS1_11comp_targetILNS1_3genE8ELNS1_11target_archE1030ELNS1_3gpuE2ELNS1_3repE0EEENS1_30default_config_static_selectorELNS0_4arch9wavefront6targetE1EEEvSK_.has_dyn_sized_stack, 0
	.set _ZN7rocprim17ROCPRIM_400000_NS6detail17trampoline_kernelINS0_14default_configENS1_22reduce_config_selectorIsEEZNS1_11reduce_implILb1ES3_N6thrust23THRUST_200600_302600_NS6detail15normal_iteratorINS8_10device_ptrIsEEEEPiiNS8_4plusIiEEEE10hipError_tPvRmT1_T2_T3_mT4_P12ihipStream_tbEUlT_E1_NS1_11comp_targetILNS1_3genE8ELNS1_11target_archE1030ELNS1_3gpuE2ELNS1_3repE0EEENS1_30default_config_static_selectorELNS0_4arch9wavefront6targetE1EEEvSK_.has_recursion, 0
	.set _ZN7rocprim17ROCPRIM_400000_NS6detail17trampoline_kernelINS0_14default_configENS1_22reduce_config_selectorIsEEZNS1_11reduce_implILb1ES3_N6thrust23THRUST_200600_302600_NS6detail15normal_iteratorINS8_10device_ptrIsEEEEPiiNS8_4plusIiEEEE10hipError_tPvRmT1_T2_T3_mT4_P12ihipStream_tbEUlT_E1_NS1_11comp_targetILNS1_3genE8ELNS1_11target_archE1030ELNS1_3gpuE2ELNS1_3repE0EEENS1_30default_config_static_selectorELNS0_4arch9wavefront6targetE1EEEvSK_.has_indirect_call, 0
	.section	.AMDGPU.csdata,"",@progbits
; Kernel info:
; codeLenInByte = 0
; TotalNumSgprs: 6
; NumVgprs: 0
; NumAgprs: 0
; TotalNumVgprs: 0
; ScratchSize: 0
; MemoryBound: 0
; FloatMode: 240
; IeeeMode: 1
; LDSByteSize: 0 bytes/workgroup (compile time only)
; SGPRBlocks: 0
; VGPRBlocks: 0
; NumSGPRsForWavesPerEU: 6
; NumVGPRsForWavesPerEU: 1
; AccumOffset: 4
; Occupancy: 8
; WaveLimiterHint : 0
; COMPUTE_PGM_RSRC2:SCRATCH_EN: 0
; COMPUTE_PGM_RSRC2:USER_SGPR: 2
; COMPUTE_PGM_RSRC2:TRAP_HANDLER: 0
; COMPUTE_PGM_RSRC2:TGID_X_EN: 1
; COMPUTE_PGM_RSRC2:TGID_Y_EN: 0
; COMPUTE_PGM_RSRC2:TGID_Z_EN: 0
; COMPUTE_PGM_RSRC2:TIDIG_COMP_CNT: 0
; COMPUTE_PGM_RSRC3_GFX90A:ACCUM_OFFSET: 0
; COMPUTE_PGM_RSRC3_GFX90A:TG_SPLIT: 0
	.section	.text._ZN7rocprim17ROCPRIM_400000_NS6detail17trampoline_kernelINS0_14default_configENS1_22reduce_config_selectorIsEEZNS1_11reduce_implILb1ES3_N6thrust23THRUST_200600_302600_NS6detail15normal_iteratorINS8_10device_ptrIsEEEEPffNS8_4plusIfEEEE10hipError_tPvRmT1_T2_T3_mT4_P12ihipStream_tbEUlT_E0_NS1_11comp_targetILNS1_3genE0ELNS1_11target_archE4294967295ELNS1_3gpuE0ELNS1_3repE0EEENS1_30default_config_static_selectorELNS0_4arch9wavefront6targetE1EEEvSK_,"axG",@progbits,_ZN7rocprim17ROCPRIM_400000_NS6detail17trampoline_kernelINS0_14default_configENS1_22reduce_config_selectorIsEEZNS1_11reduce_implILb1ES3_N6thrust23THRUST_200600_302600_NS6detail15normal_iteratorINS8_10device_ptrIsEEEEPffNS8_4plusIfEEEE10hipError_tPvRmT1_T2_T3_mT4_P12ihipStream_tbEUlT_E0_NS1_11comp_targetILNS1_3genE0ELNS1_11target_archE4294967295ELNS1_3gpuE0ELNS1_3repE0EEENS1_30default_config_static_selectorELNS0_4arch9wavefront6targetE1EEEvSK_,comdat
	.protected	_ZN7rocprim17ROCPRIM_400000_NS6detail17trampoline_kernelINS0_14default_configENS1_22reduce_config_selectorIsEEZNS1_11reduce_implILb1ES3_N6thrust23THRUST_200600_302600_NS6detail15normal_iteratorINS8_10device_ptrIsEEEEPffNS8_4plusIfEEEE10hipError_tPvRmT1_T2_T3_mT4_P12ihipStream_tbEUlT_E0_NS1_11comp_targetILNS1_3genE0ELNS1_11target_archE4294967295ELNS1_3gpuE0ELNS1_3repE0EEENS1_30default_config_static_selectorELNS0_4arch9wavefront6targetE1EEEvSK_ ; -- Begin function _ZN7rocprim17ROCPRIM_400000_NS6detail17trampoline_kernelINS0_14default_configENS1_22reduce_config_selectorIsEEZNS1_11reduce_implILb1ES3_N6thrust23THRUST_200600_302600_NS6detail15normal_iteratorINS8_10device_ptrIsEEEEPffNS8_4plusIfEEEE10hipError_tPvRmT1_T2_T3_mT4_P12ihipStream_tbEUlT_E0_NS1_11comp_targetILNS1_3genE0ELNS1_11target_archE4294967295ELNS1_3gpuE0ELNS1_3repE0EEENS1_30default_config_static_selectorELNS0_4arch9wavefront6targetE1EEEvSK_
	.globl	_ZN7rocprim17ROCPRIM_400000_NS6detail17trampoline_kernelINS0_14default_configENS1_22reduce_config_selectorIsEEZNS1_11reduce_implILb1ES3_N6thrust23THRUST_200600_302600_NS6detail15normal_iteratorINS8_10device_ptrIsEEEEPffNS8_4plusIfEEEE10hipError_tPvRmT1_T2_T3_mT4_P12ihipStream_tbEUlT_E0_NS1_11comp_targetILNS1_3genE0ELNS1_11target_archE4294967295ELNS1_3gpuE0ELNS1_3repE0EEENS1_30default_config_static_selectorELNS0_4arch9wavefront6targetE1EEEvSK_
	.p2align	8
	.type	_ZN7rocprim17ROCPRIM_400000_NS6detail17trampoline_kernelINS0_14default_configENS1_22reduce_config_selectorIsEEZNS1_11reduce_implILb1ES3_N6thrust23THRUST_200600_302600_NS6detail15normal_iteratorINS8_10device_ptrIsEEEEPffNS8_4plusIfEEEE10hipError_tPvRmT1_T2_T3_mT4_P12ihipStream_tbEUlT_E0_NS1_11comp_targetILNS1_3genE0ELNS1_11target_archE4294967295ELNS1_3gpuE0ELNS1_3repE0EEENS1_30default_config_static_selectorELNS0_4arch9wavefront6targetE1EEEvSK_,@function
_ZN7rocprim17ROCPRIM_400000_NS6detail17trampoline_kernelINS0_14default_configENS1_22reduce_config_selectorIsEEZNS1_11reduce_implILb1ES3_N6thrust23THRUST_200600_302600_NS6detail15normal_iteratorINS8_10device_ptrIsEEEEPffNS8_4plusIfEEEE10hipError_tPvRmT1_T2_T3_mT4_P12ihipStream_tbEUlT_E0_NS1_11comp_targetILNS1_3genE0ELNS1_11target_archE4294967295ELNS1_3gpuE0ELNS1_3repE0EEENS1_30default_config_static_selectorELNS0_4arch9wavefront6targetE1EEEvSK_: ; @_ZN7rocprim17ROCPRIM_400000_NS6detail17trampoline_kernelINS0_14default_configENS1_22reduce_config_selectorIsEEZNS1_11reduce_implILb1ES3_N6thrust23THRUST_200600_302600_NS6detail15normal_iteratorINS8_10device_ptrIsEEEEPffNS8_4plusIfEEEE10hipError_tPvRmT1_T2_T3_mT4_P12ihipStream_tbEUlT_E0_NS1_11comp_targetILNS1_3genE0ELNS1_11target_archE4294967295ELNS1_3gpuE0ELNS1_3repE0EEENS1_30default_config_static_selectorELNS0_4arch9wavefront6targetE1EEEvSK_
; %bb.0:
	s_load_dwordx8 s[12:19], s[0:1], 0x0
	s_load_dwordx4 s[20:23], s[0:1], 0x20
	v_lshlrev_b32_e32 v10, 1, v0
	v_mbcnt_lo_u32_b32 v1, -1, 0
	s_waitcnt lgkmcnt(0)
	s_lshl_b64 s[4:5], s[14:15], 1
	s_add_u32 s10, s12, s4
	s_addc_u32 s11, s13, s5
	s_lshl_b32 s4, s2, 10
	s_mov_b32 s5, 0
	s_lshr_b64 s[6:7], s[16:17], 10
	s_lshl_b64 s[8:9], s[4:5], 1
	s_add_u32 s14, s10, s8
	s_mov_b32 s3, s5
	s_addc_u32 s15, s11, s9
	s_cmp_lg_u64 s[6:7], s[2:3]
	s_cbranch_scc0 .LBB531_6
; %bb.1:
	v_mov_b32_e32 v11, 0
	v_lshl_add_u64 v[2:3], s[14:15], 0, v[10:11]
	flat_load_sshort v5, v[2:3]
	flat_load_sshort v6, v[2:3] offset:256
	flat_load_sshort v7, v[2:3] offset:512
	;; [unrolled: 1-line block ×7, first 2 shown]
	v_mbcnt_hi_u32_b32 v3, -1, v1
	v_lshlrev_b32_e32 v4, 2, v3
	v_cmp_eq_u32_e32 vcc, 0, v3
	s_waitcnt vmcnt(0) lgkmcnt(0)
	v_cvt_f32_i32_e32 v2, v5
	v_cvt_f32_i32_e32 v5, v6
	v_cvt_f32_i32_e32 v6, v7
	v_cvt_f32_i32_e32 v7, v8
	v_cvt_f32_i32_e32 v8, v9
	v_cvt_f32_i32_e32 v9, v11
	v_add_f32_e32 v2, v2, v5
	v_cvt_f32_i32_e32 v11, v12
	v_add_f32_e32 v2, v2, v6
	v_cvt_f32_i32_e32 v12, v13
	v_add_f32_e32 v2, v2, v7
	v_add_f32_e32 v2, v2, v8
	;; [unrolled: 1-line block ×5, first 2 shown]
	v_or_b32_e32 v5, 0xfc, v4
	s_nop 0
	v_add_f32_dpp v2, v2, v2 quad_perm:[1,0,3,2] row_mask:0xf bank_mask:0xf bound_ctrl:1
	s_nop 1
	v_add_f32_dpp v2, v2, v2 quad_perm:[2,3,0,1] row_mask:0xf bank_mask:0xf bound_ctrl:1
	s_nop 1
	v_add_f32_dpp v2, v2, v2 row_ror:4 row_mask:0xf bank_mask:0xf bound_ctrl:1
	s_nop 1
	v_add_f32_dpp v2, v2, v2 row_ror:8 row_mask:0xf bank_mask:0xf bound_ctrl:1
	s_nop 1
	v_add_f32_dpp v2, v2, v2 row_bcast:15 row_mask:0xf bank_mask:0xf bound_ctrl:1
	s_nop 1
	v_add_f32_dpp v2, v2, v2 row_bcast:31 row_mask:0xf bank_mask:0xf bound_ctrl:1
	ds_bpermute_b32 v2, v5, v2
	s_and_saveexec_b64 s[6:7], vcc
	s_cbranch_execz .LBB531_3
; %bb.2:
	v_lshrrev_b32_e32 v5, 4, v0
	v_and_b32_e32 v5, 4, v5
	s_waitcnt lgkmcnt(0)
	ds_write_b32 v5, v2
.LBB531_3:
	s_or_b64 exec, exec, s[6:7]
	v_cmp_gt_u32_e32 vcc, 64, v0
	s_waitcnt lgkmcnt(0)
	s_barrier
	s_and_saveexec_b64 s[6:7], vcc
	s_cbranch_execz .LBB531_5
; %bb.4:
	v_and_b32_e32 v2, 1, v3
	v_lshlrev_b32_e32 v2, 2, v2
	ds_read_b32 v2, v2
	v_or_b32_e32 v3, 4, v4
	s_waitcnt lgkmcnt(0)
	ds_bpermute_b32 v3, v3, v2
	s_waitcnt lgkmcnt(0)
	v_add_f32_e32 v2, v2, v3
.LBB531_5:
	s_or_b64 exec, exec, s[6:7]
	s_load_dword s26, s[0:1], 0x30
	s_branch .LBB531_28
.LBB531_6:
                                        ; implicit-def: $vgpr2
	s_load_dword s26, s[0:1], 0x30
	s_cbranch_execz .LBB531_28
; %bb.7:
	s_sub_i32 s27, s16, s4
	v_mov_b32_e32 v2, 0
	v_cmp_gt_u32_e32 vcc, s27, v0
	v_mov_b32_e32 v3, v2
	v_mov_b32_e32 v4, v2
	;; [unrolled: 1-line block ×7, first 2 shown]
	s_and_saveexec_b64 s[0:1], vcc
	s_cbranch_execz .LBB531_9
; %bb.8:
	v_mov_b32_e32 v11, v2
	v_lshl_add_u64 v[4:5], s[14:15], 0, v[10:11]
	flat_load_sshort v3, v[4:5]
	v_mov_b32_e32 v13, v2
	v_mov_b32_e32 v14, v2
	;; [unrolled: 1-line block ×7, first 2 shown]
	s_waitcnt vmcnt(0) lgkmcnt(0)
	v_cvt_f32_i32_e32 v12, v3
	v_mov_b64_e32 v[2:3], v[12:13]
	v_mov_b64_e32 v[4:5], v[14:15]
	;; [unrolled: 1-line block ×4, first 2 shown]
.LBB531_9:
	s_or_b64 exec, exec, s[0:1]
	v_or_b32_e32 v11, 0x80, v0
	v_cmp_gt_u32_e32 vcc, s27, v11
	s_and_saveexec_b64 s[0:1], vcc
	s_cbranch_execz .LBB531_11
; %bb.10:
	v_mov_b32_e32 v11, 0
	v_lshl_add_u64 v[12:13], s[14:15], 0, v[10:11]
	flat_load_sshort v3, v[12:13] offset:256
	s_waitcnt vmcnt(0) lgkmcnt(0)
	v_cvt_f32_i32_e32 v3, v3
.LBB531_11:
	s_or_b64 exec, exec, s[0:1]
	v_or_b32_e32 v11, 0x100, v0
	v_cmp_gt_u32_e64 s[0:1], s27, v11
	s_and_saveexec_b64 s[4:5], s[0:1]
	s_cbranch_execz .LBB531_13
; %bb.12:
	v_mov_b32_e32 v11, 0
	v_lshl_add_u64 v[12:13], s[14:15], 0, v[10:11]
	flat_load_sshort v4, v[12:13] offset:512
	s_waitcnt vmcnt(0) lgkmcnt(0)
	v_cvt_f32_i32_e32 v4, v4
.LBB531_13:
	s_or_b64 exec, exec, s[4:5]
	v_or_b32_e32 v11, 0x180, v0
	v_cmp_gt_u32_e64 s[4:5], s27, v11
	s_and_saveexec_b64 s[6:7], s[4:5]
	;; [unrolled: 12-line block ×6, first 2 shown]
	s_cbranch_execz .LBB531_23
; %bb.22:
	v_mov_b32_e32 v11, 0
	v_lshl_add_u64 v[10:11], s[14:15], 0, v[10:11]
	flat_load_sshort v9, v[10:11] offset:1792
	s_waitcnt vmcnt(0) lgkmcnt(0)
	v_cvt_f32_i32_e32 v9, v9
.LBB531_23:
	s_or_b64 exec, exec, s[24:25]
	v_add_f32_e32 v3, v2, v3
	v_cndmask_b32_e32 v2, v2, v3, vcc
	v_add_f32_e32 v3, v4, v2
	v_cndmask_b32_e64 v2, v2, v3, s[0:1]
	v_add_f32_e32 v3, v5, v2
	v_cndmask_b32_e64 v2, v2, v3, s[4:5]
	;; [unrolled: 2-line block ×4, first 2 shown]
	v_add_f32_e32 v3, v8, v2
	v_mbcnt_hi_u32_b32 v1, -1, v1
	v_cndmask_b32_e64 v2, v2, v3, s[10:11]
	v_and_b32_e32 v4, 63, v1
	v_add_f32_e32 v3, v9, v2
	v_cmp_ne_u32_e32 vcc, 63, v4
	v_cndmask_b32_e64 v2, v2, v3, s[12:13]
	s_min_u32 s4, s27, 0x80
	v_addc_co_u32_e32 v3, vcc, 0, v1, vcc
	v_lshlrev_b32_e32 v3, 2, v3
	ds_bpermute_b32 v3, v3, v2
	v_and_b32_e32 v5, 64, v0
	v_sub_u32_e64 v5, s4, v5 clamp
	v_add_u32_e32 v6, 1, v4
	v_cmp_gt_u32_e64 s[0:1], 62, v4
	s_waitcnt lgkmcnt(0)
	v_add_f32_e32 v3, v2, v3
	v_cmp_lt_u32_e32 vcc, v6, v5
	v_cndmask_b32_e64 v6, 0, 2, s[0:1]
	v_add_lshl_u32 v6, v6, v1, 2
	v_cndmask_b32_e32 v3, v2, v3, vcc
	ds_bpermute_b32 v6, v6, v3
	v_add_u32_e32 v7, 2, v4
	v_cmp_lt_u32_e64 s[0:1], v7, v5
	v_add_u32_e32 v7, 4, v4
	s_waitcnt lgkmcnt(0)
	v_add_f32_e32 v6, v3, v6
	v_cndmask_b32_e64 v3, v3, v6, s[0:1]
	v_cmp_gt_u32_e64 s[0:1], 60, v4
	s_nop 1
	v_cndmask_b32_e64 v6, 0, 4, s[0:1]
	v_add_lshl_u32 v6, v6, v1, 2
	ds_bpermute_b32 v6, v6, v3
	v_cmp_lt_u32_e64 s[0:1], v7, v5
	v_add_u32_e32 v7, 8, v4
	s_waitcnt lgkmcnt(0)
	v_add_f32_e32 v6, v3, v6
	v_cndmask_b32_e64 v3, v3, v6, s[0:1]
	v_cmp_gt_u32_e64 s[0:1], 56, v4
	s_nop 1
	v_cndmask_b32_e64 v6, 0, 8, s[0:1]
	v_add_lshl_u32 v6, v6, v1, 2
	ds_bpermute_b32 v6, v6, v3
	v_cmp_lt_u32_e64 s[0:1], v7, v5
	v_add_u32_e32 v7, 16, v4
	s_waitcnt lgkmcnt(0)
	v_add_f32_e32 v6, v3, v6
	v_cndmask_b32_e64 v3, v3, v6, s[0:1]
	v_cmp_gt_u32_e64 s[0:1], 48, v4
	v_add_u32_e32 v4, 32, v4
	s_nop 0
	v_cndmask_b32_e64 v6, 0, 16, s[0:1]
	v_add_lshl_u32 v6, v6, v1, 2
	ds_bpermute_b32 v6, v6, v3
	v_cmp_lt_u32_e64 s[0:1], v7, v5
	s_waitcnt lgkmcnt(0)
	v_add_f32_e32 v6, v3, v6
	v_cndmask_b32_e64 v6, v3, v6, s[0:1]
	v_lshlrev_b32_e32 v3, 2, v1
	v_or_b32_e32 v7, 0x80, v3
	ds_bpermute_b32 v7, v7, v6
	v_cmp_lt_u32_e64 s[0:1], v4, v5
	s_waitcnt lgkmcnt(0)
	v_add_f32_e32 v7, v6, v7
	v_cndmask_b32_e64 v4, v6, v7, s[0:1]
	v_cndmask_b32_e32 v2, v2, v4, vcc
	v_cmp_eq_u32_e32 vcc, 0, v1
	s_and_saveexec_b64 s[0:1], vcc
; %bb.24:
	v_lshrrev_b32_e32 v4, 4, v0
	v_and_b32_e32 v4, 4, v4
	ds_write_b32 v4, v2 offset:8
; %bb.25:
	s_or_b64 exec, exec, s[0:1]
	v_cmp_gt_u32_e32 vcc, 2, v0
	s_waitcnt lgkmcnt(0)
	s_barrier
	s_and_saveexec_b64 s[0:1], vcc
	s_cbranch_execz .LBB531_27
; %bb.26:
	ds_read_b32 v2, v3 offset:8
	v_or_b32_e32 v3, 4, v3
	s_add_i32 s4, s4, 63
	v_and_b32_e32 v1, 1, v1
	s_lshr_b32 s4, s4, 6
	s_waitcnt lgkmcnt(0)
	ds_bpermute_b32 v3, v3, v2
	v_add_u32_e32 v1, 1, v1
	v_cmp_gt_u32_e32 vcc, s4, v1
	s_waitcnt lgkmcnt(0)
	v_add_f32_e32 v3, v2, v3
	v_cndmask_b32_e32 v2, v2, v3, vcc
.LBB531_27:
	s_or_b64 exec, exec, s[0:1]
.LBB531_28:
	v_cmp_eq_u32_e32 vcc, 0, v0
	s_and_saveexec_b64 s[0:1], vcc
	s_cbranch_execnz .LBB531_30
; %bb.29:
	s_endpgm
.LBB531_30:
	s_mul_i32 s0, s22, s21
	s_mul_hi_u32 s1, s22, s20
	s_add_i32 s0, s1, s0
	s_mul_i32 s1, s23, s20
	s_add_i32 s1, s0, s1
	s_mul_i32 s0, s22, s20
	s_lshl_b64 s[0:1], s[0:1], 2
	s_add_u32 s4, s18, s0
	s_addc_u32 s5, s19, s1
	s_cmp_eq_u64 s[16:17], 0
	s_cselect_b64 vcc, -1, 0
	s_lshl_b64 s[0:1], s[2:3], 2
	s_waitcnt lgkmcnt(0)
	v_mov_b32_e32 v0, s26
	s_add_u32 s0, s4, s0
	v_cndmask_b32_e32 v0, v2, v0, vcc
	s_addc_u32 s1, s5, s1
	v_mov_b32_e32 v1, 0
	global_store_dword v1, v0, s[0:1]
	s_endpgm
	.section	.rodata,"a",@progbits
	.p2align	6, 0x0
	.amdhsa_kernel _ZN7rocprim17ROCPRIM_400000_NS6detail17trampoline_kernelINS0_14default_configENS1_22reduce_config_selectorIsEEZNS1_11reduce_implILb1ES3_N6thrust23THRUST_200600_302600_NS6detail15normal_iteratorINS8_10device_ptrIsEEEEPffNS8_4plusIfEEEE10hipError_tPvRmT1_T2_T3_mT4_P12ihipStream_tbEUlT_E0_NS1_11comp_targetILNS1_3genE0ELNS1_11target_archE4294967295ELNS1_3gpuE0ELNS1_3repE0EEENS1_30default_config_static_selectorELNS0_4arch9wavefront6targetE1EEEvSK_
		.amdhsa_group_segment_fixed_size 16
		.amdhsa_private_segment_fixed_size 0
		.amdhsa_kernarg_size 56
		.amdhsa_user_sgpr_count 2
		.amdhsa_user_sgpr_dispatch_ptr 0
		.amdhsa_user_sgpr_queue_ptr 0
		.amdhsa_user_sgpr_kernarg_segment_ptr 1
		.amdhsa_user_sgpr_dispatch_id 0
		.amdhsa_user_sgpr_kernarg_preload_length 0
		.amdhsa_user_sgpr_kernarg_preload_offset 0
		.amdhsa_user_sgpr_private_segment_size 0
		.amdhsa_uses_dynamic_stack 0
		.amdhsa_enable_private_segment 0
		.amdhsa_system_sgpr_workgroup_id_x 1
		.amdhsa_system_sgpr_workgroup_id_y 0
		.amdhsa_system_sgpr_workgroup_id_z 0
		.amdhsa_system_sgpr_workgroup_info 0
		.amdhsa_system_vgpr_workitem_id 0
		.amdhsa_next_free_vgpr 20
		.amdhsa_next_free_sgpr 28
		.amdhsa_accum_offset 20
		.amdhsa_reserve_vcc 1
		.amdhsa_float_round_mode_32 0
		.amdhsa_float_round_mode_16_64 0
		.amdhsa_float_denorm_mode_32 3
		.amdhsa_float_denorm_mode_16_64 3
		.amdhsa_dx10_clamp 1
		.amdhsa_ieee_mode 1
		.amdhsa_fp16_overflow 0
		.amdhsa_tg_split 0
		.amdhsa_exception_fp_ieee_invalid_op 0
		.amdhsa_exception_fp_denorm_src 0
		.amdhsa_exception_fp_ieee_div_zero 0
		.amdhsa_exception_fp_ieee_overflow 0
		.amdhsa_exception_fp_ieee_underflow 0
		.amdhsa_exception_fp_ieee_inexact 0
		.amdhsa_exception_int_div_zero 0
	.end_amdhsa_kernel
	.section	.text._ZN7rocprim17ROCPRIM_400000_NS6detail17trampoline_kernelINS0_14default_configENS1_22reduce_config_selectorIsEEZNS1_11reduce_implILb1ES3_N6thrust23THRUST_200600_302600_NS6detail15normal_iteratorINS8_10device_ptrIsEEEEPffNS8_4plusIfEEEE10hipError_tPvRmT1_T2_T3_mT4_P12ihipStream_tbEUlT_E0_NS1_11comp_targetILNS1_3genE0ELNS1_11target_archE4294967295ELNS1_3gpuE0ELNS1_3repE0EEENS1_30default_config_static_selectorELNS0_4arch9wavefront6targetE1EEEvSK_,"axG",@progbits,_ZN7rocprim17ROCPRIM_400000_NS6detail17trampoline_kernelINS0_14default_configENS1_22reduce_config_selectorIsEEZNS1_11reduce_implILb1ES3_N6thrust23THRUST_200600_302600_NS6detail15normal_iteratorINS8_10device_ptrIsEEEEPffNS8_4plusIfEEEE10hipError_tPvRmT1_T2_T3_mT4_P12ihipStream_tbEUlT_E0_NS1_11comp_targetILNS1_3genE0ELNS1_11target_archE4294967295ELNS1_3gpuE0ELNS1_3repE0EEENS1_30default_config_static_selectorELNS0_4arch9wavefront6targetE1EEEvSK_,comdat
.Lfunc_end531:
	.size	_ZN7rocprim17ROCPRIM_400000_NS6detail17trampoline_kernelINS0_14default_configENS1_22reduce_config_selectorIsEEZNS1_11reduce_implILb1ES3_N6thrust23THRUST_200600_302600_NS6detail15normal_iteratorINS8_10device_ptrIsEEEEPffNS8_4plusIfEEEE10hipError_tPvRmT1_T2_T3_mT4_P12ihipStream_tbEUlT_E0_NS1_11comp_targetILNS1_3genE0ELNS1_11target_archE4294967295ELNS1_3gpuE0ELNS1_3repE0EEENS1_30default_config_static_selectorELNS0_4arch9wavefront6targetE1EEEvSK_, .Lfunc_end531-_ZN7rocprim17ROCPRIM_400000_NS6detail17trampoline_kernelINS0_14default_configENS1_22reduce_config_selectorIsEEZNS1_11reduce_implILb1ES3_N6thrust23THRUST_200600_302600_NS6detail15normal_iteratorINS8_10device_ptrIsEEEEPffNS8_4plusIfEEEE10hipError_tPvRmT1_T2_T3_mT4_P12ihipStream_tbEUlT_E0_NS1_11comp_targetILNS1_3genE0ELNS1_11target_archE4294967295ELNS1_3gpuE0ELNS1_3repE0EEENS1_30default_config_static_selectorELNS0_4arch9wavefront6targetE1EEEvSK_
                                        ; -- End function
	.set _ZN7rocprim17ROCPRIM_400000_NS6detail17trampoline_kernelINS0_14default_configENS1_22reduce_config_selectorIsEEZNS1_11reduce_implILb1ES3_N6thrust23THRUST_200600_302600_NS6detail15normal_iteratorINS8_10device_ptrIsEEEEPffNS8_4plusIfEEEE10hipError_tPvRmT1_T2_T3_mT4_P12ihipStream_tbEUlT_E0_NS1_11comp_targetILNS1_3genE0ELNS1_11target_archE4294967295ELNS1_3gpuE0ELNS1_3repE0EEENS1_30default_config_static_selectorELNS0_4arch9wavefront6targetE1EEEvSK_.num_vgpr, 20
	.set _ZN7rocprim17ROCPRIM_400000_NS6detail17trampoline_kernelINS0_14default_configENS1_22reduce_config_selectorIsEEZNS1_11reduce_implILb1ES3_N6thrust23THRUST_200600_302600_NS6detail15normal_iteratorINS8_10device_ptrIsEEEEPffNS8_4plusIfEEEE10hipError_tPvRmT1_T2_T3_mT4_P12ihipStream_tbEUlT_E0_NS1_11comp_targetILNS1_3genE0ELNS1_11target_archE4294967295ELNS1_3gpuE0ELNS1_3repE0EEENS1_30default_config_static_selectorELNS0_4arch9wavefront6targetE1EEEvSK_.num_agpr, 0
	.set _ZN7rocprim17ROCPRIM_400000_NS6detail17trampoline_kernelINS0_14default_configENS1_22reduce_config_selectorIsEEZNS1_11reduce_implILb1ES3_N6thrust23THRUST_200600_302600_NS6detail15normal_iteratorINS8_10device_ptrIsEEEEPffNS8_4plusIfEEEE10hipError_tPvRmT1_T2_T3_mT4_P12ihipStream_tbEUlT_E0_NS1_11comp_targetILNS1_3genE0ELNS1_11target_archE4294967295ELNS1_3gpuE0ELNS1_3repE0EEENS1_30default_config_static_selectorELNS0_4arch9wavefront6targetE1EEEvSK_.numbered_sgpr, 28
	.set _ZN7rocprim17ROCPRIM_400000_NS6detail17trampoline_kernelINS0_14default_configENS1_22reduce_config_selectorIsEEZNS1_11reduce_implILb1ES3_N6thrust23THRUST_200600_302600_NS6detail15normal_iteratorINS8_10device_ptrIsEEEEPffNS8_4plusIfEEEE10hipError_tPvRmT1_T2_T3_mT4_P12ihipStream_tbEUlT_E0_NS1_11comp_targetILNS1_3genE0ELNS1_11target_archE4294967295ELNS1_3gpuE0ELNS1_3repE0EEENS1_30default_config_static_selectorELNS0_4arch9wavefront6targetE1EEEvSK_.num_named_barrier, 0
	.set _ZN7rocprim17ROCPRIM_400000_NS6detail17trampoline_kernelINS0_14default_configENS1_22reduce_config_selectorIsEEZNS1_11reduce_implILb1ES3_N6thrust23THRUST_200600_302600_NS6detail15normal_iteratorINS8_10device_ptrIsEEEEPffNS8_4plusIfEEEE10hipError_tPvRmT1_T2_T3_mT4_P12ihipStream_tbEUlT_E0_NS1_11comp_targetILNS1_3genE0ELNS1_11target_archE4294967295ELNS1_3gpuE0ELNS1_3repE0EEENS1_30default_config_static_selectorELNS0_4arch9wavefront6targetE1EEEvSK_.private_seg_size, 0
	.set _ZN7rocprim17ROCPRIM_400000_NS6detail17trampoline_kernelINS0_14default_configENS1_22reduce_config_selectorIsEEZNS1_11reduce_implILb1ES3_N6thrust23THRUST_200600_302600_NS6detail15normal_iteratorINS8_10device_ptrIsEEEEPffNS8_4plusIfEEEE10hipError_tPvRmT1_T2_T3_mT4_P12ihipStream_tbEUlT_E0_NS1_11comp_targetILNS1_3genE0ELNS1_11target_archE4294967295ELNS1_3gpuE0ELNS1_3repE0EEENS1_30default_config_static_selectorELNS0_4arch9wavefront6targetE1EEEvSK_.uses_vcc, 1
	.set _ZN7rocprim17ROCPRIM_400000_NS6detail17trampoline_kernelINS0_14default_configENS1_22reduce_config_selectorIsEEZNS1_11reduce_implILb1ES3_N6thrust23THRUST_200600_302600_NS6detail15normal_iteratorINS8_10device_ptrIsEEEEPffNS8_4plusIfEEEE10hipError_tPvRmT1_T2_T3_mT4_P12ihipStream_tbEUlT_E0_NS1_11comp_targetILNS1_3genE0ELNS1_11target_archE4294967295ELNS1_3gpuE0ELNS1_3repE0EEENS1_30default_config_static_selectorELNS0_4arch9wavefront6targetE1EEEvSK_.uses_flat_scratch, 0
	.set _ZN7rocprim17ROCPRIM_400000_NS6detail17trampoline_kernelINS0_14default_configENS1_22reduce_config_selectorIsEEZNS1_11reduce_implILb1ES3_N6thrust23THRUST_200600_302600_NS6detail15normal_iteratorINS8_10device_ptrIsEEEEPffNS8_4plusIfEEEE10hipError_tPvRmT1_T2_T3_mT4_P12ihipStream_tbEUlT_E0_NS1_11comp_targetILNS1_3genE0ELNS1_11target_archE4294967295ELNS1_3gpuE0ELNS1_3repE0EEENS1_30default_config_static_selectorELNS0_4arch9wavefront6targetE1EEEvSK_.has_dyn_sized_stack, 0
	.set _ZN7rocprim17ROCPRIM_400000_NS6detail17trampoline_kernelINS0_14default_configENS1_22reduce_config_selectorIsEEZNS1_11reduce_implILb1ES3_N6thrust23THRUST_200600_302600_NS6detail15normal_iteratorINS8_10device_ptrIsEEEEPffNS8_4plusIfEEEE10hipError_tPvRmT1_T2_T3_mT4_P12ihipStream_tbEUlT_E0_NS1_11comp_targetILNS1_3genE0ELNS1_11target_archE4294967295ELNS1_3gpuE0ELNS1_3repE0EEENS1_30default_config_static_selectorELNS0_4arch9wavefront6targetE1EEEvSK_.has_recursion, 0
	.set _ZN7rocprim17ROCPRIM_400000_NS6detail17trampoline_kernelINS0_14default_configENS1_22reduce_config_selectorIsEEZNS1_11reduce_implILb1ES3_N6thrust23THRUST_200600_302600_NS6detail15normal_iteratorINS8_10device_ptrIsEEEEPffNS8_4plusIfEEEE10hipError_tPvRmT1_T2_T3_mT4_P12ihipStream_tbEUlT_E0_NS1_11comp_targetILNS1_3genE0ELNS1_11target_archE4294967295ELNS1_3gpuE0ELNS1_3repE0EEENS1_30default_config_static_selectorELNS0_4arch9wavefront6targetE1EEEvSK_.has_indirect_call, 0
	.section	.AMDGPU.csdata,"",@progbits
; Kernel info:
; codeLenInByte = 1620
; TotalNumSgprs: 34
; NumVgprs: 20
; NumAgprs: 0
; TotalNumVgprs: 20
; ScratchSize: 0
; MemoryBound: 0
; FloatMode: 240
; IeeeMode: 1
; LDSByteSize: 16 bytes/workgroup (compile time only)
; SGPRBlocks: 4
; VGPRBlocks: 2
; NumSGPRsForWavesPerEU: 34
; NumVGPRsForWavesPerEU: 20
; AccumOffset: 20
; Occupancy: 8
; WaveLimiterHint : 1
; COMPUTE_PGM_RSRC2:SCRATCH_EN: 0
; COMPUTE_PGM_RSRC2:USER_SGPR: 2
; COMPUTE_PGM_RSRC2:TRAP_HANDLER: 0
; COMPUTE_PGM_RSRC2:TGID_X_EN: 1
; COMPUTE_PGM_RSRC2:TGID_Y_EN: 0
; COMPUTE_PGM_RSRC2:TGID_Z_EN: 0
; COMPUTE_PGM_RSRC2:TIDIG_COMP_CNT: 0
; COMPUTE_PGM_RSRC3_GFX90A:ACCUM_OFFSET: 4
; COMPUTE_PGM_RSRC3_GFX90A:TG_SPLIT: 0
	.section	.text._ZN7rocprim17ROCPRIM_400000_NS6detail17trampoline_kernelINS0_14default_configENS1_22reduce_config_selectorIsEEZNS1_11reduce_implILb1ES3_N6thrust23THRUST_200600_302600_NS6detail15normal_iteratorINS8_10device_ptrIsEEEEPffNS8_4plusIfEEEE10hipError_tPvRmT1_T2_T3_mT4_P12ihipStream_tbEUlT_E0_NS1_11comp_targetILNS1_3genE5ELNS1_11target_archE942ELNS1_3gpuE9ELNS1_3repE0EEENS1_30default_config_static_selectorELNS0_4arch9wavefront6targetE1EEEvSK_,"axG",@progbits,_ZN7rocprim17ROCPRIM_400000_NS6detail17trampoline_kernelINS0_14default_configENS1_22reduce_config_selectorIsEEZNS1_11reduce_implILb1ES3_N6thrust23THRUST_200600_302600_NS6detail15normal_iteratorINS8_10device_ptrIsEEEEPffNS8_4plusIfEEEE10hipError_tPvRmT1_T2_T3_mT4_P12ihipStream_tbEUlT_E0_NS1_11comp_targetILNS1_3genE5ELNS1_11target_archE942ELNS1_3gpuE9ELNS1_3repE0EEENS1_30default_config_static_selectorELNS0_4arch9wavefront6targetE1EEEvSK_,comdat
	.protected	_ZN7rocprim17ROCPRIM_400000_NS6detail17trampoline_kernelINS0_14default_configENS1_22reduce_config_selectorIsEEZNS1_11reduce_implILb1ES3_N6thrust23THRUST_200600_302600_NS6detail15normal_iteratorINS8_10device_ptrIsEEEEPffNS8_4plusIfEEEE10hipError_tPvRmT1_T2_T3_mT4_P12ihipStream_tbEUlT_E0_NS1_11comp_targetILNS1_3genE5ELNS1_11target_archE942ELNS1_3gpuE9ELNS1_3repE0EEENS1_30default_config_static_selectorELNS0_4arch9wavefront6targetE1EEEvSK_ ; -- Begin function _ZN7rocprim17ROCPRIM_400000_NS6detail17trampoline_kernelINS0_14default_configENS1_22reduce_config_selectorIsEEZNS1_11reduce_implILb1ES3_N6thrust23THRUST_200600_302600_NS6detail15normal_iteratorINS8_10device_ptrIsEEEEPffNS8_4plusIfEEEE10hipError_tPvRmT1_T2_T3_mT4_P12ihipStream_tbEUlT_E0_NS1_11comp_targetILNS1_3genE5ELNS1_11target_archE942ELNS1_3gpuE9ELNS1_3repE0EEENS1_30default_config_static_selectorELNS0_4arch9wavefront6targetE1EEEvSK_
	.globl	_ZN7rocprim17ROCPRIM_400000_NS6detail17trampoline_kernelINS0_14default_configENS1_22reduce_config_selectorIsEEZNS1_11reduce_implILb1ES3_N6thrust23THRUST_200600_302600_NS6detail15normal_iteratorINS8_10device_ptrIsEEEEPffNS8_4plusIfEEEE10hipError_tPvRmT1_T2_T3_mT4_P12ihipStream_tbEUlT_E0_NS1_11comp_targetILNS1_3genE5ELNS1_11target_archE942ELNS1_3gpuE9ELNS1_3repE0EEENS1_30default_config_static_selectorELNS0_4arch9wavefront6targetE1EEEvSK_
	.p2align	8
	.type	_ZN7rocprim17ROCPRIM_400000_NS6detail17trampoline_kernelINS0_14default_configENS1_22reduce_config_selectorIsEEZNS1_11reduce_implILb1ES3_N6thrust23THRUST_200600_302600_NS6detail15normal_iteratorINS8_10device_ptrIsEEEEPffNS8_4plusIfEEEE10hipError_tPvRmT1_T2_T3_mT4_P12ihipStream_tbEUlT_E0_NS1_11comp_targetILNS1_3genE5ELNS1_11target_archE942ELNS1_3gpuE9ELNS1_3repE0EEENS1_30default_config_static_selectorELNS0_4arch9wavefront6targetE1EEEvSK_,@function
_ZN7rocprim17ROCPRIM_400000_NS6detail17trampoline_kernelINS0_14default_configENS1_22reduce_config_selectorIsEEZNS1_11reduce_implILb1ES3_N6thrust23THRUST_200600_302600_NS6detail15normal_iteratorINS8_10device_ptrIsEEEEPffNS8_4plusIfEEEE10hipError_tPvRmT1_T2_T3_mT4_P12ihipStream_tbEUlT_E0_NS1_11comp_targetILNS1_3genE5ELNS1_11target_archE942ELNS1_3gpuE9ELNS1_3repE0EEENS1_30default_config_static_selectorELNS0_4arch9wavefront6targetE1EEEvSK_: ; @_ZN7rocprim17ROCPRIM_400000_NS6detail17trampoline_kernelINS0_14default_configENS1_22reduce_config_selectorIsEEZNS1_11reduce_implILb1ES3_N6thrust23THRUST_200600_302600_NS6detail15normal_iteratorINS8_10device_ptrIsEEEEPffNS8_4plusIfEEEE10hipError_tPvRmT1_T2_T3_mT4_P12ihipStream_tbEUlT_E0_NS1_11comp_targetILNS1_3genE5ELNS1_11target_archE942ELNS1_3gpuE9ELNS1_3repE0EEENS1_30default_config_static_selectorELNS0_4arch9wavefront6targetE1EEEvSK_
; %bb.0:
	.section	.rodata,"a",@progbits
	.p2align	6, 0x0
	.amdhsa_kernel _ZN7rocprim17ROCPRIM_400000_NS6detail17trampoline_kernelINS0_14default_configENS1_22reduce_config_selectorIsEEZNS1_11reduce_implILb1ES3_N6thrust23THRUST_200600_302600_NS6detail15normal_iteratorINS8_10device_ptrIsEEEEPffNS8_4plusIfEEEE10hipError_tPvRmT1_T2_T3_mT4_P12ihipStream_tbEUlT_E0_NS1_11comp_targetILNS1_3genE5ELNS1_11target_archE942ELNS1_3gpuE9ELNS1_3repE0EEENS1_30default_config_static_selectorELNS0_4arch9wavefront6targetE1EEEvSK_
		.amdhsa_group_segment_fixed_size 0
		.amdhsa_private_segment_fixed_size 0
		.amdhsa_kernarg_size 56
		.amdhsa_user_sgpr_count 2
		.amdhsa_user_sgpr_dispatch_ptr 0
		.amdhsa_user_sgpr_queue_ptr 0
		.amdhsa_user_sgpr_kernarg_segment_ptr 1
		.amdhsa_user_sgpr_dispatch_id 0
		.amdhsa_user_sgpr_kernarg_preload_length 0
		.amdhsa_user_sgpr_kernarg_preload_offset 0
		.amdhsa_user_sgpr_private_segment_size 0
		.amdhsa_uses_dynamic_stack 0
		.amdhsa_enable_private_segment 0
		.amdhsa_system_sgpr_workgroup_id_x 1
		.amdhsa_system_sgpr_workgroup_id_y 0
		.amdhsa_system_sgpr_workgroup_id_z 0
		.amdhsa_system_sgpr_workgroup_info 0
		.amdhsa_system_vgpr_workitem_id 0
		.amdhsa_next_free_vgpr 1
		.amdhsa_next_free_sgpr 0
		.amdhsa_accum_offset 4
		.amdhsa_reserve_vcc 0
		.amdhsa_float_round_mode_32 0
		.amdhsa_float_round_mode_16_64 0
		.amdhsa_float_denorm_mode_32 3
		.amdhsa_float_denorm_mode_16_64 3
		.amdhsa_dx10_clamp 1
		.amdhsa_ieee_mode 1
		.amdhsa_fp16_overflow 0
		.amdhsa_tg_split 0
		.amdhsa_exception_fp_ieee_invalid_op 0
		.amdhsa_exception_fp_denorm_src 0
		.amdhsa_exception_fp_ieee_div_zero 0
		.amdhsa_exception_fp_ieee_overflow 0
		.amdhsa_exception_fp_ieee_underflow 0
		.amdhsa_exception_fp_ieee_inexact 0
		.amdhsa_exception_int_div_zero 0
	.end_amdhsa_kernel
	.section	.text._ZN7rocprim17ROCPRIM_400000_NS6detail17trampoline_kernelINS0_14default_configENS1_22reduce_config_selectorIsEEZNS1_11reduce_implILb1ES3_N6thrust23THRUST_200600_302600_NS6detail15normal_iteratorINS8_10device_ptrIsEEEEPffNS8_4plusIfEEEE10hipError_tPvRmT1_T2_T3_mT4_P12ihipStream_tbEUlT_E0_NS1_11comp_targetILNS1_3genE5ELNS1_11target_archE942ELNS1_3gpuE9ELNS1_3repE0EEENS1_30default_config_static_selectorELNS0_4arch9wavefront6targetE1EEEvSK_,"axG",@progbits,_ZN7rocprim17ROCPRIM_400000_NS6detail17trampoline_kernelINS0_14default_configENS1_22reduce_config_selectorIsEEZNS1_11reduce_implILb1ES3_N6thrust23THRUST_200600_302600_NS6detail15normal_iteratorINS8_10device_ptrIsEEEEPffNS8_4plusIfEEEE10hipError_tPvRmT1_T2_T3_mT4_P12ihipStream_tbEUlT_E0_NS1_11comp_targetILNS1_3genE5ELNS1_11target_archE942ELNS1_3gpuE9ELNS1_3repE0EEENS1_30default_config_static_selectorELNS0_4arch9wavefront6targetE1EEEvSK_,comdat
.Lfunc_end532:
	.size	_ZN7rocprim17ROCPRIM_400000_NS6detail17trampoline_kernelINS0_14default_configENS1_22reduce_config_selectorIsEEZNS1_11reduce_implILb1ES3_N6thrust23THRUST_200600_302600_NS6detail15normal_iteratorINS8_10device_ptrIsEEEEPffNS8_4plusIfEEEE10hipError_tPvRmT1_T2_T3_mT4_P12ihipStream_tbEUlT_E0_NS1_11comp_targetILNS1_3genE5ELNS1_11target_archE942ELNS1_3gpuE9ELNS1_3repE0EEENS1_30default_config_static_selectorELNS0_4arch9wavefront6targetE1EEEvSK_, .Lfunc_end532-_ZN7rocprim17ROCPRIM_400000_NS6detail17trampoline_kernelINS0_14default_configENS1_22reduce_config_selectorIsEEZNS1_11reduce_implILb1ES3_N6thrust23THRUST_200600_302600_NS6detail15normal_iteratorINS8_10device_ptrIsEEEEPffNS8_4plusIfEEEE10hipError_tPvRmT1_T2_T3_mT4_P12ihipStream_tbEUlT_E0_NS1_11comp_targetILNS1_3genE5ELNS1_11target_archE942ELNS1_3gpuE9ELNS1_3repE0EEENS1_30default_config_static_selectorELNS0_4arch9wavefront6targetE1EEEvSK_
                                        ; -- End function
	.set _ZN7rocprim17ROCPRIM_400000_NS6detail17trampoline_kernelINS0_14default_configENS1_22reduce_config_selectorIsEEZNS1_11reduce_implILb1ES3_N6thrust23THRUST_200600_302600_NS6detail15normal_iteratorINS8_10device_ptrIsEEEEPffNS8_4plusIfEEEE10hipError_tPvRmT1_T2_T3_mT4_P12ihipStream_tbEUlT_E0_NS1_11comp_targetILNS1_3genE5ELNS1_11target_archE942ELNS1_3gpuE9ELNS1_3repE0EEENS1_30default_config_static_selectorELNS0_4arch9wavefront6targetE1EEEvSK_.num_vgpr, 0
	.set _ZN7rocprim17ROCPRIM_400000_NS6detail17trampoline_kernelINS0_14default_configENS1_22reduce_config_selectorIsEEZNS1_11reduce_implILb1ES3_N6thrust23THRUST_200600_302600_NS6detail15normal_iteratorINS8_10device_ptrIsEEEEPffNS8_4plusIfEEEE10hipError_tPvRmT1_T2_T3_mT4_P12ihipStream_tbEUlT_E0_NS1_11comp_targetILNS1_3genE5ELNS1_11target_archE942ELNS1_3gpuE9ELNS1_3repE0EEENS1_30default_config_static_selectorELNS0_4arch9wavefront6targetE1EEEvSK_.num_agpr, 0
	.set _ZN7rocprim17ROCPRIM_400000_NS6detail17trampoline_kernelINS0_14default_configENS1_22reduce_config_selectorIsEEZNS1_11reduce_implILb1ES3_N6thrust23THRUST_200600_302600_NS6detail15normal_iteratorINS8_10device_ptrIsEEEEPffNS8_4plusIfEEEE10hipError_tPvRmT1_T2_T3_mT4_P12ihipStream_tbEUlT_E0_NS1_11comp_targetILNS1_3genE5ELNS1_11target_archE942ELNS1_3gpuE9ELNS1_3repE0EEENS1_30default_config_static_selectorELNS0_4arch9wavefront6targetE1EEEvSK_.numbered_sgpr, 0
	.set _ZN7rocprim17ROCPRIM_400000_NS6detail17trampoline_kernelINS0_14default_configENS1_22reduce_config_selectorIsEEZNS1_11reduce_implILb1ES3_N6thrust23THRUST_200600_302600_NS6detail15normal_iteratorINS8_10device_ptrIsEEEEPffNS8_4plusIfEEEE10hipError_tPvRmT1_T2_T3_mT4_P12ihipStream_tbEUlT_E0_NS1_11comp_targetILNS1_3genE5ELNS1_11target_archE942ELNS1_3gpuE9ELNS1_3repE0EEENS1_30default_config_static_selectorELNS0_4arch9wavefront6targetE1EEEvSK_.num_named_barrier, 0
	.set _ZN7rocprim17ROCPRIM_400000_NS6detail17trampoline_kernelINS0_14default_configENS1_22reduce_config_selectorIsEEZNS1_11reduce_implILb1ES3_N6thrust23THRUST_200600_302600_NS6detail15normal_iteratorINS8_10device_ptrIsEEEEPffNS8_4plusIfEEEE10hipError_tPvRmT1_T2_T3_mT4_P12ihipStream_tbEUlT_E0_NS1_11comp_targetILNS1_3genE5ELNS1_11target_archE942ELNS1_3gpuE9ELNS1_3repE0EEENS1_30default_config_static_selectorELNS0_4arch9wavefront6targetE1EEEvSK_.private_seg_size, 0
	.set _ZN7rocprim17ROCPRIM_400000_NS6detail17trampoline_kernelINS0_14default_configENS1_22reduce_config_selectorIsEEZNS1_11reduce_implILb1ES3_N6thrust23THRUST_200600_302600_NS6detail15normal_iteratorINS8_10device_ptrIsEEEEPffNS8_4plusIfEEEE10hipError_tPvRmT1_T2_T3_mT4_P12ihipStream_tbEUlT_E0_NS1_11comp_targetILNS1_3genE5ELNS1_11target_archE942ELNS1_3gpuE9ELNS1_3repE0EEENS1_30default_config_static_selectorELNS0_4arch9wavefront6targetE1EEEvSK_.uses_vcc, 0
	.set _ZN7rocprim17ROCPRIM_400000_NS6detail17trampoline_kernelINS0_14default_configENS1_22reduce_config_selectorIsEEZNS1_11reduce_implILb1ES3_N6thrust23THRUST_200600_302600_NS6detail15normal_iteratorINS8_10device_ptrIsEEEEPffNS8_4plusIfEEEE10hipError_tPvRmT1_T2_T3_mT4_P12ihipStream_tbEUlT_E0_NS1_11comp_targetILNS1_3genE5ELNS1_11target_archE942ELNS1_3gpuE9ELNS1_3repE0EEENS1_30default_config_static_selectorELNS0_4arch9wavefront6targetE1EEEvSK_.uses_flat_scratch, 0
	.set _ZN7rocprim17ROCPRIM_400000_NS6detail17trampoline_kernelINS0_14default_configENS1_22reduce_config_selectorIsEEZNS1_11reduce_implILb1ES3_N6thrust23THRUST_200600_302600_NS6detail15normal_iteratorINS8_10device_ptrIsEEEEPffNS8_4plusIfEEEE10hipError_tPvRmT1_T2_T3_mT4_P12ihipStream_tbEUlT_E0_NS1_11comp_targetILNS1_3genE5ELNS1_11target_archE942ELNS1_3gpuE9ELNS1_3repE0EEENS1_30default_config_static_selectorELNS0_4arch9wavefront6targetE1EEEvSK_.has_dyn_sized_stack, 0
	.set _ZN7rocprim17ROCPRIM_400000_NS6detail17trampoline_kernelINS0_14default_configENS1_22reduce_config_selectorIsEEZNS1_11reduce_implILb1ES3_N6thrust23THRUST_200600_302600_NS6detail15normal_iteratorINS8_10device_ptrIsEEEEPffNS8_4plusIfEEEE10hipError_tPvRmT1_T2_T3_mT4_P12ihipStream_tbEUlT_E0_NS1_11comp_targetILNS1_3genE5ELNS1_11target_archE942ELNS1_3gpuE9ELNS1_3repE0EEENS1_30default_config_static_selectorELNS0_4arch9wavefront6targetE1EEEvSK_.has_recursion, 0
	.set _ZN7rocprim17ROCPRIM_400000_NS6detail17trampoline_kernelINS0_14default_configENS1_22reduce_config_selectorIsEEZNS1_11reduce_implILb1ES3_N6thrust23THRUST_200600_302600_NS6detail15normal_iteratorINS8_10device_ptrIsEEEEPffNS8_4plusIfEEEE10hipError_tPvRmT1_T2_T3_mT4_P12ihipStream_tbEUlT_E0_NS1_11comp_targetILNS1_3genE5ELNS1_11target_archE942ELNS1_3gpuE9ELNS1_3repE0EEENS1_30default_config_static_selectorELNS0_4arch9wavefront6targetE1EEEvSK_.has_indirect_call, 0
	.section	.AMDGPU.csdata,"",@progbits
; Kernel info:
; codeLenInByte = 0
; TotalNumSgprs: 6
; NumVgprs: 0
; NumAgprs: 0
; TotalNumVgprs: 0
; ScratchSize: 0
; MemoryBound: 0
; FloatMode: 240
; IeeeMode: 1
; LDSByteSize: 0 bytes/workgroup (compile time only)
; SGPRBlocks: 0
; VGPRBlocks: 0
; NumSGPRsForWavesPerEU: 6
; NumVGPRsForWavesPerEU: 1
; AccumOffset: 4
; Occupancy: 8
; WaveLimiterHint : 0
; COMPUTE_PGM_RSRC2:SCRATCH_EN: 0
; COMPUTE_PGM_RSRC2:USER_SGPR: 2
; COMPUTE_PGM_RSRC2:TRAP_HANDLER: 0
; COMPUTE_PGM_RSRC2:TGID_X_EN: 1
; COMPUTE_PGM_RSRC2:TGID_Y_EN: 0
; COMPUTE_PGM_RSRC2:TGID_Z_EN: 0
; COMPUTE_PGM_RSRC2:TIDIG_COMP_CNT: 0
; COMPUTE_PGM_RSRC3_GFX90A:ACCUM_OFFSET: 0
; COMPUTE_PGM_RSRC3_GFX90A:TG_SPLIT: 0
	.section	.text._ZN7rocprim17ROCPRIM_400000_NS6detail17trampoline_kernelINS0_14default_configENS1_22reduce_config_selectorIsEEZNS1_11reduce_implILb1ES3_N6thrust23THRUST_200600_302600_NS6detail15normal_iteratorINS8_10device_ptrIsEEEEPffNS8_4plusIfEEEE10hipError_tPvRmT1_T2_T3_mT4_P12ihipStream_tbEUlT_E0_NS1_11comp_targetILNS1_3genE4ELNS1_11target_archE910ELNS1_3gpuE8ELNS1_3repE0EEENS1_30default_config_static_selectorELNS0_4arch9wavefront6targetE1EEEvSK_,"axG",@progbits,_ZN7rocprim17ROCPRIM_400000_NS6detail17trampoline_kernelINS0_14default_configENS1_22reduce_config_selectorIsEEZNS1_11reduce_implILb1ES3_N6thrust23THRUST_200600_302600_NS6detail15normal_iteratorINS8_10device_ptrIsEEEEPffNS8_4plusIfEEEE10hipError_tPvRmT1_T2_T3_mT4_P12ihipStream_tbEUlT_E0_NS1_11comp_targetILNS1_3genE4ELNS1_11target_archE910ELNS1_3gpuE8ELNS1_3repE0EEENS1_30default_config_static_selectorELNS0_4arch9wavefront6targetE1EEEvSK_,comdat
	.protected	_ZN7rocprim17ROCPRIM_400000_NS6detail17trampoline_kernelINS0_14default_configENS1_22reduce_config_selectorIsEEZNS1_11reduce_implILb1ES3_N6thrust23THRUST_200600_302600_NS6detail15normal_iteratorINS8_10device_ptrIsEEEEPffNS8_4plusIfEEEE10hipError_tPvRmT1_T2_T3_mT4_P12ihipStream_tbEUlT_E0_NS1_11comp_targetILNS1_3genE4ELNS1_11target_archE910ELNS1_3gpuE8ELNS1_3repE0EEENS1_30default_config_static_selectorELNS0_4arch9wavefront6targetE1EEEvSK_ ; -- Begin function _ZN7rocprim17ROCPRIM_400000_NS6detail17trampoline_kernelINS0_14default_configENS1_22reduce_config_selectorIsEEZNS1_11reduce_implILb1ES3_N6thrust23THRUST_200600_302600_NS6detail15normal_iteratorINS8_10device_ptrIsEEEEPffNS8_4plusIfEEEE10hipError_tPvRmT1_T2_T3_mT4_P12ihipStream_tbEUlT_E0_NS1_11comp_targetILNS1_3genE4ELNS1_11target_archE910ELNS1_3gpuE8ELNS1_3repE0EEENS1_30default_config_static_selectorELNS0_4arch9wavefront6targetE1EEEvSK_
	.globl	_ZN7rocprim17ROCPRIM_400000_NS6detail17trampoline_kernelINS0_14default_configENS1_22reduce_config_selectorIsEEZNS1_11reduce_implILb1ES3_N6thrust23THRUST_200600_302600_NS6detail15normal_iteratorINS8_10device_ptrIsEEEEPffNS8_4plusIfEEEE10hipError_tPvRmT1_T2_T3_mT4_P12ihipStream_tbEUlT_E0_NS1_11comp_targetILNS1_3genE4ELNS1_11target_archE910ELNS1_3gpuE8ELNS1_3repE0EEENS1_30default_config_static_selectorELNS0_4arch9wavefront6targetE1EEEvSK_
	.p2align	8
	.type	_ZN7rocprim17ROCPRIM_400000_NS6detail17trampoline_kernelINS0_14default_configENS1_22reduce_config_selectorIsEEZNS1_11reduce_implILb1ES3_N6thrust23THRUST_200600_302600_NS6detail15normal_iteratorINS8_10device_ptrIsEEEEPffNS8_4plusIfEEEE10hipError_tPvRmT1_T2_T3_mT4_P12ihipStream_tbEUlT_E0_NS1_11comp_targetILNS1_3genE4ELNS1_11target_archE910ELNS1_3gpuE8ELNS1_3repE0EEENS1_30default_config_static_selectorELNS0_4arch9wavefront6targetE1EEEvSK_,@function
_ZN7rocprim17ROCPRIM_400000_NS6detail17trampoline_kernelINS0_14default_configENS1_22reduce_config_selectorIsEEZNS1_11reduce_implILb1ES3_N6thrust23THRUST_200600_302600_NS6detail15normal_iteratorINS8_10device_ptrIsEEEEPffNS8_4plusIfEEEE10hipError_tPvRmT1_T2_T3_mT4_P12ihipStream_tbEUlT_E0_NS1_11comp_targetILNS1_3genE4ELNS1_11target_archE910ELNS1_3gpuE8ELNS1_3repE0EEENS1_30default_config_static_selectorELNS0_4arch9wavefront6targetE1EEEvSK_: ; @_ZN7rocprim17ROCPRIM_400000_NS6detail17trampoline_kernelINS0_14default_configENS1_22reduce_config_selectorIsEEZNS1_11reduce_implILb1ES3_N6thrust23THRUST_200600_302600_NS6detail15normal_iteratorINS8_10device_ptrIsEEEEPffNS8_4plusIfEEEE10hipError_tPvRmT1_T2_T3_mT4_P12ihipStream_tbEUlT_E0_NS1_11comp_targetILNS1_3genE4ELNS1_11target_archE910ELNS1_3gpuE8ELNS1_3repE0EEENS1_30default_config_static_selectorELNS0_4arch9wavefront6targetE1EEEvSK_
; %bb.0:
	.section	.rodata,"a",@progbits
	.p2align	6, 0x0
	.amdhsa_kernel _ZN7rocprim17ROCPRIM_400000_NS6detail17trampoline_kernelINS0_14default_configENS1_22reduce_config_selectorIsEEZNS1_11reduce_implILb1ES3_N6thrust23THRUST_200600_302600_NS6detail15normal_iteratorINS8_10device_ptrIsEEEEPffNS8_4plusIfEEEE10hipError_tPvRmT1_T2_T3_mT4_P12ihipStream_tbEUlT_E0_NS1_11comp_targetILNS1_3genE4ELNS1_11target_archE910ELNS1_3gpuE8ELNS1_3repE0EEENS1_30default_config_static_selectorELNS0_4arch9wavefront6targetE1EEEvSK_
		.amdhsa_group_segment_fixed_size 0
		.amdhsa_private_segment_fixed_size 0
		.amdhsa_kernarg_size 56
		.amdhsa_user_sgpr_count 2
		.amdhsa_user_sgpr_dispatch_ptr 0
		.amdhsa_user_sgpr_queue_ptr 0
		.amdhsa_user_sgpr_kernarg_segment_ptr 1
		.amdhsa_user_sgpr_dispatch_id 0
		.amdhsa_user_sgpr_kernarg_preload_length 0
		.amdhsa_user_sgpr_kernarg_preload_offset 0
		.amdhsa_user_sgpr_private_segment_size 0
		.amdhsa_uses_dynamic_stack 0
		.amdhsa_enable_private_segment 0
		.amdhsa_system_sgpr_workgroup_id_x 1
		.amdhsa_system_sgpr_workgroup_id_y 0
		.amdhsa_system_sgpr_workgroup_id_z 0
		.amdhsa_system_sgpr_workgroup_info 0
		.amdhsa_system_vgpr_workitem_id 0
		.amdhsa_next_free_vgpr 1
		.amdhsa_next_free_sgpr 0
		.amdhsa_accum_offset 4
		.amdhsa_reserve_vcc 0
		.amdhsa_float_round_mode_32 0
		.amdhsa_float_round_mode_16_64 0
		.amdhsa_float_denorm_mode_32 3
		.amdhsa_float_denorm_mode_16_64 3
		.amdhsa_dx10_clamp 1
		.amdhsa_ieee_mode 1
		.amdhsa_fp16_overflow 0
		.amdhsa_tg_split 0
		.amdhsa_exception_fp_ieee_invalid_op 0
		.amdhsa_exception_fp_denorm_src 0
		.amdhsa_exception_fp_ieee_div_zero 0
		.amdhsa_exception_fp_ieee_overflow 0
		.amdhsa_exception_fp_ieee_underflow 0
		.amdhsa_exception_fp_ieee_inexact 0
		.amdhsa_exception_int_div_zero 0
	.end_amdhsa_kernel
	.section	.text._ZN7rocprim17ROCPRIM_400000_NS6detail17trampoline_kernelINS0_14default_configENS1_22reduce_config_selectorIsEEZNS1_11reduce_implILb1ES3_N6thrust23THRUST_200600_302600_NS6detail15normal_iteratorINS8_10device_ptrIsEEEEPffNS8_4plusIfEEEE10hipError_tPvRmT1_T2_T3_mT4_P12ihipStream_tbEUlT_E0_NS1_11comp_targetILNS1_3genE4ELNS1_11target_archE910ELNS1_3gpuE8ELNS1_3repE0EEENS1_30default_config_static_selectorELNS0_4arch9wavefront6targetE1EEEvSK_,"axG",@progbits,_ZN7rocprim17ROCPRIM_400000_NS6detail17trampoline_kernelINS0_14default_configENS1_22reduce_config_selectorIsEEZNS1_11reduce_implILb1ES3_N6thrust23THRUST_200600_302600_NS6detail15normal_iteratorINS8_10device_ptrIsEEEEPffNS8_4plusIfEEEE10hipError_tPvRmT1_T2_T3_mT4_P12ihipStream_tbEUlT_E0_NS1_11comp_targetILNS1_3genE4ELNS1_11target_archE910ELNS1_3gpuE8ELNS1_3repE0EEENS1_30default_config_static_selectorELNS0_4arch9wavefront6targetE1EEEvSK_,comdat
.Lfunc_end533:
	.size	_ZN7rocprim17ROCPRIM_400000_NS6detail17trampoline_kernelINS0_14default_configENS1_22reduce_config_selectorIsEEZNS1_11reduce_implILb1ES3_N6thrust23THRUST_200600_302600_NS6detail15normal_iteratorINS8_10device_ptrIsEEEEPffNS8_4plusIfEEEE10hipError_tPvRmT1_T2_T3_mT4_P12ihipStream_tbEUlT_E0_NS1_11comp_targetILNS1_3genE4ELNS1_11target_archE910ELNS1_3gpuE8ELNS1_3repE0EEENS1_30default_config_static_selectorELNS0_4arch9wavefront6targetE1EEEvSK_, .Lfunc_end533-_ZN7rocprim17ROCPRIM_400000_NS6detail17trampoline_kernelINS0_14default_configENS1_22reduce_config_selectorIsEEZNS1_11reduce_implILb1ES3_N6thrust23THRUST_200600_302600_NS6detail15normal_iteratorINS8_10device_ptrIsEEEEPffNS8_4plusIfEEEE10hipError_tPvRmT1_T2_T3_mT4_P12ihipStream_tbEUlT_E0_NS1_11comp_targetILNS1_3genE4ELNS1_11target_archE910ELNS1_3gpuE8ELNS1_3repE0EEENS1_30default_config_static_selectorELNS0_4arch9wavefront6targetE1EEEvSK_
                                        ; -- End function
	.set _ZN7rocprim17ROCPRIM_400000_NS6detail17trampoline_kernelINS0_14default_configENS1_22reduce_config_selectorIsEEZNS1_11reduce_implILb1ES3_N6thrust23THRUST_200600_302600_NS6detail15normal_iteratorINS8_10device_ptrIsEEEEPffNS8_4plusIfEEEE10hipError_tPvRmT1_T2_T3_mT4_P12ihipStream_tbEUlT_E0_NS1_11comp_targetILNS1_3genE4ELNS1_11target_archE910ELNS1_3gpuE8ELNS1_3repE0EEENS1_30default_config_static_selectorELNS0_4arch9wavefront6targetE1EEEvSK_.num_vgpr, 0
	.set _ZN7rocprim17ROCPRIM_400000_NS6detail17trampoline_kernelINS0_14default_configENS1_22reduce_config_selectorIsEEZNS1_11reduce_implILb1ES3_N6thrust23THRUST_200600_302600_NS6detail15normal_iteratorINS8_10device_ptrIsEEEEPffNS8_4plusIfEEEE10hipError_tPvRmT1_T2_T3_mT4_P12ihipStream_tbEUlT_E0_NS1_11comp_targetILNS1_3genE4ELNS1_11target_archE910ELNS1_3gpuE8ELNS1_3repE0EEENS1_30default_config_static_selectorELNS0_4arch9wavefront6targetE1EEEvSK_.num_agpr, 0
	.set _ZN7rocprim17ROCPRIM_400000_NS6detail17trampoline_kernelINS0_14default_configENS1_22reduce_config_selectorIsEEZNS1_11reduce_implILb1ES3_N6thrust23THRUST_200600_302600_NS6detail15normal_iteratorINS8_10device_ptrIsEEEEPffNS8_4plusIfEEEE10hipError_tPvRmT1_T2_T3_mT4_P12ihipStream_tbEUlT_E0_NS1_11comp_targetILNS1_3genE4ELNS1_11target_archE910ELNS1_3gpuE8ELNS1_3repE0EEENS1_30default_config_static_selectorELNS0_4arch9wavefront6targetE1EEEvSK_.numbered_sgpr, 0
	.set _ZN7rocprim17ROCPRIM_400000_NS6detail17trampoline_kernelINS0_14default_configENS1_22reduce_config_selectorIsEEZNS1_11reduce_implILb1ES3_N6thrust23THRUST_200600_302600_NS6detail15normal_iteratorINS8_10device_ptrIsEEEEPffNS8_4plusIfEEEE10hipError_tPvRmT1_T2_T3_mT4_P12ihipStream_tbEUlT_E0_NS1_11comp_targetILNS1_3genE4ELNS1_11target_archE910ELNS1_3gpuE8ELNS1_3repE0EEENS1_30default_config_static_selectorELNS0_4arch9wavefront6targetE1EEEvSK_.num_named_barrier, 0
	.set _ZN7rocprim17ROCPRIM_400000_NS6detail17trampoline_kernelINS0_14default_configENS1_22reduce_config_selectorIsEEZNS1_11reduce_implILb1ES3_N6thrust23THRUST_200600_302600_NS6detail15normal_iteratorINS8_10device_ptrIsEEEEPffNS8_4plusIfEEEE10hipError_tPvRmT1_T2_T3_mT4_P12ihipStream_tbEUlT_E0_NS1_11comp_targetILNS1_3genE4ELNS1_11target_archE910ELNS1_3gpuE8ELNS1_3repE0EEENS1_30default_config_static_selectorELNS0_4arch9wavefront6targetE1EEEvSK_.private_seg_size, 0
	.set _ZN7rocprim17ROCPRIM_400000_NS6detail17trampoline_kernelINS0_14default_configENS1_22reduce_config_selectorIsEEZNS1_11reduce_implILb1ES3_N6thrust23THRUST_200600_302600_NS6detail15normal_iteratorINS8_10device_ptrIsEEEEPffNS8_4plusIfEEEE10hipError_tPvRmT1_T2_T3_mT4_P12ihipStream_tbEUlT_E0_NS1_11comp_targetILNS1_3genE4ELNS1_11target_archE910ELNS1_3gpuE8ELNS1_3repE0EEENS1_30default_config_static_selectorELNS0_4arch9wavefront6targetE1EEEvSK_.uses_vcc, 0
	.set _ZN7rocprim17ROCPRIM_400000_NS6detail17trampoline_kernelINS0_14default_configENS1_22reduce_config_selectorIsEEZNS1_11reduce_implILb1ES3_N6thrust23THRUST_200600_302600_NS6detail15normal_iteratorINS8_10device_ptrIsEEEEPffNS8_4plusIfEEEE10hipError_tPvRmT1_T2_T3_mT4_P12ihipStream_tbEUlT_E0_NS1_11comp_targetILNS1_3genE4ELNS1_11target_archE910ELNS1_3gpuE8ELNS1_3repE0EEENS1_30default_config_static_selectorELNS0_4arch9wavefront6targetE1EEEvSK_.uses_flat_scratch, 0
	.set _ZN7rocprim17ROCPRIM_400000_NS6detail17trampoline_kernelINS0_14default_configENS1_22reduce_config_selectorIsEEZNS1_11reduce_implILb1ES3_N6thrust23THRUST_200600_302600_NS6detail15normal_iteratorINS8_10device_ptrIsEEEEPffNS8_4plusIfEEEE10hipError_tPvRmT1_T2_T3_mT4_P12ihipStream_tbEUlT_E0_NS1_11comp_targetILNS1_3genE4ELNS1_11target_archE910ELNS1_3gpuE8ELNS1_3repE0EEENS1_30default_config_static_selectorELNS0_4arch9wavefront6targetE1EEEvSK_.has_dyn_sized_stack, 0
	.set _ZN7rocprim17ROCPRIM_400000_NS6detail17trampoline_kernelINS0_14default_configENS1_22reduce_config_selectorIsEEZNS1_11reduce_implILb1ES3_N6thrust23THRUST_200600_302600_NS6detail15normal_iteratorINS8_10device_ptrIsEEEEPffNS8_4plusIfEEEE10hipError_tPvRmT1_T2_T3_mT4_P12ihipStream_tbEUlT_E0_NS1_11comp_targetILNS1_3genE4ELNS1_11target_archE910ELNS1_3gpuE8ELNS1_3repE0EEENS1_30default_config_static_selectorELNS0_4arch9wavefront6targetE1EEEvSK_.has_recursion, 0
	.set _ZN7rocprim17ROCPRIM_400000_NS6detail17trampoline_kernelINS0_14default_configENS1_22reduce_config_selectorIsEEZNS1_11reduce_implILb1ES3_N6thrust23THRUST_200600_302600_NS6detail15normal_iteratorINS8_10device_ptrIsEEEEPffNS8_4plusIfEEEE10hipError_tPvRmT1_T2_T3_mT4_P12ihipStream_tbEUlT_E0_NS1_11comp_targetILNS1_3genE4ELNS1_11target_archE910ELNS1_3gpuE8ELNS1_3repE0EEENS1_30default_config_static_selectorELNS0_4arch9wavefront6targetE1EEEvSK_.has_indirect_call, 0
	.section	.AMDGPU.csdata,"",@progbits
; Kernel info:
; codeLenInByte = 0
; TotalNumSgprs: 6
; NumVgprs: 0
; NumAgprs: 0
; TotalNumVgprs: 0
; ScratchSize: 0
; MemoryBound: 0
; FloatMode: 240
; IeeeMode: 1
; LDSByteSize: 0 bytes/workgroup (compile time only)
; SGPRBlocks: 0
; VGPRBlocks: 0
; NumSGPRsForWavesPerEU: 6
; NumVGPRsForWavesPerEU: 1
; AccumOffset: 4
; Occupancy: 8
; WaveLimiterHint : 0
; COMPUTE_PGM_RSRC2:SCRATCH_EN: 0
; COMPUTE_PGM_RSRC2:USER_SGPR: 2
; COMPUTE_PGM_RSRC2:TRAP_HANDLER: 0
; COMPUTE_PGM_RSRC2:TGID_X_EN: 1
; COMPUTE_PGM_RSRC2:TGID_Y_EN: 0
; COMPUTE_PGM_RSRC2:TGID_Z_EN: 0
; COMPUTE_PGM_RSRC2:TIDIG_COMP_CNT: 0
; COMPUTE_PGM_RSRC3_GFX90A:ACCUM_OFFSET: 0
; COMPUTE_PGM_RSRC3_GFX90A:TG_SPLIT: 0
	.section	.text._ZN7rocprim17ROCPRIM_400000_NS6detail17trampoline_kernelINS0_14default_configENS1_22reduce_config_selectorIsEEZNS1_11reduce_implILb1ES3_N6thrust23THRUST_200600_302600_NS6detail15normal_iteratorINS8_10device_ptrIsEEEEPffNS8_4plusIfEEEE10hipError_tPvRmT1_T2_T3_mT4_P12ihipStream_tbEUlT_E0_NS1_11comp_targetILNS1_3genE3ELNS1_11target_archE908ELNS1_3gpuE7ELNS1_3repE0EEENS1_30default_config_static_selectorELNS0_4arch9wavefront6targetE1EEEvSK_,"axG",@progbits,_ZN7rocprim17ROCPRIM_400000_NS6detail17trampoline_kernelINS0_14default_configENS1_22reduce_config_selectorIsEEZNS1_11reduce_implILb1ES3_N6thrust23THRUST_200600_302600_NS6detail15normal_iteratorINS8_10device_ptrIsEEEEPffNS8_4plusIfEEEE10hipError_tPvRmT1_T2_T3_mT4_P12ihipStream_tbEUlT_E0_NS1_11comp_targetILNS1_3genE3ELNS1_11target_archE908ELNS1_3gpuE7ELNS1_3repE0EEENS1_30default_config_static_selectorELNS0_4arch9wavefront6targetE1EEEvSK_,comdat
	.protected	_ZN7rocprim17ROCPRIM_400000_NS6detail17trampoline_kernelINS0_14default_configENS1_22reduce_config_selectorIsEEZNS1_11reduce_implILb1ES3_N6thrust23THRUST_200600_302600_NS6detail15normal_iteratorINS8_10device_ptrIsEEEEPffNS8_4plusIfEEEE10hipError_tPvRmT1_T2_T3_mT4_P12ihipStream_tbEUlT_E0_NS1_11comp_targetILNS1_3genE3ELNS1_11target_archE908ELNS1_3gpuE7ELNS1_3repE0EEENS1_30default_config_static_selectorELNS0_4arch9wavefront6targetE1EEEvSK_ ; -- Begin function _ZN7rocprim17ROCPRIM_400000_NS6detail17trampoline_kernelINS0_14default_configENS1_22reduce_config_selectorIsEEZNS1_11reduce_implILb1ES3_N6thrust23THRUST_200600_302600_NS6detail15normal_iteratorINS8_10device_ptrIsEEEEPffNS8_4plusIfEEEE10hipError_tPvRmT1_T2_T3_mT4_P12ihipStream_tbEUlT_E0_NS1_11comp_targetILNS1_3genE3ELNS1_11target_archE908ELNS1_3gpuE7ELNS1_3repE0EEENS1_30default_config_static_selectorELNS0_4arch9wavefront6targetE1EEEvSK_
	.globl	_ZN7rocprim17ROCPRIM_400000_NS6detail17trampoline_kernelINS0_14default_configENS1_22reduce_config_selectorIsEEZNS1_11reduce_implILb1ES3_N6thrust23THRUST_200600_302600_NS6detail15normal_iteratorINS8_10device_ptrIsEEEEPffNS8_4plusIfEEEE10hipError_tPvRmT1_T2_T3_mT4_P12ihipStream_tbEUlT_E0_NS1_11comp_targetILNS1_3genE3ELNS1_11target_archE908ELNS1_3gpuE7ELNS1_3repE0EEENS1_30default_config_static_selectorELNS0_4arch9wavefront6targetE1EEEvSK_
	.p2align	8
	.type	_ZN7rocprim17ROCPRIM_400000_NS6detail17trampoline_kernelINS0_14default_configENS1_22reduce_config_selectorIsEEZNS1_11reduce_implILb1ES3_N6thrust23THRUST_200600_302600_NS6detail15normal_iteratorINS8_10device_ptrIsEEEEPffNS8_4plusIfEEEE10hipError_tPvRmT1_T2_T3_mT4_P12ihipStream_tbEUlT_E0_NS1_11comp_targetILNS1_3genE3ELNS1_11target_archE908ELNS1_3gpuE7ELNS1_3repE0EEENS1_30default_config_static_selectorELNS0_4arch9wavefront6targetE1EEEvSK_,@function
_ZN7rocprim17ROCPRIM_400000_NS6detail17trampoline_kernelINS0_14default_configENS1_22reduce_config_selectorIsEEZNS1_11reduce_implILb1ES3_N6thrust23THRUST_200600_302600_NS6detail15normal_iteratorINS8_10device_ptrIsEEEEPffNS8_4plusIfEEEE10hipError_tPvRmT1_T2_T3_mT4_P12ihipStream_tbEUlT_E0_NS1_11comp_targetILNS1_3genE3ELNS1_11target_archE908ELNS1_3gpuE7ELNS1_3repE0EEENS1_30default_config_static_selectorELNS0_4arch9wavefront6targetE1EEEvSK_: ; @_ZN7rocprim17ROCPRIM_400000_NS6detail17trampoline_kernelINS0_14default_configENS1_22reduce_config_selectorIsEEZNS1_11reduce_implILb1ES3_N6thrust23THRUST_200600_302600_NS6detail15normal_iteratorINS8_10device_ptrIsEEEEPffNS8_4plusIfEEEE10hipError_tPvRmT1_T2_T3_mT4_P12ihipStream_tbEUlT_E0_NS1_11comp_targetILNS1_3genE3ELNS1_11target_archE908ELNS1_3gpuE7ELNS1_3repE0EEENS1_30default_config_static_selectorELNS0_4arch9wavefront6targetE1EEEvSK_
; %bb.0:
	.section	.rodata,"a",@progbits
	.p2align	6, 0x0
	.amdhsa_kernel _ZN7rocprim17ROCPRIM_400000_NS6detail17trampoline_kernelINS0_14default_configENS1_22reduce_config_selectorIsEEZNS1_11reduce_implILb1ES3_N6thrust23THRUST_200600_302600_NS6detail15normal_iteratorINS8_10device_ptrIsEEEEPffNS8_4plusIfEEEE10hipError_tPvRmT1_T2_T3_mT4_P12ihipStream_tbEUlT_E0_NS1_11comp_targetILNS1_3genE3ELNS1_11target_archE908ELNS1_3gpuE7ELNS1_3repE0EEENS1_30default_config_static_selectorELNS0_4arch9wavefront6targetE1EEEvSK_
		.amdhsa_group_segment_fixed_size 0
		.amdhsa_private_segment_fixed_size 0
		.amdhsa_kernarg_size 56
		.amdhsa_user_sgpr_count 2
		.amdhsa_user_sgpr_dispatch_ptr 0
		.amdhsa_user_sgpr_queue_ptr 0
		.amdhsa_user_sgpr_kernarg_segment_ptr 1
		.amdhsa_user_sgpr_dispatch_id 0
		.amdhsa_user_sgpr_kernarg_preload_length 0
		.amdhsa_user_sgpr_kernarg_preload_offset 0
		.amdhsa_user_sgpr_private_segment_size 0
		.amdhsa_uses_dynamic_stack 0
		.amdhsa_enable_private_segment 0
		.amdhsa_system_sgpr_workgroup_id_x 1
		.amdhsa_system_sgpr_workgroup_id_y 0
		.amdhsa_system_sgpr_workgroup_id_z 0
		.amdhsa_system_sgpr_workgroup_info 0
		.amdhsa_system_vgpr_workitem_id 0
		.amdhsa_next_free_vgpr 1
		.amdhsa_next_free_sgpr 0
		.amdhsa_accum_offset 4
		.amdhsa_reserve_vcc 0
		.amdhsa_float_round_mode_32 0
		.amdhsa_float_round_mode_16_64 0
		.amdhsa_float_denorm_mode_32 3
		.amdhsa_float_denorm_mode_16_64 3
		.amdhsa_dx10_clamp 1
		.amdhsa_ieee_mode 1
		.amdhsa_fp16_overflow 0
		.amdhsa_tg_split 0
		.amdhsa_exception_fp_ieee_invalid_op 0
		.amdhsa_exception_fp_denorm_src 0
		.amdhsa_exception_fp_ieee_div_zero 0
		.amdhsa_exception_fp_ieee_overflow 0
		.amdhsa_exception_fp_ieee_underflow 0
		.amdhsa_exception_fp_ieee_inexact 0
		.amdhsa_exception_int_div_zero 0
	.end_amdhsa_kernel
	.section	.text._ZN7rocprim17ROCPRIM_400000_NS6detail17trampoline_kernelINS0_14default_configENS1_22reduce_config_selectorIsEEZNS1_11reduce_implILb1ES3_N6thrust23THRUST_200600_302600_NS6detail15normal_iteratorINS8_10device_ptrIsEEEEPffNS8_4plusIfEEEE10hipError_tPvRmT1_T2_T3_mT4_P12ihipStream_tbEUlT_E0_NS1_11comp_targetILNS1_3genE3ELNS1_11target_archE908ELNS1_3gpuE7ELNS1_3repE0EEENS1_30default_config_static_selectorELNS0_4arch9wavefront6targetE1EEEvSK_,"axG",@progbits,_ZN7rocprim17ROCPRIM_400000_NS6detail17trampoline_kernelINS0_14default_configENS1_22reduce_config_selectorIsEEZNS1_11reduce_implILb1ES3_N6thrust23THRUST_200600_302600_NS6detail15normal_iteratorINS8_10device_ptrIsEEEEPffNS8_4plusIfEEEE10hipError_tPvRmT1_T2_T3_mT4_P12ihipStream_tbEUlT_E0_NS1_11comp_targetILNS1_3genE3ELNS1_11target_archE908ELNS1_3gpuE7ELNS1_3repE0EEENS1_30default_config_static_selectorELNS0_4arch9wavefront6targetE1EEEvSK_,comdat
.Lfunc_end534:
	.size	_ZN7rocprim17ROCPRIM_400000_NS6detail17trampoline_kernelINS0_14default_configENS1_22reduce_config_selectorIsEEZNS1_11reduce_implILb1ES3_N6thrust23THRUST_200600_302600_NS6detail15normal_iteratorINS8_10device_ptrIsEEEEPffNS8_4plusIfEEEE10hipError_tPvRmT1_T2_T3_mT4_P12ihipStream_tbEUlT_E0_NS1_11comp_targetILNS1_3genE3ELNS1_11target_archE908ELNS1_3gpuE7ELNS1_3repE0EEENS1_30default_config_static_selectorELNS0_4arch9wavefront6targetE1EEEvSK_, .Lfunc_end534-_ZN7rocprim17ROCPRIM_400000_NS6detail17trampoline_kernelINS0_14default_configENS1_22reduce_config_selectorIsEEZNS1_11reduce_implILb1ES3_N6thrust23THRUST_200600_302600_NS6detail15normal_iteratorINS8_10device_ptrIsEEEEPffNS8_4plusIfEEEE10hipError_tPvRmT1_T2_T3_mT4_P12ihipStream_tbEUlT_E0_NS1_11comp_targetILNS1_3genE3ELNS1_11target_archE908ELNS1_3gpuE7ELNS1_3repE0EEENS1_30default_config_static_selectorELNS0_4arch9wavefront6targetE1EEEvSK_
                                        ; -- End function
	.set _ZN7rocprim17ROCPRIM_400000_NS6detail17trampoline_kernelINS0_14default_configENS1_22reduce_config_selectorIsEEZNS1_11reduce_implILb1ES3_N6thrust23THRUST_200600_302600_NS6detail15normal_iteratorINS8_10device_ptrIsEEEEPffNS8_4plusIfEEEE10hipError_tPvRmT1_T2_T3_mT4_P12ihipStream_tbEUlT_E0_NS1_11comp_targetILNS1_3genE3ELNS1_11target_archE908ELNS1_3gpuE7ELNS1_3repE0EEENS1_30default_config_static_selectorELNS0_4arch9wavefront6targetE1EEEvSK_.num_vgpr, 0
	.set _ZN7rocprim17ROCPRIM_400000_NS6detail17trampoline_kernelINS0_14default_configENS1_22reduce_config_selectorIsEEZNS1_11reduce_implILb1ES3_N6thrust23THRUST_200600_302600_NS6detail15normal_iteratorINS8_10device_ptrIsEEEEPffNS8_4plusIfEEEE10hipError_tPvRmT1_T2_T3_mT4_P12ihipStream_tbEUlT_E0_NS1_11comp_targetILNS1_3genE3ELNS1_11target_archE908ELNS1_3gpuE7ELNS1_3repE0EEENS1_30default_config_static_selectorELNS0_4arch9wavefront6targetE1EEEvSK_.num_agpr, 0
	.set _ZN7rocprim17ROCPRIM_400000_NS6detail17trampoline_kernelINS0_14default_configENS1_22reduce_config_selectorIsEEZNS1_11reduce_implILb1ES3_N6thrust23THRUST_200600_302600_NS6detail15normal_iteratorINS8_10device_ptrIsEEEEPffNS8_4plusIfEEEE10hipError_tPvRmT1_T2_T3_mT4_P12ihipStream_tbEUlT_E0_NS1_11comp_targetILNS1_3genE3ELNS1_11target_archE908ELNS1_3gpuE7ELNS1_3repE0EEENS1_30default_config_static_selectorELNS0_4arch9wavefront6targetE1EEEvSK_.numbered_sgpr, 0
	.set _ZN7rocprim17ROCPRIM_400000_NS6detail17trampoline_kernelINS0_14default_configENS1_22reduce_config_selectorIsEEZNS1_11reduce_implILb1ES3_N6thrust23THRUST_200600_302600_NS6detail15normal_iteratorINS8_10device_ptrIsEEEEPffNS8_4plusIfEEEE10hipError_tPvRmT1_T2_T3_mT4_P12ihipStream_tbEUlT_E0_NS1_11comp_targetILNS1_3genE3ELNS1_11target_archE908ELNS1_3gpuE7ELNS1_3repE0EEENS1_30default_config_static_selectorELNS0_4arch9wavefront6targetE1EEEvSK_.num_named_barrier, 0
	.set _ZN7rocprim17ROCPRIM_400000_NS6detail17trampoline_kernelINS0_14default_configENS1_22reduce_config_selectorIsEEZNS1_11reduce_implILb1ES3_N6thrust23THRUST_200600_302600_NS6detail15normal_iteratorINS8_10device_ptrIsEEEEPffNS8_4plusIfEEEE10hipError_tPvRmT1_T2_T3_mT4_P12ihipStream_tbEUlT_E0_NS1_11comp_targetILNS1_3genE3ELNS1_11target_archE908ELNS1_3gpuE7ELNS1_3repE0EEENS1_30default_config_static_selectorELNS0_4arch9wavefront6targetE1EEEvSK_.private_seg_size, 0
	.set _ZN7rocprim17ROCPRIM_400000_NS6detail17trampoline_kernelINS0_14default_configENS1_22reduce_config_selectorIsEEZNS1_11reduce_implILb1ES3_N6thrust23THRUST_200600_302600_NS6detail15normal_iteratorINS8_10device_ptrIsEEEEPffNS8_4plusIfEEEE10hipError_tPvRmT1_T2_T3_mT4_P12ihipStream_tbEUlT_E0_NS1_11comp_targetILNS1_3genE3ELNS1_11target_archE908ELNS1_3gpuE7ELNS1_3repE0EEENS1_30default_config_static_selectorELNS0_4arch9wavefront6targetE1EEEvSK_.uses_vcc, 0
	.set _ZN7rocprim17ROCPRIM_400000_NS6detail17trampoline_kernelINS0_14default_configENS1_22reduce_config_selectorIsEEZNS1_11reduce_implILb1ES3_N6thrust23THRUST_200600_302600_NS6detail15normal_iteratorINS8_10device_ptrIsEEEEPffNS8_4plusIfEEEE10hipError_tPvRmT1_T2_T3_mT4_P12ihipStream_tbEUlT_E0_NS1_11comp_targetILNS1_3genE3ELNS1_11target_archE908ELNS1_3gpuE7ELNS1_3repE0EEENS1_30default_config_static_selectorELNS0_4arch9wavefront6targetE1EEEvSK_.uses_flat_scratch, 0
	.set _ZN7rocprim17ROCPRIM_400000_NS6detail17trampoline_kernelINS0_14default_configENS1_22reduce_config_selectorIsEEZNS1_11reduce_implILb1ES3_N6thrust23THRUST_200600_302600_NS6detail15normal_iteratorINS8_10device_ptrIsEEEEPffNS8_4plusIfEEEE10hipError_tPvRmT1_T2_T3_mT4_P12ihipStream_tbEUlT_E0_NS1_11comp_targetILNS1_3genE3ELNS1_11target_archE908ELNS1_3gpuE7ELNS1_3repE0EEENS1_30default_config_static_selectorELNS0_4arch9wavefront6targetE1EEEvSK_.has_dyn_sized_stack, 0
	.set _ZN7rocprim17ROCPRIM_400000_NS6detail17trampoline_kernelINS0_14default_configENS1_22reduce_config_selectorIsEEZNS1_11reduce_implILb1ES3_N6thrust23THRUST_200600_302600_NS6detail15normal_iteratorINS8_10device_ptrIsEEEEPffNS8_4plusIfEEEE10hipError_tPvRmT1_T2_T3_mT4_P12ihipStream_tbEUlT_E0_NS1_11comp_targetILNS1_3genE3ELNS1_11target_archE908ELNS1_3gpuE7ELNS1_3repE0EEENS1_30default_config_static_selectorELNS0_4arch9wavefront6targetE1EEEvSK_.has_recursion, 0
	.set _ZN7rocprim17ROCPRIM_400000_NS6detail17trampoline_kernelINS0_14default_configENS1_22reduce_config_selectorIsEEZNS1_11reduce_implILb1ES3_N6thrust23THRUST_200600_302600_NS6detail15normal_iteratorINS8_10device_ptrIsEEEEPffNS8_4plusIfEEEE10hipError_tPvRmT1_T2_T3_mT4_P12ihipStream_tbEUlT_E0_NS1_11comp_targetILNS1_3genE3ELNS1_11target_archE908ELNS1_3gpuE7ELNS1_3repE0EEENS1_30default_config_static_selectorELNS0_4arch9wavefront6targetE1EEEvSK_.has_indirect_call, 0
	.section	.AMDGPU.csdata,"",@progbits
; Kernel info:
; codeLenInByte = 0
; TotalNumSgprs: 6
; NumVgprs: 0
; NumAgprs: 0
; TotalNumVgprs: 0
; ScratchSize: 0
; MemoryBound: 0
; FloatMode: 240
; IeeeMode: 1
; LDSByteSize: 0 bytes/workgroup (compile time only)
; SGPRBlocks: 0
; VGPRBlocks: 0
; NumSGPRsForWavesPerEU: 6
; NumVGPRsForWavesPerEU: 1
; AccumOffset: 4
; Occupancy: 8
; WaveLimiterHint : 0
; COMPUTE_PGM_RSRC2:SCRATCH_EN: 0
; COMPUTE_PGM_RSRC2:USER_SGPR: 2
; COMPUTE_PGM_RSRC2:TRAP_HANDLER: 0
; COMPUTE_PGM_RSRC2:TGID_X_EN: 1
; COMPUTE_PGM_RSRC2:TGID_Y_EN: 0
; COMPUTE_PGM_RSRC2:TGID_Z_EN: 0
; COMPUTE_PGM_RSRC2:TIDIG_COMP_CNT: 0
; COMPUTE_PGM_RSRC3_GFX90A:ACCUM_OFFSET: 0
; COMPUTE_PGM_RSRC3_GFX90A:TG_SPLIT: 0
	.section	.text._ZN7rocprim17ROCPRIM_400000_NS6detail17trampoline_kernelINS0_14default_configENS1_22reduce_config_selectorIsEEZNS1_11reduce_implILb1ES3_N6thrust23THRUST_200600_302600_NS6detail15normal_iteratorINS8_10device_ptrIsEEEEPffNS8_4plusIfEEEE10hipError_tPvRmT1_T2_T3_mT4_P12ihipStream_tbEUlT_E0_NS1_11comp_targetILNS1_3genE2ELNS1_11target_archE906ELNS1_3gpuE6ELNS1_3repE0EEENS1_30default_config_static_selectorELNS0_4arch9wavefront6targetE1EEEvSK_,"axG",@progbits,_ZN7rocprim17ROCPRIM_400000_NS6detail17trampoline_kernelINS0_14default_configENS1_22reduce_config_selectorIsEEZNS1_11reduce_implILb1ES3_N6thrust23THRUST_200600_302600_NS6detail15normal_iteratorINS8_10device_ptrIsEEEEPffNS8_4plusIfEEEE10hipError_tPvRmT1_T2_T3_mT4_P12ihipStream_tbEUlT_E0_NS1_11comp_targetILNS1_3genE2ELNS1_11target_archE906ELNS1_3gpuE6ELNS1_3repE0EEENS1_30default_config_static_selectorELNS0_4arch9wavefront6targetE1EEEvSK_,comdat
	.protected	_ZN7rocprim17ROCPRIM_400000_NS6detail17trampoline_kernelINS0_14default_configENS1_22reduce_config_selectorIsEEZNS1_11reduce_implILb1ES3_N6thrust23THRUST_200600_302600_NS6detail15normal_iteratorINS8_10device_ptrIsEEEEPffNS8_4plusIfEEEE10hipError_tPvRmT1_T2_T3_mT4_P12ihipStream_tbEUlT_E0_NS1_11comp_targetILNS1_3genE2ELNS1_11target_archE906ELNS1_3gpuE6ELNS1_3repE0EEENS1_30default_config_static_selectorELNS0_4arch9wavefront6targetE1EEEvSK_ ; -- Begin function _ZN7rocprim17ROCPRIM_400000_NS6detail17trampoline_kernelINS0_14default_configENS1_22reduce_config_selectorIsEEZNS1_11reduce_implILb1ES3_N6thrust23THRUST_200600_302600_NS6detail15normal_iteratorINS8_10device_ptrIsEEEEPffNS8_4plusIfEEEE10hipError_tPvRmT1_T2_T3_mT4_P12ihipStream_tbEUlT_E0_NS1_11comp_targetILNS1_3genE2ELNS1_11target_archE906ELNS1_3gpuE6ELNS1_3repE0EEENS1_30default_config_static_selectorELNS0_4arch9wavefront6targetE1EEEvSK_
	.globl	_ZN7rocprim17ROCPRIM_400000_NS6detail17trampoline_kernelINS0_14default_configENS1_22reduce_config_selectorIsEEZNS1_11reduce_implILb1ES3_N6thrust23THRUST_200600_302600_NS6detail15normal_iteratorINS8_10device_ptrIsEEEEPffNS8_4plusIfEEEE10hipError_tPvRmT1_T2_T3_mT4_P12ihipStream_tbEUlT_E0_NS1_11comp_targetILNS1_3genE2ELNS1_11target_archE906ELNS1_3gpuE6ELNS1_3repE0EEENS1_30default_config_static_selectorELNS0_4arch9wavefront6targetE1EEEvSK_
	.p2align	8
	.type	_ZN7rocprim17ROCPRIM_400000_NS6detail17trampoline_kernelINS0_14default_configENS1_22reduce_config_selectorIsEEZNS1_11reduce_implILb1ES3_N6thrust23THRUST_200600_302600_NS6detail15normal_iteratorINS8_10device_ptrIsEEEEPffNS8_4plusIfEEEE10hipError_tPvRmT1_T2_T3_mT4_P12ihipStream_tbEUlT_E0_NS1_11comp_targetILNS1_3genE2ELNS1_11target_archE906ELNS1_3gpuE6ELNS1_3repE0EEENS1_30default_config_static_selectorELNS0_4arch9wavefront6targetE1EEEvSK_,@function
_ZN7rocprim17ROCPRIM_400000_NS6detail17trampoline_kernelINS0_14default_configENS1_22reduce_config_selectorIsEEZNS1_11reduce_implILb1ES3_N6thrust23THRUST_200600_302600_NS6detail15normal_iteratorINS8_10device_ptrIsEEEEPffNS8_4plusIfEEEE10hipError_tPvRmT1_T2_T3_mT4_P12ihipStream_tbEUlT_E0_NS1_11comp_targetILNS1_3genE2ELNS1_11target_archE906ELNS1_3gpuE6ELNS1_3repE0EEENS1_30default_config_static_selectorELNS0_4arch9wavefront6targetE1EEEvSK_: ; @_ZN7rocprim17ROCPRIM_400000_NS6detail17trampoline_kernelINS0_14default_configENS1_22reduce_config_selectorIsEEZNS1_11reduce_implILb1ES3_N6thrust23THRUST_200600_302600_NS6detail15normal_iteratorINS8_10device_ptrIsEEEEPffNS8_4plusIfEEEE10hipError_tPvRmT1_T2_T3_mT4_P12ihipStream_tbEUlT_E0_NS1_11comp_targetILNS1_3genE2ELNS1_11target_archE906ELNS1_3gpuE6ELNS1_3repE0EEENS1_30default_config_static_selectorELNS0_4arch9wavefront6targetE1EEEvSK_
; %bb.0:
	.section	.rodata,"a",@progbits
	.p2align	6, 0x0
	.amdhsa_kernel _ZN7rocprim17ROCPRIM_400000_NS6detail17trampoline_kernelINS0_14default_configENS1_22reduce_config_selectorIsEEZNS1_11reduce_implILb1ES3_N6thrust23THRUST_200600_302600_NS6detail15normal_iteratorINS8_10device_ptrIsEEEEPffNS8_4plusIfEEEE10hipError_tPvRmT1_T2_T3_mT4_P12ihipStream_tbEUlT_E0_NS1_11comp_targetILNS1_3genE2ELNS1_11target_archE906ELNS1_3gpuE6ELNS1_3repE0EEENS1_30default_config_static_selectorELNS0_4arch9wavefront6targetE1EEEvSK_
		.amdhsa_group_segment_fixed_size 0
		.amdhsa_private_segment_fixed_size 0
		.amdhsa_kernarg_size 56
		.amdhsa_user_sgpr_count 2
		.amdhsa_user_sgpr_dispatch_ptr 0
		.amdhsa_user_sgpr_queue_ptr 0
		.amdhsa_user_sgpr_kernarg_segment_ptr 1
		.amdhsa_user_sgpr_dispatch_id 0
		.amdhsa_user_sgpr_kernarg_preload_length 0
		.amdhsa_user_sgpr_kernarg_preload_offset 0
		.amdhsa_user_sgpr_private_segment_size 0
		.amdhsa_uses_dynamic_stack 0
		.amdhsa_enable_private_segment 0
		.amdhsa_system_sgpr_workgroup_id_x 1
		.amdhsa_system_sgpr_workgroup_id_y 0
		.amdhsa_system_sgpr_workgroup_id_z 0
		.amdhsa_system_sgpr_workgroup_info 0
		.amdhsa_system_vgpr_workitem_id 0
		.amdhsa_next_free_vgpr 1
		.amdhsa_next_free_sgpr 0
		.amdhsa_accum_offset 4
		.amdhsa_reserve_vcc 0
		.amdhsa_float_round_mode_32 0
		.amdhsa_float_round_mode_16_64 0
		.amdhsa_float_denorm_mode_32 3
		.amdhsa_float_denorm_mode_16_64 3
		.amdhsa_dx10_clamp 1
		.amdhsa_ieee_mode 1
		.amdhsa_fp16_overflow 0
		.amdhsa_tg_split 0
		.amdhsa_exception_fp_ieee_invalid_op 0
		.amdhsa_exception_fp_denorm_src 0
		.amdhsa_exception_fp_ieee_div_zero 0
		.amdhsa_exception_fp_ieee_overflow 0
		.amdhsa_exception_fp_ieee_underflow 0
		.amdhsa_exception_fp_ieee_inexact 0
		.amdhsa_exception_int_div_zero 0
	.end_amdhsa_kernel
	.section	.text._ZN7rocprim17ROCPRIM_400000_NS6detail17trampoline_kernelINS0_14default_configENS1_22reduce_config_selectorIsEEZNS1_11reduce_implILb1ES3_N6thrust23THRUST_200600_302600_NS6detail15normal_iteratorINS8_10device_ptrIsEEEEPffNS8_4plusIfEEEE10hipError_tPvRmT1_T2_T3_mT4_P12ihipStream_tbEUlT_E0_NS1_11comp_targetILNS1_3genE2ELNS1_11target_archE906ELNS1_3gpuE6ELNS1_3repE0EEENS1_30default_config_static_selectorELNS0_4arch9wavefront6targetE1EEEvSK_,"axG",@progbits,_ZN7rocprim17ROCPRIM_400000_NS6detail17trampoline_kernelINS0_14default_configENS1_22reduce_config_selectorIsEEZNS1_11reduce_implILb1ES3_N6thrust23THRUST_200600_302600_NS6detail15normal_iteratorINS8_10device_ptrIsEEEEPffNS8_4plusIfEEEE10hipError_tPvRmT1_T2_T3_mT4_P12ihipStream_tbEUlT_E0_NS1_11comp_targetILNS1_3genE2ELNS1_11target_archE906ELNS1_3gpuE6ELNS1_3repE0EEENS1_30default_config_static_selectorELNS0_4arch9wavefront6targetE1EEEvSK_,comdat
.Lfunc_end535:
	.size	_ZN7rocprim17ROCPRIM_400000_NS6detail17trampoline_kernelINS0_14default_configENS1_22reduce_config_selectorIsEEZNS1_11reduce_implILb1ES3_N6thrust23THRUST_200600_302600_NS6detail15normal_iteratorINS8_10device_ptrIsEEEEPffNS8_4plusIfEEEE10hipError_tPvRmT1_T2_T3_mT4_P12ihipStream_tbEUlT_E0_NS1_11comp_targetILNS1_3genE2ELNS1_11target_archE906ELNS1_3gpuE6ELNS1_3repE0EEENS1_30default_config_static_selectorELNS0_4arch9wavefront6targetE1EEEvSK_, .Lfunc_end535-_ZN7rocprim17ROCPRIM_400000_NS6detail17trampoline_kernelINS0_14default_configENS1_22reduce_config_selectorIsEEZNS1_11reduce_implILb1ES3_N6thrust23THRUST_200600_302600_NS6detail15normal_iteratorINS8_10device_ptrIsEEEEPffNS8_4plusIfEEEE10hipError_tPvRmT1_T2_T3_mT4_P12ihipStream_tbEUlT_E0_NS1_11comp_targetILNS1_3genE2ELNS1_11target_archE906ELNS1_3gpuE6ELNS1_3repE0EEENS1_30default_config_static_selectorELNS0_4arch9wavefront6targetE1EEEvSK_
                                        ; -- End function
	.set _ZN7rocprim17ROCPRIM_400000_NS6detail17trampoline_kernelINS0_14default_configENS1_22reduce_config_selectorIsEEZNS1_11reduce_implILb1ES3_N6thrust23THRUST_200600_302600_NS6detail15normal_iteratorINS8_10device_ptrIsEEEEPffNS8_4plusIfEEEE10hipError_tPvRmT1_T2_T3_mT4_P12ihipStream_tbEUlT_E0_NS1_11comp_targetILNS1_3genE2ELNS1_11target_archE906ELNS1_3gpuE6ELNS1_3repE0EEENS1_30default_config_static_selectorELNS0_4arch9wavefront6targetE1EEEvSK_.num_vgpr, 0
	.set _ZN7rocprim17ROCPRIM_400000_NS6detail17trampoline_kernelINS0_14default_configENS1_22reduce_config_selectorIsEEZNS1_11reduce_implILb1ES3_N6thrust23THRUST_200600_302600_NS6detail15normal_iteratorINS8_10device_ptrIsEEEEPffNS8_4plusIfEEEE10hipError_tPvRmT1_T2_T3_mT4_P12ihipStream_tbEUlT_E0_NS1_11comp_targetILNS1_3genE2ELNS1_11target_archE906ELNS1_3gpuE6ELNS1_3repE0EEENS1_30default_config_static_selectorELNS0_4arch9wavefront6targetE1EEEvSK_.num_agpr, 0
	.set _ZN7rocprim17ROCPRIM_400000_NS6detail17trampoline_kernelINS0_14default_configENS1_22reduce_config_selectorIsEEZNS1_11reduce_implILb1ES3_N6thrust23THRUST_200600_302600_NS6detail15normal_iteratorINS8_10device_ptrIsEEEEPffNS8_4plusIfEEEE10hipError_tPvRmT1_T2_T3_mT4_P12ihipStream_tbEUlT_E0_NS1_11comp_targetILNS1_3genE2ELNS1_11target_archE906ELNS1_3gpuE6ELNS1_3repE0EEENS1_30default_config_static_selectorELNS0_4arch9wavefront6targetE1EEEvSK_.numbered_sgpr, 0
	.set _ZN7rocprim17ROCPRIM_400000_NS6detail17trampoline_kernelINS0_14default_configENS1_22reduce_config_selectorIsEEZNS1_11reduce_implILb1ES3_N6thrust23THRUST_200600_302600_NS6detail15normal_iteratorINS8_10device_ptrIsEEEEPffNS8_4plusIfEEEE10hipError_tPvRmT1_T2_T3_mT4_P12ihipStream_tbEUlT_E0_NS1_11comp_targetILNS1_3genE2ELNS1_11target_archE906ELNS1_3gpuE6ELNS1_3repE0EEENS1_30default_config_static_selectorELNS0_4arch9wavefront6targetE1EEEvSK_.num_named_barrier, 0
	.set _ZN7rocprim17ROCPRIM_400000_NS6detail17trampoline_kernelINS0_14default_configENS1_22reduce_config_selectorIsEEZNS1_11reduce_implILb1ES3_N6thrust23THRUST_200600_302600_NS6detail15normal_iteratorINS8_10device_ptrIsEEEEPffNS8_4plusIfEEEE10hipError_tPvRmT1_T2_T3_mT4_P12ihipStream_tbEUlT_E0_NS1_11comp_targetILNS1_3genE2ELNS1_11target_archE906ELNS1_3gpuE6ELNS1_3repE0EEENS1_30default_config_static_selectorELNS0_4arch9wavefront6targetE1EEEvSK_.private_seg_size, 0
	.set _ZN7rocprim17ROCPRIM_400000_NS6detail17trampoline_kernelINS0_14default_configENS1_22reduce_config_selectorIsEEZNS1_11reduce_implILb1ES3_N6thrust23THRUST_200600_302600_NS6detail15normal_iteratorINS8_10device_ptrIsEEEEPffNS8_4plusIfEEEE10hipError_tPvRmT1_T2_T3_mT4_P12ihipStream_tbEUlT_E0_NS1_11comp_targetILNS1_3genE2ELNS1_11target_archE906ELNS1_3gpuE6ELNS1_3repE0EEENS1_30default_config_static_selectorELNS0_4arch9wavefront6targetE1EEEvSK_.uses_vcc, 0
	.set _ZN7rocprim17ROCPRIM_400000_NS6detail17trampoline_kernelINS0_14default_configENS1_22reduce_config_selectorIsEEZNS1_11reduce_implILb1ES3_N6thrust23THRUST_200600_302600_NS6detail15normal_iteratorINS8_10device_ptrIsEEEEPffNS8_4plusIfEEEE10hipError_tPvRmT1_T2_T3_mT4_P12ihipStream_tbEUlT_E0_NS1_11comp_targetILNS1_3genE2ELNS1_11target_archE906ELNS1_3gpuE6ELNS1_3repE0EEENS1_30default_config_static_selectorELNS0_4arch9wavefront6targetE1EEEvSK_.uses_flat_scratch, 0
	.set _ZN7rocprim17ROCPRIM_400000_NS6detail17trampoline_kernelINS0_14default_configENS1_22reduce_config_selectorIsEEZNS1_11reduce_implILb1ES3_N6thrust23THRUST_200600_302600_NS6detail15normal_iteratorINS8_10device_ptrIsEEEEPffNS8_4plusIfEEEE10hipError_tPvRmT1_T2_T3_mT4_P12ihipStream_tbEUlT_E0_NS1_11comp_targetILNS1_3genE2ELNS1_11target_archE906ELNS1_3gpuE6ELNS1_3repE0EEENS1_30default_config_static_selectorELNS0_4arch9wavefront6targetE1EEEvSK_.has_dyn_sized_stack, 0
	.set _ZN7rocprim17ROCPRIM_400000_NS6detail17trampoline_kernelINS0_14default_configENS1_22reduce_config_selectorIsEEZNS1_11reduce_implILb1ES3_N6thrust23THRUST_200600_302600_NS6detail15normal_iteratorINS8_10device_ptrIsEEEEPffNS8_4plusIfEEEE10hipError_tPvRmT1_T2_T3_mT4_P12ihipStream_tbEUlT_E0_NS1_11comp_targetILNS1_3genE2ELNS1_11target_archE906ELNS1_3gpuE6ELNS1_3repE0EEENS1_30default_config_static_selectorELNS0_4arch9wavefront6targetE1EEEvSK_.has_recursion, 0
	.set _ZN7rocprim17ROCPRIM_400000_NS6detail17trampoline_kernelINS0_14default_configENS1_22reduce_config_selectorIsEEZNS1_11reduce_implILb1ES3_N6thrust23THRUST_200600_302600_NS6detail15normal_iteratorINS8_10device_ptrIsEEEEPffNS8_4plusIfEEEE10hipError_tPvRmT1_T2_T3_mT4_P12ihipStream_tbEUlT_E0_NS1_11comp_targetILNS1_3genE2ELNS1_11target_archE906ELNS1_3gpuE6ELNS1_3repE0EEENS1_30default_config_static_selectorELNS0_4arch9wavefront6targetE1EEEvSK_.has_indirect_call, 0
	.section	.AMDGPU.csdata,"",@progbits
; Kernel info:
; codeLenInByte = 0
; TotalNumSgprs: 6
; NumVgprs: 0
; NumAgprs: 0
; TotalNumVgprs: 0
; ScratchSize: 0
; MemoryBound: 0
; FloatMode: 240
; IeeeMode: 1
; LDSByteSize: 0 bytes/workgroup (compile time only)
; SGPRBlocks: 0
; VGPRBlocks: 0
; NumSGPRsForWavesPerEU: 6
; NumVGPRsForWavesPerEU: 1
; AccumOffset: 4
; Occupancy: 8
; WaveLimiterHint : 0
; COMPUTE_PGM_RSRC2:SCRATCH_EN: 0
; COMPUTE_PGM_RSRC2:USER_SGPR: 2
; COMPUTE_PGM_RSRC2:TRAP_HANDLER: 0
; COMPUTE_PGM_RSRC2:TGID_X_EN: 1
; COMPUTE_PGM_RSRC2:TGID_Y_EN: 0
; COMPUTE_PGM_RSRC2:TGID_Z_EN: 0
; COMPUTE_PGM_RSRC2:TIDIG_COMP_CNT: 0
; COMPUTE_PGM_RSRC3_GFX90A:ACCUM_OFFSET: 0
; COMPUTE_PGM_RSRC3_GFX90A:TG_SPLIT: 0
	.section	.text._ZN7rocprim17ROCPRIM_400000_NS6detail17trampoline_kernelINS0_14default_configENS1_22reduce_config_selectorIsEEZNS1_11reduce_implILb1ES3_N6thrust23THRUST_200600_302600_NS6detail15normal_iteratorINS8_10device_ptrIsEEEEPffNS8_4plusIfEEEE10hipError_tPvRmT1_T2_T3_mT4_P12ihipStream_tbEUlT_E0_NS1_11comp_targetILNS1_3genE10ELNS1_11target_archE1201ELNS1_3gpuE5ELNS1_3repE0EEENS1_30default_config_static_selectorELNS0_4arch9wavefront6targetE1EEEvSK_,"axG",@progbits,_ZN7rocprim17ROCPRIM_400000_NS6detail17trampoline_kernelINS0_14default_configENS1_22reduce_config_selectorIsEEZNS1_11reduce_implILb1ES3_N6thrust23THRUST_200600_302600_NS6detail15normal_iteratorINS8_10device_ptrIsEEEEPffNS8_4plusIfEEEE10hipError_tPvRmT1_T2_T3_mT4_P12ihipStream_tbEUlT_E0_NS1_11comp_targetILNS1_3genE10ELNS1_11target_archE1201ELNS1_3gpuE5ELNS1_3repE0EEENS1_30default_config_static_selectorELNS0_4arch9wavefront6targetE1EEEvSK_,comdat
	.protected	_ZN7rocprim17ROCPRIM_400000_NS6detail17trampoline_kernelINS0_14default_configENS1_22reduce_config_selectorIsEEZNS1_11reduce_implILb1ES3_N6thrust23THRUST_200600_302600_NS6detail15normal_iteratorINS8_10device_ptrIsEEEEPffNS8_4plusIfEEEE10hipError_tPvRmT1_T2_T3_mT4_P12ihipStream_tbEUlT_E0_NS1_11comp_targetILNS1_3genE10ELNS1_11target_archE1201ELNS1_3gpuE5ELNS1_3repE0EEENS1_30default_config_static_selectorELNS0_4arch9wavefront6targetE1EEEvSK_ ; -- Begin function _ZN7rocprim17ROCPRIM_400000_NS6detail17trampoline_kernelINS0_14default_configENS1_22reduce_config_selectorIsEEZNS1_11reduce_implILb1ES3_N6thrust23THRUST_200600_302600_NS6detail15normal_iteratorINS8_10device_ptrIsEEEEPffNS8_4plusIfEEEE10hipError_tPvRmT1_T2_T3_mT4_P12ihipStream_tbEUlT_E0_NS1_11comp_targetILNS1_3genE10ELNS1_11target_archE1201ELNS1_3gpuE5ELNS1_3repE0EEENS1_30default_config_static_selectorELNS0_4arch9wavefront6targetE1EEEvSK_
	.globl	_ZN7rocprim17ROCPRIM_400000_NS6detail17trampoline_kernelINS0_14default_configENS1_22reduce_config_selectorIsEEZNS1_11reduce_implILb1ES3_N6thrust23THRUST_200600_302600_NS6detail15normal_iteratorINS8_10device_ptrIsEEEEPffNS8_4plusIfEEEE10hipError_tPvRmT1_T2_T3_mT4_P12ihipStream_tbEUlT_E0_NS1_11comp_targetILNS1_3genE10ELNS1_11target_archE1201ELNS1_3gpuE5ELNS1_3repE0EEENS1_30default_config_static_selectorELNS0_4arch9wavefront6targetE1EEEvSK_
	.p2align	8
	.type	_ZN7rocprim17ROCPRIM_400000_NS6detail17trampoline_kernelINS0_14default_configENS1_22reduce_config_selectorIsEEZNS1_11reduce_implILb1ES3_N6thrust23THRUST_200600_302600_NS6detail15normal_iteratorINS8_10device_ptrIsEEEEPffNS8_4plusIfEEEE10hipError_tPvRmT1_T2_T3_mT4_P12ihipStream_tbEUlT_E0_NS1_11comp_targetILNS1_3genE10ELNS1_11target_archE1201ELNS1_3gpuE5ELNS1_3repE0EEENS1_30default_config_static_selectorELNS0_4arch9wavefront6targetE1EEEvSK_,@function
_ZN7rocprim17ROCPRIM_400000_NS6detail17trampoline_kernelINS0_14default_configENS1_22reduce_config_selectorIsEEZNS1_11reduce_implILb1ES3_N6thrust23THRUST_200600_302600_NS6detail15normal_iteratorINS8_10device_ptrIsEEEEPffNS8_4plusIfEEEE10hipError_tPvRmT1_T2_T3_mT4_P12ihipStream_tbEUlT_E0_NS1_11comp_targetILNS1_3genE10ELNS1_11target_archE1201ELNS1_3gpuE5ELNS1_3repE0EEENS1_30default_config_static_selectorELNS0_4arch9wavefront6targetE1EEEvSK_: ; @_ZN7rocprim17ROCPRIM_400000_NS6detail17trampoline_kernelINS0_14default_configENS1_22reduce_config_selectorIsEEZNS1_11reduce_implILb1ES3_N6thrust23THRUST_200600_302600_NS6detail15normal_iteratorINS8_10device_ptrIsEEEEPffNS8_4plusIfEEEE10hipError_tPvRmT1_T2_T3_mT4_P12ihipStream_tbEUlT_E0_NS1_11comp_targetILNS1_3genE10ELNS1_11target_archE1201ELNS1_3gpuE5ELNS1_3repE0EEENS1_30default_config_static_selectorELNS0_4arch9wavefront6targetE1EEEvSK_
; %bb.0:
	.section	.rodata,"a",@progbits
	.p2align	6, 0x0
	.amdhsa_kernel _ZN7rocprim17ROCPRIM_400000_NS6detail17trampoline_kernelINS0_14default_configENS1_22reduce_config_selectorIsEEZNS1_11reduce_implILb1ES3_N6thrust23THRUST_200600_302600_NS6detail15normal_iteratorINS8_10device_ptrIsEEEEPffNS8_4plusIfEEEE10hipError_tPvRmT1_T2_T3_mT4_P12ihipStream_tbEUlT_E0_NS1_11comp_targetILNS1_3genE10ELNS1_11target_archE1201ELNS1_3gpuE5ELNS1_3repE0EEENS1_30default_config_static_selectorELNS0_4arch9wavefront6targetE1EEEvSK_
		.amdhsa_group_segment_fixed_size 0
		.amdhsa_private_segment_fixed_size 0
		.amdhsa_kernarg_size 56
		.amdhsa_user_sgpr_count 2
		.amdhsa_user_sgpr_dispatch_ptr 0
		.amdhsa_user_sgpr_queue_ptr 0
		.amdhsa_user_sgpr_kernarg_segment_ptr 1
		.amdhsa_user_sgpr_dispatch_id 0
		.amdhsa_user_sgpr_kernarg_preload_length 0
		.amdhsa_user_sgpr_kernarg_preload_offset 0
		.amdhsa_user_sgpr_private_segment_size 0
		.amdhsa_uses_dynamic_stack 0
		.amdhsa_enable_private_segment 0
		.amdhsa_system_sgpr_workgroup_id_x 1
		.amdhsa_system_sgpr_workgroup_id_y 0
		.amdhsa_system_sgpr_workgroup_id_z 0
		.amdhsa_system_sgpr_workgroup_info 0
		.amdhsa_system_vgpr_workitem_id 0
		.amdhsa_next_free_vgpr 1
		.amdhsa_next_free_sgpr 0
		.amdhsa_accum_offset 4
		.amdhsa_reserve_vcc 0
		.amdhsa_float_round_mode_32 0
		.amdhsa_float_round_mode_16_64 0
		.amdhsa_float_denorm_mode_32 3
		.amdhsa_float_denorm_mode_16_64 3
		.amdhsa_dx10_clamp 1
		.amdhsa_ieee_mode 1
		.amdhsa_fp16_overflow 0
		.amdhsa_tg_split 0
		.amdhsa_exception_fp_ieee_invalid_op 0
		.amdhsa_exception_fp_denorm_src 0
		.amdhsa_exception_fp_ieee_div_zero 0
		.amdhsa_exception_fp_ieee_overflow 0
		.amdhsa_exception_fp_ieee_underflow 0
		.amdhsa_exception_fp_ieee_inexact 0
		.amdhsa_exception_int_div_zero 0
	.end_amdhsa_kernel
	.section	.text._ZN7rocprim17ROCPRIM_400000_NS6detail17trampoline_kernelINS0_14default_configENS1_22reduce_config_selectorIsEEZNS1_11reduce_implILb1ES3_N6thrust23THRUST_200600_302600_NS6detail15normal_iteratorINS8_10device_ptrIsEEEEPffNS8_4plusIfEEEE10hipError_tPvRmT1_T2_T3_mT4_P12ihipStream_tbEUlT_E0_NS1_11comp_targetILNS1_3genE10ELNS1_11target_archE1201ELNS1_3gpuE5ELNS1_3repE0EEENS1_30default_config_static_selectorELNS0_4arch9wavefront6targetE1EEEvSK_,"axG",@progbits,_ZN7rocprim17ROCPRIM_400000_NS6detail17trampoline_kernelINS0_14default_configENS1_22reduce_config_selectorIsEEZNS1_11reduce_implILb1ES3_N6thrust23THRUST_200600_302600_NS6detail15normal_iteratorINS8_10device_ptrIsEEEEPffNS8_4plusIfEEEE10hipError_tPvRmT1_T2_T3_mT4_P12ihipStream_tbEUlT_E0_NS1_11comp_targetILNS1_3genE10ELNS1_11target_archE1201ELNS1_3gpuE5ELNS1_3repE0EEENS1_30default_config_static_selectorELNS0_4arch9wavefront6targetE1EEEvSK_,comdat
.Lfunc_end536:
	.size	_ZN7rocprim17ROCPRIM_400000_NS6detail17trampoline_kernelINS0_14default_configENS1_22reduce_config_selectorIsEEZNS1_11reduce_implILb1ES3_N6thrust23THRUST_200600_302600_NS6detail15normal_iteratorINS8_10device_ptrIsEEEEPffNS8_4plusIfEEEE10hipError_tPvRmT1_T2_T3_mT4_P12ihipStream_tbEUlT_E0_NS1_11comp_targetILNS1_3genE10ELNS1_11target_archE1201ELNS1_3gpuE5ELNS1_3repE0EEENS1_30default_config_static_selectorELNS0_4arch9wavefront6targetE1EEEvSK_, .Lfunc_end536-_ZN7rocprim17ROCPRIM_400000_NS6detail17trampoline_kernelINS0_14default_configENS1_22reduce_config_selectorIsEEZNS1_11reduce_implILb1ES3_N6thrust23THRUST_200600_302600_NS6detail15normal_iteratorINS8_10device_ptrIsEEEEPffNS8_4plusIfEEEE10hipError_tPvRmT1_T2_T3_mT4_P12ihipStream_tbEUlT_E0_NS1_11comp_targetILNS1_3genE10ELNS1_11target_archE1201ELNS1_3gpuE5ELNS1_3repE0EEENS1_30default_config_static_selectorELNS0_4arch9wavefront6targetE1EEEvSK_
                                        ; -- End function
	.set _ZN7rocprim17ROCPRIM_400000_NS6detail17trampoline_kernelINS0_14default_configENS1_22reduce_config_selectorIsEEZNS1_11reduce_implILb1ES3_N6thrust23THRUST_200600_302600_NS6detail15normal_iteratorINS8_10device_ptrIsEEEEPffNS8_4plusIfEEEE10hipError_tPvRmT1_T2_T3_mT4_P12ihipStream_tbEUlT_E0_NS1_11comp_targetILNS1_3genE10ELNS1_11target_archE1201ELNS1_3gpuE5ELNS1_3repE0EEENS1_30default_config_static_selectorELNS0_4arch9wavefront6targetE1EEEvSK_.num_vgpr, 0
	.set _ZN7rocprim17ROCPRIM_400000_NS6detail17trampoline_kernelINS0_14default_configENS1_22reduce_config_selectorIsEEZNS1_11reduce_implILb1ES3_N6thrust23THRUST_200600_302600_NS6detail15normal_iteratorINS8_10device_ptrIsEEEEPffNS8_4plusIfEEEE10hipError_tPvRmT1_T2_T3_mT4_P12ihipStream_tbEUlT_E0_NS1_11comp_targetILNS1_3genE10ELNS1_11target_archE1201ELNS1_3gpuE5ELNS1_3repE0EEENS1_30default_config_static_selectorELNS0_4arch9wavefront6targetE1EEEvSK_.num_agpr, 0
	.set _ZN7rocprim17ROCPRIM_400000_NS6detail17trampoline_kernelINS0_14default_configENS1_22reduce_config_selectorIsEEZNS1_11reduce_implILb1ES3_N6thrust23THRUST_200600_302600_NS6detail15normal_iteratorINS8_10device_ptrIsEEEEPffNS8_4plusIfEEEE10hipError_tPvRmT1_T2_T3_mT4_P12ihipStream_tbEUlT_E0_NS1_11comp_targetILNS1_3genE10ELNS1_11target_archE1201ELNS1_3gpuE5ELNS1_3repE0EEENS1_30default_config_static_selectorELNS0_4arch9wavefront6targetE1EEEvSK_.numbered_sgpr, 0
	.set _ZN7rocprim17ROCPRIM_400000_NS6detail17trampoline_kernelINS0_14default_configENS1_22reduce_config_selectorIsEEZNS1_11reduce_implILb1ES3_N6thrust23THRUST_200600_302600_NS6detail15normal_iteratorINS8_10device_ptrIsEEEEPffNS8_4plusIfEEEE10hipError_tPvRmT1_T2_T3_mT4_P12ihipStream_tbEUlT_E0_NS1_11comp_targetILNS1_3genE10ELNS1_11target_archE1201ELNS1_3gpuE5ELNS1_3repE0EEENS1_30default_config_static_selectorELNS0_4arch9wavefront6targetE1EEEvSK_.num_named_barrier, 0
	.set _ZN7rocprim17ROCPRIM_400000_NS6detail17trampoline_kernelINS0_14default_configENS1_22reduce_config_selectorIsEEZNS1_11reduce_implILb1ES3_N6thrust23THRUST_200600_302600_NS6detail15normal_iteratorINS8_10device_ptrIsEEEEPffNS8_4plusIfEEEE10hipError_tPvRmT1_T2_T3_mT4_P12ihipStream_tbEUlT_E0_NS1_11comp_targetILNS1_3genE10ELNS1_11target_archE1201ELNS1_3gpuE5ELNS1_3repE0EEENS1_30default_config_static_selectorELNS0_4arch9wavefront6targetE1EEEvSK_.private_seg_size, 0
	.set _ZN7rocprim17ROCPRIM_400000_NS6detail17trampoline_kernelINS0_14default_configENS1_22reduce_config_selectorIsEEZNS1_11reduce_implILb1ES3_N6thrust23THRUST_200600_302600_NS6detail15normal_iteratorINS8_10device_ptrIsEEEEPffNS8_4plusIfEEEE10hipError_tPvRmT1_T2_T3_mT4_P12ihipStream_tbEUlT_E0_NS1_11comp_targetILNS1_3genE10ELNS1_11target_archE1201ELNS1_3gpuE5ELNS1_3repE0EEENS1_30default_config_static_selectorELNS0_4arch9wavefront6targetE1EEEvSK_.uses_vcc, 0
	.set _ZN7rocprim17ROCPRIM_400000_NS6detail17trampoline_kernelINS0_14default_configENS1_22reduce_config_selectorIsEEZNS1_11reduce_implILb1ES3_N6thrust23THRUST_200600_302600_NS6detail15normal_iteratorINS8_10device_ptrIsEEEEPffNS8_4plusIfEEEE10hipError_tPvRmT1_T2_T3_mT4_P12ihipStream_tbEUlT_E0_NS1_11comp_targetILNS1_3genE10ELNS1_11target_archE1201ELNS1_3gpuE5ELNS1_3repE0EEENS1_30default_config_static_selectorELNS0_4arch9wavefront6targetE1EEEvSK_.uses_flat_scratch, 0
	.set _ZN7rocprim17ROCPRIM_400000_NS6detail17trampoline_kernelINS0_14default_configENS1_22reduce_config_selectorIsEEZNS1_11reduce_implILb1ES3_N6thrust23THRUST_200600_302600_NS6detail15normal_iteratorINS8_10device_ptrIsEEEEPffNS8_4plusIfEEEE10hipError_tPvRmT1_T2_T3_mT4_P12ihipStream_tbEUlT_E0_NS1_11comp_targetILNS1_3genE10ELNS1_11target_archE1201ELNS1_3gpuE5ELNS1_3repE0EEENS1_30default_config_static_selectorELNS0_4arch9wavefront6targetE1EEEvSK_.has_dyn_sized_stack, 0
	.set _ZN7rocprim17ROCPRIM_400000_NS6detail17trampoline_kernelINS0_14default_configENS1_22reduce_config_selectorIsEEZNS1_11reduce_implILb1ES3_N6thrust23THRUST_200600_302600_NS6detail15normal_iteratorINS8_10device_ptrIsEEEEPffNS8_4plusIfEEEE10hipError_tPvRmT1_T2_T3_mT4_P12ihipStream_tbEUlT_E0_NS1_11comp_targetILNS1_3genE10ELNS1_11target_archE1201ELNS1_3gpuE5ELNS1_3repE0EEENS1_30default_config_static_selectorELNS0_4arch9wavefront6targetE1EEEvSK_.has_recursion, 0
	.set _ZN7rocprim17ROCPRIM_400000_NS6detail17trampoline_kernelINS0_14default_configENS1_22reduce_config_selectorIsEEZNS1_11reduce_implILb1ES3_N6thrust23THRUST_200600_302600_NS6detail15normal_iteratorINS8_10device_ptrIsEEEEPffNS8_4plusIfEEEE10hipError_tPvRmT1_T2_T3_mT4_P12ihipStream_tbEUlT_E0_NS1_11comp_targetILNS1_3genE10ELNS1_11target_archE1201ELNS1_3gpuE5ELNS1_3repE0EEENS1_30default_config_static_selectorELNS0_4arch9wavefront6targetE1EEEvSK_.has_indirect_call, 0
	.section	.AMDGPU.csdata,"",@progbits
; Kernel info:
; codeLenInByte = 0
; TotalNumSgprs: 6
; NumVgprs: 0
; NumAgprs: 0
; TotalNumVgprs: 0
; ScratchSize: 0
; MemoryBound: 0
; FloatMode: 240
; IeeeMode: 1
; LDSByteSize: 0 bytes/workgroup (compile time only)
; SGPRBlocks: 0
; VGPRBlocks: 0
; NumSGPRsForWavesPerEU: 6
; NumVGPRsForWavesPerEU: 1
; AccumOffset: 4
; Occupancy: 8
; WaveLimiterHint : 0
; COMPUTE_PGM_RSRC2:SCRATCH_EN: 0
; COMPUTE_PGM_RSRC2:USER_SGPR: 2
; COMPUTE_PGM_RSRC2:TRAP_HANDLER: 0
; COMPUTE_PGM_RSRC2:TGID_X_EN: 1
; COMPUTE_PGM_RSRC2:TGID_Y_EN: 0
; COMPUTE_PGM_RSRC2:TGID_Z_EN: 0
; COMPUTE_PGM_RSRC2:TIDIG_COMP_CNT: 0
; COMPUTE_PGM_RSRC3_GFX90A:ACCUM_OFFSET: 0
; COMPUTE_PGM_RSRC3_GFX90A:TG_SPLIT: 0
	.section	.text._ZN7rocprim17ROCPRIM_400000_NS6detail17trampoline_kernelINS0_14default_configENS1_22reduce_config_selectorIsEEZNS1_11reduce_implILb1ES3_N6thrust23THRUST_200600_302600_NS6detail15normal_iteratorINS8_10device_ptrIsEEEEPffNS8_4plusIfEEEE10hipError_tPvRmT1_T2_T3_mT4_P12ihipStream_tbEUlT_E0_NS1_11comp_targetILNS1_3genE10ELNS1_11target_archE1200ELNS1_3gpuE4ELNS1_3repE0EEENS1_30default_config_static_selectorELNS0_4arch9wavefront6targetE1EEEvSK_,"axG",@progbits,_ZN7rocprim17ROCPRIM_400000_NS6detail17trampoline_kernelINS0_14default_configENS1_22reduce_config_selectorIsEEZNS1_11reduce_implILb1ES3_N6thrust23THRUST_200600_302600_NS6detail15normal_iteratorINS8_10device_ptrIsEEEEPffNS8_4plusIfEEEE10hipError_tPvRmT1_T2_T3_mT4_P12ihipStream_tbEUlT_E0_NS1_11comp_targetILNS1_3genE10ELNS1_11target_archE1200ELNS1_3gpuE4ELNS1_3repE0EEENS1_30default_config_static_selectorELNS0_4arch9wavefront6targetE1EEEvSK_,comdat
	.protected	_ZN7rocprim17ROCPRIM_400000_NS6detail17trampoline_kernelINS0_14default_configENS1_22reduce_config_selectorIsEEZNS1_11reduce_implILb1ES3_N6thrust23THRUST_200600_302600_NS6detail15normal_iteratorINS8_10device_ptrIsEEEEPffNS8_4plusIfEEEE10hipError_tPvRmT1_T2_T3_mT4_P12ihipStream_tbEUlT_E0_NS1_11comp_targetILNS1_3genE10ELNS1_11target_archE1200ELNS1_3gpuE4ELNS1_3repE0EEENS1_30default_config_static_selectorELNS0_4arch9wavefront6targetE1EEEvSK_ ; -- Begin function _ZN7rocprim17ROCPRIM_400000_NS6detail17trampoline_kernelINS0_14default_configENS1_22reduce_config_selectorIsEEZNS1_11reduce_implILb1ES3_N6thrust23THRUST_200600_302600_NS6detail15normal_iteratorINS8_10device_ptrIsEEEEPffNS8_4plusIfEEEE10hipError_tPvRmT1_T2_T3_mT4_P12ihipStream_tbEUlT_E0_NS1_11comp_targetILNS1_3genE10ELNS1_11target_archE1200ELNS1_3gpuE4ELNS1_3repE0EEENS1_30default_config_static_selectorELNS0_4arch9wavefront6targetE1EEEvSK_
	.globl	_ZN7rocprim17ROCPRIM_400000_NS6detail17trampoline_kernelINS0_14default_configENS1_22reduce_config_selectorIsEEZNS1_11reduce_implILb1ES3_N6thrust23THRUST_200600_302600_NS6detail15normal_iteratorINS8_10device_ptrIsEEEEPffNS8_4plusIfEEEE10hipError_tPvRmT1_T2_T3_mT4_P12ihipStream_tbEUlT_E0_NS1_11comp_targetILNS1_3genE10ELNS1_11target_archE1200ELNS1_3gpuE4ELNS1_3repE0EEENS1_30default_config_static_selectorELNS0_4arch9wavefront6targetE1EEEvSK_
	.p2align	8
	.type	_ZN7rocprim17ROCPRIM_400000_NS6detail17trampoline_kernelINS0_14default_configENS1_22reduce_config_selectorIsEEZNS1_11reduce_implILb1ES3_N6thrust23THRUST_200600_302600_NS6detail15normal_iteratorINS8_10device_ptrIsEEEEPffNS8_4plusIfEEEE10hipError_tPvRmT1_T2_T3_mT4_P12ihipStream_tbEUlT_E0_NS1_11comp_targetILNS1_3genE10ELNS1_11target_archE1200ELNS1_3gpuE4ELNS1_3repE0EEENS1_30default_config_static_selectorELNS0_4arch9wavefront6targetE1EEEvSK_,@function
_ZN7rocprim17ROCPRIM_400000_NS6detail17trampoline_kernelINS0_14default_configENS1_22reduce_config_selectorIsEEZNS1_11reduce_implILb1ES3_N6thrust23THRUST_200600_302600_NS6detail15normal_iteratorINS8_10device_ptrIsEEEEPffNS8_4plusIfEEEE10hipError_tPvRmT1_T2_T3_mT4_P12ihipStream_tbEUlT_E0_NS1_11comp_targetILNS1_3genE10ELNS1_11target_archE1200ELNS1_3gpuE4ELNS1_3repE0EEENS1_30default_config_static_selectorELNS0_4arch9wavefront6targetE1EEEvSK_: ; @_ZN7rocprim17ROCPRIM_400000_NS6detail17trampoline_kernelINS0_14default_configENS1_22reduce_config_selectorIsEEZNS1_11reduce_implILb1ES3_N6thrust23THRUST_200600_302600_NS6detail15normal_iteratorINS8_10device_ptrIsEEEEPffNS8_4plusIfEEEE10hipError_tPvRmT1_T2_T3_mT4_P12ihipStream_tbEUlT_E0_NS1_11comp_targetILNS1_3genE10ELNS1_11target_archE1200ELNS1_3gpuE4ELNS1_3repE0EEENS1_30default_config_static_selectorELNS0_4arch9wavefront6targetE1EEEvSK_
; %bb.0:
	.section	.rodata,"a",@progbits
	.p2align	6, 0x0
	.amdhsa_kernel _ZN7rocprim17ROCPRIM_400000_NS6detail17trampoline_kernelINS0_14default_configENS1_22reduce_config_selectorIsEEZNS1_11reduce_implILb1ES3_N6thrust23THRUST_200600_302600_NS6detail15normal_iteratorINS8_10device_ptrIsEEEEPffNS8_4plusIfEEEE10hipError_tPvRmT1_T2_T3_mT4_P12ihipStream_tbEUlT_E0_NS1_11comp_targetILNS1_3genE10ELNS1_11target_archE1200ELNS1_3gpuE4ELNS1_3repE0EEENS1_30default_config_static_selectorELNS0_4arch9wavefront6targetE1EEEvSK_
		.amdhsa_group_segment_fixed_size 0
		.amdhsa_private_segment_fixed_size 0
		.amdhsa_kernarg_size 56
		.amdhsa_user_sgpr_count 2
		.amdhsa_user_sgpr_dispatch_ptr 0
		.amdhsa_user_sgpr_queue_ptr 0
		.amdhsa_user_sgpr_kernarg_segment_ptr 1
		.amdhsa_user_sgpr_dispatch_id 0
		.amdhsa_user_sgpr_kernarg_preload_length 0
		.amdhsa_user_sgpr_kernarg_preload_offset 0
		.amdhsa_user_sgpr_private_segment_size 0
		.amdhsa_uses_dynamic_stack 0
		.amdhsa_enable_private_segment 0
		.amdhsa_system_sgpr_workgroup_id_x 1
		.amdhsa_system_sgpr_workgroup_id_y 0
		.amdhsa_system_sgpr_workgroup_id_z 0
		.amdhsa_system_sgpr_workgroup_info 0
		.amdhsa_system_vgpr_workitem_id 0
		.amdhsa_next_free_vgpr 1
		.amdhsa_next_free_sgpr 0
		.amdhsa_accum_offset 4
		.amdhsa_reserve_vcc 0
		.amdhsa_float_round_mode_32 0
		.amdhsa_float_round_mode_16_64 0
		.amdhsa_float_denorm_mode_32 3
		.amdhsa_float_denorm_mode_16_64 3
		.amdhsa_dx10_clamp 1
		.amdhsa_ieee_mode 1
		.amdhsa_fp16_overflow 0
		.amdhsa_tg_split 0
		.amdhsa_exception_fp_ieee_invalid_op 0
		.amdhsa_exception_fp_denorm_src 0
		.amdhsa_exception_fp_ieee_div_zero 0
		.amdhsa_exception_fp_ieee_overflow 0
		.amdhsa_exception_fp_ieee_underflow 0
		.amdhsa_exception_fp_ieee_inexact 0
		.amdhsa_exception_int_div_zero 0
	.end_amdhsa_kernel
	.section	.text._ZN7rocprim17ROCPRIM_400000_NS6detail17trampoline_kernelINS0_14default_configENS1_22reduce_config_selectorIsEEZNS1_11reduce_implILb1ES3_N6thrust23THRUST_200600_302600_NS6detail15normal_iteratorINS8_10device_ptrIsEEEEPffNS8_4plusIfEEEE10hipError_tPvRmT1_T2_T3_mT4_P12ihipStream_tbEUlT_E0_NS1_11comp_targetILNS1_3genE10ELNS1_11target_archE1200ELNS1_3gpuE4ELNS1_3repE0EEENS1_30default_config_static_selectorELNS0_4arch9wavefront6targetE1EEEvSK_,"axG",@progbits,_ZN7rocprim17ROCPRIM_400000_NS6detail17trampoline_kernelINS0_14default_configENS1_22reduce_config_selectorIsEEZNS1_11reduce_implILb1ES3_N6thrust23THRUST_200600_302600_NS6detail15normal_iteratorINS8_10device_ptrIsEEEEPffNS8_4plusIfEEEE10hipError_tPvRmT1_T2_T3_mT4_P12ihipStream_tbEUlT_E0_NS1_11comp_targetILNS1_3genE10ELNS1_11target_archE1200ELNS1_3gpuE4ELNS1_3repE0EEENS1_30default_config_static_selectorELNS0_4arch9wavefront6targetE1EEEvSK_,comdat
.Lfunc_end537:
	.size	_ZN7rocprim17ROCPRIM_400000_NS6detail17trampoline_kernelINS0_14default_configENS1_22reduce_config_selectorIsEEZNS1_11reduce_implILb1ES3_N6thrust23THRUST_200600_302600_NS6detail15normal_iteratorINS8_10device_ptrIsEEEEPffNS8_4plusIfEEEE10hipError_tPvRmT1_T2_T3_mT4_P12ihipStream_tbEUlT_E0_NS1_11comp_targetILNS1_3genE10ELNS1_11target_archE1200ELNS1_3gpuE4ELNS1_3repE0EEENS1_30default_config_static_selectorELNS0_4arch9wavefront6targetE1EEEvSK_, .Lfunc_end537-_ZN7rocprim17ROCPRIM_400000_NS6detail17trampoline_kernelINS0_14default_configENS1_22reduce_config_selectorIsEEZNS1_11reduce_implILb1ES3_N6thrust23THRUST_200600_302600_NS6detail15normal_iteratorINS8_10device_ptrIsEEEEPffNS8_4plusIfEEEE10hipError_tPvRmT1_T2_T3_mT4_P12ihipStream_tbEUlT_E0_NS1_11comp_targetILNS1_3genE10ELNS1_11target_archE1200ELNS1_3gpuE4ELNS1_3repE0EEENS1_30default_config_static_selectorELNS0_4arch9wavefront6targetE1EEEvSK_
                                        ; -- End function
	.set _ZN7rocprim17ROCPRIM_400000_NS6detail17trampoline_kernelINS0_14default_configENS1_22reduce_config_selectorIsEEZNS1_11reduce_implILb1ES3_N6thrust23THRUST_200600_302600_NS6detail15normal_iteratorINS8_10device_ptrIsEEEEPffNS8_4plusIfEEEE10hipError_tPvRmT1_T2_T3_mT4_P12ihipStream_tbEUlT_E0_NS1_11comp_targetILNS1_3genE10ELNS1_11target_archE1200ELNS1_3gpuE4ELNS1_3repE0EEENS1_30default_config_static_selectorELNS0_4arch9wavefront6targetE1EEEvSK_.num_vgpr, 0
	.set _ZN7rocprim17ROCPRIM_400000_NS6detail17trampoline_kernelINS0_14default_configENS1_22reduce_config_selectorIsEEZNS1_11reduce_implILb1ES3_N6thrust23THRUST_200600_302600_NS6detail15normal_iteratorINS8_10device_ptrIsEEEEPffNS8_4plusIfEEEE10hipError_tPvRmT1_T2_T3_mT4_P12ihipStream_tbEUlT_E0_NS1_11comp_targetILNS1_3genE10ELNS1_11target_archE1200ELNS1_3gpuE4ELNS1_3repE0EEENS1_30default_config_static_selectorELNS0_4arch9wavefront6targetE1EEEvSK_.num_agpr, 0
	.set _ZN7rocprim17ROCPRIM_400000_NS6detail17trampoline_kernelINS0_14default_configENS1_22reduce_config_selectorIsEEZNS1_11reduce_implILb1ES3_N6thrust23THRUST_200600_302600_NS6detail15normal_iteratorINS8_10device_ptrIsEEEEPffNS8_4plusIfEEEE10hipError_tPvRmT1_T2_T3_mT4_P12ihipStream_tbEUlT_E0_NS1_11comp_targetILNS1_3genE10ELNS1_11target_archE1200ELNS1_3gpuE4ELNS1_3repE0EEENS1_30default_config_static_selectorELNS0_4arch9wavefront6targetE1EEEvSK_.numbered_sgpr, 0
	.set _ZN7rocprim17ROCPRIM_400000_NS6detail17trampoline_kernelINS0_14default_configENS1_22reduce_config_selectorIsEEZNS1_11reduce_implILb1ES3_N6thrust23THRUST_200600_302600_NS6detail15normal_iteratorINS8_10device_ptrIsEEEEPffNS8_4plusIfEEEE10hipError_tPvRmT1_T2_T3_mT4_P12ihipStream_tbEUlT_E0_NS1_11comp_targetILNS1_3genE10ELNS1_11target_archE1200ELNS1_3gpuE4ELNS1_3repE0EEENS1_30default_config_static_selectorELNS0_4arch9wavefront6targetE1EEEvSK_.num_named_barrier, 0
	.set _ZN7rocprim17ROCPRIM_400000_NS6detail17trampoline_kernelINS0_14default_configENS1_22reduce_config_selectorIsEEZNS1_11reduce_implILb1ES3_N6thrust23THRUST_200600_302600_NS6detail15normal_iteratorINS8_10device_ptrIsEEEEPffNS8_4plusIfEEEE10hipError_tPvRmT1_T2_T3_mT4_P12ihipStream_tbEUlT_E0_NS1_11comp_targetILNS1_3genE10ELNS1_11target_archE1200ELNS1_3gpuE4ELNS1_3repE0EEENS1_30default_config_static_selectorELNS0_4arch9wavefront6targetE1EEEvSK_.private_seg_size, 0
	.set _ZN7rocprim17ROCPRIM_400000_NS6detail17trampoline_kernelINS0_14default_configENS1_22reduce_config_selectorIsEEZNS1_11reduce_implILb1ES3_N6thrust23THRUST_200600_302600_NS6detail15normal_iteratorINS8_10device_ptrIsEEEEPffNS8_4plusIfEEEE10hipError_tPvRmT1_T2_T3_mT4_P12ihipStream_tbEUlT_E0_NS1_11comp_targetILNS1_3genE10ELNS1_11target_archE1200ELNS1_3gpuE4ELNS1_3repE0EEENS1_30default_config_static_selectorELNS0_4arch9wavefront6targetE1EEEvSK_.uses_vcc, 0
	.set _ZN7rocprim17ROCPRIM_400000_NS6detail17trampoline_kernelINS0_14default_configENS1_22reduce_config_selectorIsEEZNS1_11reduce_implILb1ES3_N6thrust23THRUST_200600_302600_NS6detail15normal_iteratorINS8_10device_ptrIsEEEEPffNS8_4plusIfEEEE10hipError_tPvRmT1_T2_T3_mT4_P12ihipStream_tbEUlT_E0_NS1_11comp_targetILNS1_3genE10ELNS1_11target_archE1200ELNS1_3gpuE4ELNS1_3repE0EEENS1_30default_config_static_selectorELNS0_4arch9wavefront6targetE1EEEvSK_.uses_flat_scratch, 0
	.set _ZN7rocprim17ROCPRIM_400000_NS6detail17trampoline_kernelINS0_14default_configENS1_22reduce_config_selectorIsEEZNS1_11reduce_implILb1ES3_N6thrust23THRUST_200600_302600_NS6detail15normal_iteratorINS8_10device_ptrIsEEEEPffNS8_4plusIfEEEE10hipError_tPvRmT1_T2_T3_mT4_P12ihipStream_tbEUlT_E0_NS1_11comp_targetILNS1_3genE10ELNS1_11target_archE1200ELNS1_3gpuE4ELNS1_3repE0EEENS1_30default_config_static_selectorELNS0_4arch9wavefront6targetE1EEEvSK_.has_dyn_sized_stack, 0
	.set _ZN7rocprim17ROCPRIM_400000_NS6detail17trampoline_kernelINS0_14default_configENS1_22reduce_config_selectorIsEEZNS1_11reduce_implILb1ES3_N6thrust23THRUST_200600_302600_NS6detail15normal_iteratorINS8_10device_ptrIsEEEEPffNS8_4plusIfEEEE10hipError_tPvRmT1_T2_T3_mT4_P12ihipStream_tbEUlT_E0_NS1_11comp_targetILNS1_3genE10ELNS1_11target_archE1200ELNS1_3gpuE4ELNS1_3repE0EEENS1_30default_config_static_selectorELNS0_4arch9wavefront6targetE1EEEvSK_.has_recursion, 0
	.set _ZN7rocprim17ROCPRIM_400000_NS6detail17trampoline_kernelINS0_14default_configENS1_22reduce_config_selectorIsEEZNS1_11reduce_implILb1ES3_N6thrust23THRUST_200600_302600_NS6detail15normal_iteratorINS8_10device_ptrIsEEEEPffNS8_4plusIfEEEE10hipError_tPvRmT1_T2_T3_mT4_P12ihipStream_tbEUlT_E0_NS1_11comp_targetILNS1_3genE10ELNS1_11target_archE1200ELNS1_3gpuE4ELNS1_3repE0EEENS1_30default_config_static_selectorELNS0_4arch9wavefront6targetE1EEEvSK_.has_indirect_call, 0
	.section	.AMDGPU.csdata,"",@progbits
; Kernel info:
; codeLenInByte = 0
; TotalNumSgprs: 6
; NumVgprs: 0
; NumAgprs: 0
; TotalNumVgprs: 0
; ScratchSize: 0
; MemoryBound: 0
; FloatMode: 240
; IeeeMode: 1
; LDSByteSize: 0 bytes/workgroup (compile time only)
; SGPRBlocks: 0
; VGPRBlocks: 0
; NumSGPRsForWavesPerEU: 6
; NumVGPRsForWavesPerEU: 1
; AccumOffset: 4
; Occupancy: 8
; WaveLimiterHint : 0
; COMPUTE_PGM_RSRC2:SCRATCH_EN: 0
; COMPUTE_PGM_RSRC2:USER_SGPR: 2
; COMPUTE_PGM_RSRC2:TRAP_HANDLER: 0
; COMPUTE_PGM_RSRC2:TGID_X_EN: 1
; COMPUTE_PGM_RSRC2:TGID_Y_EN: 0
; COMPUTE_PGM_RSRC2:TGID_Z_EN: 0
; COMPUTE_PGM_RSRC2:TIDIG_COMP_CNT: 0
; COMPUTE_PGM_RSRC3_GFX90A:ACCUM_OFFSET: 0
; COMPUTE_PGM_RSRC3_GFX90A:TG_SPLIT: 0
	.section	.text._ZN7rocprim17ROCPRIM_400000_NS6detail17trampoline_kernelINS0_14default_configENS1_22reduce_config_selectorIsEEZNS1_11reduce_implILb1ES3_N6thrust23THRUST_200600_302600_NS6detail15normal_iteratorINS8_10device_ptrIsEEEEPffNS8_4plusIfEEEE10hipError_tPvRmT1_T2_T3_mT4_P12ihipStream_tbEUlT_E0_NS1_11comp_targetILNS1_3genE9ELNS1_11target_archE1100ELNS1_3gpuE3ELNS1_3repE0EEENS1_30default_config_static_selectorELNS0_4arch9wavefront6targetE1EEEvSK_,"axG",@progbits,_ZN7rocprim17ROCPRIM_400000_NS6detail17trampoline_kernelINS0_14default_configENS1_22reduce_config_selectorIsEEZNS1_11reduce_implILb1ES3_N6thrust23THRUST_200600_302600_NS6detail15normal_iteratorINS8_10device_ptrIsEEEEPffNS8_4plusIfEEEE10hipError_tPvRmT1_T2_T3_mT4_P12ihipStream_tbEUlT_E0_NS1_11comp_targetILNS1_3genE9ELNS1_11target_archE1100ELNS1_3gpuE3ELNS1_3repE0EEENS1_30default_config_static_selectorELNS0_4arch9wavefront6targetE1EEEvSK_,comdat
	.protected	_ZN7rocprim17ROCPRIM_400000_NS6detail17trampoline_kernelINS0_14default_configENS1_22reduce_config_selectorIsEEZNS1_11reduce_implILb1ES3_N6thrust23THRUST_200600_302600_NS6detail15normal_iteratorINS8_10device_ptrIsEEEEPffNS8_4plusIfEEEE10hipError_tPvRmT1_T2_T3_mT4_P12ihipStream_tbEUlT_E0_NS1_11comp_targetILNS1_3genE9ELNS1_11target_archE1100ELNS1_3gpuE3ELNS1_3repE0EEENS1_30default_config_static_selectorELNS0_4arch9wavefront6targetE1EEEvSK_ ; -- Begin function _ZN7rocprim17ROCPRIM_400000_NS6detail17trampoline_kernelINS0_14default_configENS1_22reduce_config_selectorIsEEZNS1_11reduce_implILb1ES3_N6thrust23THRUST_200600_302600_NS6detail15normal_iteratorINS8_10device_ptrIsEEEEPffNS8_4plusIfEEEE10hipError_tPvRmT1_T2_T3_mT4_P12ihipStream_tbEUlT_E0_NS1_11comp_targetILNS1_3genE9ELNS1_11target_archE1100ELNS1_3gpuE3ELNS1_3repE0EEENS1_30default_config_static_selectorELNS0_4arch9wavefront6targetE1EEEvSK_
	.globl	_ZN7rocprim17ROCPRIM_400000_NS6detail17trampoline_kernelINS0_14default_configENS1_22reduce_config_selectorIsEEZNS1_11reduce_implILb1ES3_N6thrust23THRUST_200600_302600_NS6detail15normal_iteratorINS8_10device_ptrIsEEEEPffNS8_4plusIfEEEE10hipError_tPvRmT1_T2_T3_mT4_P12ihipStream_tbEUlT_E0_NS1_11comp_targetILNS1_3genE9ELNS1_11target_archE1100ELNS1_3gpuE3ELNS1_3repE0EEENS1_30default_config_static_selectorELNS0_4arch9wavefront6targetE1EEEvSK_
	.p2align	8
	.type	_ZN7rocprim17ROCPRIM_400000_NS6detail17trampoline_kernelINS0_14default_configENS1_22reduce_config_selectorIsEEZNS1_11reduce_implILb1ES3_N6thrust23THRUST_200600_302600_NS6detail15normal_iteratorINS8_10device_ptrIsEEEEPffNS8_4plusIfEEEE10hipError_tPvRmT1_T2_T3_mT4_P12ihipStream_tbEUlT_E0_NS1_11comp_targetILNS1_3genE9ELNS1_11target_archE1100ELNS1_3gpuE3ELNS1_3repE0EEENS1_30default_config_static_selectorELNS0_4arch9wavefront6targetE1EEEvSK_,@function
_ZN7rocprim17ROCPRIM_400000_NS6detail17trampoline_kernelINS0_14default_configENS1_22reduce_config_selectorIsEEZNS1_11reduce_implILb1ES3_N6thrust23THRUST_200600_302600_NS6detail15normal_iteratorINS8_10device_ptrIsEEEEPffNS8_4plusIfEEEE10hipError_tPvRmT1_T2_T3_mT4_P12ihipStream_tbEUlT_E0_NS1_11comp_targetILNS1_3genE9ELNS1_11target_archE1100ELNS1_3gpuE3ELNS1_3repE0EEENS1_30default_config_static_selectorELNS0_4arch9wavefront6targetE1EEEvSK_: ; @_ZN7rocprim17ROCPRIM_400000_NS6detail17trampoline_kernelINS0_14default_configENS1_22reduce_config_selectorIsEEZNS1_11reduce_implILb1ES3_N6thrust23THRUST_200600_302600_NS6detail15normal_iteratorINS8_10device_ptrIsEEEEPffNS8_4plusIfEEEE10hipError_tPvRmT1_T2_T3_mT4_P12ihipStream_tbEUlT_E0_NS1_11comp_targetILNS1_3genE9ELNS1_11target_archE1100ELNS1_3gpuE3ELNS1_3repE0EEENS1_30default_config_static_selectorELNS0_4arch9wavefront6targetE1EEEvSK_
; %bb.0:
	.section	.rodata,"a",@progbits
	.p2align	6, 0x0
	.amdhsa_kernel _ZN7rocprim17ROCPRIM_400000_NS6detail17trampoline_kernelINS0_14default_configENS1_22reduce_config_selectorIsEEZNS1_11reduce_implILb1ES3_N6thrust23THRUST_200600_302600_NS6detail15normal_iteratorINS8_10device_ptrIsEEEEPffNS8_4plusIfEEEE10hipError_tPvRmT1_T2_T3_mT4_P12ihipStream_tbEUlT_E0_NS1_11comp_targetILNS1_3genE9ELNS1_11target_archE1100ELNS1_3gpuE3ELNS1_3repE0EEENS1_30default_config_static_selectorELNS0_4arch9wavefront6targetE1EEEvSK_
		.amdhsa_group_segment_fixed_size 0
		.amdhsa_private_segment_fixed_size 0
		.amdhsa_kernarg_size 56
		.amdhsa_user_sgpr_count 2
		.amdhsa_user_sgpr_dispatch_ptr 0
		.amdhsa_user_sgpr_queue_ptr 0
		.amdhsa_user_sgpr_kernarg_segment_ptr 1
		.amdhsa_user_sgpr_dispatch_id 0
		.amdhsa_user_sgpr_kernarg_preload_length 0
		.amdhsa_user_sgpr_kernarg_preload_offset 0
		.amdhsa_user_sgpr_private_segment_size 0
		.amdhsa_uses_dynamic_stack 0
		.amdhsa_enable_private_segment 0
		.amdhsa_system_sgpr_workgroup_id_x 1
		.amdhsa_system_sgpr_workgroup_id_y 0
		.amdhsa_system_sgpr_workgroup_id_z 0
		.amdhsa_system_sgpr_workgroup_info 0
		.amdhsa_system_vgpr_workitem_id 0
		.amdhsa_next_free_vgpr 1
		.amdhsa_next_free_sgpr 0
		.amdhsa_accum_offset 4
		.amdhsa_reserve_vcc 0
		.amdhsa_float_round_mode_32 0
		.amdhsa_float_round_mode_16_64 0
		.amdhsa_float_denorm_mode_32 3
		.amdhsa_float_denorm_mode_16_64 3
		.amdhsa_dx10_clamp 1
		.amdhsa_ieee_mode 1
		.amdhsa_fp16_overflow 0
		.amdhsa_tg_split 0
		.amdhsa_exception_fp_ieee_invalid_op 0
		.amdhsa_exception_fp_denorm_src 0
		.amdhsa_exception_fp_ieee_div_zero 0
		.amdhsa_exception_fp_ieee_overflow 0
		.amdhsa_exception_fp_ieee_underflow 0
		.amdhsa_exception_fp_ieee_inexact 0
		.amdhsa_exception_int_div_zero 0
	.end_amdhsa_kernel
	.section	.text._ZN7rocprim17ROCPRIM_400000_NS6detail17trampoline_kernelINS0_14default_configENS1_22reduce_config_selectorIsEEZNS1_11reduce_implILb1ES3_N6thrust23THRUST_200600_302600_NS6detail15normal_iteratorINS8_10device_ptrIsEEEEPffNS8_4plusIfEEEE10hipError_tPvRmT1_T2_T3_mT4_P12ihipStream_tbEUlT_E0_NS1_11comp_targetILNS1_3genE9ELNS1_11target_archE1100ELNS1_3gpuE3ELNS1_3repE0EEENS1_30default_config_static_selectorELNS0_4arch9wavefront6targetE1EEEvSK_,"axG",@progbits,_ZN7rocprim17ROCPRIM_400000_NS6detail17trampoline_kernelINS0_14default_configENS1_22reduce_config_selectorIsEEZNS1_11reduce_implILb1ES3_N6thrust23THRUST_200600_302600_NS6detail15normal_iteratorINS8_10device_ptrIsEEEEPffNS8_4plusIfEEEE10hipError_tPvRmT1_T2_T3_mT4_P12ihipStream_tbEUlT_E0_NS1_11comp_targetILNS1_3genE9ELNS1_11target_archE1100ELNS1_3gpuE3ELNS1_3repE0EEENS1_30default_config_static_selectorELNS0_4arch9wavefront6targetE1EEEvSK_,comdat
.Lfunc_end538:
	.size	_ZN7rocprim17ROCPRIM_400000_NS6detail17trampoline_kernelINS0_14default_configENS1_22reduce_config_selectorIsEEZNS1_11reduce_implILb1ES3_N6thrust23THRUST_200600_302600_NS6detail15normal_iteratorINS8_10device_ptrIsEEEEPffNS8_4plusIfEEEE10hipError_tPvRmT1_T2_T3_mT4_P12ihipStream_tbEUlT_E0_NS1_11comp_targetILNS1_3genE9ELNS1_11target_archE1100ELNS1_3gpuE3ELNS1_3repE0EEENS1_30default_config_static_selectorELNS0_4arch9wavefront6targetE1EEEvSK_, .Lfunc_end538-_ZN7rocprim17ROCPRIM_400000_NS6detail17trampoline_kernelINS0_14default_configENS1_22reduce_config_selectorIsEEZNS1_11reduce_implILb1ES3_N6thrust23THRUST_200600_302600_NS6detail15normal_iteratorINS8_10device_ptrIsEEEEPffNS8_4plusIfEEEE10hipError_tPvRmT1_T2_T3_mT4_P12ihipStream_tbEUlT_E0_NS1_11comp_targetILNS1_3genE9ELNS1_11target_archE1100ELNS1_3gpuE3ELNS1_3repE0EEENS1_30default_config_static_selectorELNS0_4arch9wavefront6targetE1EEEvSK_
                                        ; -- End function
	.set _ZN7rocprim17ROCPRIM_400000_NS6detail17trampoline_kernelINS0_14default_configENS1_22reduce_config_selectorIsEEZNS1_11reduce_implILb1ES3_N6thrust23THRUST_200600_302600_NS6detail15normal_iteratorINS8_10device_ptrIsEEEEPffNS8_4plusIfEEEE10hipError_tPvRmT1_T2_T3_mT4_P12ihipStream_tbEUlT_E0_NS1_11comp_targetILNS1_3genE9ELNS1_11target_archE1100ELNS1_3gpuE3ELNS1_3repE0EEENS1_30default_config_static_selectorELNS0_4arch9wavefront6targetE1EEEvSK_.num_vgpr, 0
	.set _ZN7rocprim17ROCPRIM_400000_NS6detail17trampoline_kernelINS0_14default_configENS1_22reduce_config_selectorIsEEZNS1_11reduce_implILb1ES3_N6thrust23THRUST_200600_302600_NS6detail15normal_iteratorINS8_10device_ptrIsEEEEPffNS8_4plusIfEEEE10hipError_tPvRmT1_T2_T3_mT4_P12ihipStream_tbEUlT_E0_NS1_11comp_targetILNS1_3genE9ELNS1_11target_archE1100ELNS1_3gpuE3ELNS1_3repE0EEENS1_30default_config_static_selectorELNS0_4arch9wavefront6targetE1EEEvSK_.num_agpr, 0
	.set _ZN7rocprim17ROCPRIM_400000_NS6detail17trampoline_kernelINS0_14default_configENS1_22reduce_config_selectorIsEEZNS1_11reduce_implILb1ES3_N6thrust23THRUST_200600_302600_NS6detail15normal_iteratorINS8_10device_ptrIsEEEEPffNS8_4plusIfEEEE10hipError_tPvRmT1_T2_T3_mT4_P12ihipStream_tbEUlT_E0_NS1_11comp_targetILNS1_3genE9ELNS1_11target_archE1100ELNS1_3gpuE3ELNS1_3repE0EEENS1_30default_config_static_selectorELNS0_4arch9wavefront6targetE1EEEvSK_.numbered_sgpr, 0
	.set _ZN7rocprim17ROCPRIM_400000_NS6detail17trampoline_kernelINS0_14default_configENS1_22reduce_config_selectorIsEEZNS1_11reduce_implILb1ES3_N6thrust23THRUST_200600_302600_NS6detail15normal_iteratorINS8_10device_ptrIsEEEEPffNS8_4plusIfEEEE10hipError_tPvRmT1_T2_T3_mT4_P12ihipStream_tbEUlT_E0_NS1_11comp_targetILNS1_3genE9ELNS1_11target_archE1100ELNS1_3gpuE3ELNS1_3repE0EEENS1_30default_config_static_selectorELNS0_4arch9wavefront6targetE1EEEvSK_.num_named_barrier, 0
	.set _ZN7rocprim17ROCPRIM_400000_NS6detail17trampoline_kernelINS0_14default_configENS1_22reduce_config_selectorIsEEZNS1_11reduce_implILb1ES3_N6thrust23THRUST_200600_302600_NS6detail15normal_iteratorINS8_10device_ptrIsEEEEPffNS8_4plusIfEEEE10hipError_tPvRmT1_T2_T3_mT4_P12ihipStream_tbEUlT_E0_NS1_11comp_targetILNS1_3genE9ELNS1_11target_archE1100ELNS1_3gpuE3ELNS1_3repE0EEENS1_30default_config_static_selectorELNS0_4arch9wavefront6targetE1EEEvSK_.private_seg_size, 0
	.set _ZN7rocprim17ROCPRIM_400000_NS6detail17trampoline_kernelINS0_14default_configENS1_22reduce_config_selectorIsEEZNS1_11reduce_implILb1ES3_N6thrust23THRUST_200600_302600_NS6detail15normal_iteratorINS8_10device_ptrIsEEEEPffNS8_4plusIfEEEE10hipError_tPvRmT1_T2_T3_mT4_P12ihipStream_tbEUlT_E0_NS1_11comp_targetILNS1_3genE9ELNS1_11target_archE1100ELNS1_3gpuE3ELNS1_3repE0EEENS1_30default_config_static_selectorELNS0_4arch9wavefront6targetE1EEEvSK_.uses_vcc, 0
	.set _ZN7rocprim17ROCPRIM_400000_NS6detail17trampoline_kernelINS0_14default_configENS1_22reduce_config_selectorIsEEZNS1_11reduce_implILb1ES3_N6thrust23THRUST_200600_302600_NS6detail15normal_iteratorINS8_10device_ptrIsEEEEPffNS8_4plusIfEEEE10hipError_tPvRmT1_T2_T3_mT4_P12ihipStream_tbEUlT_E0_NS1_11comp_targetILNS1_3genE9ELNS1_11target_archE1100ELNS1_3gpuE3ELNS1_3repE0EEENS1_30default_config_static_selectorELNS0_4arch9wavefront6targetE1EEEvSK_.uses_flat_scratch, 0
	.set _ZN7rocprim17ROCPRIM_400000_NS6detail17trampoline_kernelINS0_14default_configENS1_22reduce_config_selectorIsEEZNS1_11reduce_implILb1ES3_N6thrust23THRUST_200600_302600_NS6detail15normal_iteratorINS8_10device_ptrIsEEEEPffNS8_4plusIfEEEE10hipError_tPvRmT1_T2_T3_mT4_P12ihipStream_tbEUlT_E0_NS1_11comp_targetILNS1_3genE9ELNS1_11target_archE1100ELNS1_3gpuE3ELNS1_3repE0EEENS1_30default_config_static_selectorELNS0_4arch9wavefront6targetE1EEEvSK_.has_dyn_sized_stack, 0
	.set _ZN7rocprim17ROCPRIM_400000_NS6detail17trampoline_kernelINS0_14default_configENS1_22reduce_config_selectorIsEEZNS1_11reduce_implILb1ES3_N6thrust23THRUST_200600_302600_NS6detail15normal_iteratorINS8_10device_ptrIsEEEEPffNS8_4plusIfEEEE10hipError_tPvRmT1_T2_T3_mT4_P12ihipStream_tbEUlT_E0_NS1_11comp_targetILNS1_3genE9ELNS1_11target_archE1100ELNS1_3gpuE3ELNS1_3repE0EEENS1_30default_config_static_selectorELNS0_4arch9wavefront6targetE1EEEvSK_.has_recursion, 0
	.set _ZN7rocprim17ROCPRIM_400000_NS6detail17trampoline_kernelINS0_14default_configENS1_22reduce_config_selectorIsEEZNS1_11reduce_implILb1ES3_N6thrust23THRUST_200600_302600_NS6detail15normal_iteratorINS8_10device_ptrIsEEEEPffNS8_4plusIfEEEE10hipError_tPvRmT1_T2_T3_mT4_P12ihipStream_tbEUlT_E0_NS1_11comp_targetILNS1_3genE9ELNS1_11target_archE1100ELNS1_3gpuE3ELNS1_3repE0EEENS1_30default_config_static_selectorELNS0_4arch9wavefront6targetE1EEEvSK_.has_indirect_call, 0
	.section	.AMDGPU.csdata,"",@progbits
; Kernel info:
; codeLenInByte = 0
; TotalNumSgprs: 6
; NumVgprs: 0
; NumAgprs: 0
; TotalNumVgprs: 0
; ScratchSize: 0
; MemoryBound: 0
; FloatMode: 240
; IeeeMode: 1
; LDSByteSize: 0 bytes/workgroup (compile time only)
; SGPRBlocks: 0
; VGPRBlocks: 0
; NumSGPRsForWavesPerEU: 6
; NumVGPRsForWavesPerEU: 1
; AccumOffset: 4
; Occupancy: 8
; WaveLimiterHint : 0
; COMPUTE_PGM_RSRC2:SCRATCH_EN: 0
; COMPUTE_PGM_RSRC2:USER_SGPR: 2
; COMPUTE_PGM_RSRC2:TRAP_HANDLER: 0
; COMPUTE_PGM_RSRC2:TGID_X_EN: 1
; COMPUTE_PGM_RSRC2:TGID_Y_EN: 0
; COMPUTE_PGM_RSRC2:TGID_Z_EN: 0
; COMPUTE_PGM_RSRC2:TIDIG_COMP_CNT: 0
; COMPUTE_PGM_RSRC3_GFX90A:ACCUM_OFFSET: 0
; COMPUTE_PGM_RSRC3_GFX90A:TG_SPLIT: 0
	.section	.text._ZN7rocprim17ROCPRIM_400000_NS6detail17trampoline_kernelINS0_14default_configENS1_22reduce_config_selectorIsEEZNS1_11reduce_implILb1ES3_N6thrust23THRUST_200600_302600_NS6detail15normal_iteratorINS8_10device_ptrIsEEEEPffNS8_4plusIfEEEE10hipError_tPvRmT1_T2_T3_mT4_P12ihipStream_tbEUlT_E0_NS1_11comp_targetILNS1_3genE8ELNS1_11target_archE1030ELNS1_3gpuE2ELNS1_3repE0EEENS1_30default_config_static_selectorELNS0_4arch9wavefront6targetE1EEEvSK_,"axG",@progbits,_ZN7rocprim17ROCPRIM_400000_NS6detail17trampoline_kernelINS0_14default_configENS1_22reduce_config_selectorIsEEZNS1_11reduce_implILb1ES3_N6thrust23THRUST_200600_302600_NS6detail15normal_iteratorINS8_10device_ptrIsEEEEPffNS8_4plusIfEEEE10hipError_tPvRmT1_T2_T3_mT4_P12ihipStream_tbEUlT_E0_NS1_11comp_targetILNS1_3genE8ELNS1_11target_archE1030ELNS1_3gpuE2ELNS1_3repE0EEENS1_30default_config_static_selectorELNS0_4arch9wavefront6targetE1EEEvSK_,comdat
	.protected	_ZN7rocprim17ROCPRIM_400000_NS6detail17trampoline_kernelINS0_14default_configENS1_22reduce_config_selectorIsEEZNS1_11reduce_implILb1ES3_N6thrust23THRUST_200600_302600_NS6detail15normal_iteratorINS8_10device_ptrIsEEEEPffNS8_4plusIfEEEE10hipError_tPvRmT1_T2_T3_mT4_P12ihipStream_tbEUlT_E0_NS1_11comp_targetILNS1_3genE8ELNS1_11target_archE1030ELNS1_3gpuE2ELNS1_3repE0EEENS1_30default_config_static_selectorELNS0_4arch9wavefront6targetE1EEEvSK_ ; -- Begin function _ZN7rocprim17ROCPRIM_400000_NS6detail17trampoline_kernelINS0_14default_configENS1_22reduce_config_selectorIsEEZNS1_11reduce_implILb1ES3_N6thrust23THRUST_200600_302600_NS6detail15normal_iteratorINS8_10device_ptrIsEEEEPffNS8_4plusIfEEEE10hipError_tPvRmT1_T2_T3_mT4_P12ihipStream_tbEUlT_E0_NS1_11comp_targetILNS1_3genE8ELNS1_11target_archE1030ELNS1_3gpuE2ELNS1_3repE0EEENS1_30default_config_static_selectorELNS0_4arch9wavefront6targetE1EEEvSK_
	.globl	_ZN7rocprim17ROCPRIM_400000_NS6detail17trampoline_kernelINS0_14default_configENS1_22reduce_config_selectorIsEEZNS1_11reduce_implILb1ES3_N6thrust23THRUST_200600_302600_NS6detail15normal_iteratorINS8_10device_ptrIsEEEEPffNS8_4plusIfEEEE10hipError_tPvRmT1_T2_T3_mT4_P12ihipStream_tbEUlT_E0_NS1_11comp_targetILNS1_3genE8ELNS1_11target_archE1030ELNS1_3gpuE2ELNS1_3repE0EEENS1_30default_config_static_selectorELNS0_4arch9wavefront6targetE1EEEvSK_
	.p2align	8
	.type	_ZN7rocprim17ROCPRIM_400000_NS6detail17trampoline_kernelINS0_14default_configENS1_22reduce_config_selectorIsEEZNS1_11reduce_implILb1ES3_N6thrust23THRUST_200600_302600_NS6detail15normal_iteratorINS8_10device_ptrIsEEEEPffNS8_4plusIfEEEE10hipError_tPvRmT1_T2_T3_mT4_P12ihipStream_tbEUlT_E0_NS1_11comp_targetILNS1_3genE8ELNS1_11target_archE1030ELNS1_3gpuE2ELNS1_3repE0EEENS1_30default_config_static_selectorELNS0_4arch9wavefront6targetE1EEEvSK_,@function
_ZN7rocprim17ROCPRIM_400000_NS6detail17trampoline_kernelINS0_14default_configENS1_22reduce_config_selectorIsEEZNS1_11reduce_implILb1ES3_N6thrust23THRUST_200600_302600_NS6detail15normal_iteratorINS8_10device_ptrIsEEEEPffNS8_4plusIfEEEE10hipError_tPvRmT1_T2_T3_mT4_P12ihipStream_tbEUlT_E0_NS1_11comp_targetILNS1_3genE8ELNS1_11target_archE1030ELNS1_3gpuE2ELNS1_3repE0EEENS1_30default_config_static_selectorELNS0_4arch9wavefront6targetE1EEEvSK_: ; @_ZN7rocprim17ROCPRIM_400000_NS6detail17trampoline_kernelINS0_14default_configENS1_22reduce_config_selectorIsEEZNS1_11reduce_implILb1ES3_N6thrust23THRUST_200600_302600_NS6detail15normal_iteratorINS8_10device_ptrIsEEEEPffNS8_4plusIfEEEE10hipError_tPvRmT1_T2_T3_mT4_P12ihipStream_tbEUlT_E0_NS1_11comp_targetILNS1_3genE8ELNS1_11target_archE1030ELNS1_3gpuE2ELNS1_3repE0EEENS1_30default_config_static_selectorELNS0_4arch9wavefront6targetE1EEEvSK_
; %bb.0:
	.section	.rodata,"a",@progbits
	.p2align	6, 0x0
	.amdhsa_kernel _ZN7rocprim17ROCPRIM_400000_NS6detail17trampoline_kernelINS0_14default_configENS1_22reduce_config_selectorIsEEZNS1_11reduce_implILb1ES3_N6thrust23THRUST_200600_302600_NS6detail15normal_iteratorINS8_10device_ptrIsEEEEPffNS8_4plusIfEEEE10hipError_tPvRmT1_T2_T3_mT4_P12ihipStream_tbEUlT_E0_NS1_11comp_targetILNS1_3genE8ELNS1_11target_archE1030ELNS1_3gpuE2ELNS1_3repE0EEENS1_30default_config_static_selectorELNS0_4arch9wavefront6targetE1EEEvSK_
		.amdhsa_group_segment_fixed_size 0
		.amdhsa_private_segment_fixed_size 0
		.amdhsa_kernarg_size 56
		.amdhsa_user_sgpr_count 2
		.amdhsa_user_sgpr_dispatch_ptr 0
		.amdhsa_user_sgpr_queue_ptr 0
		.amdhsa_user_sgpr_kernarg_segment_ptr 1
		.amdhsa_user_sgpr_dispatch_id 0
		.amdhsa_user_sgpr_kernarg_preload_length 0
		.amdhsa_user_sgpr_kernarg_preload_offset 0
		.amdhsa_user_sgpr_private_segment_size 0
		.amdhsa_uses_dynamic_stack 0
		.amdhsa_enable_private_segment 0
		.amdhsa_system_sgpr_workgroup_id_x 1
		.amdhsa_system_sgpr_workgroup_id_y 0
		.amdhsa_system_sgpr_workgroup_id_z 0
		.amdhsa_system_sgpr_workgroup_info 0
		.amdhsa_system_vgpr_workitem_id 0
		.amdhsa_next_free_vgpr 1
		.amdhsa_next_free_sgpr 0
		.amdhsa_accum_offset 4
		.amdhsa_reserve_vcc 0
		.amdhsa_float_round_mode_32 0
		.amdhsa_float_round_mode_16_64 0
		.amdhsa_float_denorm_mode_32 3
		.amdhsa_float_denorm_mode_16_64 3
		.amdhsa_dx10_clamp 1
		.amdhsa_ieee_mode 1
		.amdhsa_fp16_overflow 0
		.amdhsa_tg_split 0
		.amdhsa_exception_fp_ieee_invalid_op 0
		.amdhsa_exception_fp_denorm_src 0
		.amdhsa_exception_fp_ieee_div_zero 0
		.amdhsa_exception_fp_ieee_overflow 0
		.amdhsa_exception_fp_ieee_underflow 0
		.amdhsa_exception_fp_ieee_inexact 0
		.amdhsa_exception_int_div_zero 0
	.end_amdhsa_kernel
	.section	.text._ZN7rocprim17ROCPRIM_400000_NS6detail17trampoline_kernelINS0_14default_configENS1_22reduce_config_selectorIsEEZNS1_11reduce_implILb1ES3_N6thrust23THRUST_200600_302600_NS6detail15normal_iteratorINS8_10device_ptrIsEEEEPffNS8_4plusIfEEEE10hipError_tPvRmT1_T2_T3_mT4_P12ihipStream_tbEUlT_E0_NS1_11comp_targetILNS1_3genE8ELNS1_11target_archE1030ELNS1_3gpuE2ELNS1_3repE0EEENS1_30default_config_static_selectorELNS0_4arch9wavefront6targetE1EEEvSK_,"axG",@progbits,_ZN7rocprim17ROCPRIM_400000_NS6detail17trampoline_kernelINS0_14default_configENS1_22reduce_config_selectorIsEEZNS1_11reduce_implILb1ES3_N6thrust23THRUST_200600_302600_NS6detail15normal_iteratorINS8_10device_ptrIsEEEEPffNS8_4plusIfEEEE10hipError_tPvRmT1_T2_T3_mT4_P12ihipStream_tbEUlT_E0_NS1_11comp_targetILNS1_3genE8ELNS1_11target_archE1030ELNS1_3gpuE2ELNS1_3repE0EEENS1_30default_config_static_selectorELNS0_4arch9wavefront6targetE1EEEvSK_,comdat
.Lfunc_end539:
	.size	_ZN7rocprim17ROCPRIM_400000_NS6detail17trampoline_kernelINS0_14default_configENS1_22reduce_config_selectorIsEEZNS1_11reduce_implILb1ES3_N6thrust23THRUST_200600_302600_NS6detail15normal_iteratorINS8_10device_ptrIsEEEEPffNS8_4plusIfEEEE10hipError_tPvRmT1_T2_T3_mT4_P12ihipStream_tbEUlT_E0_NS1_11comp_targetILNS1_3genE8ELNS1_11target_archE1030ELNS1_3gpuE2ELNS1_3repE0EEENS1_30default_config_static_selectorELNS0_4arch9wavefront6targetE1EEEvSK_, .Lfunc_end539-_ZN7rocprim17ROCPRIM_400000_NS6detail17trampoline_kernelINS0_14default_configENS1_22reduce_config_selectorIsEEZNS1_11reduce_implILb1ES3_N6thrust23THRUST_200600_302600_NS6detail15normal_iteratorINS8_10device_ptrIsEEEEPffNS8_4plusIfEEEE10hipError_tPvRmT1_T2_T3_mT4_P12ihipStream_tbEUlT_E0_NS1_11comp_targetILNS1_3genE8ELNS1_11target_archE1030ELNS1_3gpuE2ELNS1_3repE0EEENS1_30default_config_static_selectorELNS0_4arch9wavefront6targetE1EEEvSK_
                                        ; -- End function
	.set _ZN7rocprim17ROCPRIM_400000_NS6detail17trampoline_kernelINS0_14default_configENS1_22reduce_config_selectorIsEEZNS1_11reduce_implILb1ES3_N6thrust23THRUST_200600_302600_NS6detail15normal_iteratorINS8_10device_ptrIsEEEEPffNS8_4plusIfEEEE10hipError_tPvRmT1_T2_T3_mT4_P12ihipStream_tbEUlT_E0_NS1_11comp_targetILNS1_3genE8ELNS1_11target_archE1030ELNS1_3gpuE2ELNS1_3repE0EEENS1_30default_config_static_selectorELNS0_4arch9wavefront6targetE1EEEvSK_.num_vgpr, 0
	.set _ZN7rocprim17ROCPRIM_400000_NS6detail17trampoline_kernelINS0_14default_configENS1_22reduce_config_selectorIsEEZNS1_11reduce_implILb1ES3_N6thrust23THRUST_200600_302600_NS6detail15normal_iteratorINS8_10device_ptrIsEEEEPffNS8_4plusIfEEEE10hipError_tPvRmT1_T2_T3_mT4_P12ihipStream_tbEUlT_E0_NS1_11comp_targetILNS1_3genE8ELNS1_11target_archE1030ELNS1_3gpuE2ELNS1_3repE0EEENS1_30default_config_static_selectorELNS0_4arch9wavefront6targetE1EEEvSK_.num_agpr, 0
	.set _ZN7rocprim17ROCPRIM_400000_NS6detail17trampoline_kernelINS0_14default_configENS1_22reduce_config_selectorIsEEZNS1_11reduce_implILb1ES3_N6thrust23THRUST_200600_302600_NS6detail15normal_iteratorINS8_10device_ptrIsEEEEPffNS8_4plusIfEEEE10hipError_tPvRmT1_T2_T3_mT4_P12ihipStream_tbEUlT_E0_NS1_11comp_targetILNS1_3genE8ELNS1_11target_archE1030ELNS1_3gpuE2ELNS1_3repE0EEENS1_30default_config_static_selectorELNS0_4arch9wavefront6targetE1EEEvSK_.numbered_sgpr, 0
	.set _ZN7rocprim17ROCPRIM_400000_NS6detail17trampoline_kernelINS0_14default_configENS1_22reduce_config_selectorIsEEZNS1_11reduce_implILb1ES3_N6thrust23THRUST_200600_302600_NS6detail15normal_iteratorINS8_10device_ptrIsEEEEPffNS8_4plusIfEEEE10hipError_tPvRmT1_T2_T3_mT4_P12ihipStream_tbEUlT_E0_NS1_11comp_targetILNS1_3genE8ELNS1_11target_archE1030ELNS1_3gpuE2ELNS1_3repE0EEENS1_30default_config_static_selectorELNS0_4arch9wavefront6targetE1EEEvSK_.num_named_barrier, 0
	.set _ZN7rocprim17ROCPRIM_400000_NS6detail17trampoline_kernelINS0_14default_configENS1_22reduce_config_selectorIsEEZNS1_11reduce_implILb1ES3_N6thrust23THRUST_200600_302600_NS6detail15normal_iteratorINS8_10device_ptrIsEEEEPffNS8_4plusIfEEEE10hipError_tPvRmT1_T2_T3_mT4_P12ihipStream_tbEUlT_E0_NS1_11comp_targetILNS1_3genE8ELNS1_11target_archE1030ELNS1_3gpuE2ELNS1_3repE0EEENS1_30default_config_static_selectorELNS0_4arch9wavefront6targetE1EEEvSK_.private_seg_size, 0
	.set _ZN7rocprim17ROCPRIM_400000_NS6detail17trampoline_kernelINS0_14default_configENS1_22reduce_config_selectorIsEEZNS1_11reduce_implILb1ES3_N6thrust23THRUST_200600_302600_NS6detail15normal_iteratorINS8_10device_ptrIsEEEEPffNS8_4plusIfEEEE10hipError_tPvRmT1_T2_T3_mT4_P12ihipStream_tbEUlT_E0_NS1_11comp_targetILNS1_3genE8ELNS1_11target_archE1030ELNS1_3gpuE2ELNS1_3repE0EEENS1_30default_config_static_selectorELNS0_4arch9wavefront6targetE1EEEvSK_.uses_vcc, 0
	.set _ZN7rocprim17ROCPRIM_400000_NS6detail17trampoline_kernelINS0_14default_configENS1_22reduce_config_selectorIsEEZNS1_11reduce_implILb1ES3_N6thrust23THRUST_200600_302600_NS6detail15normal_iteratorINS8_10device_ptrIsEEEEPffNS8_4plusIfEEEE10hipError_tPvRmT1_T2_T3_mT4_P12ihipStream_tbEUlT_E0_NS1_11comp_targetILNS1_3genE8ELNS1_11target_archE1030ELNS1_3gpuE2ELNS1_3repE0EEENS1_30default_config_static_selectorELNS0_4arch9wavefront6targetE1EEEvSK_.uses_flat_scratch, 0
	.set _ZN7rocprim17ROCPRIM_400000_NS6detail17trampoline_kernelINS0_14default_configENS1_22reduce_config_selectorIsEEZNS1_11reduce_implILb1ES3_N6thrust23THRUST_200600_302600_NS6detail15normal_iteratorINS8_10device_ptrIsEEEEPffNS8_4plusIfEEEE10hipError_tPvRmT1_T2_T3_mT4_P12ihipStream_tbEUlT_E0_NS1_11comp_targetILNS1_3genE8ELNS1_11target_archE1030ELNS1_3gpuE2ELNS1_3repE0EEENS1_30default_config_static_selectorELNS0_4arch9wavefront6targetE1EEEvSK_.has_dyn_sized_stack, 0
	.set _ZN7rocprim17ROCPRIM_400000_NS6detail17trampoline_kernelINS0_14default_configENS1_22reduce_config_selectorIsEEZNS1_11reduce_implILb1ES3_N6thrust23THRUST_200600_302600_NS6detail15normal_iteratorINS8_10device_ptrIsEEEEPffNS8_4plusIfEEEE10hipError_tPvRmT1_T2_T3_mT4_P12ihipStream_tbEUlT_E0_NS1_11comp_targetILNS1_3genE8ELNS1_11target_archE1030ELNS1_3gpuE2ELNS1_3repE0EEENS1_30default_config_static_selectorELNS0_4arch9wavefront6targetE1EEEvSK_.has_recursion, 0
	.set _ZN7rocprim17ROCPRIM_400000_NS6detail17trampoline_kernelINS0_14default_configENS1_22reduce_config_selectorIsEEZNS1_11reduce_implILb1ES3_N6thrust23THRUST_200600_302600_NS6detail15normal_iteratorINS8_10device_ptrIsEEEEPffNS8_4plusIfEEEE10hipError_tPvRmT1_T2_T3_mT4_P12ihipStream_tbEUlT_E0_NS1_11comp_targetILNS1_3genE8ELNS1_11target_archE1030ELNS1_3gpuE2ELNS1_3repE0EEENS1_30default_config_static_selectorELNS0_4arch9wavefront6targetE1EEEvSK_.has_indirect_call, 0
	.section	.AMDGPU.csdata,"",@progbits
; Kernel info:
; codeLenInByte = 0
; TotalNumSgprs: 6
; NumVgprs: 0
; NumAgprs: 0
; TotalNumVgprs: 0
; ScratchSize: 0
; MemoryBound: 0
; FloatMode: 240
; IeeeMode: 1
; LDSByteSize: 0 bytes/workgroup (compile time only)
; SGPRBlocks: 0
; VGPRBlocks: 0
; NumSGPRsForWavesPerEU: 6
; NumVGPRsForWavesPerEU: 1
; AccumOffset: 4
; Occupancy: 8
; WaveLimiterHint : 0
; COMPUTE_PGM_RSRC2:SCRATCH_EN: 0
; COMPUTE_PGM_RSRC2:USER_SGPR: 2
; COMPUTE_PGM_RSRC2:TRAP_HANDLER: 0
; COMPUTE_PGM_RSRC2:TGID_X_EN: 1
; COMPUTE_PGM_RSRC2:TGID_Y_EN: 0
; COMPUTE_PGM_RSRC2:TGID_Z_EN: 0
; COMPUTE_PGM_RSRC2:TIDIG_COMP_CNT: 0
; COMPUTE_PGM_RSRC3_GFX90A:ACCUM_OFFSET: 0
; COMPUTE_PGM_RSRC3_GFX90A:TG_SPLIT: 0
	.section	.text._ZN7rocprim17ROCPRIM_400000_NS6detail17trampoline_kernelINS0_14default_configENS1_22reduce_config_selectorIsEEZNS1_11reduce_implILb1ES3_N6thrust23THRUST_200600_302600_NS6detail15normal_iteratorINS8_10device_ptrIsEEEEPffNS8_4plusIfEEEE10hipError_tPvRmT1_T2_T3_mT4_P12ihipStream_tbEUlT_E1_NS1_11comp_targetILNS1_3genE0ELNS1_11target_archE4294967295ELNS1_3gpuE0ELNS1_3repE0EEENS1_30default_config_static_selectorELNS0_4arch9wavefront6targetE1EEEvSK_,"axG",@progbits,_ZN7rocprim17ROCPRIM_400000_NS6detail17trampoline_kernelINS0_14default_configENS1_22reduce_config_selectorIsEEZNS1_11reduce_implILb1ES3_N6thrust23THRUST_200600_302600_NS6detail15normal_iteratorINS8_10device_ptrIsEEEEPffNS8_4plusIfEEEE10hipError_tPvRmT1_T2_T3_mT4_P12ihipStream_tbEUlT_E1_NS1_11comp_targetILNS1_3genE0ELNS1_11target_archE4294967295ELNS1_3gpuE0ELNS1_3repE0EEENS1_30default_config_static_selectorELNS0_4arch9wavefront6targetE1EEEvSK_,comdat
	.protected	_ZN7rocprim17ROCPRIM_400000_NS6detail17trampoline_kernelINS0_14default_configENS1_22reduce_config_selectorIsEEZNS1_11reduce_implILb1ES3_N6thrust23THRUST_200600_302600_NS6detail15normal_iteratorINS8_10device_ptrIsEEEEPffNS8_4plusIfEEEE10hipError_tPvRmT1_T2_T3_mT4_P12ihipStream_tbEUlT_E1_NS1_11comp_targetILNS1_3genE0ELNS1_11target_archE4294967295ELNS1_3gpuE0ELNS1_3repE0EEENS1_30default_config_static_selectorELNS0_4arch9wavefront6targetE1EEEvSK_ ; -- Begin function _ZN7rocprim17ROCPRIM_400000_NS6detail17trampoline_kernelINS0_14default_configENS1_22reduce_config_selectorIsEEZNS1_11reduce_implILb1ES3_N6thrust23THRUST_200600_302600_NS6detail15normal_iteratorINS8_10device_ptrIsEEEEPffNS8_4plusIfEEEE10hipError_tPvRmT1_T2_T3_mT4_P12ihipStream_tbEUlT_E1_NS1_11comp_targetILNS1_3genE0ELNS1_11target_archE4294967295ELNS1_3gpuE0ELNS1_3repE0EEENS1_30default_config_static_selectorELNS0_4arch9wavefront6targetE1EEEvSK_
	.globl	_ZN7rocprim17ROCPRIM_400000_NS6detail17trampoline_kernelINS0_14default_configENS1_22reduce_config_selectorIsEEZNS1_11reduce_implILb1ES3_N6thrust23THRUST_200600_302600_NS6detail15normal_iteratorINS8_10device_ptrIsEEEEPffNS8_4plusIfEEEE10hipError_tPvRmT1_T2_T3_mT4_P12ihipStream_tbEUlT_E1_NS1_11comp_targetILNS1_3genE0ELNS1_11target_archE4294967295ELNS1_3gpuE0ELNS1_3repE0EEENS1_30default_config_static_selectorELNS0_4arch9wavefront6targetE1EEEvSK_
	.p2align	8
	.type	_ZN7rocprim17ROCPRIM_400000_NS6detail17trampoline_kernelINS0_14default_configENS1_22reduce_config_selectorIsEEZNS1_11reduce_implILb1ES3_N6thrust23THRUST_200600_302600_NS6detail15normal_iteratorINS8_10device_ptrIsEEEEPffNS8_4plusIfEEEE10hipError_tPvRmT1_T2_T3_mT4_P12ihipStream_tbEUlT_E1_NS1_11comp_targetILNS1_3genE0ELNS1_11target_archE4294967295ELNS1_3gpuE0ELNS1_3repE0EEENS1_30default_config_static_selectorELNS0_4arch9wavefront6targetE1EEEvSK_,@function
_ZN7rocprim17ROCPRIM_400000_NS6detail17trampoline_kernelINS0_14default_configENS1_22reduce_config_selectorIsEEZNS1_11reduce_implILb1ES3_N6thrust23THRUST_200600_302600_NS6detail15normal_iteratorINS8_10device_ptrIsEEEEPffNS8_4plusIfEEEE10hipError_tPvRmT1_T2_T3_mT4_P12ihipStream_tbEUlT_E1_NS1_11comp_targetILNS1_3genE0ELNS1_11target_archE4294967295ELNS1_3gpuE0ELNS1_3repE0EEENS1_30default_config_static_selectorELNS0_4arch9wavefront6targetE1EEEvSK_: ; @_ZN7rocprim17ROCPRIM_400000_NS6detail17trampoline_kernelINS0_14default_configENS1_22reduce_config_selectorIsEEZNS1_11reduce_implILb1ES3_N6thrust23THRUST_200600_302600_NS6detail15normal_iteratorINS8_10device_ptrIsEEEEPffNS8_4plusIfEEEE10hipError_tPvRmT1_T2_T3_mT4_P12ihipStream_tbEUlT_E1_NS1_11comp_targetILNS1_3genE0ELNS1_11target_archE4294967295ELNS1_3gpuE0ELNS1_3repE0EEENS1_30default_config_static_selectorELNS0_4arch9wavefront6targetE1EEEvSK_
; %bb.0:
	s_load_dword s33, s[0:1], 0x4
	s_load_dwordx4 s[68:71], s[0:1], 0x8
	s_waitcnt lgkmcnt(0)
	s_cmp_lt_i32 s33, 8
	s_cbranch_scc1 .LBB540_12
; %bb.1:
	s_cmp_gt_i32 s33, 31
	s_cbranch_scc0 .LBB540_13
; %bb.2:
	s_cmp_gt_i32 s33, 63
	s_cbranch_scc0 .LBB540_22
; %bb.3:
	s_cmp_eq_u32 s33, 64
	s_mov_b64 s[38:39], 0
	s_cbranch_scc0 .LBB540_23
; %bb.4:
	s_mov_b32 s3, 0
	s_lshl_b32 s4, s2, 13
	s_mov_b32 s5, s3
	s_lshr_b64 s[6:7], s[70:71], 13
	s_lshl_b64 s[8:9], s[4:5], 1
	s_add_u32 s40, s68, s8
	s_addc_u32 s41, s69, s9
	s_cmp_lg_u64 s[6:7], s[2:3]
	s_cbranch_scc0 .LBB540_34
; %bb.5:
	v_lshlrev_b32_e32 v2, 1, v0
	global_load_sshort v1, v2, s[40:41]
	global_load_sshort v10, v2, s[40:41] offset:256
	global_load_sshort v11, v2, s[40:41] offset:512
	;; [unrolled: 1-line block ×8, first 2 shown]
	v_mov_b32_e32 v3, 0
	v_lshl_add_u64 v[4:5], s[40:41], 0, v[2:3]
	s_movk_i32 s5, 0x1000
	v_add_co_u32_e32 v6, vcc, s5, v4
	s_movk_i32 s5, 0x2000
	s_nop 0
	v_addc_co_u32_e32 v7, vcc, 0, v5, vcc
	v_add_co_u32_e32 v8, vcc, s5, v4
	s_movk_i32 s5, 0x3000
	s_nop 0
	v_addc_co_u32_e32 v9, vcc, 0, v5, vcc
	global_load_sshort v18, v2, s[40:41] offset:2304
	global_load_sshort v19, v2, s[40:41] offset:2560
	;; [unrolled: 1-line block ×7, first 2 shown]
	global_load_sshort v25, v[8:9], off offset:-4096
	global_load_sshort v26, v[6:7], off offset:256
	global_load_sshort v27, v[6:7], off offset:512
	;; [unrolled: 1-line block ×7, first 2 shown]
                                        ; kill: killed $vgpr2
	global_load_sshort v33, v[6:7], off offset:2048
	global_load_sshort v34, v[6:7], off offset:2304
	;; [unrolled: 1-line block ×8, first 2 shown]
	global_load_sshort v41, v[8:9], off
	global_load_sshort v42, v[8:9], off offset:256
	global_load_sshort v43, v[8:9], off offset:512
	global_load_sshort v44, v[8:9], off offset:768
	global_load_sshort v45, v[8:9], off offset:1024
	global_load_sshort v46, v[8:9], off offset:1280
	global_load_sshort v47, v[8:9], off offset:1536
                                        ; kill: killed $vgpr6 killed $vgpr7
	global_load_sshort v6, v[8:9], off offset:1792
	global_load_sshort v7, v[8:9], off offset:2048
	;; [unrolled: 1-line block ×9, first 2 shown]
	v_add_co_u32_e32 v2, vcc, s5, v4
	s_waitcnt vmcnt(47)
	v_cvt_f32_i32_e32 v1, v1
	v_addc_co_u32_e32 v3, vcc, 0, v5, vcc
	global_load_sshort v4, v[2:3], off
	global_load_sshort v5, v[2:3], off offset:256
	global_load_sshort v8, v[2:3], off offset:512
	;; [unrolled: 1-line block ×14, first 2 shown]
	s_nop 0
	global_load_sshort v2, v[2:3], off offset:3840
	s_waitcnt vmcnt(62)
	v_cvt_f32_i32_e32 v3, v10
	s_waitcnt vmcnt(61)
	v_cvt_f32_i32_e32 v10, v11
	;; [unrolled: 2-line block ×5, first 2 shown]
	v_add_f32_e32 v1, v1, v3
	s_waitcnt vmcnt(57)
	v_cvt_f32_i32_e32 v14, v15
	v_add_f32_e32 v1, v1, v10
	s_waitcnt vmcnt(56)
	v_cvt_f32_i32_e32 v15, v16
	;; [unrolled: 3-line block ×58, first 2 shown]
	v_add_f32_e32 v1, v1, v61
	v_add_f32_e32 v1, v1, v62
	;; [unrolled: 1-line block ×5, first 2 shown]
	v_mbcnt_lo_u32_b32 v2, -1, 0
	v_mbcnt_hi_u32_b32 v2, -1, v2
	v_add_f32_dpp v1, v1, v1 quad_perm:[1,0,3,2] row_mask:0xf bank_mask:0xf bound_ctrl:1
	v_lshlrev_b32_e32 v3, 2, v2
	v_or_b32_e32 v4, 0xfc, v3
	v_add_f32_dpp v1, v1, v1 quad_perm:[2,3,0,1] row_mask:0xf bank_mask:0xf bound_ctrl:1
	v_cmp_eq_u32_e32 vcc, 0, v2
	s_nop 0
	v_add_f32_dpp v1, v1, v1 row_ror:4 row_mask:0xf bank_mask:0xf bound_ctrl:1
	s_nop 1
	v_add_f32_dpp v1, v1, v1 row_ror:8 row_mask:0xf bank_mask:0xf bound_ctrl:1
	s_nop 1
	v_add_f32_dpp v1, v1, v1 row_bcast:15 row_mask:0xf bank_mask:0xf bound_ctrl:1
	s_nop 1
	v_add_f32_dpp v1, v1, v1 row_bcast:31 row_mask:0xf bank_mask:0xf bound_ctrl:1
	ds_bpermute_b32 v1, v4, v1
	s_and_saveexec_b64 s[6:7], vcc
	s_cbranch_execz .LBB540_7
; %bb.6:
	v_lshrrev_b32_e32 v4, 4, v0
	v_and_b32_e32 v4, 4, v4
	s_waitcnt lgkmcnt(0)
	ds_write_b32 v4, v1 offset:40
.LBB540_7:
	s_or_b64 exec, exec, s[6:7]
	v_cmp_gt_u32_e32 vcc, 64, v0
	s_waitcnt lgkmcnt(0)
	s_barrier
	s_and_saveexec_b64 s[6:7], vcc
	s_cbranch_execz .LBB540_9
; %bb.8:
	v_and_b32_e32 v1, 1, v2
	v_lshlrev_b32_e32 v1, 2, v1
	ds_read_b32 v1, v1 offset:40
	v_or_b32_e32 v2, 4, v3
	s_waitcnt lgkmcnt(0)
	ds_bpermute_b32 v2, v2, v1
	s_waitcnt lgkmcnt(0)
	v_add_f32_e32 v1, v1, v2
.LBB540_9:
	s_or_b64 exec, exec, s[6:7]
.LBB540_10:
	v_cmp_eq_u32_e64 s[4:5], 0, v0
	s_and_b64 vcc, exec, s[38:39]
	s_cbranch_vccnz .LBB540_24
.LBB540_11:
	s_branch .LBB540_288
.LBB540_12:
	s_mov_b64 s[4:5], 0
                                        ; implicit-def: $vgpr1
	s_cbranch_execz .LBB540_371
	s_branch .LBB540_289
.LBB540_13:
	s_mov_b64 s[4:5], 0
                                        ; implicit-def: $vgpr1
	s_cbranch_execz .LBB540_288
; %bb.14:
	s_cmp_gt_i32 s33, 15
	s_cbranch_scc0 .LBB540_31
; %bb.15:
	s_cmp_eq_u32 s33, 16
	s_cbranch_scc0 .LBB540_32
; %bb.16:
	s_mov_b32 s3, 0
	s_lshl_b32 s4, s2, 11
	s_mov_b32 s5, s3
	s_lshr_b64 s[6:7], s[70:71], 11
	s_lshl_b64 s[8:9], s[4:5], 1
	s_add_u32 s34, s68, s8
	s_addc_u32 s35, s69, s9
	s_cmp_lg_u64 s[6:7], s[2:3]
	s_cbranch_scc0 .LBB540_168
; %bb.17:
	v_lshlrev_b32_e32 v1, 1, v0
	global_load_sshort v4, v1, s[34:35]
	global_load_sshort v5, v1, s[34:35] offset:256
	global_load_sshort v6, v1, s[34:35] offset:512
	;; [unrolled: 1-line block ×14, first 2 shown]
	s_nop 0
	global_load_sshort v1, v1, s[34:35] offset:3840
	v_mbcnt_lo_u32_b32 v2, -1, 0
	v_mbcnt_hi_u32_b32 v2, -1, v2
	v_lshlrev_b32_e32 v3, 2, v2
	v_cmp_eq_u32_e32 vcc, 0, v2
	s_waitcnt vmcnt(15)
	v_cvt_f32_i32_e32 v4, v4
	s_waitcnt vmcnt(14)
	v_cvt_f32_i32_e32 v5, v5
	;; [unrolled: 2-line block ×6, first 2 shown]
	v_add_f32_e32 v4, v4, v5
	s_waitcnt vmcnt(9)
	v_cvt_f32_i32_e32 v10, v10
	v_add_f32_e32 v4, v4, v6
	s_waitcnt vmcnt(8)
	v_cvt_f32_i32_e32 v11, v11
	;; [unrolled: 3-line block ×10, first 2 shown]
	v_add_f32_e32 v4, v4, v15
	v_add_f32_e32 v4, v4, v16
	;; [unrolled: 1-line block ×5, first 2 shown]
	v_or_b32_e32 v4, 0xfc, v3
	s_nop 0
	v_add_f32_dpp v1, v1, v1 quad_perm:[1,0,3,2] row_mask:0xf bank_mask:0xf bound_ctrl:1
	s_nop 1
	v_add_f32_dpp v1, v1, v1 quad_perm:[2,3,0,1] row_mask:0xf bank_mask:0xf bound_ctrl:1
	s_nop 1
	v_add_f32_dpp v1, v1, v1 row_ror:4 row_mask:0xf bank_mask:0xf bound_ctrl:1
	s_nop 1
	v_add_f32_dpp v1, v1, v1 row_ror:8 row_mask:0xf bank_mask:0xf bound_ctrl:1
	s_nop 1
	v_add_f32_dpp v1, v1, v1 row_bcast:15 row_mask:0xf bank_mask:0xf bound_ctrl:1
	s_nop 1
	v_add_f32_dpp v1, v1, v1 row_bcast:31 row_mask:0xf bank_mask:0xf bound_ctrl:1
	ds_bpermute_b32 v1, v4, v1
	s_and_saveexec_b64 s[6:7], vcc
	s_cbranch_execz .LBB540_19
; %bb.18:
	v_lshrrev_b32_e32 v4, 4, v0
	v_and_b32_e32 v4, 4, v4
	s_waitcnt lgkmcnt(0)
	ds_write_b32 v4, v1
.LBB540_19:
	s_or_b64 exec, exec, s[6:7]
	v_cmp_gt_u32_e32 vcc, 64, v0
	s_waitcnt lgkmcnt(0)
	s_barrier
	s_and_saveexec_b64 s[6:7], vcc
	s_cbranch_execz .LBB540_21
; %bb.20:
	v_and_b32_e32 v1, 1, v2
	v_lshlrev_b32_e32 v1, 2, v1
	ds_read_b32 v1, v1
	v_or_b32_e32 v2, 4, v3
	s_waitcnt lgkmcnt(0)
	ds_bpermute_b32 v2, v2, v1
	s_waitcnt lgkmcnt(0)
	v_add_f32_e32 v1, v1, v2
.LBB540_21:
	s_or_b64 exec, exec, s[6:7]
	s_mov_b64 s[6:7], 0
	s_branch .LBB540_169
.LBB540_22:
	s_mov_b64 s[38:39], -1
.LBB540_23:
	s_mov_b64 s[4:5], 0
                                        ; implicit-def: $vgpr1
	s_and_b64 vcc, exec, s[38:39]
	s_cbranch_vccz .LBB540_11
.LBB540_24:
	s_cmp_eq_u32 s33, 32
	s_cbranch_scc0 .LBB540_33
; %bb.25:
	s_mov_b32 s3, 0
	s_lshl_b32 s4, s2, 12
	s_mov_b32 s5, s3
	s_lshr_b64 s[6:7], s[70:71], 12
	s_lshl_b64 s[8:9], s[4:5], 1
	s_add_u32 s66, s68, s8
	s_addc_u32 s67, s69, s9
	s_cmp_lg_u64 s[6:7], s[2:3]
	s_cbranch_scc0 .LBB540_216
; %bb.26:
	v_lshlrev_b32_e32 v2, 1, v0
	global_load_sshort v1, v2, s[66:67]
	global_load_sshort v6, v2, s[66:67] offset:256
	global_load_sshort v7, v2, s[66:67] offset:512
	;; [unrolled: 1-line block ×15, first 2 shown]
	v_mov_b32_e32 v3, 0
	v_lshl_add_u64 v[4:5], s[66:67], 0, v[2:3]
	s_movk_i32 s5, 0x1000
	v_add_co_u32_e32 v2, vcc, s5, v4
	s_waitcnt vmcnt(15)
	v_cvt_f32_i32_e32 v1, v1
	v_addc_co_u32_e32 v3, vcc, 0, v5, vcc
	global_load_sshort v4, v[2:3], off
	global_load_sshort v5, v[2:3], off offset:256
	global_load_sshort v21, v[2:3], off offset:512
	;; [unrolled: 1-line block ×15, first 2 shown]
	s_waitcnt vmcnt(30)
	v_cvt_f32_i32_e32 v6, v6
	s_waitcnt vmcnt(29)
	v_cvt_f32_i32_e32 v7, v7
	;; [unrolled: 2-line block ×5, first 2 shown]
	v_add_f32_e32 v1, v1, v6
	s_waitcnt vmcnt(25)
	v_cvt_f32_i32_e32 v11, v11
	v_add_f32_e32 v1, v1, v7
	s_waitcnt vmcnt(24)
	v_cvt_f32_i32_e32 v12, v12
	;; [unrolled: 3-line block ×10, first 2 shown]
	v_add_f32_e32 v1, v1, v16
	v_add_f32_e32 v1, v1, v17
	;; [unrolled: 1-line block ×5, first 2 shown]
	v_mbcnt_lo_u32_b32 v2, -1, 0
	v_mbcnt_hi_u32_b32 v2, -1, v2
	v_lshlrev_b32_e32 v3, 2, v2
	v_cmp_eq_u32_e32 vcc, 0, v2
	s_waitcnt vmcnt(15)
	v_cvt_f32_i32_e32 v4, v4
	s_waitcnt vmcnt(14)
	v_cvt_f32_i32_e32 v5, v5
	;; [unrolled: 2-line block ×5, first 2 shown]
	v_add_f32_e32 v1, v1, v4
	s_waitcnt vmcnt(10)
	v_cvt_f32_i32_e32 v24, v24
	v_add_f32_e32 v1, v1, v5
	s_waitcnt vmcnt(9)
	v_cvt_f32_i32_e32 v25, v25
	;; [unrolled: 3-line block ×11, first 2 shown]
	v_add_f32_e32 v1, v1, v30
	v_add_f32_e32 v1, v1, v31
	;; [unrolled: 1-line block ×5, first 2 shown]
	v_or_b32_e32 v4, 0xfc, v3
	s_nop 0
	v_add_f32_dpp v1, v1, v1 quad_perm:[1,0,3,2] row_mask:0xf bank_mask:0xf bound_ctrl:1
	s_nop 1
	v_add_f32_dpp v1, v1, v1 quad_perm:[2,3,0,1] row_mask:0xf bank_mask:0xf bound_ctrl:1
	s_nop 1
	v_add_f32_dpp v1, v1, v1 row_ror:4 row_mask:0xf bank_mask:0xf bound_ctrl:1
	s_nop 1
	v_add_f32_dpp v1, v1, v1 row_ror:8 row_mask:0xf bank_mask:0xf bound_ctrl:1
	s_nop 1
	v_add_f32_dpp v1, v1, v1 row_bcast:15 row_mask:0xf bank_mask:0xf bound_ctrl:1
	s_nop 1
	v_add_f32_dpp v1, v1, v1 row_bcast:31 row_mask:0xf bank_mask:0xf bound_ctrl:1
	ds_bpermute_b32 v1, v4, v1
	s_and_saveexec_b64 s[6:7], vcc
	s_cbranch_execz .LBB540_28
; %bb.27:
	v_lshrrev_b32_e32 v4, 4, v0
	v_and_b32_e32 v4, 4, v4
	s_waitcnt lgkmcnt(0)
	ds_write_b32 v4, v1 offset:24
.LBB540_28:
	s_or_b64 exec, exec, s[6:7]
	v_cmp_gt_u32_e32 vcc, 64, v0
	s_waitcnt lgkmcnt(0)
	s_barrier
	s_and_saveexec_b64 s[6:7], vcc
	s_cbranch_execz .LBB540_30
; %bb.29:
	v_and_b32_e32 v1, 1, v2
	v_lshlrev_b32_e32 v1, 2, v1
	ds_read_b32 v1, v1 offset:24
	v_or_b32_e32 v2, 4, v3
	s_waitcnt lgkmcnt(0)
	ds_bpermute_b32 v2, v2, v1
	s_waitcnt lgkmcnt(0)
	v_add_f32_e32 v1, v1, v2
.LBB540_30:
	s_or_b64 exec, exec, s[6:7]
	s_mov_b64 s[6:7], 0
	s_branch .LBB540_217
.LBB540_31:
                                        ; implicit-def: $vgpr1
	s_cbranch_execz .LBB540_288
	s_branch .LBB540_208
.LBB540_32:
                                        ; implicit-def: $vgpr1
	s_branch .LBB540_288
.LBB540_33:
                                        ; implicit-def: $vgpr1
	s_branch .LBB540_288
.LBB540_34:
                                        ; implicit-def: $vgpr1
	s_cbranch_execz .LBB540_10
; %bb.35:
	s_sub_i32 s44, s70, s4
	v_cmp_gt_u32_e32 vcc, s44, v0
                                        ; implicit-def: $vgpr1
	s_and_saveexec_b64 s[4:5], vcc
	s_cbranch_execz .LBB540_37
; %bb.36:
	v_lshlrev_b32_e32 v1, 1, v0
	global_load_sshort v1, v1, s[40:41]
	s_waitcnt vmcnt(0)
	v_cvt_f32_i32_e32 v1, v1
.LBB540_37:
	s_or_b64 exec, exec, s[4:5]
	v_or_b32_e32 v2, 0x80, v0
	v_cmp_gt_u32_e64 s[6:7], s44, v2
                                        ; implicit-def: $vgpr2
	s_mov_b64 s[4:5], exec
                                        ; implicit-def: $vgpr66 : SGPR spill to VGPR lane
	s_nop 0
	v_writelane_b32 v66, s6, 0
	s_nop 1
	v_writelane_b32 v66, s7, 1
	s_and_b64 s[6:7], s[4:5], s[6:7]
	s_mov_b64 exec, s[6:7]
	s_cbranch_execz .LBB540_39
; %bb.38:
	v_lshlrev_b32_e32 v2, 1, v0
	global_load_sshort v2, v2, s[40:41] offset:256
	s_waitcnt vmcnt(0)
	v_cvt_f32_i32_e32 v2, v2
.LBB540_39:
	s_or_b64 exec, exec, s[4:5]
	v_or_b32_e32 v3, 0x100, v0
	v_cmp_gt_u32_e64 s[6:7], s44, v3
                                        ; implicit-def: $vgpr3
	s_mov_b64 s[4:5], exec
	s_nop 0
	v_writelane_b32 v66, s6, 2
	s_nop 1
	v_writelane_b32 v66, s7, 3
	s_and_b64 s[6:7], s[4:5], s[6:7]
	s_mov_b64 exec, s[6:7]
	s_cbranch_execz .LBB540_41
; %bb.40:
	v_lshlrev_b32_e32 v3, 1, v0
	global_load_sshort v3, v3, s[40:41] offset:512
	s_waitcnt vmcnt(0)
	v_cvt_f32_i32_e32 v3, v3
.LBB540_41:
	s_or_b64 exec, exec, s[4:5]
	v_or_b32_e32 v4, 0x180, v0
	v_cmp_gt_u32_e64 s[6:7], s44, v4
                                        ; implicit-def: $vgpr4
	s_mov_b64 s[4:5], exec
	s_nop 0
	v_writelane_b32 v66, s6, 4
	s_nop 1
	v_writelane_b32 v66, s7, 5
	s_and_b64 s[6:7], s[4:5], s[6:7]
	s_mov_b64 exec, s[6:7]
	s_cbranch_execz .LBB540_43
; %bb.42:
	v_lshlrev_b32_e32 v4, 1, v0
	global_load_sshort v4, v4, s[40:41] offset:768
	s_waitcnt vmcnt(0)
	v_cvt_f32_i32_e32 v4, v4
.LBB540_43:
	s_or_b64 exec, exec, s[4:5]
	v_or_b32_e32 v5, 0x200, v0
	v_cmp_gt_u32_e64 s[6:7], s44, v5
                                        ; implicit-def: $vgpr5
	s_mov_b64 s[4:5], exec
	s_nop 0
	v_writelane_b32 v66, s6, 6
	s_nop 1
	v_writelane_b32 v66, s7, 7
	s_and_b64 s[6:7], s[4:5], s[6:7]
	s_mov_b64 exec, s[6:7]
	s_cbranch_execz .LBB540_45
; %bb.44:
	v_lshlrev_b32_e32 v5, 1, v0
	global_load_sshort v5, v5, s[40:41] offset:1024
	s_waitcnt vmcnt(0)
	v_cvt_f32_i32_e32 v5, v5
.LBB540_45:
	s_or_b64 exec, exec, s[4:5]
	v_or_b32_e32 v6, 0x280, v0
	v_cmp_gt_u32_e64 s[6:7], s44, v6
                                        ; implicit-def: $vgpr6
	s_mov_b64 s[4:5], exec
	s_nop 0
	v_writelane_b32 v66, s6, 8
	s_nop 1
	v_writelane_b32 v66, s7, 9
	s_and_b64 s[6:7], s[4:5], s[6:7]
	s_mov_b64 exec, s[6:7]
	s_cbranch_execz .LBB540_47
; %bb.46:
	v_lshlrev_b32_e32 v6, 1, v0
	global_load_sshort v6, v6, s[40:41] offset:1280
	s_waitcnt vmcnt(0)
	v_cvt_f32_i32_e32 v6, v6
.LBB540_47:
	s_or_b64 exec, exec, s[4:5]
	v_or_b32_e32 v7, 0x300, v0
	v_cmp_gt_u32_e64 s[6:7], s44, v7
                                        ; implicit-def: $vgpr7
	s_mov_b64 s[4:5], exec
	s_nop 0
	v_writelane_b32 v66, s6, 10
	s_nop 1
	v_writelane_b32 v66, s7, 11
	s_and_b64 s[6:7], s[4:5], s[6:7]
	s_mov_b64 exec, s[6:7]
	s_cbranch_execz .LBB540_49
; %bb.48:
	v_lshlrev_b32_e32 v7, 1, v0
	global_load_sshort v7, v7, s[40:41] offset:1536
	s_waitcnt vmcnt(0)
	v_cvt_f32_i32_e32 v7, v7
.LBB540_49:
	s_or_b64 exec, exec, s[4:5]
	v_or_b32_e32 v8, 0x380, v0
	v_cmp_gt_u32_e64 s[6:7], s44, v8
                                        ; implicit-def: $vgpr8
	s_mov_b64 s[4:5], exec
	s_nop 0
	v_writelane_b32 v66, s6, 12
	s_nop 1
	v_writelane_b32 v66, s7, 13
	s_and_b64 s[6:7], s[4:5], s[6:7]
	s_mov_b64 exec, s[6:7]
	s_cbranch_execz .LBB540_51
; %bb.50:
	v_lshlrev_b32_e32 v8, 1, v0
	global_load_sshort v8, v8, s[40:41] offset:1792
	s_waitcnt vmcnt(0)
	v_cvt_f32_i32_e32 v8, v8
.LBB540_51:
	s_or_b64 exec, exec, s[4:5]
	v_or_b32_e32 v9, 0x400, v0
	v_cmp_gt_u32_e64 s[6:7], s44, v9
                                        ; implicit-def: $vgpr9
	s_mov_b64 s[4:5], exec
	s_nop 0
	v_writelane_b32 v66, s6, 14
	s_nop 1
	v_writelane_b32 v66, s7, 15
	s_and_b64 s[6:7], s[4:5], s[6:7]
	s_mov_b64 exec, s[6:7]
	s_cbranch_execz .LBB540_53
; %bb.52:
	v_lshlrev_b32_e32 v9, 1, v0
	global_load_sshort v9, v9, s[40:41] offset:2048
	s_waitcnt vmcnt(0)
	v_cvt_f32_i32_e32 v9, v9
.LBB540_53:
	s_or_b64 exec, exec, s[4:5]
	v_or_b32_e32 v10, 0x480, v0
	v_cmp_gt_u32_e64 s[6:7], s44, v10
                                        ; implicit-def: $vgpr10
	s_mov_b64 s[4:5], exec
	s_nop 0
	v_writelane_b32 v66, s6, 16
	s_nop 1
	v_writelane_b32 v66, s7, 17
	s_and_b64 s[6:7], s[4:5], s[6:7]
	s_mov_b64 exec, s[6:7]
	s_cbranch_execz .LBB540_55
; %bb.54:
	v_lshlrev_b32_e32 v10, 1, v0
	global_load_sshort v10, v10, s[40:41] offset:2304
	s_waitcnt vmcnt(0)
	v_cvt_f32_i32_e32 v10, v10
.LBB540_55:
	s_or_b64 exec, exec, s[4:5]
	v_or_b32_e32 v11, 0x500, v0
	v_cmp_gt_u32_e64 s[6:7], s44, v11
                                        ; implicit-def: $vgpr11
	s_mov_b64 s[4:5], exec
	s_nop 0
	v_writelane_b32 v66, s6, 18
	s_nop 1
	v_writelane_b32 v66, s7, 19
	s_and_b64 s[6:7], s[4:5], s[6:7]
	s_mov_b64 exec, s[6:7]
	s_cbranch_execz .LBB540_57
; %bb.56:
	v_lshlrev_b32_e32 v11, 1, v0
	global_load_sshort v11, v11, s[40:41] offset:2560
	s_waitcnt vmcnt(0)
	v_cvt_f32_i32_e32 v11, v11
.LBB540_57:
	s_or_b64 exec, exec, s[4:5]
	v_or_b32_e32 v12, 0x580, v0
	v_cmp_gt_u32_e64 s[6:7], s44, v12
                                        ; implicit-def: $vgpr12
	s_mov_b64 s[4:5], exec
	s_nop 0
	v_writelane_b32 v66, s6, 20
	s_nop 1
	v_writelane_b32 v66, s7, 21
	s_and_b64 s[6:7], s[4:5], s[6:7]
	s_mov_b64 exec, s[6:7]
	s_cbranch_execz .LBB540_59
; %bb.58:
	v_lshlrev_b32_e32 v12, 1, v0
	global_load_sshort v12, v12, s[40:41] offset:2816
	s_waitcnt vmcnt(0)
	v_cvt_f32_i32_e32 v12, v12
.LBB540_59:
	s_or_b64 exec, exec, s[4:5]
	v_or_b32_e32 v13, 0x600, v0
	v_cmp_gt_u32_e64 s[6:7], s44, v13
                                        ; implicit-def: $vgpr13
	s_mov_b64 s[4:5], exec
	s_nop 0
	v_writelane_b32 v66, s6, 22
	s_nop 1
	v_writelane_b32 v66, s7, 23
	s_and_b64 s[6:7], s[4:5], s[6:7]
	s_mov_b64 exec, s[6:7]
	s_cbranch_execz .LBB540_61
; %bb.60:
	v_lshlrev_b32_e32 v13, 1, v0
	global_load_sshort v13, v13, s[40:41] offset:3072
	s_waitcnt vmcnt(0)
	v_cvt_f32_i32_e32 v13, v13
.LBB540_61:
	s_or_b64 exec, exec, s[4:5]
	v_or_b32_e32 v14, 0x680, v0
	v_cmp_gt_u32_e64 s[6:7], s44, v14
                                        ; implicit-def: $vgpr14
	s_mov_b64 s[4:5], exec
	s_nop 0
	v_writelane_b32 v66, s6, 24
	s_nop 1
	v_writelane_b32 v66, s7, 25
	s_and_b64 s[6:7], s[4:5], s[6:7]
	s_mov_b64 exec, s[6:7]
	s_cbranch_execz .LBB540_63
; %bb.62:
	v_lshlrev_b32_e32 v14, 1, v0
	global_load_sshort v14, v14, s[40:41] offset:3328
	s_waitcnt vmcnt(0)
	v_cvt_f32_i32_e32 v14, v14
.LBB540_63:
	s_or_b64 exec, exec, s[4:5]
	v_or_b32_e32 v15, 0x700, v0
	v_cmp_gt_u32_e64 s[6:7], s44, v15
                                        ; implicit-def: $vgpr15
	s_mov_b64 s[4:5], exec
	s_nop 0
	v_writelane_b32 v66, s6, 26
	s_nop 1
	v_writelane_b32 v66, s7, 27
	s_and_b64 s[6:7], s[4:5], s[6:7]
	s_mov_b64 exec, s[6:7]
	s_cbranch_execz .LBB540_65
; %bb.64:
	v_lshlrev_b32_e32 v15, 1, v0
	global_load_sshort v15, v15, s[40:41] offset:3584
	s_waitcnt vmcnt(0)
	v_cvt_f32_i32_e32 v15, v15
.LBB540_65:
	s_or_b64 exec, exec, s[4:5]
	v_or_b32_e32 v16, 0x780, v0
	v_cmp_gt_u32_e64 s[6:7], s44, v16
                                        ; implicit-def: $vgpr16
	s_mov_b64 s[4:5], exec
	s_nop 0
	v_writelane_b32 v66, s6, 28
	s_nop 1
	v_writelane_b32 v66, s7, 29
	s_and_b64 s[6:7], s[4:5], s[6:7]
	s_mov_b64 exec, s[6:7]
	s_cbranch_execz .LBB540_67
; %bb.66:
	v_lshlrev_b32_e32 v16, 1, v0
	global_load_sshort v16, v16, s[40:41] offset:3840
	s_waitcnt vmcnt(0)
	v_cvt_f32_i32_e32 v16, v16
.LBB540_67:
	s_or_b64 exec, exec, s[4:5]
	v_or_b32_e32 v18, 0x800, v0
	v_cmp_gt_u32_e64 s[6:7], s44, v18
                                        ; implicit-def: $vgpr17
	s_mov_b64 s[4:5], exec
	s_nop 0
	v_writelane_b32 v66, s6, 30
	s_nop 1
	v_writelane_b32 v66, s7, 31
	s_and_b64 s[6:7], s[4:5], s[6:7]
	s_mov_b64 exec, s[6:7]
	s_cbranch_execz .LBB540_69
; %bb.68:
	v_lshlrev_b32_e32 v17, 1, v18
	global_load_sshort v17, v17, s[40:41]
	s_waitcnt vmcnt(0)
	v_cvt_f32_i32_e32 v17, v17
.LBB540_69:
	s_or_b64 exec, exec, s[4:5]
	v_or_b32_e32 v19, 0x880, v0
	v_cmp_gt_u32_e64 s[6:7], s44, v19
                                        ; implicit-def: $vgpr18
	s_mov_b64 s[4:5], exec
	s_nop 0
	v_writelane_b32 v66, s6, 32
	s_nop 1
	v_writelane_b32 v66, s7, 33
	s_and_b64 s[6:7], s[4:5], s[6:7]
	s_mov_b64 exec, s[6:7]
	s_cbranch_execz .LBB540_71
; %bb.70:
	v_lshlrev_b32_e32 v18, 1, v19
	global_load_sshort v18, v18, s[40:41]
	s_waitcnt vmcnt(0)
	v_cvt_f32_i32_e32 v18, v18
.LBB540_71:
	s_or_b64 exec, exec, s[4:5]
	v_or_b32_e32 v20, 0x900, v0
	v_cmp_gt_u32_e64 s[6:7], s44, v20
                                        ; implicit-def: $vgpr19
	s_mov_b64 s[4:5], exec
	s_nop 0
	v_writelane_b32 v66, s6, 34
	s_nop 1
	v_writelane_b32 v66, s7, 35
	s_and_b64 s[6:7], s[4:5], s[6:7]
	s_mov_b64 exec, s[6:7]
	s_cbranch_execz .LBB540_73
; %bb.72:
	v_lshlrev_b32_e32 v19, 1, v20
	global_load_sshort v19, v19, s[40:41]
	s_waitcnt vmcnt(0)
	v_cvt_f32_i32_e32 v19, v19
.LBB540_73:
	s_or_b64 exec, exec, s[4:5]
	v_or_b32_e32 v21, 0x980, v0
	v_cmp_gt_u32_e64 s[6:7], s44, v21
                                        ; implicit-def: $vgpr20
	s_mov_b64 s[4:5], exec
	s_nop 0
	v_writelane_b32 v66, s6, 36
	s_nop 1
	v_writelane_b32 v66, s7, 37
	s_and_b64 s[6:7], s[4:5], s[6:7]
	s_mov_b64 exec, s[6:7]
	s_cbranch_execz .LBB540_75
; %bb.74:
	v_lshlrev_b32_e32 v20, 1, v21
	global_load_sshort v20, v20, s[40:41]
	s_waitcnt vmcnt(0)
	v_cvt_f32_i32_e32 v20, v20
.LBB540_75:
	s_or_b64 exec, exec, s[4:5]
	v_or_b32_e32 v22, 0xa00, v0
	v_cmp_gt_u32_e64 s[6:7], s44, v22
                                        ; implicit-def: $vgpr21
	s_mov_b64 s[4:5], exec
	s_nop 0
	v_writelane_b32 v66, s6, 38
	s_nop 1
	v_writelane_b32 v66, s7, 39
	s_and_b64 s[6:7], s[4:5], s[6:7]
	s_mov_b64 exec, s[6:7]
	s_cbranch_execz .LBB540_77
; %bb.76:
	v_lshlrev_b32_e32 v21, 1, v22
	global_load_sshort v21, v21, s[40:41]
	s_waitcnt vmcnt(0)
	v_cvt_f32_i32_e32 v21, v21
.LBB540_77:
	s_or_b64 exec, exec, s[4:5]
	v_or_b32_e32 v23, 0xa80, v0
	v_cmp_gt_u32_e64 s[6:7], s44, v23
                                        ; implicit-def: $vgpr22
	s_mov_b64 s[4:5], exec
	s_nop 0
	v_writelane_b32 v66, s6, 40
	s_nop 1
	v_writelane_b32 v66, s7, 41
	s_and_b64 s[6:7], s[4:5], s[6:7]
	s_mov_b64 exec, s[6:7]
	s_cbranch_execz .LBB540_79
; %bb.78:
	v_lshlrev_b32_e32 v22, 1, v23
	global_load_sshort v22, v22, s[40:41]
	s_waitcnt vmcnt(0)
	v_cvt_f32_i32_e32 v22, v22
.LBB540_79:
	s_or_b64 exec, exec, s[4:5]
	v_or_b32_e32 v24, 0xb00, v0
	v_cmp_gt_u32_e64 s[6:7], s44, v24
                                        ; implicit-def: $vgpr23
	s_mov_b64 s[4:5], exec
	s_nop 0
	v_writelane_b32 v66, s6, 42
	s_nop 1
	v_writelane_b32 v66, s7, 43
	s_and_b64 s[6:7], s[4:5], s[6:7]
	s_mov_b64 exec, s[6:7]
	s_cbranch_execz .LBB540_81
; %bb.80:
	v_lshlrev_b32_e32 v23, 1, v24
	global_load_sshort v23, v23, s[40:41]
	s_waitcnt vmcnt(0)
	v_cvt_f32_i32_e32 v23, v23
.LBB540_81:
	s_or_b64 exec, exec, s[4:5]
	v_or_b32_e32 v25, 0xb80, v0
	v_cmp_gt_u32_e64 s[48:49], s44, v25
                                        ; implicit-def: $vgpr24
	s_and_saveexec_b64 s[4:5], s[48:49]
	s_cbranch_execz .LBB540_83
; %bb.82:
	v_lshlrev_b32_e32 v24, 1, v25
	global_load_sshort v24, v24, s[40:41]
	s_waitcnt vmcnt(0)
	v_cvt_f32_i32_e32 v24, v24
.LBB540_83:
	s_or_b64 exec, exec, s[4:5]
	v_or_b32_e32 v26, 0xc00, v0
	v_cmp_gt_u32_e64 s[50:51], s44, v26
                                        ; implicit-def: $vgpr25
	s_and_saveexec_b64 s[4:5], s[50:51]
	s_cbranch_execz .LBB540_85
; %bb.84:
	v_lshlrev_b32_e32 v25, 1, v26
	global_load_sshort v25, v25, s[40:41]
	s_waitcnt vmcnt(0)
	v_cvt_f32_i32_e32 v25, v25
.LBB540_85:
	s_or_b64 exec, exec, s[4:5]
	v_or_b32_e32 v27, 0xc80, v0
	v_cmp_gt_u32_e64 s[52:53], s44, v27
                                        ; implicit-def: $vgpr26
	s_and_saveexec_b64 s[4:5], s[52:53]
	s_cbranch_execz .LBB540_87
; %bb.86:
	v_lshlrev_b32_e32 v26, 1, v27
	global_load_sshort v26, v26, s[40:41]
	s_waitcnt vmcnt(0)
	v_cvt_f32_i32_e32 v26, v26
.LBB540_87:
	s_or_b64 exec, exec, s[4:5]
	v_or_b32_e32 v28, 0xd00, v0
	v_cmp_gt_u32_e64 s[54:55], s44, v28
                                        ; implicit-def: $vgpr27
	s_and_saveexec_b64 s[4:5], s[54:55]
	s_cbranch_execz .LBB540_89
; %bb.88:
	v_lshlrev_b32_e32 v27, 1, v28
	global_load_sshort v27, v27, s[40:41]
	s_waitcnt vmcnt(0)
	v_cvt_f32_i32_e32 v27, v27
.LBB540_89:
	s_or_b64 exec, exec, s[4:5]
	v_or_b32_e32 v29, 0xd80, v0
	v_cmp_gt_u32_e64 s[56:57], s44, v29
                                        ; implicit-def: $vgpr28
	s_and_saveexec_b64 s[4:5], s[56:57]
	s_cbranch_execz .LBB540_91
; %bb.90:
	v_lshlrev_b32_e32 v28, 1, v29
	global_load_sshort v28, v28, s[40:41]
	s_waitcnt vmcnt(0)
	v_cvt_f32_i32_e32 v28, v28
.LBB540_91:
	s_or_b64 exec, exec, s[4:5]
	v_or_b32_e32 v30, 0xe00, v0
	v_cmp_gt_u32_e64 s[58:59], s44, v30
                                        ; implicit-def: $vgpr29
	s_and_saveexec_b64 s[4:5], s[58:59]
	s_cbranch_execz .LBB540_93
; %bb.92:
	v_lshlrev_b32_e32 v29, 1, v30
	global_load_sshort v29, v29, s[40:41]
	s_waitcnt vmcnt(0)
	v_cvt_f32_i32_e32 v29, v29
.LBB540_93:
	s_or_b64 exec, exec, s[4:5]
	v_or_b32_e32 v31, 0xe80, v0
	v_cmp_gt_u32_e64 s[60:61], s44, v31
                                        ; implicit-def: $vgpr30
	s_and_saveexec_b64 s[4:5], s[60:61]
	s_cbranch_execz .LBB540_95
; %bb.94:
	v_lshlrev_b32_e32 v30, 1, v31
	global_load_sshort v30, v30, s[40:41]
	s_waitcnt vmcnt(0)
	v_cvt_f32_i32_e32 v30, v30
.LBB540_95:
	s_or_b64 exec, exec, s[4:5]
	v_or_b32_e32 v32, 0xf00, v0
	v_cmp_gt_u32_e64 s[62:63], s44, v32
                                        ; implicit-def: $vgpr31
	s_and_saveexec_b64 s[4:5], s[62:63]
	s_cbranch_execz .LBB540_97
; %bb.96:
	v_lshlrev_b32_e32 v31, 1, v32
	global_load_sshort v31, v31, s[40:41]
	s_waitcnt vmcnt(0)
	v_cvt_f32_i32_e32 v31, v31
.LBB540_97:
	s_or_b64 exec, exec, s[4:5]
	v_or_b32_e32 v33, 0xf80, v0
	v_cmp_gt_u32_e64 s[64:65], s44, v33
                                        ; implicit-def: $vgpr32
	s_and_saveexec_b64 s[4:5], s[64:65]
	s_cbranch_execz .LBB540_99
; %bb.98:
	v_lshlrev_b32_e32 v32, 1, v33
	global_load_sshort v32, v32, s[40:41]
	s_waitcnt vmcnt(0)
	v_cvt_f32_i32_e32 v32, v32
.LBB540_99:
	s_or_b64 exec, exec, s[4:5]
	v_or_b32_e32 v34, 0x1000, v0
	v_cmp_gt_u32_e64 s[66:67], s44, v34
                                        ; implicit-def: $vgpr33
	s_and_saveexec_b64 s[4:5], s[66:67]
	s_cbranch_execz .LBB540_101
; %bb.100:
	v_lshlrev_b32_e32 v33, 1, v34
	global_load_sshort v33, v33, s[40:41]
	s_waitcnt vmcnt(0)
	v_cvt_f32_i32_e32 v33, v33
.LBB540_101:
	s_or_b64 exec, exec, s[4:5]
	v_or_b32_e32 v35, 0x1080, v0
	v_cmp_gt_u32_e64 s[34:35], s44, v35
                                        ; implicit-def: $vgpr34
	s_and_saveexec_b64 s[4:5], s[34:35]
	s_cbranch_execz .LBB540_103
; %bb.102:
	v_lshlrev_b32_e32 v34, 1, v35
	global_load_sshort v34, v34, s[40:41]
	s_waitcnt vmcnt(0)
	v_cvt_f32_i32_e32 v34, v34
.LBB540_103:
	s_or_b64 exec, exec, s[4:5]
	v_or_b32_e32 v36, 0x1100, v0
	v_cmp_gt_u32_e64 s[36:37], s44, v36
                                        ; implicit-def: $vgpr35
	s_and_saveexec_b64 s[4:5], s[36:37]
	s_cbranch_execz .LBB540_105
; %bb.104:
	v_lshlrev_b32_e32 v35, 1, v36
	global_load_sshort v35, v35, s[40:41]
	s_waitcnt vmcnt(0)
	v_cvt_f32_i32_e32 v35, v35
.LBB540_105:
	s_or_b64 exec, exec, s[4:5]
	v_or_b32_e32 v37, 0x1180, v0
	v_cmp_gt_u32_e64 s[72:73], s44, v37
                                        ; implicit-def: $vgpr36
	s_and_saveexec_b64 s[4:5], s[72:73]
	s_cbranch_execz .LBB540_107
; %bb.106:
	v_lshlrev_b32_e32 v36, 1, v37
	global_load_sshort v36, v36, s[40:41]
	s_waitcnt vmcnt(0)
	v_cvt_f32_i32_e32 v36, v36
.LBB540_107:
	s_or_b64 exec, exec, s[4:5]
	v_or_b32_e32 v38, 0x1200, v0
	v_cmp_gt_u32_e64 s[74:75], s44, v38
                                        ; implicit-def: $vgpr37
	s_and_saveexec_b64 s[4:5], s[74:75]
	s_cbranch_execz .LBB540_109
; %bb.108:
	v_lshlrev_b32_e32 v37, 1, v38
	global_load_sshort v37, v37, s[40:41]
	s_waitcnt vmcnt(0)
	v_cvt_f32_i32_e32 v37, v37
.LBB540_109:
	s_or_b64 exec, exec, s[4:5]
	v_or_b32_e32 v39, 0x1280, v0
	v_cmp_gt_u32_e64 s[76:77], s44, v39
                                        ; implicit-def: $vgpr38
	s_and_saveexec_b64 s[4:5], s[76:77]
	s_cbranch_execz .LBB540_111
; %bb.110:
	v_lshlrev_b32_e32 v38, 1, v39
	global_load_sshort v38, v38, s[40:41]
	s_waitcnt vmcnt(0)
	v_cvt_f32_i32_e32 v38, v38
.LBB540_111:
	s_or_b64 exec, exec, s[4:5]
	v_or_b32_e32 v40, 0x1300, v0
	v_cmp_gt_u32_e64 s[78:79], s44, v40
                                        ; implicit-def: $vgpr39
	s_and_saveexec_b64 s[4:5], s[78:79]
	s_cbranch_execz .LBB540_113
; %bb.112:
	v_lshlrev_b32_e32 v39, 1, v40
	global_load_sshort v39, v39, s[40:41]
	s_waitcnt vmcnt(0)
	v_cvt_f32_i32_e32 v39, v39
.LBB540_113:
	s_or_b64 exec, exec, s[4:5]
	v_or_b32_e32 v41, 0x1380, v0
	v_cmp_gt_u32_e64 s[80:81], s44, v41
                                        ; implicit-def: $vgpr40
	s_and_saveexec_b64 s[4:5], s[80:81]
	s_cbranch_execz .LBB540_115
; %bb.114:
	v_lshlrev_b32_e32 v40, 1, v41
	global_load_sshort v40, v40, s[40:41]
	s_waitcnt vmcnt(0)
	v_cvt_f32_i32_e32 v40, v40
.LBB540_115:
	s_or_b64 exec, exec, s[4:5]
	v_or_b32_e32 v42, 0x1400, v0
	v_cmp_gt_u32_e64 s[82:83], s44, v42
                                        ; implicit-def: $vgpr41
	s_and_saveexec_b64 s[4:5], s[82:83]
	s_cbranch_execz .LBB540_117
; %bb.116:
	v_lshlrev_b32_e32 v41, 1, v42
	global_load_sshort v41, v41, s[40:41]
	s_waitcnt vmcnt(0)
	v_cvt_f32_i32_e32 v41, v41
.LBB540_117:
	s_or_b64 exec, exec, s[4:5]
	v_or_b32_e32 v43, 0x1480, v0
	v_cmp_gt_u32_e64 s[84:85], s44, v43
                                        ; implicit-def: $vgpr42
	s_and_saveexec_b64 s[4:5], s[84:85]
	s_cbranch_execz .LBB540_119
; %bb.118:
	v_lshlrev_b32_e32 v42, 1, v43
	global_load_sshort v42, v42, s[40:41]
	s_waitcnt vmcnt(0)
	v_cvt_f32_i32_e32 v42, v42
.LBB540_119:
	s_or_b64 exec, exec, s[4:5]
	v_or_b32_e32 v44, 0x1500, v0
	v_cmp_gt_u32_e64 s[86:87], s44, v44
                                        ; implicit-def: $vgpr43
	s_and_saveexec_b64 s[4:5], s[86:87]
	s_cbranch_execz .LBB540_121
; %bb.120:
	v_lshlrev_b32_e32 v43, 1, v44
	global_load_sshort v43, v43, s[40:41]
	s_waitcnt vmcnt(0)
	v_cvt_f32_i32_e32 v43, v43
.LBB540_121:
	s_or_b64 exec, exec, s[4:5]
	v_or_b32_e32 v45, 0x1580, v0
	v_cmp_gt_u32_e64 s[88:89], s44, v45
                                        ; implicit-def: $vgpr44
	s_and_saveexec_b64 s[4:5], s[88:89]
	s_cbranch_execz .LBB540_123
; %bb.122:
	v_lshlrev_b32_e32 v44, 1, v45
	global_load_sshort v44, v44, s[40:41]
	s_waitcnt vmcnt(0)
	v_cvt_f32_i32_e32 v44, v44
.LBB540_123:
	s_or_b64 exec, exec, s[4:5]
	v_or_b32_e32 v46, 0x1600, v0
	v_cmp_gt_u32_e64 s[90:91], s44, v46
                                        ; implicit-def: $vgpr45
	s_and_saveexec_b64 s[4:5], s[90:91]
	s_cbranch_execz .LBB540_125
; %bb.124:
	v_lshlrev_b32_e32 v45, 1, v46
	global_load_sshort v45, v45, s[40:41]
	s_waitcnt vmcnt(0)
	v_cvt_f32_i32_e32 v45, v45
.LBB540_125:
	s_or_b64 exec, exec, s[4:5]
	v_or_b32_e32 v47, 0x1680, v0
	v_cmp_gt_u32_e64 s[92:93], s44, v47
                                        ; implicit-def: $vgpr46
	s_and_saveexec_b64 s[4:5], s[92:93]
	s_cbranch_execz .LBB540_127
; %bb.126:
	v_lshlrev_b32_e32 v46, 1, v47
	global_load_sshort v46, v46, s[40:41]
	s_waitcnt vmcnt(0)
	v_cvt_f32_i32_e32 v46, v46
.LBB540_127:
	s_or_b64 exec, exec, s[4:5]
	v_or_b32_e32 v48, 0x1700, v0
	v_cmp_gt_u32_e64 s[94:95], s44, v48
                                        ; implicit-def: $vgpr47
	s_and_saveexec_b64 s[4:5], s[94:95]
	s_cbranch_execz .LBB540_129
; %bb.128:
	v_lshlrev_b32_e32 v47, 1, v48
	global_load_sshort v47, v47, s[40:41]
	s_waitcnt vmcnt(0)
	v_cvt_f32_i32_e32 v47, v47
.LBB540_129:
	s_or_b64 exec, exec, s[4:5]
	v_or_b32_e32 v49, 0x1780, v0
	v_cmp_gt_u32_e64 s[96:97], s44, v49
                                        ; implicit-def: $vgpr48
	s_and_saveexec_b64 s[4:5], s[96:97]
	s_cbranch_execz .LBB540_131
; %bb.130:
	v_lshlrev_b32_e32 v48, 1, v49
	global_load_sshort v48, v48, s[40:41]
	s_waitcnt vmcnt(0)
	v_cvt_f32_i32_e32 v48, v48
.LBB540_131:
	s_or_b64 exec, exec, s[4:5]
	v_or_b32_e32 v50, 0x1800, v0
	v_cmp_gt_u32_e64 s[98:99], s44, v50
                                        ; implicit-def: $vgpr49
	s_and_saveexec_b64 s[4:5], s[98:99]
	s_cbranch_execz .LBB540_133
; %bb.132:
	v_lshlrev_b32_e32 v49, 1, v50
	global_load_sshort v49, v49, s[40:41]
	s_waitcnt vmcnt(0)
	v_cvt_f32_i32_e32 v49, v49
.LBB540_133:
	s_or_b64 exec, exec, s[4:5]
	v_or_b32_e32 v51, 0x1880, v0
	v_cmp_gt_u32_e64 s[4:5], s44, v51
                                        ; implicit-def: $vgpr50
	s_and_saveexec_b64 s[6:7], s[4:5]
	s_cbranch_execz .LBB540_135
; %bb.134:
	v_lshlrev_b32_e32 v50, 1, v51
	global_load_sshort v50, v50, s[40:41]
	s_waitcnt vmcnt(0)
	v_cvt_f32_i32_e32 v50, v50
.LBB540_135:
	s_or_b64 exec, exec, s[6:7]
	v_or_b32_e32 v52, 0x1900, v0
	v_cmp_gt_u32_e64 s[6:7], s44, v52
                                        ; implicit-def: $vgpr51
	s_and_saveexec_b64 s[8:9], s[6:7]
	s_cbranch_execz .LBB540_137
; %bb.136:
	v_lshlrev_b32_e32 v51, 1, v52
	global_load_sshort v51, v51, s[40:41]
	s_waitcnt vmcnt(0)
	v_cvt_f32_i32_e32 v51, v51
.LBB540_137:
	s_or_b64 exec, exec, s[8:9]
	v_or_b32_e32 v53, 0x1980, v0
	v_cmp_gt_u32_e64 s[8:9], s44, v53
                                        ; implicit-def: $vgpr52
	s_and_saveexec_b64 s[10:11], s[8:9]
	s_cbranch_execz .LBB540_139
; %bb.138:
	v_lshlrev_b32_e32 v52, 1, v53
	global_load_sshort v52, v52, s[40:41]
	s_waitcnt vmcnt(0)
	v_cvt_f32_i32_e32 v52, v52
.LBB540_139:
	s_or_b64 exec, exec, s[10:11]
	v_or_b32_e32 v54, 0x1a00, v0
	v_cmp_gt_u32_e64 s[10:11], s44, v54
                                        ; implicit-def: $vgpr53
	s_and_saveexec_b64 s[12:13], s[10:11]
	s_cbranch_execz .LBB540_141
; %bb.140:
	v_lshlrev_b32_e32 v53, 1, v54
	global_load_sshort v53, v53, s[40:41]
	s_waitcnt vmcnt(0)
	v_cvt_f32_i32_e32 v53, v53
.LBB540_141:
	s_or_b64 exec, exec, s[12:13]
	v_or_b32_e32 v55, 0x1a80, v0
	v_cmp_gt_u32_e64 s[12:13], s44, v55
                                        ; implicit-def: $vgpr54
	s_and_saveexec_b64 s[14:15], s[12:13]
	s_cbranch_execz .LBB540_143
; %bb.142:
	v_lshlrev_b32_e32 v54, 1, v55
	global_load_sshort v54, v54, s[40:41]
	s_waitcnt vmcnt(0)
	v_cvt_f32_i32_e32 v54, v54
.LBB540_143:
	s_or_b64 exec, exec, s[14:15]
	v_or_b32_e32 v56, 0x1b00, v0
	v_cmp_gt_u32_e64 s[14:15], s44, v56
                                        ; implicit-def: $vgpr55
	s_and_saveexec_b64 s[16:17], s[14:15]
	s_cbranch_execz .LBB540_145
; %bb.144:
	v_lshlrev_b32_e32 v55, 1, v56
	global_load_sshort v55, v55, s[40:41]
	s_waitcnt vmcnt(0)
	v_cvt_f32_i32_e32 v55, v55
.LBB540_145:
	s_or_b64 exec, exec, s[16:17]
	v_or_b32_e32 v57, 0x1b80, v0
	v_cmp_gt_u32_e64 s[16:17], s44, v57
                                        ; implicit-def: $vgpr56
	s_and_saveexec_b64 s[18:19], s[16:17]
	s_cbranch_execz .LBB540_147
; %bb.146:
	v_lshlrev_b32_e32 v56, 1, v57
	global_load_sshort v56, v56, s[40:41]
	s_waitcnt vmcnt(0)
	v_cvt_f32_i32_e32 v56, v56
.LBB540_147:
	s_or_b64 exec, exec, s[18:19]
	v_or_b32_e32 v58, 0x1c00, v0
	v_cmp_gt_u32_e64 s[18:19], s44, v58
                                        ; implicit-def: $vgpr57
	s_and_saveexec_b64 s[20:21], s[18:19]
	s_cbranch_execz .LBB540_149
; %bb.148:
	v_lshlrev_b32_e32 v57, 1, v58
	global_load_sshort v57, v57, s[40:41]
	s_waitcnt vmcnt(0)
	v_cvt_f32_i32_e32 v57, v57
.LBB540_149:
	s_or_b64 exec, exec, s[20:21]
	v_or_b32_e32 v59, 0x1c80, v0
	v_cmp_gt_u32_e64 s[20:21], s44, v59
                                        ; implicit-def: $vgpr58
	s_and_saveexec_b64 s[22:23], s[20:21]
	s_cbranch_execz .LBB540_151
; %bb.150:
	v_lshlrev_b32_e32 v58, 1, v59
	global_load_sshort v58, v58, s[40:41]
	s_waitcnt vmcnt(0)
	v_cvt_f32_i32_e32 v58, v58
.LBB540_151:
	s_or_b64 exec, exec, s[22:23]
	v_or_b32_e32 v60, 0x1d00, v0
	v_cmp_gt_u32_e64 s[22:23], s44, v60
                                        ; implicit-def: $vgpr59
	s_and_saveexec_b64 s[24:25], s[22:23]
	s_cbranch_execz .LBB540_153
; %bb.152:
	v_lshlrev_b32_e32 v59, 1, v60
	global_load_sshort v59, v59, s[40:41]
	s_waitcnt vmcnt(0)
	v_cvt_f32_i32_e32 v59, v59
.LBB540_153:
	s_or_b64 exec, exec, s[24:25]
	v_or_b32_e32 v61, 0x1d80, v0
	v_cmp_gt_u32_e64 s[24:25], s44, v61
                                        ; implicit-def: $vgpr60
	s_and_saveexec_b64 s[26:27], s[24:25]
	s_cbranch_execz .LBB540_155
; %bb.154:
	v_lshlrev_b32_e32 v60, 1, v61
	global_load_sshort v60, v60, s[40:41]
	s_waitcnt vmcnt(0)
	v_cvt_f32_i32_e32 v60, v60
.LBB540_155:
	s_or_b64 exec, exec, s[26:27]
	v_or_b32_e32 v62, 0x1e00, v0
	v_cmp_gt_u32_e64 s[26:27], s44, v62
                                        ; implicit-def: $vgpr61
	s_and_saveexec_b64 s[28:29], s[26:27]
	s_cbranch_execz .LBB540_157
; %bb.156:
	v_lshlrev_b32_e32 v61, 1, v62
	global_load_sshort v61, v61, s[40:41]
	s_waitcnt vmcnt(0)
	v_cvt_f32_i32_e32 v61, v61
.LBB540_157:
	s_or_b64 exec, exec, s[28:29]
	v_or_b32_e32 v63, 0x1e80, v0
	v_cmp_gt_u32_e64 s[28:29], s44, v63
                                        ; implicit-def: $vgpr62
	s_and_saveexec_b64 s[30:31], s[28:29]
	s_cbranch_execz .LBB540_159
; %bb.158:
	v_lshlrev_b32_e32 v62, 1, v63
	global_load_sshort v62, v62, s[40:41]
	s_waitcnt vmcnt(0)
	v_cvt_f32_i32_e32 v62, v62
.LBB540_159:
	s_or_b64 exec, exec, s[30:31]
	v_or_b32_e32 v64, 0x1f00, v0
	v_cmp_gt_u32_e64 s[30:31], s44, v64
                                        ; implicit-def: $vgpr63
	s_and_saveexec_b64 vcc, s[30:31]
	s_cbranch_execz .LBB540_161
; %bb.160:
	v_lshlrev_b32_e32 v63, 1, v64
	global_load_sshort v63, v63, s[40:41]
	s_waitcnt vmcnt(0)
	v_cvt_f32_i32_e32 v63, v63
.LBB540_161:
	s_or_b64 exec, exec, vcc
	v_or_b32_e32 v65, 0x1f80, v0
	v_cmp_gt_u32_e32 vcc, s44, v65
                                        ; implicit-def: $vgpr64
	s_and_saveexec_b64 s[42:43], vcc
	s_cbranch_execz .LBB540_163
; %bb.162:
	v_lshlrev_b32_e32 v64, 1, v65
	global_load_sshort v64, v64, s[40:41]
	s_waitcnt vmcnt(0)
	v_cvt_f32_i32_e32 v64, v64
.LBB540_163:
	s_or_b64 exec, exec, s[42:43]
	v_readlane_b32 s40, v66, 0
	v_add_f32_e32 v2, v1, v2
	v_readlane_b32 s41, v66, 1
	s_nop 1
	v_cndmask_b32_e64 v1, v1, v2, s[40:41]
	v_readlane_b32 s40, v66, 2
	v_add_f32_e32 v2, v1, v3
	v_readlane_b32 s41, v66, 3
	s_nop 1
	v_cndmask_b32_e64 v1, v1, v2, s[40:41]
	;; [unrolled: 5-line block ×3, first 2 shown]
	v_readlane_b32 s40, v66, 6
	v_add_f32_e32 v2, v1, v5
	v_readlane_b32 s41, v66, 7
	v_and_b32_e32 v5, 64, v0
	s_nop 0
	v_cndmask_b32_e64 v1, v1, v2, s[40:41]
	v_readlane_b32 s40, v66, 8
	v_add_f32_e32 v2, v1, v6
	v_readlane_b32 s41, v66, 9
	s_nop 1
	v_cndmask_b32_e64 v1, v1, v2, s[40:41]
	v_readlane_b32 s40, v66, 10
	v_add_f32_e32 v2, v1, v7
	v_readlane_b32 s41, v66, 11
	s_nop 1
	v_cndmask_b32_e64 v1, v1, v2, s[40:41]
	v_readlane_b32 s40, v66, 12
	v_add_f32_e32 v2, v1, v8
	v_readlane_b32 s41, v66, 13
	s_nop 1
	v_cndmask_b32_e64 v1, v1, v2, s[40:41]
	v_readlane_b32 s40, v66, 14
	v_add_f32_e32 v2, v1, v9
	v_readlane_b32 s41, v66, 15
	s_nop 1
	v_cndmask_b32_e64 v1, v1, v2, s[40:41]
	v_readlane_b32 s40, v66, 16
	v_add_f32_e32 v2, v1, v10
	v_readlane_b32 s41, v66, 17
	s_nop 1
	v_cndmask_b32_e64 v1, v1, v2, s[40:41]
	v_readlane_b32 s40, v66, 18
	v_add_f32_e32 v2, v1, v11
	v_readlane_b32 s41, v66, 19
	s_nop 1
	v_cndmask_b32_e64 v1, v1, v2, s[40:41]
	v_readlane_b32 s40, v66, 20
	v_add_f32_e32 v2, v1, v12
	v_readlane_b32 s41, v66, 21
	s_nop 1
	v_cndmask_b32_e64 v1, v1, v2, s[40:41]
	v_readlane_b32 s40, v66, 22
	v_add_f32_e32 v2, v1, v13
	v_readlane_b32 s41, v66, 23
	s_nop 1
	v_cndmask_b32_e64 v1, v1, v2, s[40:41]
	v_readlane_b32 s40, v66, 24
	v_add_f32_e32 v2, v1, v14
	v_readlane_b32 s41, v66, 25
	s_nop 1
	v_cndmask_b32_e64 v1, v1, v2, s[40:41]
	v_readlane_b32 s40, v66, 26
	v_add_f32_e32 v2, v1, v15
	v_readlane_b32 s41, v66, 27
	s_nop 1
	v_cndmask_b32_e64 v1, v1, v2, s[40:41]
	v_readlane_b32 s40, v66, 28
	v_add_f32_e32 v2, v1, v16
	v_readlane_b32 s41, v66, 29
	s_nop 1
	v_cndmask_b32_e64 v1, v1, v2, s[40:41]
	v_readlane_b32 s40, v66, 30
	v_add_f32_e32 v2, v1, v17
	v_readlane_b32 s41, v66, 31
	s_nop 1
	v_cndmask_b32_e64 v1, v1, v2, s[40:41]
	v_readlane_b32 s40, v66, 32
	v_add_f32_e32 v2, v1, v18
	v_readlane_b32 s41, v66, 33
	s_nop 1
	v_cndmask_b32_e64 v1, v1, v2, s[40:41]
	v_readlane_b32 s40, v66, 34
	v_add_f32_e32 v2, v1, v19
	v_readlane_b32 s41, v66, 35
	s_nop 1
	v_cndmask_b32_e64 v1, v1, v2, s[40:41]
	v_readlane_b32 s40, v66, 36
	v_add_f32_e32 v2, v1, v20
	v_readlane_b32 s41, v66, 37
	s_nop 1
	v_cndmask_b32_e64 v1, v1, v2, s[40:41]
	v_readlane_b32 s40, v66, 38
	v_add_f32_e32 v2, v1, v21
	v_readlane_b32 s41, v66, 39
	s_nop 1
	v_cndmask_b32_e64 v1, v1, v2, s[40:41]
	v_readlane_b32 s40, v66, 40
	v_add_f32_e32 v2, v1, v22
	v_readlane_b32 s41, v66, 41
	s_nop 1
	v_cndmask_b32_e64 v1, v1, v2, s[40:41]
	v_readlane_b32 s40, v66, 42
	v_add_f32_e32 v2, v1, v23
	v_readlane_b32 s41, v66, 43
	s_nop 1
	v_cndmask_b32_e64 v1, v1, v2, s[40:41]
	v_add_f32_e32 v2, v1, v24
	v_cndmask_b32_e64 v1, v1, v2, s[48:49]
	v_add_f32_e32 v2, v1, v25
	;; [unrolled: 2-line block ×41, first 2 shown]
	v_cndmask_b32_e32 v1, v1, v2, vcc
	v_mbcnt_lo_u32_b32 v2, -1, 0
	v_mbcnt_hi_u32_b32 v2, -1, v2
	v_and_b32_e32 v4, 63, v2
	v_cmp_ne_u32_e32 vcc, 63, v4
	s_min_u32 s6, s44, 0x80
	v_sub_u32_e64 v5, s6, v5 clamp
	v_addc_co_u32_e32 v3, vcc, 0, v2, vcc
	v_lshlrev_b32_e32 v3, 2, v3
	ds_bpermute_b32 v3, v3, v1
	v_add_u32_e32 v6, 1, v4
	v_cmp_gt_u32_e64 s[4:5], 62, v4
	v_cmp_lt_u32_e32 vcc, v6, v5
	v_add_u32_e32 v7, 2, v4
	s_waitcnt lgkmcnt(0)
	v_add_f32_e32 v3, v1, v3
	v_cndmask_b32_e64 v6, 0, 2, s[4:5]
	v_cndmask_b32_e32 v3, v1, v3, vcc
	v_add_lshl_u32 v6, v6, v2, 2
	ds_bpermute_b32 v6, v6, v3
	v_cmp_lt_u32_e64 s[4:5], v7, v5
	v_add_u32_e32 v7, 4, v4
	s_waitcnt lgkmcnt(0)
	v_add_f32_e32 v6, v3, v6
	v_cndmask_b32_e64 v3, v3, v6, s[4:5]
	v_cmp_gt_u32_e64 s[4:5], 60, v4
	s_nop 1
	v_cndmask_b32_e64 v6, 0, 4, s[4:5]
	v_add_lshl_u32 v6, v6, v2, 2
	ds_bpermute_b32 v6, v6, v3
	v_cmp_lt_u32_e64 s[4:5], v7, v5
	v_add_u32_e32 v7, 8, v4
	s_waitcnt lgkmcnt(0)
	v_add_f32_e32 v6, v3, v6
	v_cndmask_b32_e64 v3, v3, v6, s[4:5]
	v_cmp_gt_u32_e64 s[4:5], 56, v4
	s_nop 1
	v_cndmask_b32_e64 v6, 0, 8, s[4:5]
	v_add_lshl_u32 v6, v6, v2, 2
	ds_bpermute_b32 v6, v6, v3
	v_cmp_lt_u32_e64 s[4:5], v7, v5
	v_add_u32_e32 v7, 16, v4
	s_waitcnt lgkmcnt(0)
	v_add_f32_e32 v6, v3, v6
	v_cndmask_b32_e64 v3, v3, v6, s[4:5]
	v_cmp_gt_u32_e64 s[4:5], 48, v4
	v_add_u32_e32 v4, 32, v4
	s_nop 0
	v_cndmask_b32_e64 v6, 0, 16, s[4:5]
	v_add_lshl_u32 v6, v6, v2, 2
	ds_bpermute_b32 v6, v6, v3
	v_cmp_lt_u32_e64 s[4:5], v7, v5
	s_waitcnt lgkmcnt(0)
	v_add_f32_e32 v6, v3, v6
	v_cndmask_b32_e64 v6, v3, v6, s[4:5]
	v_lshlrev_b32_e32 v3, 2, v2
	v_or_b32_e32 v7, 0x80, v3
	ds_bpermute_b32 v7, v7, v6
	v_cmp_lt_u32_e64 s[4:5], v4, v5
	s_waitcnt lgkmcnt(0)
	v_add_f32_e32 v7, v6, v7
	v_cndmask_b32_e64 v4, v6, v7, s[4:5]
	v_cndmask_b32_e32 v1, v1, v4, vcc
	v_cmp_eq_u32_e32 vcc, 0, v2
	s_and_saveexec_b64 s[4:5], vcc
; %bb.164:
	v_lshrrev_b32_e32 v4, 4, v0
	v_and_b32_e32 v4, 4, v4
	ds_write_b32 v4, v1 offset:56
; %bb.165:
	s_or_b64 exec, exec, s[4:5]
	v_cmp_gt_u32_e32 vcc, 2, v0
	s_waitcnt lgkmcnt(0)
	s_barrier
	s_and_saveexec_b64 s[4:5], vcc
	s_cbranch_execz .LBB540_167
; %bb.166:
	ds_read_b32 v1, v3 offset:56
	v_or_b32_e32 v3, 4, v3
	s_add_i32 s6, s6, 63
	v_and_b32_e32 v2, 1, v2
	s_lshr_b32 s6, s6, 6
	s_waitcnt lgkmcnt(0)
	ds_bpermute_b32 v3, v3, v1
	v_add_u32_e32 v2, 1, v2
	v_cmp_gt_u32_e32 vcc, s6, v2
	s_waitcnt lgkmcnt(0)
	v_add_f32_e32 v3, v1, v3
	v_cndmask_b32_e32 v1, v1, v3, vcc
.LBB540_167:
	s_or_b64 exec, exec, s[4:5]
	v_cmp_eq_u32_e64 s[4:5], 0, v0
	s_and_b64 vcc, exec, s[38:39]
	s_cbranch_vccnz .LBB540_24
	s_branch .LBB540_11
.LBB540_168:
	s_mov_b64 s[6:7], -1
                                        ; implicit-def: $vgpr1
.LBB540_169:
	s_and_b64 vcc, exec, s[6:7]
	s_cbranch_vccz .LBB540_207
; %bb.170:
	s_sub_i32 s38, s70, s4
	v_mov_b32_e32 v2, 0
	v_cmp_gt_u32_e32 vcc, s38, v0
	v_mov_b32_e32 v3, v2
	v_mov_b32_e32 v4, v2
	;; [unrolled: 1-line block ×15, first 2 shown]
	s_and_saveexec_b64 s[4:5], vcc
	s_cbranch_execz .LBB540_172
; %bb.171:
	v_lshlrev_b32_e32 v1, 1, v0
	global_load_sshort v1, v1, s[34:35]
	v_mov_b32_e32 v5, v2
	v_mov_b32_e32 v6, v2
	;; [unrolled: 1-line block ×15, first 2 shown]
	s_waitcnt vmcnt(0)
	v_cvt_f32_i32_e32 v4, v1
	v_mov_b64_e32 v[2:3], v[4:5]
	v_mov_b64_e32 v[4:5], v[6:7]
	;; [unrolled: 1-line block ×8, first 2 shown]
.LBB540_172:
	s_or_b64 exec, exec, s[4:5]
	v_or_b32_e32 v1, 0x80, v0
	v_cmp_gt_u32_e32 vcc, s38, v1
	s_and_saveexec_b64 s[4:5], vcc
	s_cbranch_execz .LBB540_174
; %bb.173:
	v_lshlrev_b32_e32 v1, 1, v0
	global_load_sshort v1, v1, s[34:35] offset:256
	s_waitcnt vmcnt(0)
	v_cvt_f32_i32_e32 v3, v1
.LBB540_174:
	s_or_b64 exec, exec, s[4:5]
	v_or_b32_e32 v1, 0x100, v0
	v_cmp_gt_u32_e64 s[4:5], s38, v1
	s_and_saveexec_b64 s[6:7], s[4:5]
	s_cbranch_execz .LBB540_176
; %bb.175:
	v_lshlrev_b32_e32 v1, 1, v0
	global_load_sshort v1, v1, s[34:35] offset:512
	s_waitcnt vmcnt(0)
	v_cvt_f32_i32_e32 v4, v1
.LBB540_176:
	s_or_b64 exec, exec, s[6:7]
	v_or_b32_e32 v1, 0x180, v0
	v_cmp_gt_u32_e64 s[6:7], s38, v1
	s_and_saveexec_b64 s[8:9], s[6:7]
	;; [unrolled: 11-line block ×14, first 2 shown]
	s_cbranch_execz .LBB540_202
; %bb.201:
	v_lshlrev_b32_e32 v1, 1, v0
	global_load_sshort v1, v1, s[34:35] offset:3840
	s_waitcnt vmcnt(0)
	v_cvt_f32_i32_e32 v17, v1
.LBB540_202:
	s_or_b64 exec, exec, s[36:37]
	v_add_f32_e32 v1, v2, v3
	v_cndmask_b32_e32 v1, v2, v1, vcc
	v_add_f32_e32 v2, v4, v1
	v_cndmask_b32_e64 v1, v1, v2, s[4:5]
	v_add_f32_e32 v2, v5, v1
	v_cndmask_b32_e64 v1, v1, v2, s[6:7]
	;; [unrolled: 2-line block ×14, first 2 shown]
	v_mbcnt_lo_u32_b32 v2, -1, 0
	v_mbcnt_hi_u32_b32 v2, -1, v2
	v_and_b32_e32 v4, 63, v2
	v_cmp_ne_u32_e32 vcc, 63, v4
	s_min_u32 s6, s38, 0x80
	v_and_b32_e32 v5, 64, v0
	v_addc_co_u32_e32 v3, vcc, 0, v2, vcc
	v_lshlrev_b32_e32 v3, 2, v3
	ds_bpermute_b32 v3, v3, v1
	v_sub_u32_e64 v5, s6, v5 clamp
	v_add_u32_e32 v6, 1, v4
	v_cmp_gt_u32_e64 s[4:5], 62, v4
	v_cmp_lt_u32_e32 vcc, v6, v5
	s_waitcnt lgkmcnt(0)
	v_add_f32_e32 v3, v1, v3
	v_cndmask_b32_e64 v6, 0, 2, s[4:5]
	v_cndmask_b32_e32 v3, v1, v3, vcc
	v_add_lshl_u32 v6, v6, v2, 2
	ds_bpermute_b32 v6, v6, v3
	v_add_u32_e32 v7, 2, v4
	v_cmp_lt_u32_e64 s[4:5], v7, v5
	v_add_u32_e32 v7, 4, v4
	s_waitcnt lgkmcnt(0)
	v_add_f32_e32 v6, v3, v6
	v_cndmask_b32_e64 v3, v3, v6, s[4:5]
	v_cmp_gt_u32_e64 s[4:5], 60, v4
	s_nop 1
	v_cndmask_b32_e64 v6, 0, 4, s[4:5]
	v_add_lshl_u32 v6, v6, v2, 2
	ds_bpermute_b32 v6, v6, v3
	v_cmp_lt_u32_e64 s[4:5], v7, v5
	v_add_u32_e32 v7, 8, v4
	s_waitcnt lgkmcnt(0)
	v_add_f32_e32 v6, v3, v6
	v_cndmask_b32_e64 v3, v3, v6, s[4:5]
	v_cmp_gt_u32_e64 s[4:5], 56, v4
	s_nop 1
	v_cndmask_b32_e64 v6, 0, 8, s[4:5]
	v_add_lshl_u32 v6, v6, v2, 2
	ds_bpermute_b32 v6, v6, v3
	v_cmp_lt_u32_e64 s[4:5], v7, v5
	v_add_u32_e32 v7, 16, v4
	s_waitcnt lgkmcnt(0)
	v_add_f32_e32 v6, v3, v6
	v_cndmask_b32_e64 v3, v3, v6, s[4:5]
	v_cmp_gt_u32_e64 s[4:5], 48, v4
	v_add_u32_e32 v4, 32, v4
	s_nop 0
	v_cndmask_b32_e64 v6, 0, 16, s[4:5]
	v_add_lshl_u32 v6, v6, v2, 2
	ds_bpermute_b32 v6, v6, v3
	v_cmp_lt_u32_e64 s[4:5], v7, v5
	s_waitcnt lgkmcnt(0)
	v_add_f32_e32 v6, v3, v6
	v_cndmask_b32_e64 v6, v3, v6, s[4:5]
	v_lshlrev_b32_e32 v3, 2, v2
	v_or_b32_e32 v7, 0x80, v3
	ds_bpermute_b32 v7, v7, v6
	v_cmp_lt_u32_e64 s[4:5], v4, v5
	s_waitcnt lgkmcnt(0)
	v_add_f32_e32 v7, v6, v7
	v_cndmask_b32_e64 v4, v6, v7, s[4:5]
	v_cndmask_b32_e32 v1, v1, v4, vcc
	v_cmp_eq_u32_e32 vcc, 0, v2
	s_and_saveexec_b64 s[4:5], vcc
; %bb.203:
	v_lshrrev_b32_e32 v4, 4, v0
	v_and_b32_e32 v4, 4, v4
	ds_write_b32 v4, v1 offset:56
; %bb.204:
	s_or_b64 exec, exec, s[4:5]
	v_cmp_gt_u32_e32 vcc, 2, v0
	s_waitcnt lgkmcnt(0)
	s_barrier
	s_and_saveexec_b64 s[4:5], vcc
	s_cbranch_execz .LBB540_206
; %bb.205:
	ds_read_b32 v1, v3 offset:56
	v_or_b32_e32 v3, 4, v3
	s_add_i32 s6, s6, 63
	v_and_b32_e32 v2, 1, v2
	s_lshr_b32 s6, s6, 6
	s_waitcnt lgkmcnt(0)
	ds_bpermute_b32 v3, v3, v1
	v_add_u32_e32 v2, 1, v2
	v_cmp_gt_u32_e32 vcc, s6, v2
	s_waitcnt lgkmcnt(0)
	v_add_f32_e32 v3, v1, v3
	v_cndmask_b32_e32 v1, v1, v3, vcc
.LBB540_206:
	s_or_b64 exec, exec, s[4:5]
.LBB540_207:
	v_cmp_eq_u32_e64 s[4:5], 0, v0
	s_branch .LBB540_288
.LBB540_208:
	s_cmp_eq_u32 s33, 8
	s_cbranch_scc0 .LBB540_215
; %bb.209:
	s_mov_b32 s3, 0
	s_lshl_b32 s4, s2, 10
	s_mov_b32 s5, s3
	s_lshr_b64 s[6:7], s[70:71], 10
	s_lshl_b64 s[8:9], s[4:5], 1
	s_add_u32 s16, s68, s8
	s_addc_u32 s17, s69, s9
	s_cmp_lg_u64 s[6:7], s[2:3]
	s_cbranch_scc0 .LBB540_309
; %bb.210:
	v_lshlrev_b32_e32 v1, 1, v0
	global_load_sshort v4, v1, s[16:17]
	global_load_sshort v5, v1, s[16:17] offset:256
	global_load_sshort v6, v1, s[16:17] offset:512
	;; [unrolled: 1-line block ×7, first 2 shown]
	v_mbcnt_lo_u32_b32 v1, -1, 0
	v_mbcnt_hi_u32_b32 v2, -1, v1
	v_lshlrev_b32_e32 v3, 2, v2
	v_cmp_eq_u32_e32 vcc, 0, v2
	s_waitcnt vmcnt(7)
	v_cvt_f32_i32_e32 v1, v4
	s_waitcnt vmcnt(6)
	v_cvt_f32_i32_e32 v4, v5
	;; [unrolled: 2-line block ×6, first 2 shown]
	v_add_f32_e32 v1, v1, v4
	s_waitcnt vmcnt(1)
	v_cvt_f32_i32_e32 v9, v10
	v_add_f32_e32 v1, v1, v5
	s_waitcnt vmcnt(0)
	v_cvt_f32_i32_e32 v10, v11
	v_add_f32_e32 v1, v1, v6
	v_add_f32_e32 v1, v1, v7
	;; [unrolled: 1-line block ×5, first 2 shown]
	v_or_b32_e32 v4, 0xfc, v3
	s_nop 0
	v_add_f32_dpp v1, v1, v1 quad_perm:[1,0,3,2] row_mask:0xf bank_mask:0xf bound_ctrl:1
	s_nop 1
	v_add_f32_dpp v1, v1, v1 quad_perm:[2,3,0,1] row_mask:0xf bank_mask:0xf bound_ctrl:1
	s_nop 1
	v_add_f32_dpp v1, v1, v1 row_ror:4 row_mask:0xf bank_mask:0xf bound_ctrl:1
	s_nop 1
	v_add_f32_dpp v1, v1, v1 row_ror:8 row_mask:0xf bank_mask:0xf bound_ctrl:1
	s_nop 1
	v_add_f32_dpp v1, v1, v1 row_bcast:15 row_mask:0xf bank_mask:0xf bound_ctrl:1
	s_nop 1
	v_add_f32_dpp v1, v1, v1 row_bcast:31 row_mask:0xf bank_mask:0xf bound_ctrl:1
	ds_bpermute_b32 v1, v4, v1
	s_and_saveexec_b64 s[6:7], vcc
	s_cbranch_execz .LBB540_212
; %bb.211:
	v_lshrrev_b32_e32 v4, 4, v0
	v_and_b32_e32 v4, 4, v4
	s_waitcnt lgkmcnt(0)
	ds_write_b32 v4, v1 offset:48
.LBB540_212:
	s_or_b64 exec, exec, s[6:7]
	v_cmp_gt_u32_e32 vcc, 64, v0
	s_waitcnt lgkmcnt(0)
	s_barrier
	s_and_saveexec_b64 s[6:7], vcc
	s_cbranch_execz .LBB540_214
; %bb.213:
	v_and_b32_e32 v1, 1, v2
	v_lshlrev_b32_e32 v1, 2, v1
	ds_read_b32 v1, v1 offset:48
	v_or_b32_e32 v2, 4, v3
	s_waitcnt lgkmcnt(0)
	ds_bpermute_b32 v2, v2, v1
	s_waitcnt lgkmcnt(0)
	v_add_f32_e32 v1, v1, v2
.LBB540_214:
	s_or_b64 exec, exec, s[6:7]
	s_mov_b64 s[6:7], 0
	s_branch .LBB540_310
.LBB540_215:
                                        ; implicit-def: $vgpr1
	s_branch .LBB540_371
.LBB540_216:
	s_mov_b64 s[6:7], -1
                                        ; implicit-def: $vgpr1
.LBB540_217:
	s_and_b64 vcc, exec, s[6:7]
	s_cbranch_vccz .LBB540_287
; %bb.218:
	s_sub_i32 s74, s70, s4
	v_mov_b32_e32 v2, 0
	v_cmp_gt_u32_e32 vcc, s74, v0
	v_mov_b32_e32 v3, v2
	v_mov_b32_e32 v4, v2
	;; [unrolled: 1-line block ×31, first 2 shown]
	s_and_saveexec_b64 s[4:5], vcc
	s_cbranch_execz .LBB540_220
; %bb.219:
	v_lshlrev_b32_e32 v1, 1, v0
	global_load_sshort v1, v1, s[66:67]
	v_mov_b32_e32 v5, v2
	v_mov_b32_e32 v6, v2
	;; [unrolled: 1-line block ×31, first 2 shown]
	s_waitcnt vmcnt(0)
	v_cvt_f32_i32_e32 v4, v1
	v_mov_b64_e32 v[2:3], v[4:5]
	v_mov_b64_e32 v[4:5], v[6:7]
	;; [unrolled: 1-line block ×16, first 2 shown]
.LBB540_220:
	s_or_b64 exec, exec, s[4:5]
	v_or_b32_e32 v1, 0x80, v0
	v_cmp_gt_u32_e32 vcc, s74, v1
	s_and_saveexec_b64 s[4:5], vcc
	s_cbranch_execz .LBB540_222
; %bb.221:
	v_lshlrev_b32_e32 v1, 1, v0
	global_load_sshort v1, v1, s[66:67] offset:256
	s_waitcnt vmcnt(0)
	v_cvt_f32_i32_e32 v3, v1
.LBB540_222:
	s_or_b64 exec, exec, s[4:5]
	v_or_b32_e32 v1, 0x100, v0
	v_cmp_gt_u32_e64 s[4:5], s74, v1
	s_and_saveexec_b64 s[6:7], s[4:5]
	s_cbranch_execz .LBB540_224
; %bb.223:
	v_lshlrev_b32_e32 v1, 1, v0
	global_load_sshort v1, v1, s[66:67] offset:512
	s_waitcnt vmcnt(0)
	v_cvt_f32_i32_e32 v4, v1
.LBB540_224:
	s_or_b64 exec, exec, s[6:7]
	v_or_b32_e32 v1, 0x180, v0
	v_cmp_gt_u32_e64 s[6:7], s74, v1
	s_and_saveexec_b64 s[8:9], s[6:7]
	s_cbranch_execz .LBB540_226
; %bb.225:
	v_lshlrev_b32_e32 v1, 1, v0
	global_load_sshort v1, v1, s[66:67] offset:768
	s_waitcnt vmcnt(0)
	v_cvt_f32_i32_e32 v5, v1
.LBB540_226:
	s_or_b64 exec, exec, s[8:9]
	v_or_b32_e32 v1, 0x200, v0
	v_cmp_gt_u32_e64 s[8:9], s74, v1
	s_and_saveexec_b64 s[10:11], s[8:9]
	s_cbranch_execz .LBB540_228
; %bb.227:
	v_lshlrev_b32_e32 v1, 1, v0
	global_load_sshort v1, v1, s[66:67] offset:1024
	s_waitcnt vmcnt(0)
	v_cvt_f32_i32_e32 v6, v1
.LBB540_228:
	s_or_b64 exec, exec, s[10:11]
	v_or_b32_e32 v1, 0x280, v0
	v_cmp_gt_u32_e64 s[10:11], s74, v1
	s_and_saveexec_b64 s[12:13], s[10:11]
	s_cbranch_execz .LBB540_230
; %bb.229:
	v_lshlrev_b32_e32 v1, 1, v0
	global_load_sshort v1, v1, s[66:67] offset:1280
	s_waitcnt vmcnt(0)
	v_cvt_f32_i32_e32 v7, v1
.LBB540_230:
	s_or_b64 exec, exec, s[12:13]
	v_or_b32_e32 v1, 0x300, v0
	v_cmp_gt_u32_e64 s[12:13], s74, v1
	s_and_saveexec_b64 s[14:15], s[12:13]
	s_cbranch_execz .LBB540_232
; %bb.231:
	v_lshlrev_b32_e32 v1, 1, v0
	global_load_sshort v1, v1, s[66:67] offset:1536
	s_waitcnt vmcnt(0)
	v_cvt_f32_i32_e32 v8, v1
.LBB540_232:
	s_or_b64 exec, exec, s[14:15]
	v_or_b32_e32 v1, 0x380, v0
	v_cmp_gt_u32_e64 s[14:15], s74, v1
	s_and_saveexec_b64 s[16:17], s[14:15]
	s_cbranch_execz .LBB540_234
; %bb.233:
	v_lshlrev_b32_e32 v1, 1, v0
	global_load_sshort v1, v1, s[66:67] offset:1792
	s_waitcnt vmcnt(0)
	v_cvt_f32_i32_e32 v9, v1
.LBB540_234:
	s_or_b64 exec, exec, s[16:17]
	v_or_b32_e32 v1, 0x400, v0
	v_cmp_gt_u32_e64 s[16:17], s74, v1
	s_and_saveexec_b64 s[18:19], s[16:17]
	s_cbranch_execz .LBB540_236
; %bb.235:
	v_lshlrev_b32_e32 v1, 1, v0
	global_load_sshort v1, v1, s[66:67] offset:2048
	s_waitcnt vmcnt(0)
	v_cvt_f32_i32_e32 v10, v1
.LBB540_236:
	s_or_b64 exec, exec, s[18:19]
	v_or_b32_e32 v1, 0x480, v0
	v_cmp_gt_u32_e64 s[18:19], s74, v1
	s_and_saveexec_b64 s[20:21], s[18:19]
	s_cbranch_execz .LBB540_238
; %bb.237:
	v_lshlrev_b32_e32 v1, 1, v0
	global_load_sshort v1, v1, s[66:67] offset:2304
	s_waitcnt vmcnt(0)
	v_cvt_f32_i32_e32 v11, v1
.LBB540_238:
	s_or_b64 exec, exec, s[20:21]
	v_or_b32_e32 v1, 0x500, v0
	v_cmp_gt_u32_e64 s[20:21], s74, v1
	s_and_saveexec_b64 s[22:23], s[20:21]
	s_cbranch_execz .LBB540_240
; %bb.239:
	v_lshlrev_b32_e32 v1, 1, v0
	global_load_sshort v1, v1, s[66:67] offset:2560
	s_waitcnt vmcnt(0)
	v_cvt_f32_i32_e32 v12, v1
.LBB540_240:
	s_or_b64 exec, exec, s[22:23]
	v_or_b32_e32 v1, 0x580, v0
	v_cmp_gt_u32_e64 s[22:23], s74, v1
	s_and_saveexec_b64 s[24:25], s[22:23]
	s_cbranch_execz .LBB540_242
; %bb.241:
	v_lshlrev_b32_e32 v1, 1, v0
	global_load_sshort v1, v1, s[66:67] offset:2816
	s_waitcnt vmcnt(0)
	v_cvt_f32_i32_e32 v13, v1
.LBB540_242:
	s_or_b64 exec, exec, s[24:25]
	v_or_b32_e32 v1, 0x600, v0
	v_cmp_gt_u32_e64 s[24:25], s74, v1
	s_and_saveexec_b64 s[26:27], s[24:25]
	s_cbranch_execz .LBB540_244
; %bb.243:
	v_lshlrev_b32_e32 v1, 1, v0
	global_load_sshort v1, v1, s[66:67] offset:3072
	s_waitcnt vmcnt(0)
	v_cvt_f32_i32_e32 v14, v1
.LBB540_244:
	s_or_b64 exec, exec, s[26:27]
	v_or_b32_e32 v1, 0x680, v0
	v_cmp_gt_u32_e64 s[26:27], s74, v1
	s_and_saveexec_b64 s[28:29], s[26:27]
	s_cbranch_execz .LBB540_246
; %bb.245:
	v_lshlrev_b32_e32 v1, 1, v0
	global_load_sshort v1, v1, s[66:67] offset:3328
	s_waitcnt vmcnt(0)
	v_cvt_f32_i32_e32 v15, v1
.LBB540_246:
	s_or_b64 exec, exec, s[28:29]
	v_or_b32_e32 v1, 0x700, v0
	v_cmp_gt_u32_e64 s[28:29], s74, v1
	s_and_saveexec_b64 s[30:31], s[28:29]
	s_cbranch_execz .LBB540_248
; %bb.247:
	v_lshlrev_b32_e32 v1, 1, v0
	global_load_sshort v1, v1, s[66:67] offset:3584
	s_waitcnt vmcnt(0)
	v_cvt_f32_i32_e32 v16, v1
.LBB540_248:
	s_or_b64 exec, exec, s[30:31]
	v_or_b32_e32 v1, 0x780, v0
	v_cmp_gt_u32_e64 s[30:31], s74, v1
	s_and_saveexec_b64 s[34:35], s[30:31]
	s_cbranch_execz .LBB540_250
; %bb.249:
	v_lshlrev_b32_e32 v1, 1, v0
	global_load_sshort v1, v1, s[66:67] offset:3840
	s_waitcnt vmcnt(0)
	v_cvt_f32_i32_e32 v17, v1
.LBB540_250:
	s_or_b64 exec, exec, s[34:35]
	v_or_b32_e32 v1, 0x800, v0
	v_cmp_gt_u32_e64 s[34:35], s74, v1
	s_and_saveexec_b64 s[36:37], s[34:35]
	s_cbranch_execz .LBB540_252
; %bb.251:
	v_lshlrev_b32_e32 v1, 1, v1
	global_load_sshort v1, v1, s[66:67]
	s_waitcnt vmcnt(0)
	v_cvt_f32_i32_e32 v18, v1
.LBB540_252:
	s_or_b64 exec, exec, s[36:37]
	v_or_b32_e32 v1, 0x880, v0
	v_cmp_gt_u32_e64 s[36:37], s74, v1
	s_and_saveexec_b64 s[38:39], s[36:37]
	s_cbranch_execz .LBB540_254
; %bb.253:
	v_lshlrev_b32_e32 v1, 1, v1
	global_load_sshort v1, v1, s[66:67]
	s_waitcnt vmcnt(0)
	v_cvt_f32_i32_e32 v19, v1
.LBB540_254:
	s_or_b64 exec, exec, s[38:39]
	v_or_b32_e32 v1, 0x900, v0
	v_cmp_gt_u32_e64 s[38:39], s74, v1
	s_and_saveexec_b64 s[40:41], s[38:39]
	;; [unrolled: 11-line block ×15, first 2 shown]
	s_cbranch_execz .LBB540_282
; %bb.281:
	v_lshlrev_b32_e32 v1, 1, v1
	global_load_sshort v1, v1, s[66:67]
	s_waitcnt vmcnt(0)
	v_cvt_f32_i32_e32 v33, v1
.LBB540_282:
	s_or_b64 exec, exec, s[72:73]
	v_add_f32_e32 v1, v2, v3
	v_cndmask_b32_e32 v1, v2, v1, vcc
	v_add_f32_e32 v2, v4, v1
	v_cndmask_b32_e64 v1, v1, v2, s[4:5]
	v_add_f32_e32 v2, v5, v1
	v_cndmask_b32_e64 v1, v1, v2, s[6:7]
	;; [unrolled: 2-line block ×30, first 2 shown]
	v_mbcnt_lo_u32_b32 v2, -1, 0
	v_mbcnt_hi_u32_b32 v2, -1, v2
	v_and_b32_e32 v4, 63, v2
	v_cmp_ne_u32_e32 vcc, 63, v4
	s_min_u32 s6, s74, 0x80
	v_and_b32_e32 v5, 64, v0
	v_addc_co_u32_e32 v3, vcc, 0, v2, vcc
	v_lshlrev_b32_e32 v3, 2, v3
	ds_bpermute_b32 v3, v3, v1
	v_sub_u32_e64 v5, s6, v5 clamp
	v_add_u32_e32 v6, 1, v4
	v_cmp_gt_u32_e64 s[4:5], 62, v4
	v_cmp_lt_u32_e32 vcc, v6, v5
	s_waitcnt lgkmcnt(0)
	v_add_f32_e32 v3, v1, v3
	v_cndmask_b32_e64 v6, 0, 2, s[4:5]
	v_cndmask_b32_e32 v3, v1, v3, vcc
	v_add_lshl_u32 v6, v6, v2, 2
	ds_bpermute_b32 v6, v6, v3
	v_add_u32_e32 v7, 2, v4
	v_cmp_lt_u32_e64 s[4:5], v7, v5
	v_add_u32_e32 v7, 4, v4
	s_waitcnt lgkmcnt(0)
	v_add_f32_e32 v6, v3, v6
	v_cndmask_b32_e64 v3, v3, v6, s[4:5]
	v_cmp_gt_u32_e64 s[4:5], 60, v4
	s_nop 1
	v_cndmask_b32_e64 v6, 0, 4, s[4:5]
	v_add_lshl_u32 v6, v6, v2, 2
	ds_bpermute_b32 v6, v6, v3
	v_cmp_lt_u32_e64 s[4:5], v7, v5
	v_add_u32_e32 v7, 8, v4
	s_waitcnt lgkmcnt(0)
	v_add_f32_e32 v6, v3, v6
	v_cndmask_b32_e64 v3, v3, v6, s[4:5]
	v_cmp_gt_u32_e64 s[4:5], 56, v4
	s_nop 1
	v_cndmask_b32_e64 v6, 0, 8, s[4:5]
	v_add_lshl_u32 v6, v6, v2, 2
	ds_bpermute_b32 v6, v6, v3
	v_cmp_lt_u32_e64 s[4:5], v7, v5
	v_add_u32_e32 v7, 16, v4
	s_waitcnt lgkmcnt(0)
	v_add_f32_e32 v6, v3, v6
	v_cndmask_b32_e64 v3, v3, v6, s[4:5]
	v_cmp_gt_u32_e64 s[4:5], 48, v4
	v_add_u32_e32 v4, 32, v4
	s_nop 0
	v_cndmask_b32_e64 v6, 0, 16, s[4:5]
	v_add_lshl_u32 v6, v6, v2, 2
	ds_bpermute_b32 v6, v6, v3
	v_cmp_lt_u32_e64 s[4:5], v7, v5
	s_waitcnt lgkmcnt(0)
	v_add_f32_e32 v6, v3, v6
	v_cndmask_b32_e64 v6, v3, v6, s[4:5]
	v_lshlrev_b32_e32 v3, 2, v2
	v_or_b32_e32 v7, 0x80, v3
	ds_bpermute_b32 v7, v7, v6
	v_cmp_lt_u32_e64 s[4:5], v4, v5
	s_waitcnt lgkmcnt(0)
	v_add_f32_e32 v7, v6, v7
	v_cndmask_b32_e64 v4, v6, v7, s[4:5]
	v_cndmask_b32_e32 v1, v1, v4, vcc
	v_cmp_eq_u32_e32 vcc, 0, v2
	s_and_saveexec_b64 s[4:5], vcc
; %bb.283:
	v_lshrrev_b32_e32 v4, 4, v0
	v_and_b32_e32 v4, 4, v4
	ds_write_b32 v4, v1 offset:56
; %bb.284:
	s_or_b64 exec, exec, s[4:5]
	v_cmp_gt_u32_e32 vcc, 2, v0
	s_waitcnt lgkmcnt(0)
	s_barrier
	s_and_saveexec_b64 s[4:5], vcc
	s_cbranch_execz .LBB540_286
; %bb.285:
	ds_read_b32 v1, v3 offset:56
	v_or_b32_e32 v3, 4, v3
	s_add_i32 s6, s6, 63
	v_and_b32_e32 v2, 1, v2
	s_lshr_b32 s6, s6, 6
	s_waitcnt lgkmcnt(0)
	ds_bpermute_b32 v3, v3, v1
	v_add_u32_e32 v2, 1, v2
	v_cmp_gt_u32_e32 vcc, s6, v2
	s_waitcnt lgkmcnt(0)
	v_add_f32_e32 v3, v1, v3
	v_cndmask_b32_e32 v1, v1, v3, vcc
.LBB540_286:
	s_or_b64 exec, exec, s[4:5]
.LBB540_287:
	v_cmp_eq_u32_e64 s[4:5], 0, v0
.LBB540_288:
	s_branch .LBB540_371
.LBB540_289:
	s_cmp_gt_i32 s33, 1
	s_cbranch_scc0 .LBB540_298
; %bb.290:
	s_cmp_gt_i32 s33, 3
	s_cbranch_scc0 .LBB540_299
; %bb.291:
	s_cmp_eq_u32 s33, 4
	s_cbranch_scc0 .LBB540_307
; %bb.292:
	s_mov_b32 s3, 0
	s_lshl_b32 s4, s2, 9
	s_mov_b32 s5, s3
	s_lshr_b64 s[6:7], s[70:71], 9
	s_lshl_b64 s[8:9], s[4:5], 1
	s_add_u32 s8, s68, s8
	s_addc_u32 s9, s69, s9
	s_cmp_lg_u64 s[6:7], s[2:3]
	s_cbranch_scc0 .LBB540_333
; %bb.293:
	v_lshlrev_b32_e32 v1, 1, v0
	global_load_sshort v3, v1, s[8:9]
	global_load_sshort v4, v1, s[8:9] offset:256
	global_load_sshort v5, v1, s[8:9] offset:512
	;; [unrolled: 1-line block ×3, first 2 shown]
	v_mbcnt_lo_u32_b32 v1, -1, 0
	v_mbcnt_hi_u32_b32 v2, -1, v1
	v_cmp_eq_u32_e32 vcc, 0, v2
	s_waitcnt vmcnt(3)
	v_cvt_f32_i32_e32 v1, v3
	s_waitcnt vmcnt(2)
	v_cvt_f32_i32_e32 v4, v4
	;; [unrolled: 2-line block ×4, first 2 shown]
	v_lshlrev_b32_e32 v3, 2, v2
	v_add_f32_e32 v1, v1, v4
	v_add_f32_e32 v1, v1, v5
	;; [unrolled: 1-line block ×3, first 2 shown]
	v_or_b32_e32 v4, 0xfc, v3
	s_nop 0
	v_add_f32_dpp v1, v1, v1 quad_perm:[1,0,3,2] row_mask:0xf bank_mask:0xf bound_ctrl:1
	s_nop 1
	v_add_f32_dpp v1, v1, v1 quad_perm:[2,3,0,1] row_mask:0xf bank_mask:0xf bound_ctrl:1
	s_nop 1
	v_add_f32_dpp v1, v1, v1 row_ror:4 row_mask:0xf bank_mask:0xf bound_ctrl:1
	s_nop 1
	v_add_f32_dpp v1, v1, v1 row_ror:8 row_mask:0xf bank_mask:0xf bound_ctrl:1
	s_nop 1
	v_add_f32_dpp v1, v1, v1 row_bcast:15 row_mask:0xf bank_mask:0xf bound_ctrl:1
	s_nop 1
	v_add_f32_dpp v1, v1, v1 row_bcast:31 row_mask:0xf bank_mask:0xf bound_ctrl:1
	ds_bpermute_b32 v1, v4, v1
	s_and_saveexec_b64 s[6:7], vcc
	s_cbranch_execz .LBB540_295
; %bb.294:
	v_lshrrev_b32_e32 v4, 4, v0
	v_and_b32_e32 v4, 4, v4
	s_waitcnt lgkmcnt(0)
	ds_write_b32 v4, v1 offset:32
.LBB540_295:
	s_or_b64 exec, exec, s[6:7]
	v_cmp_gt_u32_e32 vcc, 64, v0
	s_waitcnt lgkmcnt(0)
	s_barrier
	s_and_saveexec_b64 s[6:7], vcc
	s_cbranch_execz .LBB540_297
; %bb.296:
	v_and_b32_e32 v1, 1, v2
	v_lshlrev_b32_e32 v1, 2, v1
	ds_read_b32 v1, v1 offset:32
	v_or_b32_e32 v2, 4, v3
	s_waitcnt lgkmcnt(0)
	ds_bpermute_b32 v2, v2, v1
	s_waitcnt lgkmcnt(0)
	v_add_f32_e32 v1, v1, v2
.LBB540_297:
	s_or_b64 exec, exec, s[6:7]
	s_mov_b64 s[6:7], 0
	s_branch .LBB540_334
.LBB540_298:
                                        ; implicit-def: $vgpr1
	s_cbranch_execnz .LBB540_362
	s_branch .LBB540_371
.LBB540_299:
                                        ; implicit-def: $vgpr1
	s_cbranch_execz .LBB540_349
; %bb.300:
	s_cmp_eq_u32 s33, 2
	s_cbranch_scc0 .LBB540_308
; %bb.301:
	s_mov_b32 s3, 0
	s_lshl_b32 s6, s2, 8
	s_mov_b32 s7, s3
	s_lshr_b64 s[8:9], s[70:71], 8
	s_lshl_b64 s[4:5], s[6:7], 1
	s_add_u32 s4, s68, s4
	s_addc_u32 s5, s69, s5
	s_cmp_lg_u64 s[8:9], s[2:3]
	s_cbranch_scc0 .LBB540_350
; %bb.302:
	v_lshlrev_b32_e32 v1, 1, v0
	global_load_sshort v2, v1, s[4:5]
	global_load_sshort v3, v1, s[4:5] offset:256
	s_waitcnt vmcnt(1)
	v_cvt_f32_i32_e32 v1, v2
	s_waitcnt vmcnt(0)
	v_cvt_f32_i32_e32 v4, v3
	v_mbcnt_lo_u32_b32 v2, -1, 0
	v_mbcnt_hi_u32_b32 v2, -1, v2
	v_lshlrev_b32_e32 v3, 2, v2
	v_add_f32_e32 v1, v1, v4
	v_or_b32_e32 v4, 0xfc, v3
	v_cmp_eq_u32_e32 vcc, 0, v2
	v_add_f32_dpp v1, v1, v1 quad_perm:[1,0,3,2] row_mask:0xf bank_mask:0xf bound_ctrl:1
	s_nop 1
	v_add_f32_dpp v1, v1, v1 quad_perm:[2,3,0,1] row_mask:0xf bank_mask:0xf bound_ctrl:1
	s_nop 1
	v_add_f32_dpp v1, v1, v1 row_ror:4 row_mask:0xf bank_mask:0xf bound_ctrl:1
	s_nop 1
	v_add_f32_dpp v1, v1, v1 row_ror:8 row_mask:0xf bank_mask:0xf bound_ctrl:1
	s_nop 1
	v_add_f32_dpp v1, v1, v1 row_bcast:15 row_mask:0xf bank_mask:0xf bound_ctrl:1
	s_nop 1
	v_add_f32_dpp v1, v1, v1 row_bcast:31 row_mask:0xf bank_mask:0xf bound_ctrl:1
	ds_bpermute_b32 v1, v4, v1
	s_and_saveexec_b64 s[8:9], vcc
	s_cbranch_execz .LBB540_304
; %bb.303:
	v_lshrrev_b32_e32 v4, 4, v0
	v_and_b32_e32 v4, 4, v4
	s_waitcnt lgkmcnt(0)
	ds_write_b32 v4, v1 offset:16
.LBB540_304:
	s_or_b64 exec, exec, s[8:9]
	v_cmp_gt_u32_e32 vcc, 64, v0
	s_waitcnt lgkmcnt(0)
	s_barrier
	s_and_saveexec_b64 s[8:9], vcc
	s_cbranch_execz .LBB540_306
; %bb.305:
	v_and_b32_e32 v1, 1, v2
	v_lshlrev_b32_e32 v1, 2, v1
	ds_read_b32 v1, v1 offset:16
	v_or_b32_e32 v2, 4, v3
	s_waitcnt lgkmcnt(0)
	ds_bpermute_b32 v2, v2, v1
	s_waitcnt lgkmcnt(0)
	v_add_f32_e32 v1, v1, v2
.LBB540_306:
	s_or_b64 exec, exec, s[8:9]
	s_mov_b64 s[8:9], 0
	s_branch .LBB540_351
.LBB540_307:
                                        ; implicit-def: $vgpr1
	s_branch .LBB540_349
.LBB540_308:
                                        ; implicit-def: $vgpr1
	s_branch .LBB540_371
.LBB540_309:
	s_mov_b64 s[6:7], -1
                                        ; implicit-def: $vgpr1
.LBB540_310:
	s_and_b64 vcc, exec, s[6:7]
	s_cbranch_vccz .LBB540_332
; %bb.311:
	s_sub_i32 s20, s70, s4
	v_mov_b32_e32 v2, 0
	v_cmp_gt_u32_e32 vcc, s20, v0
	v_mov_b32_e32 v3, v2
	v_mov_b32_e32 v4, v2
	;; [unrolled: 1-line block ×7, first 2 shown]
	s_and_saveexec_b64 s[4:5], vcc
	s_cbranch_execz .LBB540_313
; %bb.312:
	v_lshlrev_b32_e32 v1, 1, v0
	global_load_sshort v1, v1, s[16:17]
	v_mov_b32_e32 v5, v2
	v_mov_b32_e32 v6, v2
	;; [unrolled: 1-line block ×7, first 2 shown]
	s_waitcnt vmcnt(0)
	v_cvt_f32_i32_e32 v4, v1
	v_mov_b64_e32 v[2:3], v[4:5]
	v_mov_b64_e32 v[4:5], v[6:7]
	;; [unrolled: 1-line block ×4, first 2 shown]
.LBB540_313:
	s_or_b64 exec, exec, s[4:5]
	v_or_b32_e32 v1, 0x80, v0
	v_cmp_gt_u32_e32 vcc, s20, v1
	s_and_saveexec_b64 s[4:5], vcc
	s_cbranch_execz .LBB540_315
; %bb.314:
	v_lshlrev_b32_e32 v1, 1, v0
	global_load_sshort v1, v1, s[16:17] offset:256
	s_waitcnt vmcnt(0)
	v_cvt_f32_i32_e32 v3, v1
.LBB540_315:
	s_or_b64 exec, exec, s[4:5]
	v_or_b32_e32 v1, 0x100, v0
	v_cmp_gt_u32_e64 s[4:5], s20, v1
	s_and_saveexec_b64 s[6:7], s[4:5]
	s_cbranch_execz .LBB540_317
; %bb.316:
	v_lshlrev_b32_e32 v1, 1, v0
	global_load_sshort v1, v1, s[16:17] offset:512
	s_waitcnt vmcnt(0)
	v_cvt_f32_i32_e32 v4, v1
.LBB540_317:
	s_or_b64 exec, exec, s[6:7]
	v_or_b32_e32 v1, 0x180, v0
	v_cmp_gt_u32_e64 s[6:7], s20, v1
	s_and_saveexec_b64 s[8:9], s[6:7]
	s_cbranch_execz .LBB540_319
; %bb.318:
	v_lshlrev_b32_e32 v1, 1, v0
	global_load_sshort v1, v1, s[16:17] offset:768
	s_waitcnt vmcnt(0)
	v_cvt_f32_i32_e32 v5, v1
.LBB540_319:
	s_or_b64 exec, exec, s[8:9]
	v_or_b32_e32 v1, 0x200, v0
	v_cmp_gt_u32_e64 s[8:9], s20, v1
	s_and_saveexec_b64 s[10:11], s[8:9]
	s_cbranch_execz .LBB540_321
; %bb.320:
	v_lshlrev_b32_e32 v1, 1, v0
	global_load_sshort v1, v1, s[16:17] offset:1024
	s_waitcnt vmcnt(0)
	v_cvt_f32_i32_e32 v6, v1
.LBB540_321:
	s_or_b64 exec, exec, s[10:11]
	v_or_b32_e32 v1, 0x280, v0
	v_cmp_gt_u32_e64 s[10:11], s20, v1
	s_and_saveexec_b64 s[12:13], s[10:11]
	s_cbranch_execz .LBB540_323
; %bb.322:
	v_lshlrev_b32_e32 v1, 1, v0
	global_load_sshort v1, v1, s[16:17] offset:1280
	s_waitcnt vmcnt(0)
	v_cvt_f32_i32_e32 v7, v1
.LBB540_323:
	s_or_b64 exec, exec, s[12:13]
	v_or_b32_e32 v1, 0x300, v0
	v_cmp_gt_u32_e64 s[12:13], s20, v1
	s_and_saveexec_b64 s[14:15], s[12:13]
	s_cbranch_execz .LBB540_325
; %bb.324:
	v_lshlrev_b32_e32 v1, 1, v0
	global_load_sshort v1, v1, s[16:17] offset:1536
	s_waitcnt vmcnt(0)
	v_cvt_f32_i32_e32 v8, v1
.LBB540_325:
	s_or_b64 exec, exec, s[14:15]
	v_or_b32_e32 v1, 0x380, v0
	v_cmp_gt_u32_e64 s[14:15], s20, v1
	s_and_saveexec_b64 s[18:19], s[14:15]
	s_cbranch_execz .LBB540_327
; %bb.326:
	v_lshlrev_b32_e32 v1, 1, v0
	global_load_sshort v1, v1, s[16:17] offset:1792
	s_waitcnt vmcnt(0)
	v_cvt_f32_i32_e32 v9, v1
.LBB540_327:
	s_or_b64 exec, exec, s[18:19]
	v_add_f32_e32 v1, v2, v3
	v_cndmask_b32_e32 v1, v2, v1, vcc
	v_add_f32_e32 v2, v4, v1
	v_cndmask_b32_e64 v1, v1, v2, s[4:5]
	v_add_f32_e32 v2, v5, v1
	v_cndmask_b32_e64 v1, v1, v2, s[6:7]
	;; [unrolled: 2-line block ×6, first 2 shown]
	v_mbcnt_lo_u32_b32 v2, -1, 0
	v_mbcnt_hi_u32_b32 v2, -1, v2
	v_and_b32_e32 v4, 63, v2
	v_cmp_ne_u32_e32 vcc, 63, v4
	s_min_u32 s6, s20, 0x80
	v_and_b32_e32 v5, 64, v0
	v_addc_co_u32_e32 v3, vcc, 0, v2, vcc
	v_lshlrev_b32_e32 v3, 2, v3
	ds_bpermute_b32 v3, v3, v1
	v_sub_u32_e64 v5, s6, v5 clamp
	v_add_u32_e32 v6, 1, v4
	v_cmp_gt_u32_e64 s[4:5], 62, v4
	v_cmp_lt_u32_e32 vcc, v6, v5
	s_waitcnt lgkmcnt(0)
	v_add_f32_e32 v3, v1, v3
	v_cndmask_b32_e64 v6, 0, 2, s[4:5]
	v_cndmask_b32_e32 v3, v1, v3, vcc
	v_add_lshl_u32 v6, v6, v2, 2
	ds_bpermute_b32 v6, v6, v3
	v_add_u32_e32 v7, 2, v4
	v_cmp_lt_u32_e64 s[4:5], v7, v5
	v_add_u32_e32 v7, 4, v4
	s_waitcnt lgkmcnt(0)
	v_add_f32_e32 v6, v3, v6
	v_cndmask_b32_e64 v3, v3, v6, s[4:5]
	v_cmp_gt_u32_e64 s[4:5], 60, v4
	s_nop 1
	v_cndmask_b32_e64 v6, 0, 4, s[4:5]
	v_add_lshl_u32 v6, v6, v2, 2
	ds_bpermute_b32 v6, v6, v3
	v_cmp_lt_u32_e64 s[4:5], v7, v5
	v_add_u32_e32 v7, 8, v4
	s_waitcnt lgkmcnt(0)
	v_add_f32_e32 v6, v3, v6
	v_cndmask_b32_e64 v3, v3, v6, s[4:5]
	v_cmp_gt_u32_e64 s[4:5], 56, v4
	s_nop 1
	v_cndmask_b32_e64 v6, 0, 8, s[4:5]
	v_add_lshl_u32 v6, v6, v2, 2
	ds_bpermute_b32 v6, v6, v3
	v_cmp_lt_u32_e64 s[4:5], v7, v5
	v_add_u32_e32 v7, 16, v4
	s_waitcnt lgkmcnt(0)
	v_add_f32_e32 v6, v3, v6
	v_cndmask_b32_e64 v3, v3, v6, s[4:5]
	v_cmp_gt_u32_e64 s[4:5], 48, v4
	v_add_u32_e32 v4, 32, v4
	s_nop 0
	v_cndmask_b32_e64 v6, 0, 16, s[4:5]
	v_add_lshl_u32 v6, v6, v2, 2
	ds_bpermute_b32 v6, v6, v3
	v_cmp_lt_u32_e64 s[4:5], v7, v5
	s_waitcnt lgkmcnt(0)
	v_add_f32_e32 v6, v3, v6
	v_cndmask_b32_e64 v6, v3, v6, s[4:5]
	v_lshlrev_b32_e32 v3, 2, v2
	v_or_b32_e32 v7, 0x80, v3
	ds_bpermute_b32 v7, v7, v6
	v_cmp_lt_u32_e64 s[4:5], v4, v5
	s_waitcnt lgkmcnt(0)
	v_add_f32_e32 v7, v6, v7
	v_cndmask_b32_e64 v4, v6, v7, s[4:5]
	v_cndmask_b32_e32 v1, v1, v4, vcc
	v_cmp_eq_u32_e32 vcc, 0, v2
	s_and_saveexec_b64 s[4:5], vcc
; %bb.328:
	v_lshrrev_b32_e32 v4, 4, v0
	v_and_b32_e32 v4, 4, v4
	ds_write_b32 v4, v1 offset:56
; %bb.329:
	s_or_b64 exec, exec, s[4:5]
	v_cmp_gt_u32_e32 vcc, 2, v0
	s_waitcnt lgkmcnt(0)
	s_barrier
	s_and_saveexec_b64 s[4:5], vcc
	s_cbranch_execz .LBB540_331
; %bb.330:
	ds_read_b32 v1, v3 offset:56
	v_or_b32_e32 v3, 4, v3
	s_add_i32 s6, s6, 63
	v_and_b32_e32 v2, 1, v2
	s_lshr_b32 s6, s6, 6
	s_waitcnt lgkmcnt(0)
	ds_bpermute_b32 v3, v3, v1
	v_add_u32_e32 v2, 1, v2
	v_cmp_gt_u32_e32 vcc, s6, v2
	s_waitcnt lgkmcnt(0)
	v_add_f32_e32 v3, v1, v3
	v_cndmask_b32_e32 v1, v1, v3, vcc
.LBB540_331:
	s_or_b64 exec, exec, s[4:5]
.LBB540_332:
	v_cmp_eq_u32_e64 s[4:5], 0, v0
	s_branch .LBB540_371
.LBB540_333:
	s_mov_b64 s[6:7], -1
                                        ; implicit-def: $vgpr1
.LBB540_334:
	s_and_b64 vcc, exec, s[6:7]
	s_cbranch_vccz .LBB540_348
; %bb.335:
	s_sub_i32 s12, s70, s4
	v_mov_b32_e32 v2, 0
	v_cmp_gt_u32_e32 vcc, s12, v0
	v_mov_b32_e32 v3, v2
	v_mov_b32_e32 v4, v2
	;; [unrolled: 1-line block ×3, first 2 shown]
	s_and_saveexec_b64 s[4:5], vcc
	s_cbranch_execz .LBB540_337
; %bb.336:
	v_lshlrev_b32_e32 v1, 1, v0
	global_load_sshort v1, v1, s[8:9]
	v_mov_b32_e32 v5, v2
	v_mov_b32_e32 v6, v2
	;; [unrolled: 1-line block ×3, first 2 shown]
	s_waitcnt vmcnt(0)
	v_cvt_f32_i32_e32 v4, v1
	v_mov_b64_e32 v[2:3], v[4:5]
	v_mov_b64_e32 v[4:5], v[6:7]
.LBB540_337:
	s_or_b64 exec, exec, s[4:5]
	v_or_b32_e32 v1, 0x80, v0
	v_cmp_gt_u32_e32 vcc, s12, v1
	s_and_saveexec_b64 s[4:5], vcc
	s_cbranch_execz .LBB540_339
; %bb.338:
	v_lshlrev_b32_e32 v1, 1, v0
	global_load_sshort v1, v1, s[8:9] offset:256
	s_waitcnt vmcnt(0)
	v_cvt_f32_i32_e32 v3, v1
.LBB540_339:
	s_or_b64 exec, exec, s[4:5]
	v_or_b32_e32 v1, 0x100, v0
	v_cmp_gt_u32_e64 s[4:5], s12, v1
	s_and_saveexec_b64 s[6:7], s[4:5]
	s_cbranch_execz .LBB540_341
; %bb.340:
	v_lshlrev_b32_e32 v1, 1, v0
	global_load_sshort v1, v1, s[8:9] offset:512
	s_waitcnt vmcnt(0)
	v_cvt_f32_i32_e32 v4, v1
.LBB540_341:
	s_or_b64 exec, exec, s[6:7]
	v_or_b32_e32 v1, 0x180, v0
	v_cmp_gt_u32_e64 s[6:7], s12, v1
	s_and_saveexec_b64 s[10:11], s[6:7]
	s_cbranch_execz .LBB540_343
; %bb.342:
	v_lshlrev_b32_e32 v1, 1, v0
	global_load_sshort v1, v1, s[8:9] offset:768
	s_waitcnt vmcnt(0)
	v_cvt_f32_i32_e32 v5, v1
.LBB540_343:
	s_or_b64 exec, exec, s[10:11]
	v_add_f32_e32 v1, v2, v3
	v_cndmask_b32_e32 v1, v2, v1, vcc
	v_add_f32_e32 v2, v4, v1
	v_cndmask_b32_e64 v1, v1, v2, s[4:5]
	v_add_f32_e32 v2, v5, v1
	v_cndmask_b32_e64 v1, v1, v2, s[6:7]
	v_mbcnt_lo_u32_b32 v2, -1, 0
	v_mbcnt_hi_u32_b32 v2, -1, v2
	v_and_b32_e32 v4, 63, v2
	v_cmp_ne_u32_e32 vcc, 63, v4
	s_min_u32 s6, s12, 0x80
	v_and_b32_e32 v5, 64, v0
	v_addc_co_u32_e32 v3, vcc, 0, v2, vcc
	v_lshlrev_b32_e32 v3, 2, v3
	ds_bpermute_b32 v3, v3, v1
	v_sub_u32_e64 v5, s6, v5 clamp
	v_add_u32_e32 v6, 1, v4
	v_cmp_gt_u32_e64 s[4:5], 62, v4
	v_cmp_lt_u32_e32 vcc, v6, v5
	s_waitcnt lgkmcnt(0)
	v_add_f32_e32 v3, v1, v3
	v_cndmask_b32_e64 v6, 0, 2, s[4:5]
	v_cndmask_b32_e32 v3, v1, v3, vcc
	v_add_lshl_u32 v6, v6, v2, 2
	ds_bpermute_b32 v6, v6, v3
	v_add_u32_e32 v7, 2, v4
	v_cmp_lt_u32_e64 s[4:5], v7, v5
	v_add_u32_e32 v7, 4, v4
	s_waitcnt lgkmcnt(0)
	v_add_f32_e32 v6, v3, v6
	v_cndmask_b32_e64 v3, v3, v6, s[4:5]
	v_cmp_gt_u32_e64 s[4:5], 60, v4
	s_nop 1
	v_cndmask_b32_e64 v6, 0, 4, s[4:5]
	v_add_lshl_u32 v6, v6, v2, 2
	ds_bpermute_b32 v6, v6, v3
	v_cmp_lt_u32_e64 s[4:5], v7, v5
	v_add_u32_e32 v7, 8, v4
	s_waitcnt lgkmcnt(0)
	v_add_f32_e32 v6, v3, v6
	v_cndmask_b32_e64 v3, v3, v6, s[4:5]
	v_cmp_gt_u32_e64 s[4:5], 56, v4
	s_nop 1
	v_cndmask_b32_e64 v6, 0, 8, s[4:5]
	v_add_lshl_u32 v6, v6, v2, 2
	ds_bpermute_b32 v6, v6, v3
	v_cmp_lt_u32_e64 s[4:5], v7, v5
	v_add_u32_e32 v7, 16, v4
	s_waitcnt lgkmcnt(0)
	v_add_f32_e32 v6, v3, v6
	v_cndmask_b32_e64 v3, v3, v6, s[4:5]
	v_cmp_gt_u32_e64 s[4:5], 48, v4
	v_add_u32_e32 v4, 32, v4
	s_nop 0
	v_cndmask_b32_e64 v6, 0, 16, s[4:5]
	v_add_lshl_u32 v6, v6, v2, 2
	ds_bpermute_b32 v6, v6, v3
	v_cmp_lt_u32_e64 s[4:5], v7, v5
	s_waitcnt lgkmcnt(0)
	v_add_f32_e32 v6, v3, v6
	v_cndmask_b32_e64 v6, v3, v6, s[4:5]
	v_lshlrev_b32_e32 v3, 2, v2
	v_or_b32_e32 v7, 0x80, v3
	ds_bpermute_b32 v7, v7, v6
	v_cmp_lt_u32_e64 s[4:5], v4, v5
	s_waitcnt lgkmcnt(0)
	v_add_f32_e32 v7, v6, v7
	v_cndmask_b32_e64 v4, v6, v7, s[4:5]
	v_cndmask_b32_e32 v1, v1, v4, vcc
	v_cmp_eq_u32_e32 vcc, 0, v2
	s_and_saveexec_b64 s[4:5], vcc
; %bb.344:
	v_lshrrev_b32_e32 v4, 4, v0
	v_and_b32_e32 v4, 4, v4
	ds_write_b32 v4, v1 offset:56
; %bb.345:
	s_or_b64 exec, exec, s[4:5]
	v_cmp_gt_u32_e32 vcc, 2, v0
	s_waitcnt lgkmcnt(0)
	s_barrier
	s_and_saveexec_b64 s[4:5], vcc
	s_cbranch_execz .LBB540_347
; %bb.346:
	ds_read_b32 v1, v3 offset:56
	v_or_b32_e32 v3, 4, v3
	s_add_i32 s6, s6, 63
	v_and_b32_e32 v2, 1, v2
	s_lshr_b32 s6, s6, 6
	s_waitcnt lgkmcnt(0)
	ds_bpermute_b32 v3, v3, v1
	v_add_u32_e32 v2, 1, v2
	v_cmp_gt_u32_e32 vcc, s6, v2
	s_waitcnt lgkmcnt(0)
	v_add_f32_e32 v3, v1, v3
	v_cndmask_b32_e32 v1, v1, v3, vcc
.LBB540_347:
	s_or_b64 exec, exec, s[4:5]
.LBB540_348:
	v_cmp_eq_u32_e64 s[4:5], 0, v0
.LBB540_349:
	s_branch .LBB540_371
.LBB540_350:
	s_mov_b64 s[8:9], -1
                                        ; implicit-def: $vgpr1
.LBB540_351:
	s_and_b64 vcc, exec, s[8:9]
	s_cbranch_vccz .LBB540_361
; %bb.352:
	s_sub_i32 s8, s70, s6
	v_mov_b32_e32 v2, 0
	v_cmp_gt_u32_e32 vcc, s8, v0
	v_mov_b32_e32 v3, v2
	s_and_saveexec_b64 s[6:7], vcc
	s_cbranch_execz .LBB540_354
; %bb.353:
	v_lshlrev_b32_e32 v1, 1, v0
	global_load_sshort v1, v1, s[4:5]
	v_mov_b32_e32 v5, v2
	s_waitcnt vmcnt(0)
	v_cvt_f32_i32_e32 v4, v1
	v_mov_b64_e32 v[2:3], v[4:5]
.LBB540_354:
	s_or_b64 exec, exec, s[6:7]
	v_or_b32_e32 v1, 0x80, v0
	v_cmp_gt_u32_e32 vcc, s8, v1
	s_and_saveexec_b64 s[6:7], vcc
	s_cbranch_execz .LBB540_356
; %bb.355:
	v_lshlrev_b32_e32 v1, 1, v0
	global_load_sshort v1, v1, s[4:5] offset:256
	s_waitcnt vmcnt(0)
	v_cvt_f32_i32_e32 v3, v1
.LBB540_356:
	s_or_b64 exec, exec, s[6:7]
	v_add_f32_e32 v1, v3, v2
	v_cndmask_b32_e32 v1, v2, v1, vcc
	v_mbcnt_lo_u32_b32 v2, -1, 0
	v_mbcnt_hi_u32_b32 v2, -1, v2
	v_and_b32_e32 v4, 63, v2
	v_cmp_ne_u32_e32 vcc, 63, v4
	s_min_u32 s6, s8, 0x80
	v_and_b32_e32 v5, 64, v0
	v_addc_co_u32_e32 v3, vcc, 0, v2, vcc
	v_lshlrev_b32_e32 v3, 2, v3
	ds_bpermute_b32 v3, v3, v1
	v_sub_u32_e64 v5, s6, v5 clamp
	v_add_u32_e32 v6, 1, v4
	v_cmp_gt_u32_e64 s[4:5], 62, v4
	v_cmp_lt_u32_e32 vcc, v6, v5
	s_waitcnt lgkmcnt(0)
	v_add_f32_e32 v3, v1, v3
	v_cndmask_b32_e64 v6, 0, 2, s[4:5]
	v_cndmask_b32_e32 v3, v1, v3, vcc
	v_add_lshl_u32 v6, v6, v2, 2
	ds_bpermute_b32 v6, v6, v3
	v_add_u32_e32 v7, 2, v4
	v_cmp_lt_u32_e64 s[4:5], v7, v5
	v_add_u32_e32 v7, 4, v4
	s_waitcnt lgkmcnt(0)
	v_add_f32_e32 v6, v3, v6
	v_cndmask_b32_e64 v3, v3, v6, s[4:5]
	v_cmp_gt_u32_e64 s[4:5], 60, v4
	s_nop 1
	v_cndmask_b32_e64 v6, 0, 4, s[4:5]
	v_add_lshl_u32 v6, v6, v2, 2
	ds_bpermute_b32 v6, v6, v3
	v_cmp_lt_u32_e64 s[4:5], v7, v5
	v_add_u32_e32 v7, 8, v4
	s_waitcnt lgkmcnt(0)
	v_add_f32_e32 v6, v3, v6
	v_cndmask_b32_e64 v3, v3, v6, s[4:5]
	v_cmp_gt_u32_e64 s[4:5], 56, v4
	s_nop 1
	v_cndmask_b32_e64 v6, 0, 8, s[4:5]
	v_add_lshl_u32 v6, v6, v2, 2
	ds_bpermute_b32 v6, v6, v3
	v_cmp_lt_u32_e64 s[4:5], v7, v5
	v_add_u32_e32 v7, 16, v4
	s_waitcnt lgkmcnt(0)
	v_add_f32_e32 v6, v3, v6
	v_cndmask_b32_e64 v3, v3, v6, s[4:5]
	v_cmp_gt_u32_e64 s[4:5], 48, v4
	v_add_u32_e32 v4, 32, v4
	s_nop 0
	v_cndmask_b32_e64 v6, 0, 16, s[4:5]
	v_add_lshl_u32 v6, v6, v2, 2
	ds_bpermute_b32 v6, v6, v3
	v_cmp_lt_u32_e64 s[4:5], v7, v5
	s_waitcnt lgkmcnt(0)
	v_add_f32_e32 v6, v3, v6
	v_cndmask_b32_e64 v6, v3, v6, s[4:5]
	v_lshlrev_b32_e32 v3, 2, v2
	v_or_b32_e32 v7, 0x80, v3
	ds_bpermute_b32 v7, v7, v6
	v_cmp_lt_u32_e64 s[4:5], v4, v5
	s_waitcnt lgkmcnt(0)
	v_add_f32_e32 v7, v6, v7
	v_cndmask_b32_e64 v4, v6, v7, s[4:5]
	v_cndmask_b32_e32 v1, v1, v4, vcc
	v_cmp_eq_u32_e32 vcc, 0, v2
	s_and_saveexec_b64 s[4:5], vcc
; %bb.357:
	v_lshrrev_b32_e32 v4, 4, v0
	v_and_b32_e32 v4, 4, v4
	ds_write_b32 v4, v1 offset:56
; %bb.358:
	s_or_b64 exec, exec, s[4:5]
	v_cmp_gt_u32_e32 vcc, 2, v0
	s_waitcnt lgkmcnt(0)
	s_barrier
	s_and_saveexec_b64 s[4:5], vcc
	s_cbranch_execz .LBB540_360
; %bb.359:
	ds_read_b32 v1, v3 offset:56
	v_or_b32_e32 v3, 4, v3
	s_add_i32 s6, s6, 63
	v_and_b32_e32 v2, 1, v2
	s_lshr_b32 s6, s6, 6
	s_waitcnt lgkmcnt(0)
	ds_bpermute_b32 v3, v3, v1
	v_add_u32_e32 v2, 1, v2
	v_cmp_gt_u32_e32 vcc, s6, v2
	s_waitcnt lgkmcnt(0)
	v_add_f32_e32 v3, v1, v3
	v_cndmask_b32_e32 v1, v1, v3, vcc
.LBB540_360:
	s_or_b64 exec, exec, s[4:5]
.LBB540_361:
	v_cmp_eq_u32_e64 s[4:5], 0, v0
	s_branch .LBB540_371
.LBB540_362:
	s_cmp_eq_u32 s33, 1
	s_cbranch_scc0 .LBB540_370
; %bb.363:
	s_mov_b32 s5, 0
	s_lshl_b32 s4, s2, 7
	s_mov_b32 s3, s5
	s_lshr_b64 s[6:7], s[70:71], 7
	s_cmp_lg_u64 s[6:7], s[2:3]
	v_mbcnt_lo_u32_b32 v2, -1, 0
	s_cbranch_scc0 .LBB540_374
; %bb.364:
	s_lshl_b64 s[6:7], s[4:5], 1
	s_add_u32 s6, s68, s6
	s_addc_u32 s7, s69, s7
	v_lshlrev_b32_e32 v1, 1, v0
	global_load_sshort v1, v1, s[6:7]
	v_mbcnt_hi_u32_b32 v3, -1, v2
	v_lshlrev_b32_e32 v4, 2, v3
	v_or_b32_e32 v5, 0xfc, v4
	v_cmp_eq_u32_e32 vcc, 0, v3
	s_waitcnt vmcnt(0)
	v_cvt_f32_i32_e32 v1, v1
	s_nop 1
	v_add_f32_dpp v1, v1, v1 quad_perm:[1,0,3,2] row_mask:0xf bank_mask:0xf bound_ctrl:1
	s_nop 1
	v_add_f32_dpp v1, v1, v1 quad_perm:[2,3,0,1] row_mask:0xf bank_mask:0xf bound_ctrl:1
	s_nop 1
	v_add_f32_dpp v1, v1, v1 row_ror:4 row_mask:0xf bank_mask:0xf bound_ctrl:1
	s_nop 1
	v_add_f32_dpp v1, v1, v1 row_ror:8 row_mask:0xf bank_mask:0xf bound_ctrl:1
	s_nop 1
	v_add_f32_dpp v1, v1, v1 row_bcast:15 row_mask:0xf bank_mask:0xf bound_ctrl:1
	s_nop 1
	v_add_f32_dpp v1, v1, v1 row_bcast:31 row_mask:0xf bank_mask:0xf bound_ctrl:1
	ds_bpermute_b32 v1, v5, v1
	s_and_saveexec_b64 s[6:7], vcc
	s_cbranch_execz .LBB540_366
; %bb.365:
	v_lshrrev_b32_e32 v5, 4, v0
	v_and_b32_e32 v5, 4, v5
	s_waitcnt lgkmcnt(0)
	ds_write_b32 v5, v1 offset:8
.LBB540_366:
	s_or_b64 exec, exec, s[6:7]
	v_cmp_gt_u32_e32 vcc, 64, v0
	s_waitcnt lgkmcnt(0)
	s_barrier
	s_and_saveexec_b64 s[6:7], vcc
	s_cbranch_execz .LBB540_368
; %bb.367:
	v_and_b32_e32 v1, 1, v3
	v_lshlrev_b32_e32 v1, 2, v1
	ds_read_b32 v1, v1 offset:8
	v_or_b32_e32 v3, 4, v4
	s_waitcnt lgkmcnt(0)
	ds_bpermute_b32 v3, v3, v1
	s_waitcnt lgkmcnt(0)
	v_add_f32_e32 v1, v1, v3
.LBB540_368:
	s_or_b64 exec, exec, s[6:7]
.LBB540_369:
	v_cmp_eq_u32_e64 s[4:5], 0, v0
	s_and_saveexec_b64 s[6:7], s[4:5]
	s_cbranch_execnz .LBB540_372
	s_branch .LBB540_373
.LBB540_370:
                                        ; implicit-def: $vgpr1
                                        ; implicit-def: $sgpr2_sgpr3
.LBB540_371:
	s_and_saveexec_b64 s[6:7], s[4:5]
	s_cbranch_execz .LBB540_373
.LBB540_372:
	s_load_dwordx2 s[4:5], s[0:1], 0x18
	s_load_dword s6, s[0:1], 0x20
	s_lshl_b64 s[0:1], s[2:3], 2
	v_mov_b32_e32 v0, 0
	s_waitcnt lgkmcnt(0)
	s_add_u32 s0, s4, s0
	s_addc_u32 s1, s5, s1
	s_cmp_eq_u64 s[70:71], 0
	v_add_f32_e32 v1, s6, v1
	v_mov_b32_e32 v2, s6
	s_cselect_b64 vcc, -1, 0
	v_cndmask_b32_e32 v1, v1, v2, vcc
	global_store_dword v0, v1, s[0:1]
.LBB540_373:
	s_endpgm
.LBB540_374:
                                        ; implicit-def: $vgpr1
	s_cbranch_execz .LBB540_369
; %bb.375:
	s_sub_i32 s8, s70, s4
	v_cmp_gt_u32_e32 vcc, s8, v0
                                        ; implicit-def: $vgpr1
	s_and_saveexec_b64 s[6:7], vcc
	s_cbranch_execz .LBB540_377
; %bb.376:
	s_lshl_b64 s[4:5], s[4:5], 1
	s_add_u32 s4, s68, s4
	s_addc_u32 s5, s69, s5
	v_lshlrev_b32_e32 v1, 1, v0
	global_load_sshort v1, v1, s[4:5]
	s_waitcnt vmcnt(0)
	v_cvt_f32_i32_e32 v1, v1
.LBB540_377:
	s_or_b64 exec, exec, s[6:7]
	v_mbcnt_hi_u32_b32 v2, -1, v2
	v_and_b32_e32 v4, 63, v2
	v_cmp_ne_u32_e32 vcc, 63, v4
	s_min_u32 s6, s8, 0x80
	v_and_b32_e32 v5, 64, v0
	v_addc_co_u32_e32 v3, vcc, 0, v2, vcc
	v_lshlrev_b32_e32 v3, 2, v3
	ds_bpermute_b32 v3, v3, v1
	v_sub_u32_e64 v5, s6, v5 clamp
	v_add_u32_e32 v6, 1, v4
	v_cmp_gt_u32_e64 s[4:5], 62, v4
	v_cmp_lt_u32_e32 vcc, v6, v5
	s_waitcnt lgkmcnt(0)
	v_add_f32_e32 v3, v1, v3
	v_cndmask_b32_e64 v6, 0, 2, s[4:5]
	v_cndmask_b32_e32 v3, v1, v3, vcc
	v_add_lshl_u32 v6, v6, v2, 2
	ds_bpermute_b32 v6, v6, v3
	v_add_u32_e32 v7, 2, v4
	v_cmp_lt_u32_e64 s[4:5], v7, v5
	v_add_u32_e32 v7, 4, v4
	s_waitcnt lgkmcnt(0)
	v_add_f32_e32 v6, v3, v6
	v_cndmask_b32_e64 v3, v3, v6, s[4:5]
	v_cmp_gt_u32_e64 s[4:5], 60, v4
	s_nop 1
	v_cndmask_b32_e64 v6, 0, 4, s[4:5]
	v_add_lshl_u32 v6, v6, v2, 2
	ds_bpermute_b32 v6, v6, v3
	v_cmp_lt_u32_e64 s[4:5], v7, v5
	v_add_u32_e32 v7, 8, v4
	s_waitcnt lgkmcnt(0)
	v_add_f32_e32 v6, v3, v6
	v_cndmask_b32_e64 v3, v3, v6, s[4:5]
	v_cmp_gt_u32_e64 s[4:5], 56, v4
	s_nop 1
	v_cndmask_b32_e64 v6, 0, 8, s[4:5]
	v_add_lshl_u32 v6, v6, v2, 2
	ds_bpermute_b32 v6, v6, v3
	v_cmp_lt_u32_e64 s[4:5], v7, v5
	v_add_u32_e32 v7, 16, v4
	s_waitcnt lgkmcnt(0)
	v_add_f32_e32 v6, v3, v6
	v_cndmask_b32_e64 v3, v3, v6, s[4:5]
	v_cmp_gt_u32_e64 s[4:5], 48, v4
	v_add_u32_e32 v4, 32, v4
	s_nop 0
	v_cndmask_b32_e64 v6, 0, 16, s[4:5]
	v_add_lshl_u32 v6, v6, v2, 2
	ds_bpermute_b32 v6, v6, v3
	v_cmp_lt_u32_e64 s[4:5], v7, v5
	s_waitcnt lgkmcnt(0)
	v_add_f32_e32 v6, v3, v6
	v_cndmask_b32_e64 v6, v3, v6, s[4:5]
	v_lshlrev_b32_e32 v3, 2, v2
	v_or_b32_e32 v7, 0x80, v3
	ds_bpermute_b32 v7, v7, v6
	v_cmp_lt_u32_e64 s[4:5], v4, v5
	s_waitcnt lgkmcnt(0)
	v_add_f32_e32 v7, v6, v7
	v_cndmask_b32_e64 v4, v6, v7, s[4:5]
	v_cndmask_b32_e32 v1, v1, v4, vcc
	v_cmp_eq_u32_e32 vcc, 0, v2
	s_and_saveexec_b64 s[4:5], vcc
; %bb.378:
	v_lshrrev_b32_e32 v4, 4, v0
	v_and_b32_e32 v4, 4, v4
	ds_write_b32 v4, v1 offset:56
; %bb.379:
	s_or_b64 exec, exec, s[4:5]
	v_cmp_gt_u32_e32 vcc, 2, v0
	s_waitcnt lgkmcnt(0)
	s_barrier
	s_and_saveexec_b64 s[4:5], vcc
	s_cbranch_execz .LBB540_381
; %bb.380:
	ds_read_b32 v1, v3 offset:56
	v_or_b32_e32 v3, 4, v3
	s_add_i32 s6, s6, 63
	v_and_b32_e32 v2, 1, v2
	s_lshr_b32 s6, s6, 6
	s_waitcnt lgkmcnt(0)
	ds_bpermute_b32 v3, v3, v1
	v_add_u32_e32 v2, 1, v2
	v_cmp_gt_u32_e32 vcc, s6, v2
	s_waitcnt lgkmcnt(0)
	v_add_f32_e32 v3, v1, v3
	v_cndmask_b32_e32 v1, v1, v3, vcc
.LBB540_381:
	s_or_b64 exec, exec, s[4:5]
	v_cmp_eq_u32_e64 s[4:5], 0, v0
	s_and_saveexec_b64 s[6:7], s[4:5]
	s_cbranch_execnz .LBB540_372
	s_branch .LBB540_373
	.section	.rodata,"a",@progbits
	.p2align	6, 0x0
	.amdhsa_kernel _ZN7rocprim17ROCPRIM_400000_NS6detail17trampoline_kernelINS0_14default_configENS1_22reduce_config_selectorIsEEZNS1_11reduce_implILb1ES3_N6thrust23THRUST_200600_302600_NS6detail15normal_iteratorINS8_10device_ptrIsEEEEPffNS8_4plusIfEEEE10hipError_tPvRmT1_T2_T3_mT4_P12ihipStream_tbEUlT_E1_NS1_11comp_targetILNS1_3genE0ELNS1_11target_archE4294967295ELNS1_3gpuE0ELNS1_3repE0EEENS1_30default_config_static_selectorELNS0_4arch9wavefront6targetE1EEEvSK_
		.amdhsa_group_segment_fixed_size 64
		.amdhsa_private_segment_fixed_size 0
		.amdhsa_kernarg_size 40
		.amdhsa_user_sgpr_count 2
		.amdhsa_user_sgpr_dispatch_ptr 0
		.amdhsa_user_sgpr_queue_ptr 0
		.amdhsa_user_sgpr_kernarg_segment_ptr 1
		.amdhsa_user_sgpr_dispatch_id 0
		.amdhsa_user_sgpr_kernarg_preload_length 0
		.amdhsa_user_sgpr_kernarg_preload_offset 0
		.amdhsa_user_sgpr_private_segment_size 0
		.amdhsa_uses_dynamic_stack 0
		.amdhsa_enable_private_segment 0
		.amdhsa_system_sgpr_workgroup_id_x 1
		.amdhsa_system_sgpr_workgroup_id_y 0
		.amdhsa_system_sgpr_workgroup_id_z 0
		.amdhsa_system_sgpr_workgroup_info 0
		.amdhsa_system_vgpr_workitem_id 0
		.amdhsa_next_free_vgpr 67
		.amdhsa_next_free_sgpr 100
		.amdhsa_accum_offset 68
		.amdhsa_reserve_vcc 1
		.amdhsa_float_round_mode_32 0
		.amdhsa_float_round_mode_16_64 0
		.amdhsa_float_denorm_mode_32 3
		.amdhsa_float_denorm_mode_16_64 3
		.amdhsa_dx10_clamp 1
		.amdhsa_ieee_mode 1
		.amdhsa_fp16_overflow 0
		.amdhsa_tg_split 0
		.amdhsa_exception_fp_ieee_invalid_op 0
		.amdhsa_exception_fp_denorm_src 0
		.amdhsa_exception_fp_ieee_div_zero 0
		.amdhsa_exception_fp_ieee_overflow 0
		.amdhsa_exception_fp_ieee_underflow 0
		.amdhsa_exception_fp_ieee_inexact 0
		.amdhsa_exception_int_div_zero 0
	.end_amdhsa_kernel
	.section	.text._ZN7rocprim17ROCPRIM_400000_NS6detail17trampoline_kernelINS0_14default_configENS1_22reduce_config_selectorIsEEZNS1_11reduce_implILb1ES3_N6thrust23THRUST_200600_302600_NS6detail15normal_iteratorINS8_10device_ptrIsEEEEPffNS8_4plusIfEEEE10hipError_tPvRmT1_T2_T3_mT4_P12ihipStream_tbEUlT_E1_NS1_11comp_targetILNS1_3genE0ELNS1_11target_archE4294967295ELNS1_3gpuE0ELNS1_3repE0EEENS1_30default_config_static_selectorELNS0_4arch9wavefront6targetE1EEEvSK_,"axG",@progbits,_ZN7rocprim17ROCPRIM_400000_NS6detail17trampoline_kernelINS0_14default_configENS1_22reduce_config_selectorIsEEZNS1_11reduce_implILb1ES3_N6thrust23THRUST_200600_302600_NS6detail15normal_iteratorINS8_10device_ptrIsEEEEPffNS8_4plusIfEEEE10hipError_tPvRmT1_T2_T3_mT4_P12ihipStream_tbEUlT_E1_NS1_11comp_targetILNS1_3genE0ELNS1_11target_archE4294967295ELNS1_3gpuE0ELNS1_3repE0EEENS1_30default_config_static_selectorELNS0_4arch9wavefront6targetE1EEEvSK_,comdat
.Lfunc_end540:
	.size	_ZN7rocprim17ROCPRIM_400000_NS6detail17trampoline_kernelINS0_14default_configENS1_22reduce_config_selectorIsEEZNS1_11reduce_implILb1ES3_N6thrust23THRUST_200600_302600_NS6detail15normal_iteratorINS8_10device_ptrIsEEEEPffNS8_4plusIfEEEE10hipError_tPvRmT1_T2_T3_mT4_P12ihipStream_tbEUlT_E1_NS1_11comp_targetILNS1_3genE0ELNS1_11target_archE4294967295ELNS1_3gpuE0ELNS1_3repE0EEENS1_30default_config_static_selectorELNS0_4arch9wavefront6targetE1EEEvSK_, .Lfunc_end540-_ZN7rocprim17ROCPRIM_400000_NS6detail17trampoline_kernelINS0_14default_configENS1_22reduce_config_selectorIsEEZNS1_11reduce_implILb1ES3_N6thrust23THRUST_200600_302600_NS6detail15normal_iteratorINS8_10device_ptrIsEEEEPffNS8_4plusIfEEEE10hipError_tPvRmT1_T2_T3_mT4_P12ihipStream_tbEUlT_E1_NS1_11comp_targetILNS1_3genE0ELNS1_11target_archE4294967295ELNS1_3gpuE0ELNS1_3repE0EEENS1_30default_config_static_selectorELNS0_4arch9wavefront6targetE1EEEvSK_
                                        ; -- End function
	.set _ZN7rocprim17ROCPRIM_400000_NS6detail17trampoline_kernelINS0_14default_configENS1_22reduce_config_selectorIsEEZNS1_11reduce_implILb1ES3_N6thrust23THRUST_200600_302600_NS6detail15normal_iteratorINS8_10device_ptrIsEEEEPffNS8_4plusIfEEEE10hipError_tPvRmT1_T2_T3_mT4_P12ihipStream_tbEUlT_E1_NS1_11comp_targetILNS1_3genE0ELNS1_11target_archE4294967295ELNS1_3gpuE0ELNS1_3repE0EEENS1_30default_config_static_selectorELNS0_4arch9wavefront6targetE1EEEvSK_.num_vgpr, 67
	.set _ZN7rocprim17ROCPRIM_400000_NS6detail17trampoline_kernelINS0_14default_configENS1_22reduce_config_selectorIsEEZNS1_11reduce_implILb1ES3_N6thrust23THRUST_200600_302600_NS6detail15normal_iteratorINS8_10device_ptrIsEEEEPffNS8_4plusIfEEEE10hipError_tPvRmT1_T2_T3_mT4_P12ihipStream_tbEUlT_E1_NS1_11comp_targetILNS1_3genE0ELNS1_11target_archE4294967295ELNS1_3gpuE0ELNS1_3repE0EEENS1_30default_config_static_selectorELNS0_4arch9wavefront6targetE1EEEvSK_.num_agpr, 0
	.set _ZN7rocprim17ROCPRIM_400000_NS6detail17trampoline_kernelINS0_14default_configENS1_22reduce_config_selectorIsEEZNS1_11reduce_implILb1ES3_N6thrust23THRUST_200600_302600_NS6detail15normal_iteratorINS8_10device_ptrIsEEEEPffNS8_4plusIfEEEE10hipError_tPvRmT1_T2_T3_mT4_P12ihipStream_tbEUlT_E1_NS1_11comp_targetILNS1_3genE0ELNS1_11target_archE4294967295ELNS1_3gpuE0ELNS1_3repE0EEENS1_30default_config_static_selectorELNS0_4arch9wavefront6targetE1EEEvSK_.numbered_sgpr, 100
	.set _ZN7rocprim17ROCPRIM_400000_NS6detail17trampoline_kernelINS0_14default_configENS1_22reduce_config_selectorIsEEZNS1_11reduce_implILb1ES3_N6thrust23THRUST_200600_302600_NS6detail15normal_iteratorINS8_10device_ptrIsEEEEPffNS8_4plusIfEEEE10hipError_tPvRmT1_T2_T3_mT4_P12ihipStream_tbEUlT_E1_NS1_11comp_targetILNS1_3genE0ELNS1_11target_archE4294967295ELNS1_3gpuE0ELNS1_3repE0EEENS1_30default_config_static_selectorELNS0_4arch9wavefront6targetE1EEEvSK_.num_named_barrier, 0
	.set _ZN7rocprim17ROCPRIM_400000_NS6detail17trampoline_kernelINS0_14default_configENS1_22reduce_config_selectorIsEEZNS1_11reduce_implILb1ES3_N6thrust23THRUST_200600_302600_NS6detail15normal_iteratorINS8_10device_ptrIsEEEEPffNS8_4plusIfEEEE10hipError_tPvRmT1_T2_T3_mT4_P12ihipStream_tbEUlT_E1_NS1_11comp_targetILNS1_3genE0ELNS1_11target_archE4294967295ELNS1_3gpuE0ELNS1_3repE0EEENS1_30default_config_static_selectorELNS0_4arch9wavefront6targetE1EEEvSK_.private_seg_size, 0
	.set _ZN7rocprim17ROCPRIM_400000_NS6detail17trampoline_kernelINS0_14default_configENS1_22reduce_config_selectorIsEEZNS1_11reduce_implILb1ES3_N6thrust23THRUST_200600_302600_NS6detail15normal_iteratorINS8_10device_ptrIsEEEEPffNS8_4plusIfEEEE10hipError_tPvRmT1_T2_T3_mT4_P12ihipStream_tbEUlT_E1_NS1_11comp_targetILNS1_3genE0ELNS1_11target_archE4294967295ELNS1_3gpuE0ELNS1_3repE0EEENS1_30default_config_static_selectorELNS0_4arch9wavefront6targetE1EEEvSK_.uses_vcc, 1
	.set _ZN7rocprim17ROCPRIM_400000_NS6detail17trampoline_kernelINS0_14default_configENS1_22reduce_config_selectorIsEEZNS1_11reduce_implILb1ES3_N6thrust23THRUST_200600_302600_NS6detail15normal_iteratorINS8_10device_ptrIsEEEEPffNS8_4plusIfEEEE10hipError_tPvRmT1_T2_T3_mT4_P12ihipStream_tbEUlT_E1_NS1_11comp_targetILNS1_3genE0ELNS1_11target_archE4294967295ELNS1_3gpuE0ELNS1_3repE0EEENS1_30default_config_static_selectorELNS0_4arch9wavefront6targetE1EEEvSK_.uses_flat_scratch, 0
	.set _ZN7rocprim17ROCPRIM_400000_NS6detail17trampoline_kernelINS0_14default_configENS1_22reduce_config_selectorIsEEZNS1_11reduce_implILb1ES3_N6thrust23THRUST_200600_302600_NS6detail15normal_iteratorINS8_10device_ptrIsEEEEPffNS8_4plusIfEEEE10hipError_tPvRmT1_T2_T3_mT4_P12ihipStream_tbEUlT_E1_NS1_11comp_targetILNS1_3genE0ELNS1_11target_archE4294967295ELNS1_3gpuE0ELNS1_3repE0EEENS1_30default_config_static_selectorELNS0_4arch9wavefront6targetE1EEEvSK_.has_dyn_sized_stack, 0
	.set _ZN7rocprim17ROCPRIM_400000_NS6detail17trampoline_kernelINS0_14default_configENS1_22reduce_config_selectorIsEEZNS1_11reduce_implILb1ES3_N6thrust23THRUST_200600_302600_NS6detail15normal_iteratorINS8_10device_ptrIsEEEEPffNS8_4plusIfEEEE10hipError_tPvRmT1_T2_T3_mT4_P12ihipStream_tbEUlT_E1_NS1_11comp_targetILNS1_3genE0ELNS1_11target_archE4294967295ELNS1_3gpuE0ELNS1_3repE0EEENS1_30default_config_static_selectorELNS0_4arch9wavefront6targetE1EEEvSK_.has_recursion, 0
	.set _ZN7rocprim17ROCPRIM_400000_NS6detail17trampoline_kernelINS0_14default_configENS1_22reduce_config_selectorIsEEZNS1_11reduce_implILb1ES3_N6thrust23THRUST_200600_302600_NS6detail15normal_iteratorINS8_10device_ptrIsEEEEPffNS8_4plusIfEEEE10hipError_tPvRmT1_T2_T3_mT4_P12ihipStream_tbEUlT_E1_NS1_11comp_targetILNS1_3genE0ELNS1_11target_archE4294967295ELNS1_3gpuE0ELNS1_3repE0EEENS1_30default_config_static_selectorELNS0_4arch9wavefront6targetE1EEEvSK_.has_indirect_call, 0
	.section	.AMDGPU.csdata,"",@progbits
; Kernel info:
; codeLenInByte = 17476
; TotalNumSgprs: 106
; NumVgprs: 67
; NumAgprs: 0
; TotalNumVgprs: 67
; ScratchSize: 0
; MemoryBound: 0
; FloatMode: 240
; IeeeMode: 1
; LDSByteSize: 64 bytes/workgroup (compile time only)
; SGPRBlocks: 13
; VGPRBlocks: 8
; NumSGPRsForWavesPerEU: 106
; NumVGPRsForWavesPerEU: 67
; AccumOffset: 68
; Occupancy: 7
; WaveLimiterHint : 1
; COMPUTE_PGM_RSRC2:SCRATCH_EN: 0
; COMPUTE_PGM_RSRC2:USER_SGPR: 2
; COMPUTE_PGM_RSRC2:TRAP_HANDLER: 0
; COMPUTE_PGM_RSRC2:TGID_X_EN: 1
; COMPUTE_PGM_RSRC2:TGID_Y_EN: 0
; COMPUTE_PGM_RSRC2:TGID_Z_EN: 0
; COMPUTE_PGM_RSRC2:TIDIG_COMP_CNT: 0
; COMPUTE_PGM_RSRC3_GFX90A:ACCUM_OFFSET: 16
; COMPUTE_PGM_RSRC3_GFX90A:TG_SPLIT: 0
	.section	.text._ZN7rocprim17ROCPRIM_400000_NS6detail17trampoline_kernelINS0_14default_configENS1_22reduce_config_selectorIsEEZNS1_11reduce_implILb1ES3_N6thrust23THRUST_200600_302600_NS6detail15normal_iteratorINS8_10device_ptrIsEEEEPffNS8_4plusIfEEEE10hipError_tPvRmT1_T2_T3_mT4_P12ihipStream_tbEUlT_E1_NS1_11comp_targetILNS1_3genE5ELNS1_11target_archE942ELNS1_3gpuE9ELNS1_3repE0EEENS1_30default_config_static_selectorELNS0_4arch9wavefront6targetE1EEEvSK_,"axG",@progbits,_ZN7rocprim17ROCPRIM_400000_NS6detail17trampoline_kernelINS0_14default_configENS1_22reduce_config_selectorIsEEZNS1_11reduce_implILb1ES3_N6thrust23THRUST_200600_302600_NS6detail15normal_iteratorINS8_10device_ptrIsEEEEPffNS8_4plusIfEEEE10hipError_tPvRmT1_T2_T3_mT4_P12ihipStream_tbEUlT_E1_NS1_11comp_targetILNS1_3genE5ELNS1_11target_archE942ELNS1_3gpuE9ELNS1_3repE0EEENS1_30default_config_static_selectorELNS0_4arch9wavefront6targetE1EEEvSK_,comdat
	.protected	_ZN7rocprim17ROCPRIM_400000_NS6detail17trampoline_kernelINS0_14default_configENS1_22reduce_config_selectorIsEEZNS1_11reduce_implILb1ES3_N6thrust23THRUST_200600_302600_NS6detail15normal_iteratorINS8_10device_ptrIsEEEEPffNS8_4plusIfEEEE10hipError_tPvRmT1_T2_T3_mT4_P12ihipStream_tbEUlT_E1_NS1_11comp_targetILNS1_3genE5ELNS1_11target_archE942ELNS1_3gpuE9ELNS1_3repE0EEENS1_30default_config_static_selectorELNS0_4arch9wavefront6targetE1EEEvSK_ ; -- Begin function _ZN7rocprim17ROCPRIM_400000_NS6detail17trampoline_kernelINS0_14default_configENS1_22reduce_config_selectorIsEEZNS1_11reduce_implILb1ES3_N6thrust23THRUST_200600_302600_NS6detail15normal_iteratorINS8_10device_ptrIsEEEEPffNS8_4plusIfEEEE10hipError_tPvRmT1_T2_T3_mT4_P12ihipStream_tbEUlT_E1_NS1_11comp_targetILNS1_3genE5ELNS1_11target_archE942ELNS1_3gpuE9ELNS1_3repE0EEENS1_30default_config_static_selectorELNS0_4arch9wavefront6targetE1EEEvSK_
	.globl	_ZN7rocprim17ROCPRIM_400000_NS6detail17trampoline_kernelINS0_14default_configENS1_22reduce_config_selectorIsEEZNS1_11reduce_implILb1ES3_N6thrust23THRUST_200600_302600_NS6detail15normal_iteratorINS8_10device_ptrIsEEEEPffNS8_4plusIfEEEE10hipError_tPvRmT1_T2_T3_mT4_P12ihipStream_tbEUlT_E1_NS1_11comp_targetILNS1_3genE5ELNS1_11target_archE942ELNS1_3gpuE9ELNS1_3repE0EEENS1_30default_config_static_selectorELNS0_4arch9wavefront6targetE1EEEvSK_
	.p2align	8
	.type	_ZN7rocprim17ROCPRIM_400000_NS6detail17trampoline_kernelINS0_14default_configENS1_22reduce_config_selectorIsEEZNS1_11reduce_implILb1ES3_N6thrust23THRUST_200600_302600_NS6detail15normal_iteratorINS8_10device_ptrIsEEEEPffNS8_4plusIfEEEE10hipError_tPvRmT1_T2_T3_mT4_P12ihipStream_tbEUlT_E1_NS1_11comp_targetILNS1_3genE5ELNS1_11target_archE942ELNS1_3gpuE9ELNS1_3repE0EEENS1_30default_config_static_selectorELNS0_4arch9wavefront6targetE1EEEvSK_,@function
_ZN7rocprim17ROCPRIM_400000_NS6detail17trampoline_kernelINS0_14default_configENS1_22reduce_config_selectorIsEEZNS1_11reduce_implILb1ES3_N6thrust23THRUST_200600_302600_NS6detail15normal_iteratorINS8_10device_ptrIsEEEEPffNS8_4plusIfEEEE10hipError_tPvRmT1_T2_T3_mT4_P12ihipStream_tbEUlT_E1_NS1_11comp_targetILNS1_3genE5ELNS1_11target_archE942ELNS1_3gpuE9ELNS1_3repE0EEENS1_30default_config_static_selectorELNS0_4arch9wavefront6targetE1EEEvSK_: ; @_ZN7rocprim17ROCPRIM_400000_NS6detail17trampoline_kernelINS0_14default_configENS1_22reduce_config_selectorIsEEZNS1_11reduce_implILb1ES3_N6thrust23THRUST_200600_302600_NS6detail15normal_iteratorINS8_10device_ptrIsEEEEPffNS8_4plusIfEEEE10hipError_tPvRmT1_T2_T3_mT4_P12ihipStream_tbEUlT_E1_NS1_11comp_targetILNS1_3genE5ELNS1_11target_archE942ELNS1_3gpuE9ELNS1_3repE0EEENS1_30default_config_static_selectorELNS0_4arch9wavefront6targetE1EEEvSK_
; %bb.0:
	.section	.rodata,"a",@progbits
	.p2align	6, 0x0
	.amdhsa_kernel _ZN7rocprim17ROCPRIM_400000_NS6detail17trampoline_kernelINS0_14default_configENS1_22reduce_config_selectorIsEEZNS1_11reduce_implILb1ES3_N6thrust23THRUST_200600_302600_NS6detail15normal_iteratorINS8_10device_ptrIsEEEEPffNS8_4plusIfEEEE10hipError_tPvRmT1_T2_T3_mT4_P12ihipStream_tbEUlT_E1_NS1_11comp_targetILNS1_3genE5ELNS1_11target_archE942ELNS1_3gpuE9ELNS1_3repE0EEENS1_30default_config_static_selectorELNS0_4arch9wavefront6targetE1EEEvSK_
		.amdhsa_group_segment_fixed_size 0
		.amdhsa_private_segment_fixed_size 0
		.amdhsa_kernarg_size 40
		.amdhsa_user_sgpr_count 2
		.amdhsa_user_sgpr_dispatch_ptr 0
		.amdhsa_user_sgpr_queue_ptr 0
		.amdhsa_user_sgpr_kernarg_segment_ptr 1
		.amdhsa_user_sgpr_dispatch_id 0
		.amdhsa_user_sgpr_kernarg_preload_length 0
		.amdhsa_user_sgpr_kernarg_preload_offset 0
		.amdhsa_user_sgpr_private_segment_size 0
		.amdhsa_uses_dynamic_stack 0
		.amdhsa_enable_private_segment 0
		.amdhsa_system_sgpr_workgroup_id_x 1
		.amdhsa_system_sgpr_workgroup_id_y 0
		.amdhsa_system_sgpr_workgroup_id_z 0
		.amdhsa_system_sgpr_workgroup_info 0
		.amdhsa_system_vgpr_workitem_id 0
		.amdhsa_next_free_vgpr 1
		.amdhsa_next_free_sgpr 0
		.amdhsa_accum_offset 4
		.amdhsa_reserve_vcc 0
		.amdhsa_float_round_mode_32 0
		.amdhsa_float_round_mode_16_64 0
		.amdhsa_float_denorm_mode_32 3
		.amdhsa_float_denorm_mode_16_64 3
		.amdhsa_dx10_clamp 1
		.amdhsa_ieee_mode 1
		.amdhsa_fp16_overflow 0
		.amdhsa_tg_split 0
		.amdhsa_exception_fp_ieee_invalid_op 0
		.amdhsa_exception_fp_denorm_src 0
		.amdhsa_exception_fp_ieee_div_zero 0
		.amdhsa_exception_fp_ieee_overflow 0
		.amdhsa_exception_fp_ieee_underflow 0
		.amdhsa_exception_fp_ieee_inexact 0
		.amdhsa_exception_int_div_zero 0
	.end_amdhsa_kernel
	.section	.text._ZN7rocprim17ROCPRIM_400000_NS6detail17trampoline_kernelINS0_14default_configENS1_22reduce_config_selectorIsEEZNS1_11reduce_implILb1ES3_N6thrust23THRUST_200600_302600_NS6detail15normal_iteratorINS8_10device_ptrIsEEEEPffNS8_4plusIfEEEE10hipError_tPvRmT1_T2_T3_mT4_P12ihipStream_tbEUlT_E1_NS1_11comp_targetILNS1_3genE5ELNS1_11target_archE942ELNS1_3gpuE9ELNS1_3repE0EEENS1_30default_config_static_selectorELNS0_4arch9wavefront6targetE1EEEvSK_,"axG",@progbits,_ZN7rocprim17ROCPRIM_400000_NS6detail17trampoline_kernelINS0_14default_configENS1_22reduce_config_selectorIsEEZNS1_11reduce_implILb1ES3_N6thrust23THRUST_200600_302600_NS6detail15normal_iteratorINS8_10device_ptrIsEEEEPffNS8_4plusIfEEEE10hipError_tPvRmT1_T2_T3_mT4_P12ihipStream_tbEUlT_E1_NS1_11comp_targetILNS1_3genE5ELNS1_11target_archE942ELNS1_3gpuE9ELNS1_3repE0EEENS1_30default_config_static_selectorELNS0_4arch9wavefront6targetE1EEEvSK_,comdat
.Lfunc_end541:
	.size	_ZN7rocprim17ROCPRIM_400000_NS6detail17trampoline_kernelINS0_14default_configENS1_22reduce_config_selectorIsEEZNS1_11reduce_implILb1ES3_N6thrust23THRUST_200600_302600_NS6detail15normal_iteratorINS8_10device_ptrIsEEEEPffNS8_4plusIfEEEE10hipError_tPvRmT1_T2_T3_mT4_P12ihipStream_tbEUlT_E1_NS1_11comp_targetILNS1_3genE5ELNS1_11target_archE942ELNS1_3gpuE9ELNS1_3repE0EEENS1_30default_config_static_selectorELNS0_4arch9wavefront6targetE1EEEvSK_, .Lfunc_end541-_ZN7rocprim17ROCPRIM_400000_NS6detail17trampoline_kernelINS0_14default_configENS1_22reduce_config_selectorIsEEZNS1_11reduce_implILb1ES3_N6thrust23THRUST_200600_302600_NS6detail15normal_iteratorINS8_10device_ptrIsEEEEPffNS8_4plusIfEEEE10hipError_tPvRmT1_T2_T3_mT4_P12ihipStream_tbEUlT_E1_NS1_11comp_targetILNS1_3genE5ELNS1_11target_archE942ELNS1_3gpuE9ELNS1_3repE0EEENS1_30default_config_static_selectorELNS0_4arch9wavefront6targetE1EEEvSK_
                                        ; -- End function
	.set _ZN7rocprim17ROCPRIM_400000_NS6detail17trampoline_kernelINS0_14default_configENS1_22reduce_config_selectorIsEEZNS1_11reduce_implILb1ES3_N6thrust23THRUST_200600_302600_NS6detail15normal_iteratorINS8_10device_ptrIsEEEEPffNS8_4plusIfEEEE10hipError_tPvRmT1_T2_T3_mT4_P12ihipStream_tbEUlT_E1_NS1_11comp_targetILNS1_3genE5ELNS1_11target_archE942ELNS1_3gpuE9ELNS1_3repE0EEENS1_30default_config_static_selectorELNS0_4arch9wavefront6targetE1EEEvSK_.num_vgpr, 0
	.set _ZN7rocprim17ROCPRIM_400000_NS6detail17trampoline_kernelINS0_14default_configENS1_22reduce_config_selectorIsEEZNS1_11reduce_implILb1ES3_N6thrust23THRUST_200600_302600_NS6detail15normal_iteratorINS8_10device_ptrIsEEEEPffNS8_4plusIfEEEE10hipError_tPvRmT1_T2_T3_mT4_P12ihipStream_tbEUlT_E1_NS1_11comp_targetILNS1_3genE5ELNS1_11target_archE942ELNS1_3gpuE9ELNS1_3repE0EEENS1_30default_config_static_selectorELNS0_4arch9wavefront6targetE1EEEvSK_.num_agpr, 0
	.set _ZN7rocprim17ROCPRIM_400000_NS6detail17trampoline_kernelINS0_14default_configENS1_22reduce_config_selectorIsEEZNS1_11reduce_implILb1ES3_N6thrust23THRUST_200600_302600_NS6detail15normal_iteratorINS8_10device_ptrIsEEEEPffNS8_4plusIfEEEE10hipError_tPvRmT1_T2_T3_mT4_P12ihipStream_tbEUlT_E1_NS1_11comp_targetILNS1_3genE5ELNS1_11target_archE942ELNS1_3gpuE9ELNS1_3repE0EEENS1_30default_config_static_selectorELNS0_4arch9wavefront6targetE1EEEvSK_.numbered_sgpr, 0
	.set _ZN7rocprim17ROCPRIM_400000_NS6detail17trampoline_kernelINS0_14default_configENS1_22reduce_config_selectorIsEEZNS1_11reduce_implILb1ES3_N6thrust23THRUST_200600_302600_NS6detail15normal_iteratorINS8_10device_ptrIsEEEEPffNS8_4plusIfEEEE10hipError_tPvRmT1_T2_T3_mT4_P12ihipStream_tbEUlT_E1_NS1_11comp_targetILNS1_3genE5ELNS1_11target_archE942ELNS1_3gpuE9ELNS1_3repE0EEENS1_30default_config_static_selectorELNS0_4arch9wavefront6targetE1EEEvSK_.num_named_barrier, 0
	.set _ZN7rocprim17ROCPRIM_400000_NS6detail17trampoline_kernelINS0_14default_configENS1_22reduce_config_selectorIsEEZNS1_11reduce_implILb1ES3_N6thrust23THRUST_200600_302600_NS6detail15normal_iteratorINS8_10device_ptrIsEEEEPffNS8_4plusIfEEEE10hipError_tPvRmT1_T2_T3_mT4_P12ihipStream_tbEUlT_E1_NS1_11comp_targetILNS1_3genE5ELNS1_11target_archE942ELNS1_3gpuE9ELNS1_3repE0EEENS1_30default_config_static_selectorELNS0_4arch9wavefront6targetE1EEEvSK_.private_seg_size, 0
	.set _ZN7rocprim17ROCPRIM_400000_NS6detail17trampoline_kernelINS0_14default_configENS1_22reduce_config_selectorIsEEZNS1_11reduce_implILb1ES3_N6thrust23THRUST_200600_302600_NS6detail15normal_iteratorINS8_10device_ptrIsEEEEPffNS8_4plusIfEEEE10hipError_tPvRmT1_T2_T3_mT4_P12ihipStream_tbEUlT_E1_NS1_11comp_targetILNS1_3genE5ELNS1_11target_archE942ELNS1_3gpuE9ELNS1_3repE0EEENS1_30default_config_static_selectorELNS0_4arch9wavefront6targetE1EEEvSK_.uses_vcc, 0
	.set _ZN7rocprim17ROCPRIM_400000_NS6detail17trampoline_kernelINS0_14default_configENS1_22reduce_config_selectorIsEEZNS1_11reduce_implILb1ES3_N6thrust23THRUST_200600_302600_NS6detail15normal_iteratorINS8_10device_ptrIsEEEEPffNS8_4plusIfEEEE10hipError_tPvRmT1_T2_T3_mT4_P12ihipStream_tbEUlT_E1_NS1_11comp_targetILNS1_3genE5ELNS1_11target_archE942ELNS1_3gpuE9ELNS1_3repE0EEENS1_30default_config_static_selectorELNS0_4arch9wavefront6targetE1EEEvSK_.uses_flat_scratch, 0
	.set _ZN7rocprim17ROCPRIM_400000_NS6detail17trampoline_kernelINS0_14default_configENS1_22reduce_config_selectorIsEEZNS1_11reduce_implILb1ES3_N6thrust23THRUST_200600_302600_NS6detail15normal_iteratorINS8_10device_ptrIsEEEEPffNS8_4plusIfEEEE10hipError_tPvRmT1_T2_T3_mT4_P12ihipStream_tbEUlT_E1_NS1_11comp_targetILNS1_3genE5ELNS1_11target_archE942ELNS1_3gpuE9ELNS1_3repE0EEENS1_30default_config_static_selectorELNS0_4arch9wavefront6targetE1EEEvSK_.has_dyn_sized_stack, 0
	.set _ZN7rocprim17ROCPRIM_400000_NS6detail17trampoline_kernelINS0_14default_configENS1_22reduce_config_selectorIsEEZNS1_11reduce_implILb1ES3_N6thrust23THRUST_200600_302600_NS6detail15normal_iteratorINS8_10device_ptrIsEEEEPffNS8_4plusIfEEEE10hipError_tPvRmT1_T2_T3_mT4_P12ihipStream_tbEUlT_E1_NS1_11comp_targetILNS1_3genE5ELNS1_11target_archE942ELNS1_3gpuE9ELNS1_3repE0EEENS1_30default_config_static_selectorELNS0_4arch9wavefront6targetE1EEEvSK_.has_recursion, 0
	.set _ZN7rocprim17ROCPRIM_400000_NS6detail17trampoline_kernelINS0_14default_configENS1_22reduce_config_selectorIsEEZNS1_11reduce_implILb1ES3_N6thrust23THRUST_200600_302600_NS6detail15normal_iteratorINS8_10device_ptrIsEEEEPffNS8_4plusIfEEEE10hipError_tPvRmT1_T2_T3_mT4_P12ihipStream_tbEUlT_E1_NS1_11comp_targetILNS1_3genE5ELNS1_11target_archE942ELNS1_3gpuE9ELNS1_3repE0EEENS1_30default_config_static_selectorELNS0_4arch9wavefront6targetE1EEEvSK_.has_indirect_call, 0
	.section	.AMDGPU.csdata,"",@progbits
; Kernel info:
; codeLenInByte = 0
; TotalNumSgprs: 6
; NumVgprs: 0
; NumAgprs: 0
; TotalNumVgprs: 0
; ScratchSize: 0
; MemoryBound: 0
; FloatMode: 240
; IeeeMode: 1
; LDSByteSize: 0 bytes/workgroup (compile time only)
; SGPRBlocks: 0
; VGPRBlocks: 0
; NumSGPRsForWavesPerEU: 6
; NumVGPRsForWavesPerEU: 1
; AccumOffset: 4
; Occupancy: 8
; WaveLimiterHint : 0
; COMPUTE_PGM_RSRC2:SCRATCH_EN: 0
; COMPUTE_PGM_RSRC2:USER_SGPR: 2
; COMPUTE_PGM_RSRC2:TRAP_HANDLER: 0
; COMPUTE_PGM_RSRC2:TGID_X_EN: 1
; COMPUTE_PGM_RSRC2:TGID_Y_EN: 0
; COMPUTE_PGM_RSRC2:TGID_Z_EN: 0
; COMPUTE_PGM_RSRC2:TIDIG_COMP_CNT: 0
; COMPUTE_PGM_RSRC3_GFX90A:ACCUM_OFFSET: 0
; COMPUTE_PGM_RSRC3_GFX90A:TG_SPLIT: 0
	.section	.text._ZN7rocprim17ROCPRIM_400000_NS6detail17trampoline_kernelINS0_14default_configENS1_22reduce_config_selectorIsEEZNS1_11reduce_implILb1ES3_N6thrust23THRUST_200600_302600_NS6detail15normal_iteratorINS8_10device_ptrIsEEEEPffNS8_4plusIfEEEE10hipError_tPvRmT1_T2_T3_mT4_P12ihipStream_tbEUlT_E1_NS1_11comp_targetILNS1_3genE4ELNS1_11target_archE910ELNS1_3gpuE8ELNS1_3repE0EEENS1_30default_config_static_selectorELNS0_4arch9wavefront6targetE1EEEvSK_,"axG",@progbits,_ZN7rocprim17ROCPRIM_400000_NS6detail17trampoline_kernelINS0_14default_configENS1_22reduce_config_selectorIsEEZNS1_11reduce_implILb1ES3_N6thrust23THRUST_200600_302600_NS6detail15normal_iteratorINS8_10device_ptrIsEEEEPffNS8_4plusIfEEEE10hipError_tPvRmT1_T2_T3_mT4_P12ihipStream_tbEUlT_E1_NS1_11comp_targetILNS1_3genE4ELNS1_11target_archE910ELNS1_3gpuE8ELNS1_3repE0EEENS1_30default_config_static_selectorELNS0_4arch9wavefront6targetE1EEEvSK_,comdat
	.protected	_ZN7rocprim17ROCPRIM_400000_NS6detail17trampoline_kernelINS0_14default_configENS1_22reduce_config_selectorIsEEZNS1_11reduce_implILb1ES3_N6thrust23THRUST_200600_302600_NS6detail15normal_iteratorINS8_10device_ptrIsEEEEPffNS8_4plusIfEEEE10hipError_tPvRmT1_T2_T3_mT4_P12ihipStream_tbEUlT_E1_NS1_11comp_targetILNS1_3genE4ELNS1_11target_archE910ELNS1_3gpuE8ELNS1_3repE0EEENS1_30default_config_static_selectorELNS0_4arch9wavefront6targetE1EEEvSK_ ; -- Begin function _ZN7rocprim17ROCPRIM_400000_NS6detail17trampoline_kernelINS0_14default_configENS1_22reduce_config_selectorIsEEZNS1_11reduce_implILb1ES3_N6thrust23THRUST_200600_302600_NS6detail15normal_iteratorINS8_10device_ptrIsEEEEPffNS8_4plusIfEEEE10hipError_tPvRmT1_T2_T3_mT4_P12ihipStream_tbEUlT_E1_NS1_11comp_targetILNS1_3genE4ELNS1_11target_archE910ELNS1_3gpuE8ELNS1_3repE0EEENS1_30default_config_static_selectorELNS0_4arch9wavefront6targetE1EEEvSK_
	.globl	_ZN7rocprim17ROCPRIM_400000_NS6detail17trampoline_kernelINS0_14default_configENS1_22reduce_config_selectorIsEEZNS1_11reduce_implILb1ES3_N6thrust23THRUST_200600_302600_NS6detail15normal_iteratorINS8_10device_ptrIsEEEEPffNS8_4plusIfEEEE10hipError_tPvRmT1_T2_T3_mT4_P12ihipStream_tbEUlT_E1_NS1_11comp_targetILNS1_3genE4ELNS1_11target_archE910ELNS1_3gpuE8ELNS1_3repE0EEENS1_30default_config_static_selectorELNS0_4arch9wavefront6targetE1EEEvSK_
	.p2align	8
	.type	_ZN7rocprim17ROCPRIM_400000_NS6detail17trampoline_kernelINS0_14default_configENS1_22reduce_config_selectorIsEEZNS1_11reduce_implILb1ES3_N6thrust23THRUST_200600_302600_NS6detail15normal_iteratorINS8_10device_ptrIsEEEEPffNS8_4plusIfEEEE10hipError_tPvRmT1_T2_T3_mT4_P12ihipStream_tbEUlT_E1_NS1_11comp_targetILNS1_3genE4ELNS1_11target_archE910ELNS1_3gpuE8ELNS1_3repE0EEENS1_30default_config_static_selectorELNS0_4arch9wavefront6targetE1EEEvSK_,@function
_ZN7rocprim17ROCPRIM_400000_NS6detail17trampoline_kernelINS0_14default_configENS1_22reduce_config_selectorIsEEZNS1_11reduce_implILb1ES3_N6thrust23THRUST_200600_302600_NS6detail15normal_iteratorINS8_10device_ptrIsEEEEPffNS8_4plusIfEEEE10hipError_tPvRmT1_T2_T3_mT4_P12ihipStream_tbEUlT_E1_NS1_11comp_targetILNS1_3genE4ELNS1_11target_archE910ELNS1_3gpuE8ELNS1_3repE0EEENS1_30default_config_static_selectorELNS0_4arch9wavefront6targetE1EEEvSK_: ; @_ZN7rocprim17ROCPRIM_400000_NS6detail17trampoline_kernelINS0_14default_configENS1_22reduce_config_selectorIsEEZNS1_11reduce_implILb1ES3_N6thrust23THRUST_200600_302600_NS6detail15normal_iteratorINS8_10device_ptrIsEEEEPffNS8_4plusIfEEEE10hipError_tPvRmT1_T2_T3_mT4_P12ihipStream_tbEUlT_E1_NS1_11comp_targetILNS1_3genE4ELNS1_11target_archE910ELNS1_3gpuE8ELNS1_3repE0EEENS1_30default_config_static_selectorELNS0_4arch9wavefront6targetE1EEEvSK_
; %bb.0:
	.section	.rodata,"a",@progbits
	.p2align	6, 0x0
	.amdhsa_kernel _ZN7rocprim17ROCPRIM_400000_NS6detail17trampoline_kernelINS0_14default_configENS1_22reduce_config_selectorIsEEZNS1_11reduce_implILb1ES3_N6thrust23THRUST_200600_302600_NS6detail15normal_iteratorINS8_10device_ptrIsEEEEPffNS8_4plusIfEEEE10hipError_tPvRmT1_T2_T3_mT4_P12ihipStream_tbEUlT_E1_NS1_11comp_targetILNS1_3genE4ELNS1_11target_archE910ELNS1_3gpuE8ELNS1_3repE0EEENS1_30default_config_static_selectorELNS0_4arch9wavefront6targetE1EEEvSK_
		.amdhsa_group_segment_fixed_size 0
		.amdhsa_private_segment_fixed_size 0
		.amdhsa_kernarg_size 40
		.amdhsa_user_sgpr_count 2
		.amdhsa_user_sgpr_dispatch_ptr 0
		.amdhsa_user_sgpr_queue_ptr 0
		.amdhsa_user_sgpr_kernarg_segment_ptr 1
		.amdhsa_user_sgpr_dispatch_id 0
		.amdhsa_user_sgpr_kernarg_preload_length 0
		.amdhsa_user_sgpr_kernarg_preload_offset 0
		.amdhsa_user_sgpr_private_segment_size 0
		.amdhsa_uses_dynamic_stack 0
		.amdhsa_enable_private_segment 0
		.amdhsa_system_sgpr_workgroup_id_x 1
		.amdhsa_system_sgpr_workgroup_id_y 0
		.amdhsa_system_sgpr_workgroup_id_z 0
		.amdhsa_system_sgpr_workgroup_info 0
		.amdhsa_system_vgpr_workitem_id 0
		.amdhsa_next_free_vgpr 1
		.amdhsa_next_free_sgpr 0
		.amdhsa_accum_offset 4
		.amdhsa_reserve_vcc 0
		.amdhsa_float_round_mode_32 0
		.amdhsa_float_round_mode_16_64 0
		.amdhsa_float_denorm_mode_32 3
		.amdhsa_float_denorm_mode_16_64 3
		.amdhsa_dx10_clamp 1
		.amdhsa_ieee_mode 1
		.amdhsa_fp16_overflow 0
		.amdhsa_tg_split 0
		.amdhsa_exception_fp_ieee_invalid_op 0
		.amdhsa_exception_fp_denorm_src 0
		.amdhsa_exception_fp_ieee_div_zero 0
		.amdhsa_exception_fp_ieee_overflow 0
		.amdhsa_exception_fp_ieee_underflow 0
		.amdhsa_exception_fp_ieee_inexact 0
		.amdhsa_exception_int_div_zero 0
	.end_amdhsa_kernel
	.section	.text._ZN7rocprim17ROCPRIM_400000_NS6detail17trampoline_kernelINS0_14default_configENS1_22reduce_config_selectorIsEEZNS1_11reduce_implILb1ES3_N6thrust23THRUST_200600_302600_NS6detail15normal_iteratorINS8_10device_ptrIsEEEEPffNS8_4plusIfEEEE10hipError_tPvRmT1_T2_T3_mT4_P12ihipStream_tbEUlT_E1_NS1_11comp_targetILNS1_3genE4ELNS1_11target_archE910ELNS1_3gpuE8ELNS1_3repE0EEENS1_30default_config_static_selectorELNS0_4arch9wavefront6targetE1EEEvSK_,"axG",@progbits,_ZN7rocprim17ROCPRIM_400000_NS6detail17trampoline_kernelINS0_14default_configENS1_22reduce_config_selectorIsEEZNS1_11reduce_implILb1ES3_N6thrust23THRUST_200600_302600_NS6detail15normal_iteratorINS8_10device_ptrIsEEEEPffNS8_4plusIfEEEE10hipError_tPvRmT1_T2_T3_mT4_P12ihipStream_tbEUlT_E1_NS1_11comp_targetILNS1_3genE4ELNS1_11target_archE910ELNS1_3gpuE8ELNS1_3repE0EEENS1_30default_config_static_selectorELNS0_4arch9wavefront6targetE1EEEvSK_,comdat
.Lfunc_end542:
	.size	_ZN7rocprim17ROCPRIM_400000_NS6detail17trampoline_kernelINS0_14default_configENS1_22reduce_config_selectorIsEEZNS1_11reduce_implILb1ES3_N6thrust23THRUST_200600_302600_NS6detail15normal_iteratorINS8_10device_ptrIsEEEEPffNS8_4plusIfEEEE10hipError_tPvRmT1_T2_T3_mT4_P12ihipStream_tbEUlT_E1_NS1_11comp_targetILNS1_3genE4ELNS1_11target_archE910ELNS1_3gpuE8ELNS1_3repE0EEENS1_30default_config_static_selectorELNS0_4arch9wavefront6targetE1EEEvSK_, .Lfunc_end542-_ZN7rocprim17ROCPRIM_400000_NS6detail17trampoline_kernelINS0_14default_configENS1_22reduce_config_selectorIsEEZNS1_11reduce_implILb1ES3_N6thrust23THRUST_200600_302600_NS6detail15normal_iteratorINS8_10device_ptrIsEEEEPffNS8_4plusIfEEEE10hipError_tPvRmT1_T2_T3_mT4_P12ihipStream_tbEUlT_E1_NS1_11comp_targetILNS1_3genE4ELNS1_11target_archE910ELNS1_3gpuE8ELNS1_3repE0EEENS1_30default_config_static_selectorELNS0_4arch9wavefront6targetE1EEEvSK_
                                        ; -- End function
	.set _ZN7rocprim17ROCPRIM_400000_NS6detail17trampoline_kernelINS0_14default_configENS1_22reduce_config_selectorIsEEZNS1_11reduce_implILb1ES3_N6thrust23THRUST_200600_302600_NS6detail15normal_iteratorINS8_10device_ptrIsEEEEPffNS8_4plusIfEEEE10hipError_tPvRmT1_T2_T3_mT4_P12ihipStream_tbEUlT_E1_NS1_11comp_targetILNS1_3genE4ELNS1_11target_archE910ELNS1_3gpuE8ELNS1_3repE0EEENS1_30default_config_static_selectorELNS0_4arch9wavefront6targetE1EEEvSK_.num_vgpr, 0
	.set _ZN7rocprim17ROCPRIM_400000_NS6detail17trampoline_kernelINS0_14default_configENS1_22reduce_config_selectorIsEEZNS1_11reduce_implILb1ES3_N6thrust23THRUST_200600_302600_NS6detail15normal_iteratorINS8_10device_ptrIsEEEEPffNS8_4plusIfEEEE10hipError_tPvRmT1_T2_T3_mT4_P12ihipStream_tbEUlT_E1_NS1_11comp_targetILNS1_3genE4ELNS1_11target_archE910ELNS1_3gpuE8ELNS1_3repE0EEENS1_30default_config_static_selectorELNS0_4arch9wavefront6targetE1EEEvSK_.num_agpr, 0
	.set _ZN7rocprim17ROCPRIM_400000_NS6detail17trampoline_kernelINS0_14default_configENS1_22reduce_config_selectorIsEEZNS1_11reduce_implILb1ES3_N6thrust23THRUST_200600_302600_NS6detail15normal_iteratorINS8_10device_ptrIsEEEEPffNS8_4plusIfEEEE10hipError_tPvRmT1_T2_T3_mT4_P12ihipStream_tbEUlT_E1_NS1_11comp_targetILNS1_3genE4ELNS1_11target_archE910ELNS1_3gpuE8ELNS1_3repE0EEENS1_30default_config_static_selectorELNS0_4arch9wavefront6targetE1EEEvSK_.numbered_sgpr, 0
	.set _ZN7rocprim17ROCPRIM_400000_NS6detail17trampoline_kernelINS0_14default_configENS1_22reduce_config_selectorIsEEZNS1_11reduce_implILb1ES3_N6thrust23THRUST_200600_302600_NS6detail15normal_iteratorINS8_10device_ptrIsEEEEPffNS8_4plusIfEEEE10hipError_tPvRmT1_T2_T3_mT4_P12ihipStream_tbEUlT_E1_NS1_11comp_targetILNS1_3genE4ELNS1_11target_archE910ELNS1_3gpuE8ELNS1_3repE0EEENS1_30default_config_static_selectorELNS0_4arch9wavefront6targetE1EEEvSK_.num_named_barrier, 0
	.set _ZN7rocprim17ROCPRIM_400000_NS6detail17trampoline_kernelINS0_14default_configENS1_22reduce_config_selectorIsEEZNS1_11reduce_implILb1ES3_N6thrust23THRUST_200600_302600_NS6detail15normal_iteratorINS8_10device_ptrIsEEEEPffNS8_4plusIfEEEE10hipError_tPvRmT1_T2_T3_mT4_P12ihipStream_tbEUlT_E1_NS1_11comp_targetILNS1_3genE4ELNS1_11target_archE910ELNS1_3gpuE8ELNS1_3repE0EEENS1_30default_config_static_selectorELNS0_4arch9wavefront6targetE1EEEvSK_.private_seg_size, 0
	.set _ZN7rocprim17ROCPRIM_400000_NS6detail17trampoline_kernelINS0_14default_configENS1_22reduce_config_selectorIsEEZNS1_11reduce_implILb1ES3_N6thrust23THRUST_200600_302600_NS6detail15normal_iteratorINS8_10device_ptrIsEEEEPffNS8_4plusIfEEEE10hipError_tPvRmT1_T2_T3_mT4_P12ihipStream_tbEUlT_E1_NS1_11comp_targetILNS1_3genE4ELNS1_11target_archE910ELNS1_3gpuE8ELNS1_3repE0EEENS1_30default_config_static_selectorELNS0_4arch9wavefront6targetE1EEEvSK_.uses_vcc, 0
	.set _ZN7rocprim17ROCPRIM_400000_NS6detail17trampoline_kernelINS0_14default_configENS1_22reduce_config_selectorIsEEZNS1_11reduce_implILb1ES3_N6thrust23THRUST_200600_302600_NS6detail15normal_iteratorINS8_10device_ptrIsEEEEPffNS8_4plusIfEEEE10hipError_tPvRmT1_T2_T3_mT4_P12ihipStream_tbEUlT_E1_NS1_11comp_targetILNS1_3genE4ELNS1_11target_archE910ELNS1_3gpuE8ELNS1_3repE0EEENS1_30default_config_static_selectorELNS0_4arch9wavefront6targetE1EEEvSK_.uses_flat_scratch, 0
	.set _ZN7rocprim17ROCPRIM_400000_NS6detail17trampoline_kernelINS0_14default_configENS1_22reduce_config_selectorIsEEZNS1_11reduce_implILb1ES3_N6thrust23THRUST_200600_302600_NS6detail15normal_iteratorINS8_10device_ptrIsEEEEPffNS8_4plusIfEEEE10hipError_tPvRmT1_T2_T3_mT4_P12ihipStream_tbEUlT_E1_NS1_11comp_targetILNS1_3genE4ELNS1_11target_archE910ELNS1_3gpuE8ELNS1_3repE0EEENS1_30default_config_static_selectorELNS0_4arch9wavefront6targetE1EEEvSK_.has_dyn_sized_stack, 0
	.set _ZN7rocprim17ROCPRIM_400000_NS6detail17trampoline_kernelINS0_14default_configENS1_22reduce_config_selectorIsEEZNS1_11reduce_implILb1ES3_N6thrust23THRUST_200600_302600_NS6detail15normal_iteratorINS8_10device_ptrIsEEEEPffNS8_4plusIfEEEE10hipError_tPvRmT1_T2_T3_mT4_P12ihipStream_tbEUlT_E1_NS1_11comp_targetILNS1_3genE4ELNS1_11target_archE910ELNS1_3gpuE8ELNS1_3repE0EEENS1_30default_config_static_selectorELNS0_4arch9wavefront6targetE1EEEvSK_.has_recursion, 0
	.set _ZN7rocprim17ROCPRIM_400000_NS6detail17trampoline_kernelINS0_14default_configENS1_22reduce_config_selectorIsEEZNS1_11reduce_implILb1ES3_N6thrust23THRUST_200600_302600_NS6detail15normal_iteratorINS8_10device_ptrIsEEEEPffNS8_4plusIfEEEE10hipError_tPvRmT1_T2_T3_mT4_P12ihipStream_tbEUlT_E1_NS1_11comp_targetILNS1_3genE4ELNS1_11target_archE910ELNS1_3gpuE8ELNS1_3repE0EEENS1_30default_config_static_selectorELNS0_4arch9wavefront6targetE1EEEvSK_.has_indirect_call, 0
	.section	.AMDGPU.csdata,"",@progbits
; Kernel info:
; codeLenInByte = 0
; TotalNumSgprs: 6
; NumVgprs: 0
; NumAgprs: 0
; TotalNumVgprs: 0
; ScratchSize: 0
; MemoryBound: 0
; FloatMode: 240
; IeeeMode: 1
; LDSByteSize: 0 bytes/workgroup (compile time only)
; SGPRBlocks: 0
; VGPRBlocks: 0
; NumSGPRsForWavesPerEU: 6
; NumVGPRsForWavesPerEU: 1
; AccumOffset: 4
; Occupancy: 8
; WaveLimiterHint : 0
; COMPUTE_PGM_RSRC2:SCRATCH_EN: 0
; COMPUTE_PGM_RSRC2:USER_SGPR: 2
; COMPUTE_PGM_RSRC2:TRAP_HANDLER: 0
; COMPUTE_PGM_RSRC2:TGID_X_EN: 1
; COMPUTE_PGM_RSRC2:TGID_Y_EN: 0
; COMPUTE_PGM_RSRC2:TGID_Z_EN: 0
; COMPUTE_PGM_RSRC2:TIDIG_COMP_CNT: 0
; COMPUTE_PGM_RSRC3_GFX90A:ACCUM_OFFSET: 0
; COMPUTE_PGM_RSRC3_GFX90A:TG_SPLIT: 0
	.section	.text._ZN7rocprim17ROCPRIM_400000_NS6detail17trampoline_kernelINS0_14default_configENS1_22reduce_config_selectorIsEEZNS1_11reduce_implILb1ES3_N6thrust23THRUST_200600_302600_NS6detail15normal_iteratorINS8_10device_ptrIsEEEEPffNS8_4plusIfEEEE10hipError_tPvRmT1_T2_T3_mT4_P12ihipStream_tbEUlT_E1_NS1_11comp_targetILNS1_3genE3ELNS1_11target_archE908ELNS1_3gpuE7ELNS1_3repE0EEENS1_30default_config_static_selectorELNS0_4arch9wavefront6targetE1EEEvSK_,"axG",@progbits,_ZN7rocprim17ROCPRIM_400000_NS6detail17trampoline_kernelINS0_14default_configENS1_22reduce_config_selectorIsEEZNS1_11reduce_implILb1ES3_N6thrust23THRUST_200600_302600_NS6detail15normal_iteratorINS8_10device_ptrIsEEEEPffNS8_4plusIfEEEE10hipError_tPvRmT1_T2_T3_mT4_P12ihipStream_tbEUlT_E1_NS1_11comp_targetILNS1_3genE3ELNS1_11target_archE908ELNS1_3gpuE7ELNS1_3repE0EEENS1_30default_config_static_selectorELNS0_4arch9wavefront6targetE1EEEvSK_,comdat
	.protected	_ZN7rocprim17ROCPRIM_400000_NS6detail17trampoline_kernelINS0_14default_configENS1_22reduce_config_selectorIsEEZNS1_11reduce_implILb1ES3_N6thrust23THRUST_200600_302600_NS6detail15normal_iteratorINS8_10device_ptrIsEEEEPffNS8_4plusIfEEEE10hipError_tPvRmT1_T2_T3_mT4_P12ihipStream_tbEUlT_E1_NS1_11comp_targetILNS1_3genE3ELNS1_11target_archE908ELNS1_3gpuE7ELNS1_3repE0EEENS1_30default_config_static_selectorELNS0_4arch9wavefront6targetE1EEEvSK_ ; -- Begin function _ZN7rocprim17ROCPRIM_400000_NS6detail17trampoline_kernelINS0_14default_configENS1_22reduce_config_selectorIsEEZNS1_11reduce_implILb1ES3_N6thrust23THRUST_200600_302600_NS6detail15normal_iteratorINS8_10device_ptrIsEEEEPffNS8_4plusIfEEEE10hipError_tPvRmT1_T2_T3_mT4_P12ihipStream_tbEUlT_E1_NS1_11comp_targetILNS1_3genE3ELNS1_11target_archE908ELNS1_3gpuE7ELNS1_3repE0EEENS1_30default_config_static_selectorELNS0_4arch9wavefront6targetE1EEEvSK_
	.globl	_ZN7rocprim17ROCPRIM_400000_NS6detail17trampoline_kernelINS0_14default_configENS1_22reduce_config_selectorIsEEZNS1_11reduce_implILb1ES3_N6thrust23THRUST_200600_302600_NS6detail15normal_iteratorINS8_10device_ptrIsEEEEPffNS8_4plusIfEEEE10hipError_tPvRmT1_T2_T3_mT4_P12ihipStream_tbEUlT_E1_NS1_11comp_targetILNS1_3genE3ELNS1_11target_archE908ELNS1_3gpuE7ELNS1_3repE0EEENS1_30default_config_static_selectorELNS0_4arch9wavefront6targetE1EEEvSK_
	.p2align	8
	.type	_ZN7rocprim17ROCPRIM_400000_NS6detail17trampoline_kernelINS0_14default_configENS1_22reduce_config_selectorIsEEZNS1_11reduce_implILb1ES3_N6thrust23THRUST_200600_302600_NS6detail15normal_iteratorINS8_10device_ptrIsEEEEPffNS8_4plusIfEEEE10hipError_tPvRmT1_T2_T3_mT4_P12ihipStream_tbEUlT_E1_NS1_11comp_targetILNS1_3genE3ELNS1_11target_archE908ELNS1_3gpuE7ELNS1_3repE0EEENS1_30default_config_static_selectorELNS0_4arch9wavefront6targetE1EEEvSK_,@function
_ZN7rocprim17ROCPRIM_400000_NS6detail17trampoline_kernelINS0_14default_configENS1_22reduce_config_selectorIsEEZNS1_11reduce_implILb1ES3_N6thrust23THRUST_200600_302600_NS6detail15normal_iteratorINS8_10device_ptrIsEEEEPffNS8_4plusIfEEEE10hipError_tPvRmT1_T2_T3_mT4_P12ihipStream_tbEUlT_E1_NS1_11comp_targetILNS1_3genE3ELNS1_11target_archE908ELNS1_3gpuE7ELNS1_3repE0EEENS1_30default_config_static_selectorELNS0_4arch9wavefront6targetE1EEEvSK_: ; @_ZN7rocprim17ROCPRIM_400000_NS6detail17trampoline_kernelINS0_14default_configENS1_22reduce_config_selectorIsEEZNS1_11reduce_implILb1ES3_N6thrust23THRUST_200600_302600_NS6detail15normal_iteratorINS8_10device_ptrIsEEEEPffNS8_4plusIfEEEE10hipError_tPvRmT1_T2_T3_mT4_P12ihipStream_tbEUlT_E1_NS1_11comp_targetILNS1_3genE3ELNS1_11target_archE908ELNS1_3gpuE7ELNS1_3repE0EEENS1_30default_config_static_selectorELNS0_4arch9wavefront6targetE1EEEvSK_
; %bb.0:
	.section	.rodata,"a",@progbits
	.p2align	6, 0x0
	.amdhsa_kernel _ZN7rocprim17ROCPRIM_400000_NS6detail17trampoline_kernelINS0_14default_configENS1_22reduce_config_selectorIsEEZNS1_11reduce_implILb1ES3_N6thrust23THRUST_200600_302600_NS6detail15normal_iteratorINS8_10device_ptrIsEEEEPffNS8_4plusIfEEEE10hipError_tPvRmT1_T2_T3_mT4_P12ihipStream_tbEUlT_E1_NS1_11comp_targetILNS1_3genE3ELNS1_11target_archE908ELNS1_3gpuE7ELNS1_3repE0EEENS1_30default_config_static_selectorELNS0_4arch9wavefront6targetE1EEEvSK_
		.amdhsa_group_segment_fixed_size 0
		.amdhsa_private_segment_fixed_size 0
		.amdhsa_kernarg_size 40
		.amdhsa_user_sgpr_count 2
		.amdhsa_user_sgpr_dispatch_ptr 0
		.amdhsa_user_sgpr_queue_ptr 0
		.amdhsa_user_sgpr_kernarg_segment_ptr 1
		.amdhsa_user_sgpr_dispatch_id 0
		.amdhsa_user_sgpr_kernarg_preload_length 0
		.amdhsa_user_sgpr_kernarg_preload_offset 0
		.amdhsa_user_sgpr_private_segment_size 0
		.amdhsa_uses_dynamic_stack 0
		.amdhsa_enable_private_segment 0
		.amdhsa_system_sgpr_workgroup_id_x 1
		.amdhsa_system_sgpr_workgroup_id_y 0
		.amdhsa_system_sgpr_workgroup_id_z 0
		.amdhsa_system_sgpr_workgroup_info 0
		.amdhsa_system_vgpr_workitem_id 0
		.amdhsa_next_free_vgpr 1
		.amdhsa_next_free_sgpr 0
		.amdhsa_accum_offset 4
		.amdhsa_reserve_vcc 0
		.amdhsa_float_round_mode_32 0
		.amdhsa_float_round_mode_16_64 0
		.amdhsa_float_denorm_mode_32 3
		.amdhsa_float_denorm_mode_16_64 3
		.amdhsa_dx10_clamp 1
		.amdhsa_ieee_mode 1
		.amdhsa_fp16_overflow 0
		.amdhsa_tg_split 0
		.amdhsa_exception_fp_ieee_invalid_op 0
		.amdhsa_exception_fp_denorm_src 0
		.amdhsa_exception_fp_ieee_div_zero 0
		.amdhsa_exception_fp_ieee_overflow 0
		.amdhsa_exception_fp_ieee_underflow 0
		.amdhsa_exception_fp_ieee_inexact 0
		.amdhsa_exception_int_div_zero 0
	.end_amdhsa_kernel
	.section	.text._ZN7rocprim17ROCPRIM_400000_NS6detail17trampoline_kernelINS0_14default_configENS1_22reduce_config_selectorIsEEZNS1_11reduce_implILb1ES3_N6thrust23THRUST_200600_302600_NS6detail15normal_iteratorINS8_10device_ptrIsEEEEPffNS8_4plusIfEEEE10hipError_tPvRmT1_T2_T3_mT4_P12ihipStream_tbEUlT_E1_NS1_11comp_targetILNS1_3genE3ELNS1_11target_archE908ELNS1_3gpuE7ELNS1_3repE0EEENS1_30default_config_static_selectorELNS0_4arch9wavefront6targetE1EEEvSK_,"axG",@progbits,_ZN7rocprim17ROCPRIM_400000_NS6detail17trampoline_kernelINS0_14default_configENS1_22reduce_config_selectorIsEEZNS1_11reduce_implILb1ES3_N6thrust23THRUST_200600_302600_NS6detail15normal_iteratorINS8_10device_ptrIsEEEEPffNS8_4plusIfEEEE10hipError_tPvRmT1_T2_T3_mT4_P12ihipStream_tbEUlT_E1_NS1_11comp_targetILNS1_3genE3ELNS1_11target_archE908ELNS1_3gpuE7ELNS1_3repE0EEENS1_30default_config_static_selectorELNS0_4arch9wavefront6targetE1EEEvSK_,comdat
.Lfunc_end543:
	.size	_ZN7rocprim17ROCPRIM_400000_NS6detail17trampoline_kernelINS0_14default_configENS1_22reduce_config_selectorIsEEZNS1_11reduce_implILb1ES3_N6thrust23THRUST_200600_302600_NS6detail15normal_iteratorINS8_10device_ptrIsEEEEPffNS8_4plusIfEEEE10hipError_tPvRmT1_T2_T3_mT4_P12ihipStream_tbEUlT_E1_NS1_11comp_targetILNS1_3genE3ELNS1_11target_archE908ELNS1_3gpuE7ELNS1_3repE0EEENS1_30default_config_static_selectorELNS0_4arch9wavefront6targetE1EEEvSK_, .Lfunc_end543-_ZN7rocprim17ROCPRIM_400000_NS6detail17trampoline_kernelINS0_14default_configENS1_22reduce_config_selectorIsEEZNS1_11reduce_implILb1ES3_N6thrust23THRUST_200600_302600_NS6detail15normal_iteratorINS8_10device_ptrIsEEEEPffNS8_4plusIfEEEE10hipError_tPvRmT1_T2_T3_mT4_P12ihipStream_tbEUlT_E1_NS1_11comp_targetILNS1_3genE3ELNS1_11target_archE908ELNS1_3gpuE7ELNS1_3repE0EEENS1_30default_config_static_selectorELNS0_4arch9wavefront6targetE1EEEvSK_
                                        ; -- End function
	.set _ZN7rocprim17ROCPRIM_400000_NS6detail17trampoline_kernelINS0_14default_configENS1_22reduce_config_selectorIsEEZNS1_11reduce_implILb1ES3_N6thrust23THRUST_200600_302600_NS6detail15normal_iteratorINS8_10device_ptrIsEEEEPffNS8_4plusIfEEEE10hipError_tPvRmT1_T2_T3_mT4_P12ihipStream_tbEUlT_E1_NS1_11comp_targetILNS1_3genE3ELNS1_11target_archE908ELNS1_3gpuE7ELNS1_3repE0EEENS1_30default_config_static_selectorELNS0_4arch9wavefront6targetE1EEEvSK_.num_vgpr, 0
	.set _ZN7rocprim17ROCPRIM_400000_NS6detail17trampoline_kernelINS0_14default_configENS1_22reduce_config_selectorIsEEZNS1_11reduce_implILb1ES3_N6thrust23THRUST_200600_302600_NS6detail15normal_iteratorINS8_10device_ptrIsEEEEPffNS8_4plusIfEEEE10hipError_tPvRmT1_T2_T3_mT4_P12ihipStream_tbEUlT_E1_NS1_11comp_targetILNS1_3genE3ELNS1_11target_archE908ELNS1_3gpuE7ELNS1_3repE0EEENS1_30default_config_static_selectorELNS0_4arch9wavefront6targetE1EEEvSK_.num_agpr, 0
	.set _ZN7rocprim17ROCPRIM_400000_NS6detail17trampoline_kernelINS0_14default_configENS1_22reduce_config_selectorIsEEZNS1_11reduce_implILb1ES3_N6thrust23THRUST_200600_302600_NS6detail15normal_iteratorINS8_10device_ptrIsEEEEPffNS8_4plusIfEEEE10hipError_tPvRmT1_T2_T3_mT4_P12ihipStream_tbEUlT_E1_NS1_11comp_targetILNS1_3genE3ELNS1_11target_archE908ELNS1_3gpuE7ELNS1_3repE0EEENS1_30default_config_static_selectorELNS0_4arch9wavefront6targetE1EEEvSK_.numbered_sgpr, 0
	.set _ZN7rocprim17ROCPRIM_400000_NS6detail17trampoline_kernelINS0_14default_configENS1_22reduce_config_selectorIsEEZNS1_11reduce_implILb1ES3_N6thrust23THRUST_200600_302600_NS6detail15normal_iteratorINS8_10device_ptrIsEEEEPffNS8_4plusIfEEEE10hipError_tPvRmT1_T2_T3_mT4_P12ihipStream_tbEUlT_E1_NS1_11comp_targetILNS1_3genE3ELNS1_11target_archE908ELNS1_3gpuE7ELNS1_3repE0EEENS1_30default_config_static_selectorELNS0_4arch9wavefront6targetE1EEEvSK_.num_named_barrier, 0
	.set _ZN7rocprim17ROCPRIM_400000_NS6detail17trampoline_kernelINS0_14default_configENS1_22reduce_config_selectorIsEEZNS1_11reduce_implILb1ES3_N6thrust23THRUST_200600_302600_NS6detail15normal_iteratorINS8_10device_ptrIsEEEEPffNS8_4plusIfEEEE10hipError_tPvRmT1_T2_T3_mT4_P12ihipStream_tbEUlT_E1_NS1_11comp_targetILNS1_3genE3ELNS1_11target_archE908ELNS1_3gpuE7ELNS1_3repE0EEENS1_30default_config_static_selectorELNS0_4arch9wavefront6targetE1EEEvSK_.private_seg_size, 0
	.set _ZN7rocprim17ROCPRIM_400000_NS6detail17trampoline_kernelINS0_14default_configENS1_22reduce_config_selectorIsEEZNS1_11reduce_implILb1ES3_N6thrust23THRUST_200600_302600_NS6detail15normal_iteratorINS8_10device_ptrIsEEEEPffNS8_4plusIfEEEE10hipError_tPvRmT1_T2_T3_mT4_P12ihipStream_tbEUlT_E1_NS1_11comp_targetILNS1_3genE3ELNS1_11target_archE908ELNS1_3gpuE7ELNS1_3repE0EEENS1_30default_config_static_selectorELNS0_4arch9wavefront6targetE1EEEvSK_.uses_vcc, 0
	.set _ZN7rocprim17ROCPRIM_400000_NS6detail17trampoline_kernelINS0_14default_configENS1_22reduce_config_selectorIsEEZNS1_11reduce_implILb1ES3_N6thrust23THRUST_200600_302600_NS6detail15normal_iteratorINS8_10device_ptrIsEEEEPffNS8_4plusIfEEEE10hipError_tPvRmT1_T2_T3_mT4_P12ihipStream_tbEUlT_E1_NS1_11comp_targetILNS1_3genE3ELNS1_11target_archE908ELNS1_3gpuE7ELNS1_3repE0EEENS1_30default_config_static_selectorELNS0_4arch9wavefront6targetE1EEEvSK_.uses_flat_scratch, 0
	.set _ZN7rocprim17ROCPRIM_400000_NS6detail17trampoline_kernelINS0_14default_configENS1_22reduce_config_selectorIsEEZNS1_11reduce_implILb1ES3_N6thrust23THRUST_200600_302600_NS6detail15normal_iteratorINS8_10device_ptrIsEEEEPffNS8_4plusIfEEEE10hipError_tPvRmT1_T2_T3_mT4_P12ihipStream_tbEUlT_E1_NS1_11comp_targetILNS1_3genE3ELNS1_11target_archE908ELNS1_3gpuE7ELNS1_3repE0EEENS1_30default_config_static_selectorELNS0_4arch9wavefront6targetE1EEEvSK_.has_dyn_sized_stack, 0
	.set _ZN7rocprim17ROCPRIM_400000_NS6detail17trampoline_kernelINS0_14default_configENS1_22reduce_config_selectorIsEEZNS1_11reduce_implILb1ES3_N6thrust23THRUST_200600_302600_NS6detail15normal_iteratorINS8_10device_ptrIsEEEEPffNS8_4plusIfEEEE10hipError_tPvRmT1_T2_T3_mT4_P12ihipStream_tbEUlT_E1_NS1_11comp_targetILNS1_3genE3ELNS1_11target_archE908ELNS1_3gpuE7ELNS1_3repE0EEENS1_30default_config_static_selectorELNS0_4arch9wavefront6targetE1EEEvSK_.has_recursion, 0
	.set _ZN7rocprim17ROCPRIM_400000_NS6detail17trampoline_kernelINS0_14default_configENS1_22reduce_config_selectorIsEEZNS1_11reduce_implILb1ES3_N6thrust23THRUST_200600_302600_NS6detail15normal_iteratorINS8_10device_ptrIsEEEEPffNS8_4plusIfEEEE10hipError_tPvRmT1_T2_T3_mT4_P12ihipStream_tbEUlT_E1_NS1_11comp_targetILNS1_3genE3ELNS1_11target_archE908ELNS1_3gpuE7ELNS1_3repE0EEENS1_30default_config_static_selectorELNS0_4arch9wavefront6targetE1EEEvSK_.has_indirect_call, 0
	.section	.AMDGPU.csdata,"",@progbits
; Kernel info:
; codeLenInByte = 0
; TotalNumSgprs: 6
; NumVgprs: 0
; NumAgprs: 0
; TotalNumVgprs: 0
; ScratchSize: 0
; MemoryBound: 0
; FloatMode: 240
; IeeeMode: 1
; LDSByteSize: 0 bytes/workgroup (compile time only)
; SGPRBlocks: 0
; VGPRBlocks: 0
; NumSGPRsForWavesPerEU: 6
; NumVGPRsForWavesPerEU: 1
; AccumOffset: 4
; Occupancy: 8
; WaveLimiterHint : 0
; COMPUTE_PGM_RSRC2:SCRATCH_EN: 0
; COMPUTE_PGM_RSRC2:USER_SGPR: 2
; COMPUTE_PGM_RSRC2:TRAP_HANDLER: 0
; COMPUTE_PGM_RSRC2:TGID_X_EN: 1
; COMPUTE_PGM_RSRC2:TGID_Y_EN: 0
; COMPUTE_PGM_RSRC2:TGID_Z_EN: 0
; COMPUTE_PGM_RSRC2:TIDIG_COMP_CNT: 0
; COMPUTE_PGM_RSRC3_GFX90A:ACCUM_OFFSET: 0
; COMPUTE_PGM_RSRC3_GFX90A:TG_SPLIT: 0
	.section	.text._ZN7rocprim17ROCPRIM_400000_NS6detail17trampoline_kernelINS0_14default_configENS1_22reduce_config_selectorIsEEZNS1_11reduce_implILb1ES3_N6thrust23THRUST_200600_302600_NS6detail15normal_iteratorINS8_10device_ptrIsEEEEPffNS8_4plusIfEEEE10hipError_tPvRmT1_T2_T3_mT4_P12ihipStream_tbEUlT_E1_NS1_11comp_targetILNS1_3genE2ELNS1_11target_archE906ELNS1_3gpuE6ELNS1_3repE0EEENS1_30default_config_static_selectorELNS0_4arch9wavefront6targetE1EEEvSK_,"axG",@progbits,_ZN7rocprim17ROCPRIM_400000_NS6detail17trampoline_kernelINS0_14default_configENS1_22reduce_config_selectorIsEEZNS1_11reduce_implILb1ES3_N6thrust23THRUST_200600_302600_NS6detail15normal_iteratorINS8_10device_ptrIsEEEEPffNS8_4plusIfEEEE10hipError_tPvRmT1_T2_T3_mT4_P12ihipStream_tbEUlT_E1_NS1_11comp_targetILNS1_3genE2ELNS1_11target_archE906ELNS1_3gpuE6ELNS1_3repE0EEENS1_30default_config_static_selectorELNS0_4arch9wavefront6targetE1EEEvSK_,comdat
	.protected	_ZN7rocprim17ROCPRIM_400000_NS6detail17trampoline_kernelINS0_14default_configENS1_22reduce_config_selectorIsEEZNS1_11reduce_implILb1ES3_N6thrust23THRUST_200600_302600_NS6detail15normal_iteratorINS8_10device_ptrIsEEEEPffNS8_4plusIfEEEE10hipError_tPvRmT1_T2_T3_mT4_P12ihipStream_tbEUlT_E1_NS1_11comp_targetILNS1_3genE2ELNS1_11target_archE906ELNS1_3gpuE6ELNS1_3repE0EEENS1_30default_config_static_selectorELNS0_4arch9wavefront6targetE1EEEvSK_ ; -- Begin function _ZN7rocprim17ROCPRIM_400000_NS6detail17trampoline_kernelINS0_14default_configENS1_22reduce_config_selectorIsEEZNS1_11reduce_implILb1ES3_N6thrust23THRUST_200600_302600_NS6detail15normal_iteratorINS8_10device_ptrIsEEEEPffNS8_4plusIfEEEE10hipError_tPvRmT1_T2_T3_mT4_P12ihipStream_tbEUlT_E1_NS1_11comp_targetILNS1_3genE2ELNS1_11target_archE906ELNS1_3gpuE6ELNS1_3repE0EEENS1_30default_config_static_selectorELNS0_4arch9wavefront6targetE1EEEvSK_
	.globl	_ZN7rocprim17ROCPRIM_400000_NS6detail17trampoline_kernelINS0_14default_configENS1_22reduce_config_selectorIsEEZNS1_11reduce_implILb1ES3_N6thrust23THRUST_200600_302600_NS6detail15normal_iteratorINS8_10device_ptrIsEEEEPffNS8_4plusIfEEEE10hipError_tPvRmT1_T2_T3_mT4_P12ihipStream_tbEUlT_E1_NS1_11comp_targetILNS1_3genE2ELNS1_11target_archE906ELNS1_3gpuE6ELNS1_3repE0EEENS1_30default_config_static_selectorELNS0_4arch9wavefront6targetE1EEEvSK_
	.p2align	8
	.type	_ZN7rocprim17ROCPRIM_400000_NS6detail17trampoline_kernelINS0_14default_configENS1_22reduce_config_selectorIsEEZNS1_11reduce_implILb1ES3_N6thrust23THRUST_200600_302600_NS6detail15normal_iteratorINS8_10device_ptrIsEEEEPffNS8_4plusIfEEEE10hipError_tPvRmT1_T2_T3_mT4_P12ihipStream_tbEUlT_E1_NS1_11comp_targetILNS1_3genE2ELNS1_11target_archE906ELNS1_3gpuE6ELNS1_3repE0EEENS1_30default_config_static_selectorELNS0_4arch9wavefront6targetE1EEEvSK_,@function
_ZN7rocprim17ROCPRIM_400000_NS6detail17trampoline_kernelINS0_14default_configENS1_22reduce_config_selectorIsEEZNS1_11reduce_implILb1ES3_N6thrust23THRUST_200600_302600_NS6detail15normal_iteratorINS8_10device_ptrIsEEEEPffNS8_4plusIfEEEE10hipError_tPvRmT1_T2_T3_mT4_P12ihipStream_tbEUlT_E1_NS1_11comp_targetILNS1_3genE2ELNS1_11target_archE906ELNS1_3gpuE6ELNS1_3repE0EEENS1_30default_config_static_selectorELNS0_4arch9wavefront6targetE1EEEvSK_: ; @_ZN7rocprim17ROCPRIM_400000_NS6detail17trampoline_kernelINS0_14default_configENS1_22reduce_config_selectorIsEEZNS1_11reduce_implILb1ES3_N6thrust23THRUST_200600_302600_NS6detail15normal_iteratorINS8_10device_ptrIsEEEEPffNS8_4plusIfEEEE10hipError_tPvRmT1_T2_T3_mT4_P12ihipStream_tbEUlT_E1_NS1_11comp_targetILNS1_3genE2ELNS1_11target_archE906ELNS1_3gpuE6ELNS1_3repE0EEENS1_30default_config_static_selectorELNS0_4arch9wavefront6targetE1EEEvSK_
; %bb.0:
	.section	.rodata,"a",@progbits
	.p2align	6, 0x0
	.amdhsa_kernel _ZN7rocprim17ROCPRIM_400000_NS6detail17trampoline_kernelINS0_14default_configENS1_22reduce_config_selectorIsEEZNS1_11reduce_implILb1ES3_N6thrust23THRUST_200600_302600_NS6detail15normal_iteratorINS8_10device_ptrIsEEEEPffNS8_4plusIfEEEE10hipError_tPvRmT1_T2_T3_mT4_P12ihipStream_tbEUlT_E1_NS1_11comp_targetILNS1_3genE2ELNS1_11target_archE906ELNS1_3gpuE6ELNS1_3repE0EEENS1_30default_config_static_selectorELNS0_4arch9wavefront6targetE1EEEvSK_
		.amdhsa_group_segment_fixed_size 0
		.amdhsa_private_segment_fixed_size 0
		.amdhsa_kernarg_size 40
		.amdhsa_user_sgpr_count 2
		.amdhsa_user_sgpr_dispatch_ptr 0
		.amdhsa_user_sgpr_queue_ptr 0
		.amdhsa_user_sgpr_kernarg_segment_ptr 1
		.amdhsa_user_sgpr_dispatch_id 0
		.amdhsa_user_sgpr_kernarg_preload_length 0
		.amdhsa_user_sgpr_kernarg_preload_offset 0
		.amdhsa_user_sgpr_private_segment_size 0
		.amdhsa_uses_dynamic_stack 0
		.amdhsa_enable_private_segment 0
		.amdhsa_system_sgpr_workgroup_id_x 1
		.amdhsa_system_sgpr_workgroup_id_y 0
		.amdhsa_system_sgpr_workgroup_id_z 0
		.amdhsa_system_sgpr_workgroup_info 0
		.amdhsa_system_vgpr_workitem_id 0
		.amdhsa_next_free_vgpr 1
		.amdhsa_next_free_sgpr 0
		.amdhsa_accum_offset 4
		.amdhsa_reserve_vcc 0
		.amdhsa_float_round_mode_32 0
		.amdhsa_float_round_mode_16_64 0
		.amdhsa_float_denorm_mode_32 3
		.amdhsa_float_denorm_mode_16_64 3
		.amdhsa_dx10_clamp 1
		.amdhsa_ieee_mode 1
		.amdhsa_fp16_overflow 0
		.amdhsa_tg_split 0
		.amdhsa_exception_fp_ieee_invalid_op 0
		.amdhsa_exception_fp_denorm_src 0
		.amdhsa_exception_fp_ieee_div_zero 0
		.amdhsa_exception_fp_ieee_overflow 0
		.amdhsa_exception_fp_ieee_underflow 0
		.amdhsa_exception_fp_ieee_inexact 0
		.amdhsa_exception_int_div_zero 0
	.end_amdhsa_kernel
	.section	.text._ZN7rocprim17ROCPRIM_400000_NS6detail17trampoline_kernelINS0_14default_configENS1_22reduce_config_selectorIsEEZNS1_11reduce_implILb1ES3_N6thrust23THRUST_200600_302600_NS6detail15normal_iteratorINS8_10device_ptrIsEEEEPffNS8_4plusIfEEEE10hipError_tPvRmT1_T2_T3_mT4_P12ihipStream_tbEUlT_E1_NS1_11comp_targetILNS1_3genE2ELNS1_11target_archE906ELNS1_3gpuE6ELNS1_3repE0EEENS1_30default_config_static_selectorELNS0_4arch9wavefront6targetE1EEEvSK_,"axG",@progbits,_ZN7rocprim17ROCPRIM_400000_NS6detail17trampoline_kernelINS0_14default_configENS1_22reduce_config_selectorIsEEZNS1_11reduce_implILb1ES3_N6thrust23THRUST_200600_302600_NS6detail15normal_iteratorINS8_10device_ptrIsEEEEPffNS8_4plusIfEEEE10hipError_tPvRmT1_T2_T3_mT4_P12ihipStream_tbEUlT_E1_NS1_11comp_targetILNS1_3genE2ELNS1_11target_archE906ELNS1_3gpuE6ELNS1_3repE0EEENS1_30default_config_static_selectorELNS0_4arch9wavefront6targetE1EEEvSK_,comdat
.Lfunc_end544:
	.size	_ZN7rocprim17ROCPRIM_400000_NS6detail17trampoline_kernelINS0_14default_configENS1_22reduce_config_selectorIsEEZNS1_11reduce_implILb1ES3_N6thrust23THRUST_200600_302600_NS6detail15normal_iteratorINS8_10device_ptrIsEEEEPffNS8_4plusIfEEEE10hipError_tPvRmT1_T2_T3_mT4_P12ihipStream_tbEUlT_E1_NS1_11comp_targetILNS1_3genE2ELNS1_11target_archE906ELNS1_3gpuE6ELNS1_3repE0EEENS1_30default_config_static_selectorELNS0_4arch9wavefront6targetE1EEEvSK_, .Lfunc_end544-_ZN7rocprim17ROCPRIM_400000_NS6detail17trampoline_kernelINS0_14default_configENS1_22reduce_config_selectorIsEEZNS1_11reduce_implILb1ES3_N6thrust23THRUST_200600_302600_NS6detail15normal_iteratorINS8_10device_ptrIsEEEEPffNS8_4plusIfEEEE10hipError_tPvRmT1_T2_T3_mT4_P12ihipStream_tbEUlT_E1_NS1_11comp_targetILNS1_3genE2ELNS1_11target_archE906ELNS1_3gpuE6ELNS1_3repE0EEENS1_30default_config_static_selectorELNS0_4arch9wavefront6targetE1EEEvSK_
                                        ; -- End function
	.set _ZN7rocprim17ROCPRIM_400000_NS6detail17trampoline_kernelINS0_14default_configENS1_22reduce_config_selectorIsEEZNS1_11reduce_implILb1ES3_N6thrust23THRUST_200600_302600_NS6detail15normal_iteratorINS8_10device_ptrIsEEEEPffNS8_4plusIfEEEE10hipError_tPvRmT1_T2_T3_mT4_P12ihipStream_tbEUlT_E1_NS1_11comp_targetILNS1_3genE2ELNS1_11target_archE906ELNS1_3gpuE6ELNS1_3repE0EEENS1_30default_config_static_selectorELNS0_4arch9wavefront6targetE1EEEvSK_.num_vgpr, 0
	.set _ZN7rocprim17ROCPRIM_400000_NS6detail17trampoline_kernelINS0_14default_configENS1_22reduce_config_selectorIsEEZNS1_11reduce_implILb1ES3_N6thrust23THRUST_200600_302600_NS6detail15normal_iteratorINS8_10device_ptrIsEEEEPffNS8_4plusIfEEEE10hipError_tPvRmT1_T2_T3_mT4_P12ihipStream_tbEUlT_E1_NS1_11comp_targetILNS1_3genE2ELNS1_11target_archE906ELNS1_3gpuE6ELNS1_3repE0EEENS1_30default_config_static_selectorELNS0_4arch9wavefront6targetE1EEEvSK_.num_agpr, 0
	.set _ZN7rocprim17ROCPRIM_400000_NS6detail17trampoline_kernelINS0_14default_configENS1_22reduce_config_selectorIsEEZNS1_11reduce_implILb1ES3_N6thrust23THRUST_200600_302600_NS6detail15normal_iteratorINS8_10device_ptrIsEEEEPffNS8_4plusIfEEEE10hipError_tPvRmT1_T2_T3_mT4_P12ihipStream_tbEUlT_E1_NS1_11comp_targetILNS1_3genE2ELNS1_11target_archE906ELNS1_3gpuE6ELNS1_3repE0EEENS1_30default_config_static_selectorELNS0_4arch9wavefront6targetE1EEEvSK_.numbered_sgpr, 0
	.set _ZN7rocprim17ROCPRIM_400000_NS6detail17trampoline_kernelINS0_14default_configENS1_22reduce_config_selectorIsEEZNS1_11reduce_implILb1ES3_N6thrust23THRUST_200600_302600_NS6detail15normal_iteratorINS8_10device_ptrIsEEEEPffNS8_4plusIfEEEE10hipError_tPvRmT1_T2_T3_mT4_P12ihipStream_tbEUlT_E1_NS1_11comp_targetILNS1_3genE2ELNS1_11target_archE906ELNS1_3gpuE6ELNS1_3repE0EEENS1_30default_config_static_selectorELNS0_4arch9wavefront6targetE1EEEvSK_.num_named_barrier, 0
	.set _ZN7rocprim17ROCPRIM_400000_NS6detail17trampoline_kernelINS0_14default_configENS1_22reduce_config_selectorIsEEZNS1_11reduce_implILb1ES3_N6thrust23THRUST_200600_302600_NS6detail15normal_iteratorINS8_10device_ptrIsEEEEPffNS8_4plusIfEEEE10hipError_tPvRmT1_T2_T3_mT4_P12ihipStream_tbEUlT_E1_NS1_11comp_targetILNS1_3genE2ELNS1_11target_archE906ELNS1_3gpuE6ELNS1_3repE0EEENS1_30default_config_static_selectorELNS0_4arch9wavefront6targetE1EEEvSK_.private_seg_size, 0
	.set _ZN7rocprim17ROCPRIM_400000_NS6detail17trampoline_kernelINS0_14default_configENS1_22reduce_config_selectorIsEEZNS1_11reduce_implILb1ES3_N6thrust23THRUST_200600_302600_NS6detail15normal_iteratorINS8_10device_ptrIsEEEEPffNS8_4plusIfEEEE10hipError_tPvRmT1_T2_T3_mT4_P12ihipStream_tbEUlT_E1_NS1_11comp_targetILNS1_3genE2ELNS1_11target_archE906ELNS1_3gpuE6ELNS1_3repE0EEENS1_30default_config_static_selectorELNS0_4arch9wavefront6targetE1EEEvSK_.uses_vcc, 0
	.set _ZN7rocprim17ROCPRIM_400000_NS6detail17trampoline_kernelINS0_14default_configENS1_22reduce_config_selectorIsEEZNS1_11reduce_implILb1ES3_N6thrust23THRUST_200600_302600_NS6detail15normal_iteratorINS8_10device_ptrIsEEEEPffNS8_4plusIfEEEE10hipError_tPvRmT1_T2_T3_mT4_P12ihipStream_tbEUlT_E1_NS1_11comp_targetILNS1_3genE2ELNS1_11target_archE906ELNS1_3gpuE6ELNS1_3repE0EEENS1_30default_config_static_selectorELNS0_4arch9wavefront6targetE1EEEvSK_.uses_flat_scratch, 0
	.set _ZN7rocprim17ROCPRIM_400000_NS6detail17trampoline_kernelINS0_14default_configENS1_22reduce_config_selectorIsEEZNS1_11reduce_implILb1ES3_N6thrust23THRUST_200600_302600_NS6detail15normal_iteratorINS8_10device_ptrIsEEEEPffNS8_4plusIfEEEE10hipError_tPvRmT1_T2_T3_mT4_P12ihipStream_tbEUlT_E1_NS1_11comp_targetILNS1_3genE2ELNS1_11target_archE906ELNS1_3gpuE6ELNS1_3repE0EEENS1_30default_config_static_selectorELNS0_4arch9wavefront6targetE1EEEvSK_.has_dyn_sized_stack, 0
	.set _ZN7rocprim17ROCPRIM_400000_NS6detail17trampoline_kernelINS0_14default_configENS1_22reduce_config_selectorIsEEZNS1_11reduce_implILb1ES3_N6thrust23THRUST_200600_302600_NS6detail15normal_iteratorINS8_10device_ptrIsEEEEPffNS8_4plusIfEEEE10hipError_tPvRmT1_T2_T3_mT4_P12ihipStream_tbEUlT_E1_NS1_11comp_targetILNS1_3genE2ELNS1_11target_archE906ELNS1_3gpuE6ELNS1_3repE0EEENS1_30default_config_static_selectorELNS0_4arch9wavefront6targetE1EEEvSK_.has_recursion, 0
	.set _ZN7rocprim17ROCPRIM_400000_NS6detail17trampoline_kernelINS0_14default_configENS1_22reduce_config_selectorIsEEZNS1_11reduce_implILb1ES3_N6thrust23THRUST_200600_302600_NS6detail15normal_iteratorINS8_10device_ptrIsEEEEPffNS8_4plusIfEEEE10hipError_tPvRmT1_T2_T3_mT4_P12ihipStream_tbEUlT_E1_NS1_11comp_targetILNS1_3genE2ELNS1_11target_archE906ELNS1_3gpuE6ELNS1_3repE0EEENS1_30default_config_static_selectorELNS0_4arch9wavefront6targetE1EEEvSK_.has_indirect_call, 0
	.section	.AMDGPU.csdata,"",@progbits
; Kernel info:
; codeLenInByte = 0
; TotalNumSgprs: 6
; NumVgprs: 0
; NumAgprs: 0
; TotalNumVgprs: 0
; ScratchSize: 0
; MemoryBound: 0
; FloatMode: 240
; IeeeMode: 1
; LDSByteSize: 0 bytes/workgroup (compile time only)
; SGPRBlocks: 0
; VGPRBlocks: 0
; NumSGPRsForWavesPerEU: 6
; NumVGPRsForWavesPerEU: 1
; AccumOffset: 4
; Occupancy: 8
; WaveLimiterHint : 0
; COMPUTE_PGM_RSRC2:SCRATCH_EN: 0
; COMPUTE_PGM_RSRC2:USER_SGPR: 2
; COMPUTE_PGM_RSRC2:TRAP_HANDLER: 0
; COMPUTE_PGM_RSRC2:TGID_X_EN: 1
; COMPUTE_PGM_RSRC2:TGID_Y_EN: 0
; COMPUTE_PGM_RSRC2:TGID_Z_EN: 0
; COMPUTE_PGM_RSRC2:TIDIG_COMP_CNT: 0
; COMPUTE_PGM_RSRC3_GFX90A:ACCUM_OFFSET: 0
; COMPUTE_PGM_RSRC3_GFX90A:TG_SPLIT: 0
	.section	.text._ZN7rocprim17ROCPRIM_400000_NS6detail17trampoline_kernelINS0_14default_configENS1_22reduce_config_selectorIsEEZNS1_11reduce_implILb1ES3_N6thrust23THRUST_200600_302600_NS6detail15normal_iteratorINS8_10device_ptrIsEEEEPffNS8_4plusIfEEEE10hipError_tPvRmT1_T2_T3_mT4_P12ihipStream_tbEUlT_E1_NS1_11comp_targetILNS1_3genE10ELNS1_11target_archE1201ELNS1_3gpuE5ELNS1_3repE0EEENS1_30default_config_static_selectorELNS0_4arch9wavefront6targetE1EEEvSK_,"axG",@progbits,_ZN7rocprim17ROCPRIM_400000_NS6detail17trampoline_kernelINS0_14default_configENS1_22reduce_config_selectorIsEEZNS1_11reduce_implILb1ES3_N6thrust23THRUST_200600_302600_NS6detail15normal_iteratorINS8_10device_ptrIsEEEEPffNS8_4plusIfEEEE10hipError_tPvRmT1_T2_T3_mT4_P12ihipStream_tbEUlT_E1_NS1_11comp_targetILNS1_3genE10ELNS1_11target_archE1201ELNS1_3gpuE5ELNS1_3repE0EEENS1_30default_config_static_selectorELNS0_4arch9wavefront6targetE1EEEvSK_,comdat
	.protected	_ZN7rocprim17ROCPRIM_400000_NS6detail17trampoline_kernelINS0_14default_configENS1_22reduce_config_selectorIsEEZNS1_11reduce_implILb1ES3_N6thrust23THRUST_200600_302600_NS6detail15normal_iteratorINS8_10device_ptrIsEEEEPffNS8_4plusIfEEEE10hipError_tPvRmT1_T2_T3_mT4_P12ihipStream_tbEUlT_E1_NS1_11comp_targetILNS1_3genE10ELNS1_11target_archE1201ELNS1_3gpuE5ELNS1_3repE0EEENS1_30default_config_static_selectorELNS0_4arch9wavefront6targetE1EEEvSK_ ; -- Begin function _ZN7rocprim17ROCPRIM_400000_NS6detail17trampoline_kernelINS0_14default_configENS1_22reduce_config_selectorIsEEZNS1_11reduce_implILb1ES3_N6thrust23THRUST_200600_302600_NS6detail15normal_iteratorINS8_10device_ptrIsEEEEPffNS8_4plusIfEEEE10hipError_tPvRmT1_T2_T3_mT4_P12ihipStream_tbEUlT_E1_NS1_11comp_targetILNS1_3genE10ELNS1_11target_archE1201ELNS1_3gpuE5ELNS1_3repE0EEENS1_30default_config_static_selectorELNS0_4arch9wavefront6targetE1EEEvSK_
	.globl	_ZN7rocprim17ROCPRIM_400000_NS6detail17trampoline_kernelINS0_14default_configENS1_22reduce_config_selectorIsEEZNS1_11reduce_implILb1ES3_N6thrust23THRUST_200600_302600_NS6detail15normal_iteratorINS8_10device_ptrIsEEEEPffNS8_4plusIfEEEE10hipError_tPvRmT1_T2_T3_mT4_P12ihipStream_tbEUlT_E1_NS1_11comp_targetILNS1_3genE10ELNS1_11target_archE1201ELNS1_3gpuE5ELNS1_3repE0EEENS1_30default_config_static_selectorELNS0_4arch9wavefront6targetE1EEEvSK_
	.p2align	8
	.type	_ZN7rocprim17ROCPRIM_400000_NS6detail17trampoline_kernelINS0_14default_configENS1_22reduce_config_selectorIsEEZNS1_11reduce_implILb1ES3_N6thrust23THRUST_200600_302600_NS6detail15normal_iteratorINS8_10device_ptrIsEEEEPffNS8_4plusIfEEEE10hipError_tPvRmT1_T2_T3_mT4_P12ihipStream_tbEUlT_E1_NS1_11comp_targetILNS1_3genE10ELNS1_11target_archE1201ELNS1_3gpuE5ELNS1_3repE0EEENS1_30default_config_static_selectorELNS0_4arch9wavefront6targetE1EEEvSK_,@function
_ZN7rocprim17ROCPRIM_400000_NS6detail17trampoline_kernelINS0_14default_configENS1_22reduce_config_selectorIsEEZNS1_11reduce_implILb1ES3_N6thrust23THRUST_200600_302600_NS6detail15normal_iteratorINS8_10device_ptrIsEEEEPffNS8_4plusIfEEEE10hipError_tPvRmT1_T2_T3_mT4_P12ihipStream_tbEUlT_E1_NS1_11comp_targetILNS1_3genE10ELNS1_11target_archE1201ELNS1_3gpuE5ELNS1_3repE0EEENS1_30default_config_static_selectorELNS0_4arch9wavefront6targetE1EEEvSK_: ; @_ZN7rocprim17ROCPRIM_400000_NS6detail17trampoline_kernelINS0_14default_configENS1_22reduce_config_selectorIsEEZNS1_11reduce_implILb1ES3_N6thrust23THRUST_200600_302600_NS6detail15normal_iteratorINS8_10device_ptrIsEEEEPffNS8_4plusIfEEEE10hipError_tPvRmT1_T2_T3_mT4_P12ihipStream_tbEUlT_E1_NS1_11comp_targetILNS1_3genE10ELNS1_11target_archE1201ELNS1_3gpuE5ELNS1_3repE0EEENS1_30default_config_static_selectorELNS0_4arch9wavefront6targetE1EEEvSK_
; %bb.0:
	.section	.rodata,"a",@progbits
	.p2align	6, 0x0
	.amdhsa_kernel _ZN7rocprim17ROCPRIM_400000_NS6detail17trampoline_kernelINS0_14default_configENS1_22reduce_config_selectorIsEEZNS1_11reduce_implILb1ES3_N6thrust23THRUST_200600_302600_NS6detail15normal_iteratorINS8_10device_ptrIsEEEEPffNS8_4plusIfEEEE10hipError_tPvRmT1_T2_T3_mT4_P12ihipStream_tbEUlT_E1_NS1_11comp_targetILNS1_3genE10ELNS1_11target_archE1201ELNS1_3gpuE5ELNS1_3repE0EEENS1_30default_config_static_selectorELNS0_4arch9wavefront6targetE1EEEvSK_
		.amdhsa_group_segment_fixed_size 0
		.amdhsa_private_segment_fixed_size 0
		.amdhsa_kernarg_size 40
		.amdhsa_user_sgpr_count 2
		.amdhsa_user_sgpr_dispatch_ptr 0
		.amdhsa_user_sgpr_queue_ptr 0
		.amdhsa_user_sgpr_kernarg_segment_ptr 1
		.amdhsa_user_sgpr_dispatch_id 0
		.amdhsa_user_sgpr_kernarg_preload_length 0
		.amdhsa_user_sgpr_kernarg_preload_offset 0
		.amdhsa_user_sgpr_private_segment_size 0
		.amdhsa_uses_dynamic_stack 0
		.amdhsa_enable_private_segment 0
		.amdhsa_system_sgpr_workgroup_id_x 1
		.amdhsa_system_sgpr_workgroup_id_y 0
		.amdhsa_system_sgpr_workgroup_id_z 0
		.amdhsa_system_sgpr_workgroup_info 0
		.amdhsa_system_vgpr_workitem_id 0
		.amdhsa_next_free_vgpr 1
		.amdhsa_next_free_sgpr 0
		.amdhsa_accum_offset 4
		.amdhsa_reserve_vcc 0
		.amdhsa_float_round_mode_32 0
		.amdhsa_float_round_mode_16_64 0
		.amdhsa_float_denorm_mode_32 3
		.amdhsa_float_denorm_mode_16_64 3
		.amdhsa_dx10_clamp 1
		.amdhsa_ieee_mode 1
		.amdhsa_fp16_overflow 0
		.amdhsa_tg_split 0
		.amdhsa_exception_fp_ieee_invalid_op 0
		.amdhsa_exception_fp_denorm_src 0
		.amdhsa_exception_fp_ieee_div_zero 0
		.amdhsa_exception_fp_ieee_overflow 0
		.amdhsa_exception_fp_ieee_underflow 0
		.amdhsa_exception_fp_ieee_inexact 0
		.amdhsa_exception_int_div_zero 0
	.end_amdhsa_kernel
	.section	.text._ZN7rocprim17ROCPRIM_400000_NS6detail17trampoline_kernelINS0_14default_configENS1_22reduce_config_selectorIsEEZNS1_11reduce_implILb1ES3_N6thrust23THRUST_200600_302600_NS6detail15normal_iteratorINS8_10device_ptrIsEEEEPffNS8_4plusIfEEEE10hipError_tPvRmT1_T2_T3_mT4_P12ihipStream_tbEUlT_E1_NS1_11comp_targetILNS1_3genE10ELNS1_11target_archE1201ELNS1_3gpuE5ELNS1_3repE0EEENS1_30default_config_static_selectorELNS0_4arch9wavefront6targetE1EEEvSK_,"axG",@progbits,_ZN7rocprim17ROCPRIM_400000_NS6detail17trampoline_kernelINS0_14default_configENS1_22reduce_config_selectorIsEEZNS1_11reduce_implILb1ES3_N6thrust23THRUST_200600_302600_NS6detail15normal_iteratorINS8_10device_ptrIsEEEEPffNS8_4plusIfEEEE10hipError_tPvRmT1_T2_T3_mT4_P12ihipStream_tbEUlT_E1_NS1_11comp_targetILNS1_3genE10ELNS1_11target_archE1201ELNS1_3gpuE5ELNS1_3repE0EEENS1_30default_config_static_selectorELNS0_4arch9wavefront6targetE1EEEvSK_,comdat
.Lfunc_end545:
	.size	_ZN7rocprim17ROCPRIM_400000_NS6detail17trampoline_kernelINS0_14default_configENS1_22reduce_config_selectorIsEEZNS1_11reduce_implILb1ES3_N6thrust23THRUST_200600_302600_NS6detail15normal_iteratorINS8_10device_ptrIsEEEEPffNS8_4plusIfEEEE10hipError_tPvRmT1_T2_T3_mT4_P12ihipStream_tbEUlT_E1_NS1_11comp_targetILNS1_3genE10ELNS1_11target_archE1201ELNS1_3gpuE5ELNS1_3repE0EEENS1_30default_config_static_selectorELNS0_4arch9wavefront6targetE1EEEvSK_, .Lfunc_end545-_ZN7rocprim17ROCPRIM_400000_NS6detail17trampoline_kernelINS0_14default_configENS1_22reduce_config_selectorIsEEZNS1_11reduce_implILb1ES3_N6thrust23THRUST_200600_302600_NS6detail15normal_iteratorINS8_10device_ptrIsEEEEPffNS8_4plusIfEEEE10hipError_tPvRmT1_T2_T3_mT4_P12ihipStream_tbEUlT_E1_NS1_11comp_targetILNS1_3genE10ELNS1_11target_archE1201ELNS1_3gpuE5ELNS1_3repE0EEENS1_30default_config_static_selectorELNS0_4arch9wavefront6targetE1EEEvSK_
                                        ; -- End function
	.set _ZN7rocprim17ROCPRIM_400000_NS6detail17trampoline_kernelINS0_14default_configENS1_22reduce_config_selectorIsEEZNS1_11reduce_implILb1ES3_N6thrust23THRUST_200600_302600_NS6detail15normal_iteratorINS8_10device_ptrIsEEEEPffNS8_4plusIfEEEE10hipError_tPvRmT1_T2_T3_mT4_P12ihipStream_tbEUlT_E1_NS1_11comp_targetILNS1_3genE10ELNS1_11target_archE1201ELNS1_3gpuE5ELNS1_3repE0EEENS1_30default_config_static_selectorELNS0_4arch9wavefront6targetE1EEEvSK_.num_vgpr, 0
	.set _ZN7rocprim17ROCPRIM_400000_NS6detail17trampoline_kernelINS0_14default_configENS1_22reduce_config_selectorIsEEZNS1_11reduce_implILb1ES3_N6thrust23THRUST_200600_302600_NS6detail15normal_iteratorINS8_10device_ptrIsEEEEPffNS8_4plusIfEEEE10hipError_tPvRmT1_T2_T3_mT4_P12ihipStream_tbEUlT_E1_NS1_11comp_targetILNS1_3genE10ELNS1_11target_archE1201ELNS1_3gpuE5ELNS1_3repE0EEENS1_30default_config_static_selectorELNS0_4arch9wavefront6targetE1EEEvSK_.num_agpr, 0
	.set _ZN7rocprim17ROCPRIM_400000_NS6detail17trampoline_kernelINS0_14default_configENS1_22reduce_config_selectorIsEEZNS1_11reduce_implILb1ES3_N6thrust23THRUST_200600_302600_NS6detail15normal_iteratorINS8_10device_ptrIsEEEEPffNS8_4plusIfEEEE10hipError_tPvRmT1_T2_T3_mT4_P12ihipStream_tbEUlT_E1_NS1_11comp_targetILNS1_3genE10ELNS1_11target_archE1201ELNS1_3gpuE5ELNS1_3repE0EEENS1_30default_config_static_selectorELNS0_4arch9wavefront6targetE1EEEvSK_.numbered_sgpr, 0
	.set _ZN7rocprim17ROCPRIM_400000_NS6detail17trampoline_kernelINS0_14default_configENS1_22reduce_config_selectorIsEEZNS1_11reduce_implILb1ES3_N6thrust23THRUST_200600_302600_NS6detail15normal_iteratorINS8_10device_ptrIsEEEEPffNS8_4plusIfEEEE10hipError_tPvRmT1_T2_T3_mT4_P12ihipStream_tbEUlT_E1_NS1_11comp_targetILNS1_3genE10ELNS1_11target_archE1201ELNS1_3gpuE5ELNS1_3repE0EEENS1_30default_config_static_selectorELNS0_4arch9wavefront6targetE1EEEvSK_.num_named_barrier, 0
	.set _ZN7rocprim17ROCPRIM_400000_NS6detail17trampoline_kernelINS0_14default_configENS1_22reduce_config_selectorIsEEZNS1_11reduce_implILb1ES3_N6thrust23THRUST_200600_302600_NS6detail15normal_iteratorINS8_10device_ptrIsEEEEPffNS8_4plusIfEEEE10hipError_tPvRmT1_T2_T3_mT4_P12ihipStream_tbEUlT_E1_NS1_11comp_targetILNS1_3genE10ELNS1_11target_archE1201ELNS1_3gpuE5ELNS1_3repE0EEENS1_30default_config_static_selectorELNS0_4arch9wavefront6targetE1EEEvSK_.private_seg_size, 0
	.set _ZN7rocprim17ROCPRIM_400000_NS6detail17trampoline_kernelINS0_14default_configENS1_22reduce_config_selectorIsEEZNS1_11reduce_implILb1ES3_N6thrust23THRUST_200600_302600_NS6detail15normal_iteratorINS8_10device_ptrIsEEEEPffNS8_4plusIfEEEE10hipError_tPvRmT1_T2_T3_mT4_P12ihipStream_tbEUlT_E1_NS1_11comp_targetILNS1_3genE10ELNS1_11target_archE1201ELNS1_3gpuE5ELNS1_3repE0EEENS1_30default_config_static_selectorELNS0_4arch9wavefront6targetE1EEEvSK_.uses_vcc, 0
	.set _ZN7rocprim17ROCPRIM_400000_NS6detail17trampoline_kernelINS0_14default_configENS1_22reduce_config_selectorIsEEZNS1_11reduce_implILb1ES3_N6thrust23THRUST_200600_302600_NS6detail15normal_iteratorINS8_10device_ptrIsEEEEPffNS8_4plusIfEEEE10hipError_tPvRmT1_T2_T3_mT4_P12ihipStream_tbEUlT_E1_NS1_11comp_targetILNS1_3genE10ELNS1_11target_archE1201ELNS1_3gpuE5ELNS1_3repE0EEENS1_30default_config_static_selectorELNS0_4arch9wavefront6targetE1EEEvSK_.uses_flat_scratch, 0
	.set _ZN7rocprim17ROCPRIM_400000_NS6detail17trampoline_kernelINS0_14default_configENS1_22reduce_config_selectorIsEEZNS1_11reduce_implILb1ES3_N6thrust23THRUST_200600_302600_NS6detail15normal_iteratorINS8_10device_ptrIsEEEEPffNS8_4plusIfEEEE10hipError_tPvRmT1_T2_T3_mT4_P12ihipStream_tbEUlT_E1_NS1_11comp_targetILNS1_3genE10ELNS1_11target_archE1201ELNS1_3gpuE5ELNS1_3repE0EEENS1_30default_config_static_selectorELNS0_4arch9wavefront6targetE1EEEvSK_.has_dyn_sized_stack, 0
	.set _ZN7rocprim17ROCPRIM_400000_NS6detail17trampoline_kernelINS0_14default_configENS1_22reduce_config_selectorIsEEZNS1_11reduce_implILb1ES3_N6thrust23THRUST_200600_302600_NS6detail15normal_iteratorINS8_10device_ptrIsEEEEPffNS8_4plusIfEEEE10hipError_tPvRmT1_T2_T3_mT4_P12ihipStream_tbEUlT_E1_NS1_11comp_targetILNS1_3genE10ELNS1_11target_archE1201ELNS1_3gpuE5ELNS1_3repE0EEENS1_30default_config_static_selectorELNS0_4arch9wavefront6targetE1EEEvSK_.has_recursion, 0
	.set _ZN7rocprim17ROCPRIM_400000_NS6detail17trampoline_kernelINS0_14default_configENS1_22reduce_config_selectorIsEEZNS1_11reduce_implILb1ES3_N6thrust23THRUST_200600_302600_NS6detail15normal_iteratorINS8_10device_ptrIsEEEEPffNS8_4plusIfEEEE10hipError_tPvRmT1_T2_T3_mT4_P12ihipStream_tbEUlT_E1_NS1_11comp_targetILNS1_3genE10ELNS1_11target_archE1201ELNS1_3gpuE5ELNS1_3repE0EEENS1_30default_config_static_selectorELNS0_4arch9wavefront6targetE1EEEvSK_.has_indirect_call, 0
	.section	.AMDGPU.csdata,"",@progbits
; Kernel info:
; codeLenInByte = 0
; TotalNumSgprs: 6
; NumVgprs: 0
; NumAgprs: 0
; TotalNumVgprs: 0
; ScratchSize: 0
; MemoryBound: 0
; FloatMode: 240
; IeeeMode: 1
; LDSByteSize: 0 bytes/workgroup (compile time only)
; SGPRBlocks: 0
; VGPRBlocks: 0
; NumSGPRsForWavesPerEU: 6
; NumVGPRsForWavesPerEU: 1
; AccumOffset: 4
; Occupancy: 8
; WaveLimiterHint : 0
; COMPUTE_PGM_RSRC2:SCRATCH_EN: 0
; COMPUTE_PGM_RSRC2:USER_SGPR: 2
; COMPUTE_PGM_RSRC2:TRAP_HANDLER: 0
; COMPUTE_PGM_RSRC2:TGID_X_EN: 1
; COMPUTE_PGM_RSRC2:TGID_Y_EN: 0
; COMPUTE_PGM_RSRC2:TGID_Z_EN: 0
; COMPUTE_PGM_RSRC2:TIDIG_COMP_CNT: 0
; COMPUTE_PGM_RSRC3_GFX90A:ACCUM_OFFSET: 0
; COMPUTE_PGM_RSRC3_GFX90A:TG_SPLIT: 0
	.section	.text._ZN7rocprim17ROCPRIM_400000_NS6detail17trampoline_kernelINS0_14default_configENS1_22reduce_config_selectorIsEEZNS1_11reduce_implILb1ES3_N6thrust23THRUST_200600_302600_NS6detail15normal_iteratorINS8_10device_ptrIsEEEEPffNS8_4plusIfEEEE10hipError_tPvRmT1_T2_T3_mT4_P12ihipStream_tbEUlT_E1_NS1_11comp_targetILNS1_3genE10ELNS1_11target_archE1200ELNS1_3gpuE4ELNS1_3repE0EEENS1_30default_config_static_selectorELNS0_4arch9wavefront6targetE1EEEvSK_,"axG",@progbits,_ZN7rocprim17ROCPRIM_400000_NS6detail17trampoline_kernelINS0_14default_configENS1_22reduce_config_selectorIsEEZNS1_11reduce_implILb1ES3_N6thrust23THRUST_200600_302600_NS6detail15normal_iteratorINS8_10device_ptrIsEEEEPffNS8_4plusIfEEEE10hipError_tPvRmT1_T2_T3_mT4_P12ihipStream_tbEUlT_E1_NS1_11comp_targetILNS1_3genE10ELNS1_11target_archE1200ELNS1_3gpuE4ELNS1_3repE0EEENS1_30default_config_static_selectorELNS0_4arch9wavefront6targetE1EEEvSK_,comdat
	.protected	_ZN7rocprim17ROCPRIM_400000_NS6detail17trampoline_kernelINS0_14default_configENS1_22reduce_config_selectorIsEEZNS1_11reduce_implILb1ES3_N6thrust23THRUST_200600_302600_NS6detail15normal_iteratorINS8_10device_ptrIsEEEEPffNS8_4plusIfEEEE10hipError_tPvRmT1_T2_T3_mT4_P12ihipStream_tbEUlT_E1_NS1_11comp_targetILNS1_3genE10ELNS1_11target_archE1200ELNS1_3gpuE4ELNS1_3repE0EEENS1_30default_config_static_selectorELNS0_4arch9wavefront6targetE1EEEvSK_ ; -- Begin function _ZN7rocprim17ROCPRIM_400000_NS6detail17trampoline_kernelINS0_14default_configENS1_22reduce_config_selectorIsEEZNS1_11reduce_implILb1ES3_N6thrust23THRUST_200600_302600_NS6detail15normal_iteratorINS8_10device_ptrIsEEEEPffNS8_4plusIfEEEE10hipError_tPvRmT1_T2_T3_mT4_P12ihipStream_tbEUlT_E1_NS1_11comp_targetILNS1_3genE10ELNS1_11target_archE1200ELNS1_3gpuE4ELNS1_3repE0EEENS1_30default_config_static_selectorELNS0_4arch9wavefront6targetE1EEEvSK_
	.globl	_ZN7rocprim17ROCPRIM_400000_NS6detail17trampoline_kernelINS0_14default_configENS1_22reduce_config_selectorIsEEZNS1_11reduce_implILb1ES3_N6thrust23THRUST_200600_302600_NS6detail15normal_iteratorINS8_10device_ptrIsEEEEPffNS8_4plusIfEEEE10hipError_tPvRmT1_T2_T3_mT4_P12ihipStream_tbEUlT_E1_NS1_11comp_targetILNS1_3genE10ELNS1_11target_archE1200ELNS1_3gpuE4ELNS1_3repE0EEENS1_30default_config_static_selectorELNS0_4arch9wavefront6targetE1EEEvSK_
	.p2align	8
	.type	_ZN7rocprim17ROCPRIM_400000_NS6detail17trampoline_kernelINS0_14default_configENS1_22reduce_config_selectorIsEEZNS1_11reduce_implILb1ES3_N6thrust23THRUST_200600_302600_NS6detail15normal_iteratorINS8_10device_ptrIsEEEEPffNS8_4plusIfEEEE10hipError_tPvRmT1_T2_T3_mT4_P12ihipStream_tbEUlT_E1_NS1_11comp_targetILNS1_3genE10ELNS1_11target_archE1200ELNS1_3gpuE4ELNS1_3repE0EEENS1_30default_config_static_selectorELNS0_4arch9wavefront6targetE1EEEvSK_,@function
_ZN7rocprim17ROCPRIM_400000_NS6detail17trampoline_kernelINS0_14default_configENS1_22reduce_config_selectorIsEEZNS1_11reduce_implILb1ES3_N6thrust23THRUST_200600_302600_NS6detail15normal_iteratorINS8_10device_ptrIsEEEEPffNS8_4plusIfEEEE10hipError_tPvRmT1_T2_T3_mT4_P12ihipStream_tbEUlT_E1_NS1_11comp_targetILNS1_3genE10ELNS1_11target_archE1200ELNS1_3gpuE4ELNS1_3repE0EEENS1_30default_config_static_selectorELNS0_4arch9wavefront6targetE1EEEvSK_: ; @_ZN7rocprim17ROCPRIM_400000_NS6detail17trampoline_kernelINS0_14default_configENS1_22reduce_config_selectorIsEEZNS1_11reduce_implILb1ES3_N6thrust23THRUST_200600_302600_NS6detail15normal_iteratorINS8_10device_ptrIsEEEEPffNS8_4plusIfEEEE10hipError_tPvRmT1_T2_T3_mT4_P12ihipStream_tbEUlT_E1_NS1_11comp_targetILNS1_3genE10ELNS1_11target_archE1200ELNS1_3gpuE4ELNS1_3repE0EEENS1_30default_config_static_selectorELNS0_4arch9wavefront6targetE1EEEvSK_
; %bb.0:
	.section	.rodata,"a",@progbits
	.p2align	6, 0x0
	.amdhsa_kernel _ZN7rocprim17ROCPRIM_400000_NS6detail17trampoline_kernelINS0_14default_configENS1_22reduce_config_selectorIsEEZNS1_11reduce_implILb1ES3_N6thrust23THRUST_200600_302600_NS6detail15normal_iteratorINS8_10device_ptrIsEEEEPffNS8_4plusIfEEEE10hipError_tPvRmT1_T2_T3_mT4_P12ihipStream_tbEUlT_E1_NS1_11comp_targetILNS1_3genE10ELNS1_11target_archE1200ELNS1_3gpuE4ELNS1_3repE0EEENS1_30default_config_static_selectorELNS0_4arch9wavefront6targetE1EEEvSK_
		.amdhsa_group_segment_fixed_size 0
		.amdhsa_private_segment_fixed_size 0
		.amdhsa_kernarg_size 40
		.amdhsa_user_sgpr_count 2
		.amdhsa_user_sgpr_dispatch_ptr 0
		.amdhsa_user_sgpr_queue_ptr 0
		.amdhsa_user_sgpr_kernarg_segment_ptr 1
		.amdhsa_user_sgpr_dispatch_id 0
		.amdhsa_user_sgpr_kernarg_preload_length 0
		.amdhsa_user_sgpr_kernarg_preload_offset 0
		.amdhsa_user_sgpr_private_segment_size 0
		.amdhsa_uses_dynamic_stack 0
		.amdhsa_enable_private_segment 0
		.amdhsa_system_sgpr_workgroup_id_x 1
		.amdhsa_system_sgpr_workgroup_id_y 0
		.amdhsa_system_sgpr_workgroup_id_z 0
		.amdhsa_system_sgpr_workgroup_info 0
		.amdhsa_system_vgpr_workitem_id 0
		.amdhsa_next_free_vgpr 1
		.amdhsa_next_free_sgpr 0
		.amdhsa_accum_offset 4
		.amdhsa_reserve_vcc 0
		.amdhsa_float_round_mode_32 0
		.amdhsa_float_round_mode_16_64 0
		.amdhsa_float_denorm_mode_32 3
		.amdhsa_float_denorm_mode_16_64 3
		.amdhsa_dx10_clamp 1
		.amdhsa_ieee_mode 1
		.amdhsa_fp16_overflow 0
		.amdhsa_tg_split 0
		.amdhsa_exception_fp_ieee_invalid_op 0
		.amdhsa_exception_fp_denorm_src 0
		.amdhsa_exception_fp_ieee_div_zero 0
		.amdhsa_exception_fp_ieee_overflow 0
		.amdhsa_exception_fp_ieee_underflow 0
		.amdhsa_exception_fp_ieee_inexact 0
		.amdhsa_exception_int_div_zero 0
	.end_amdhsa_kernel
	.section	.text._ZN7rocprim17ROCPRIM_400000_NS6detail17trampoline_kernelINS0_14default_configENS1_22reduce_config_selectorIsEEZNS1_11reduce_implILb1ES3_N6thrust23THRUST_200600_302600_NS6detail15normal_iteratorINS8_10device_ptrIsEEEEPffNS8_4plusIfEEEE10hipError_tPvRmT1_T2_T3_mT4_P12ihipStream_tbEUlT_E1_NS1_11comp_targetILNS1_3genE10ELNS1_11target_archE1200ELNS1_3gpuE4ELNS1_3repE0EEENS1_30default_config_static_selectorELNS0_4arch9wavefront6targetE1EEEvSK_,"axG",@progbits,_ZN7rocprim17ROCPRIM_400000_NS6detail17trampoline_kernelINS0_14default_configENS1_22reduce_config_selectorIsEEZNS1_11reduce_implILb1ES3_N6thrust23THRUST_200600_302600_NS6detail15normal_iteratorINS8_10device_ptrIsEEEEPffNS8_4plusIfEEEE10hipError_tPvRmT1_T2_T3_mT4_P12ihipStream_tbEUlT_E1_NS1_11comp_targetILNS1_3genE10ELNS1_11target_archE1200ELNS1_3gpuE4ELNS1_3repE0EEENS1_30default_config_static_selectorELNS0_4arch9wavefront6targetE1EEEvSK_,comdat
.Lfunc_end546:
	.size	_ZN7rocprim17ROCPRIM_400000_NS6detail17trampoline_kernelINS0_14default_configENS1_22reduce_config_selectorIsEEZNS1_11reduce_implILb1ES3_N6thrust23THRUST_200600_302600_NS6detail15normal_iteratorINS8_10device_ptrIsEEEEPffNS8_4plusIfEEEE10hipError_tPvRmT1_T2_T3_mT4_P12ihipStream_tbEUlT_E1_NS1_11comp_targetILNS1_3genE10ELNS1_11target_archE1200ELNS1_3gpuE4ELNS1_3repE0EEENS1_30default_config_static_selectorELNS0_4arch9wavefront6targetE1EEEvSK_, .Lfunc_end546-_ZN7rocprim17ROCPRIM_400000_NS6detail17trampoline_kernelINS0_14default_configENS1_22reduce_config_selectorIsEEZNS1_11reduce_implILb1ES3_N6thrust23THRUST_200600_302600_NS6detail15normal_iteratorINS8_10device_ptrIsEEEEPffNS8_4plusIfEEEE10hipError_tPvRmT1_T2_T3_mT4_P12ihipStream_tbEUlT_E1_NS1_11comp_targetILNS1_3genE10ELNS1_11target_archE1200ELNS1_3gpuE4ELNS1_3repE0EEENS1_30default_config_static_selectorELNS0_4arch9wavefront6targetE1EEEvSK_
                                        ; -- End function
	.set _ZN7rocprim17ROCPRIM_400000_NS6detail17trampoline_kernelINS0_14default_configENS1_22reduce_config_selectorIsEEZNS1_11reduce_implILb1ES3_N6thrust23THRUST_200600_302600_NS6detail15normal_iteratorINS8_10device_ptrIsEEEEPffNS8_4plusIfEEEE10hipError_tPvRmT1_T2_T3_mT4_P12ihipStream_tbEUlT_E1_NS1_11comp_targetILNS1_3genE10ELNS1_11target_archE1200ELNS1_3gpuE4ELNS1_3repE0EEENS1_30default_config_static_selectorELNS0_4arch9wavefront6targetE1EEEvSK_.num_vgpr, 0
	.set _ZN7rocprim17ROCPRIM_400000_NS6detail17trampoline_kernelINS0_14default_configENS1_22reduce_config_selectorIsEEZNS1_11reduce_implILb1ES3_N6thrust23THRUST_200600_302600_NS6detail15normal_iteratorINS8_10device_ptrIsEEEEPffNS8_4plusIfEEEE10hipError_tPvRmT1_T2_T3_mT4_P12ihipStream_tbEUlT_E1_NS1_11comp_targetILNS1_3genE10ELNS1_11target_archE1200ELNS1_3gpuE4ELNS1_3repE0EEENS1_30default_config_static_selectorELNS0_4arch9wavefront6targetE1EEEvSK_.num_agpr, 0
	.set _ZN7rocprim17ROCPRIM_400000_NS6detail17trampoline_kernelINS0_14default_configENS1_22reduce_config_selectorIsEEZNS1_11reduce_implILb1ES3_N6thrust23THRUST_200600_302600_NS6detail15normal_iteratorINS8_10device_ptrIsEEEEPffNS8_4plusIfEEEE10hipError_tPvRmT1_T2_T3_mT4_P12ihipStream_tbEUlT_E1_NS1_11comp_targetILNS1_3genE10ELNS1_11target_archE1200ELNS1_3gpuE4ELNS1_3repE0EEENS1_30default_config_static_selectorELNS0_4arch9wavefront6targetE1EEEvSK_.numbered_sgpr, 0
	.set _ZN7rocprim17ROCPRIM_400000_NS6detail17trampoline_kernelINS0_14default_configENS1_22reduce_config_selectorIsEEZNS1_11reduce_implILb1ES3_N6thrust23THRUST_200600_302600_NS6detail15normal_iteratorINS8_10device_ptrIsEEEEPffNS8_4plusIfEEEE10hipError_tPvRmT1_T2_T3_mT4_P12ihipStream_tbEUlT_E1_NS1_11comp_targetILNS1_3genE10ELNS1_11target_archE1200ELNS1_3gpuE4ELNS1_3repE0EEENS1_30default_config_static_selectorELNS0_4arch9wavefront6targetE1EEEvSK_.num_named_barrier, 0
	.set _ZN7rocprim17ROCPRIM_400000_NS6detail17trampoline_kernelINS0_14default_configENS1_22reduce_config_selectorIsEEZNS1_11reduce_implILb1ES3_N6thrust23THRUST_200600_302600_NS6detail15normal_iteratorINS8_10device_ptrIsEEEEPffNS8_4plusIfEEEE10hipError_tPvRmT1_T2_T3_mT4_P12ihipStream_tbEUlT_E1_NS1_11comp_targetILNS1_3genE10ELNS1_11target_archE1200ELNS1_3gpuE4ELNS1_3repE0EEENS1_30default_config_static_selectorELNS0_4arch9wavefront6targetE1EEEvSK_.private_seg_size, 0
	.set _ZN7rocprim17ROCPRIM_400000_NS6detail17trampoline_kernelINS0_14default_configENS1_22reduce_config_selectorIsEEZNS1_11reduce_implILb1ES3_N6thrust23THRUST_200600_302600_NS6detail15normal_iteratorINS8_10device_ptrIsEEEEPffNS8_4plusIfEEEE10hipError_tPvRmT1_T2_T3_mT4_P12ihipStream_tbEUlT_E1_NS1_11comp_targetILNS1_3genE10ELNS1_11target_archE1200ELNS1_3gpuE4ELNS1_3repE0EEENS1_30default_config_static_selectorELNS0_4arch9wavefront6targetE1EEEvSK_.uses_vcc, 0
	.set _ZN7rocprim17ROCPRIM_400000_NS6detail17trampoline_kernelINS0_14default_configENS1_22reduce_config_selectorIsEEZNS1_11reduce_implILb1ES3_N6thrust23THRUST_200600_302600_NS6detail15normal_iteratorINS8_10device_ptrIsEEEEPffNS8_4plusIfEEEE10hipError_tPvRmT1_T2_T3_mT4_P12ihipStream_tbEUlT_E1_NS1_11comp_targetILNS1_3genE10ELNS1_11target_archE1200ELNS1_3gpuE4ELNS1_3repE0EEENS1_30default_config_static_selectorELNS0_4arch9wavefront6targetE1EEEvSK_.uses_flat_scratch, 0
	.set _ZN7rocprim17ROCPRIM_400000_NS6detail17trampoline_kernelINS0_14default_configENS1_22reduce_config_selectorIsEEZNS1_11reduce_implILb1ES3_N6thrust23THRUST_200600_302600_NS6detail15normal_iteratorINS8_10device_ptrIsEEEEPffNS8_4plusIfEEEE10hipError_tPvRmT1_T2_T3_mT4_P12ihipStream_tbEUlT_E1_NS1_11comp_targetILNS1_3genE10ELNS1_11target_archE1200ELNS1_3gpuE4ELNS1_3repE0EEENS1_30default_config_static_selectorELNS0_4arch9wavefront6targetE1EEEvSK_.has_dyn_sized_stack, 0
	.set _ZN7rocprim17ROCPRIM_400000_NS6detail17trampoline_kernelINS0_14default_configENS1_22reduce_config_selectorIsEEZNS1_11reduce_implILb1ES3_N6thrust23THRUST_200600_302600_NS6detail15normal_iteratorINS8_10device_ptrIsEEEEPffNS8_4plusIfEEEE10hipError_tPvRmT1_T2_T3_mT4_P12ihipStream_tbEUlT_E1_NS1_11comp_targetILNS1_3genE10ELNS1_11target_archE1200ELNS1_3gpuE4ELNS1_3repE0EEENS1_30default_config_static_selectorELNS0_4arch9wavefront6targetE1EEEvSK_.has_recursion, 0
	.set _ZN7rocprim17ROCPRIM_400000_NS6detail17trampoline_kernelINS0_14default_configENS1_22reduce_config_selectorIsEEZNS1_11reduce_implILb1ES3_N6thrust23THRUST_200600_302600_NS6detail15normal_iteratorINS8_10device_ptrIsEEEEPffNS8_4plusIfEEEE10hipError_tPvRmT1_T2_T3_mT4_P12ihipStream_tbEUlT_E1_NS1_11comp_targetILNS1_3genE10ELNS1_11target_archE1200ELNS1_3gpuE4ELNS1_3repE0EEENS1_30default_config_static_selectorELNS0_4arch9wavefront6targetE1EEEvSK_.has_indirect_call, 0
	.section	.AMDGPU.csdata,"",@progbits
; Kernel info:
; codeLenInByte = 0
; TotalNumSgprs: 6
; NumVgprs: 0
; NumAgprs: 0
; TotalNumVgprs: 0
; ScratchSize: 0
; MemoryBound: 0
; FloatMode: 240
; IeeeMode: 1
; LDSByteSize: 0 bytes/workgroup (compile time only)
; SGPRBlocks: 0
; VGPRBlocks: 0
; NumSGPRsForWavesPerEU: 6
; NumVGPRsForWavesPerEU: 1
; AccumOffset: 4
; Occupancy: 8
; WaveLimiterHint : 0
; COMPUTE_PGM_RSRC2:SCRATCH_EN: 0
; COMPUTE_PGM_RSRC2:USER_SGPR: 2
; COMPUTE_PGM_RSRC2:TRAP_HANDLER: 0
; COMPUTE_PGM_RSRC2:TGID_X_EN: 1
; COMPUTE_PGM_RSRC2:TGID_Y_EN: 0
; COMPUTE_PGM_RSRC2:TGID_Z_EN: 0
; COMPUTE_PGM_RSRC2:TIDIG_COMP_CNT: 0
; COMPUTE_PGM_RSRC3_GFX90A:ACCUM_OFFSET: 0
; COMPUTE_PGM_RSRC3_GFX90A:TG_SPLIT: 0
	.section	.text._ZN7rocprim17ROCPRIM_400000_NS6detail17trampoline_kernelINS0_14default_configENS1_22reduce_config_selectorIsEEZNS1_11reduce_implILb1ES3_N6thrust23THRUST_200600_302600_NS6detail15normal_iteratorINS8_10device_ptrIsEEEEPffNS8_4plusIfEEEE10hipError_tPvRmT1_T2_T3_mT4_P12ihipStream_tbEUlT_E1_NS1_11comp_targetILNS1_3genE9ELNS1_11target_archE1100ELNS1_3gpuE3ELNS1_3repE0EEENS1_30default_config_static_selectorELNS0_4arch9wavefront6targetE1EEEvSK_,"axG",@progbits,_ZN7rocprim17ROCPRIM_400000_NS6detail17trampoline_kernelINS0_14default_configENS1_22reduce_config_selectorIsEEZNS1_11reduce_implILb1ES3_N6thrust23THRUST_200600_302600_NS6detail15normal_iteratorINS8_10device_ptrIsEEEEPffNS8_4plusIfEEEE10hipError_tPvRmT1_T2_T3_mT4_P12ihipStream_tbEUlT_E1_NS1_11comp_targetILNS1_3genE9ELNS1_11target_archE1100ELNS1_3gpuE3ELNS1_3repE0EEENS1_30default_config_static_selectorELNS0_4arch9wavefront6targetE1EEEvSK_,comdat
	.protected	_ZN7rocprim17ROCPRIM_400000_NS6detail17trampoline_kernelINS0_14default_configENS1_22reduce_config_selectorIsEEZNS1_11reduce_implILb1ES3_N6thrust23THRUST_200600_302600_NS6detail15normal_iteratorINS8_10device_ptrIsEEEEPffNS8_4plusIfEEEE10hipError_tPvRmT1_T2_T3_mT4_P12ihipStream_tbEUlT_E1_NS1_11comp_targetILNS1_3genE9ELNS1_11target_archE1100ELNS1_3gpuE3ELNS1_3repE0EEENS1_30default_config_static_selectorELNS0_4arch9wavefront6targetE1EEEvSK_ ; -- Begin function _ZN7rocprim17ROCPRIM_400000_NS6detail17trampoline_kernelINS0_14default_configENS1_22reduce_config_selectorIsEEZNS1_11reduce_implILb1ES3_N6thrust23THRUST_200600_302600_NS6detail15normal_iteratorINS8_10device_ptrIsEEEEPffNS8_4plusIfEEEE10hipError_tPvRmT1_T2_T3_mT4_P12ihipStream_tbEUlT_E1_NS1_11comp_targetILNS1_3genE9ELNS1_11target_archE1100ELNS1_3gpuE3ELNS1_3repE0EEENS1_30default_config_static_selectorELNS0_4arch9wavefront6targetE1EEEvSK_
	.globl	_ZN7rocprim17ROCPRIM_400000_NS6detail17trampoline_kernelINS0_14default_configENS1_22reduce_config_selectorIsEEZNS1_11reduce_implILb1ES3_N6thrust23THRUST_200600_302600_NS6detail15normal_iteratorINS8_10device_ptrIsEEEEPffNS8_4plusIfEEEE10hipError_tPvRmT1_T2_T3_mT4_P12ihipStream_tbEUlT_E1_NS1_11comp_targetILNS1_3genE9ELNS1_11target_archE1100ELNS1_3gpuE3ELNS1_3repE0EEENS1_30default_config_static_selectorELNS0_4arch9wavefront6targetE1EEEvSK_
	.p2align	8
	.type	_ZN7rocprim17ROCPRIM_400000_NS6detail17trampoline_kernelINS0_14default_configENS1_22reduce_config_selectorIsEEZNS1_11reduce_implILb1ES3_N6thrust23THRUST_200600_302600_NS6detail15normal_iteratorINS8_10device_ptrIsEEEEPffNS8_4plusIfEEEE10hipError_tPvRmT1_T2_T3_mT4_P12ihipStream_tbEUlT_E1_NS1_11comp_targetILNS1_3genE9ELNS1_11target_archE1100ELNS1_3gpuE3ELNS1_3repE0EEENS1_30default_config_static_selectorELNS0_4arch9wavefront6targetE1EEEvSK_,@function
_ZN7rocprim17ROCPRIM_400000_NS6detail17trampoline_kernelINS0_14default_configENS1_22reduce_config_selectorIsEEZNS1_11reduce_implILb1ES3_N6thrust23THRUST_200600_302600_NS6detail15normal_iteratorINS8_10device_ptrIsEEEEPffNS8_4plusIfEEEE10hipError_tPvRmT1_T2_T3_mT4_P12ihipStream_tbEUlT_E1_NS1_11comp_targetILNS1_3genE9ELNS1_11target_archE1100ELNS1_3gpuE3ELNS1_3repE0EEENS1_30default_config_static_selectorELNS0_4arch9wavefront6targetE1EEEvSK_: ; @_ZN7rocprim17ROCPRIM_400000_NS6detail17trampoline_kernelINS0_14default_configENS1_22reduce_config_selectorIsEEZNS1_11reduce_implILb1ES3_N6thrust23THRUST_200600_302600_NS6detail15normal_iteratorINS8_10device_ptrIsEEEEPffNS8_4plusIfEEEE10hipError_tPvRmT1_T2_T3_mT4_P12ihipStream_tbEUlT_E1_NS1_11comp_targetILNS1_3genE9ELNS1_11target_archE1100ELNS1_3gpuE3ELNS1_3repE0EEENS1_30default_config_static_selectorELNS0_4arch9wavefront6targetE1EEEvSK_
; %bb.0:
	.section	.rodata,"a",@progbits
	.p2align	6, 0x0
	.amdhsa_kernel _ZN7rocprim17ROCPRIM_400000_NS6detail17trampoline_kernelINS0_14default_configENS1_22reduce_config_selectorIsEEZNS1_11reduce_implILb1ES3_N6thrust23THRUST_200600_302600_NS6detail15normal_iteratorINS8_10device_ptrIsEEEEPffNS8_4plusIfEEEE10hipError_tPvRmT1_T2_T3_mT4_P12ihipStream_tbEUlT_E1_NS1_11comp_targetILNS1_3genE9ELNS1_11target_archE1100ELNS1_3gpuE3ELNS1_3repE0EEENS1_30default_config_static_selectorELNS0_4arch9wavefront6targetE1EEEvSK_
		.amdhsa_group_segment_fixed_size 0
		.amdhsa_private_segment_fixed_size 0
		.amdhsa_kernarg_size 40
		.amdhsa_user_sgpr_count 2
		.amdhsa_user_sgpr_dispatch_ptr 0
		.amdhsa_user_sgpr_queue_ptr 0
		.amdhsa_user_sgpr_kernarg_segment_ptr 1
		.amdhsa_user_sgpr_dispatch_id 0
		.amdhsa_user_sgpr_kernarg_preload_length 0
		.amdhsa_user_sgpr_kernarg_preload_offset 0
		.amdhsa_user_sgpr_private_segment_size 0
		.amdhsa_uses_dynamic_stack 0
		.amdhsa_enable_private_segment 0
		.amdhsa_system_sgpr_workgroup_id_x 1
		.amdhsa_system_sgpr_workgroup_id_y 0
		.amdhsa_system_sgpr_workgroup_id_z 0
		.amdhsa_system_sgpr_workgroup_info 0
		.amdhsa_system_vgpr_workitem_id 0
		.amdhsa_next_free_vgpr 1
		.amdhsa_next_free_sgpr 0
		.amdhsa_accum_offset 4
		.amdhsa_reserve_vcc 0
		.amdhsa_float_round_mode_32 0
		.amdhsa_float_round_mode_16_64 0
		.amdhsa_float_denorm_mode_32 3
		.amdhsa_float_denorm_mode_16_64 3
		.amdhsa_dx10_clamp 1
		.amdhsa_ieee_mode 1
		.amdhsa_fp16_overflow 0
		.amdhsa_tg_split 0
		.amdhsa_exception_fp_ieee_invalid_op 0
		.amdhsa_exception_fp_denorm_src 0
		.amdhsa_exception_fp_ieee_div_zero 0
		.amdhsa_exception_fp_ieee_overflow 0
		.amdhsa_exception_fp_ieee_underflow 0
		.amdhsa_exception_fp_ieee_inexact 0
		.amdhsa_exception_int_div_zero 0
	.end_amdhsa_kernel
	.section	.text._ZN7rocprim17ROCPRIM_400000_NS6detail17trampoline_kernelINS0_14default_configENS1_22reduce_config_selectorIsEEZNS1_11reduce_implILb1ES3_N6thrust23THRUST_200600_302600_NS6detail15normal_iteratorINS8_10device_ptrIsEEEEPffNS8_4plusIfEEEE10hipError_tPvRmT1_T2_T3_mT4_P12ihipStream_tbEUlT_E1_NS1_11comp_targetILNS1_3genE9ELNS1_11target_archE1100ELNS1_3gpuE3ELNS1_3repE0EEENS1_30default_config_static_selectorELNS0_4arch9wavefront6targetE1EEEvSK_,"axG",@progbits,_ZN7rocprim17ROCPRIM_400000_NS6detail17trampoline_kernelINS0_14default_configENS1_22reduce_config_selectorIsEEZNS1_11reduce_implILb1ES3_N6thrust23THRUST_200600_302600_NS6detail15normal_iteratorINS8_10device_ptrIsEEEEPffNS8_4plusIfEEEE10hipError_tPvRmT1_T2_T3_mT4_P12ihipStream_tbEUlT_E1_NS1_11comp_targetILNS1_3genE9ELNS1_11target_archE1100ELNS1_3gpuE3ELNS1_3repE0EEENS1_30default_config_static_selectorELNS0_4arch9wavefront6targetE1EEEvSK_,comdat
.Lfunc_end547:
	.size	_ZN7rocprim17ROCPRIM_400000_NS6detail17trampoline_kernelINS0_14default_configENS1_22reduce_config_selectorIsEEZNS1_11reduce_implILb1ES3_N6thrust23THRUST_200600_302600_NS6detail15normal_iteratorINS8_10device_ptrIsEEEEPffNS8_4plusIfEEEE10hipError_tPvRmT1_T2_T3_mT4_P12ihipStream_tbEUlT_E1_NS1_11comp_targetILNS1_3genE9ELNS1_11target_archE1100ELNS1_3gpuE3ELNS1_3repE0EEENS1_30default_config_static_selectorELNS0_4arch9wavefront6targetE1EEEvSK_, .Lfunc_end547-_ZN7rocprim17ROCPRIM_400000_NS6detail17trampoline_kernelINS0_14default_configENS1_22reduce_config_selectorIsEEZNS1_11reduce_implILb1ES3_N6thrust23THRUST_200600_302600_NS6detail15normal_iteratorINS8_10device_ptrIsEEEEPffNS8_4plusIfEEEE10hipError_tPvRmT1_T2_T3_mT4_P12ihipStream_tbEUlT_E1_NS1_11comp_targetILNS1_3genE9ELNS1_11target_archE1100ELNS1_3gpuE3ELNS1_3repE0EEENS1_30default_config_static_selectorELNS0_4arch9wavefront6targetE1EEEvSK_
                                        ; -- End function
	.set _ZN7rocprim17ROCPRIM_400000_NS6detail17trampoline_kernelINS0_14default_configENS1_22reduce_config_selectorIsEEZNS1_11reduce_implILb1ES3_N6thrust23THRUST_200600_302600_NS6detail15normal_iteratorINS8_10device_ptrIsEEEEPffNS8_4plusIfEEEE10hipError_tPvRmT1_T2_T3_mT4_P12ihipStream_tbEUlT_E1_NS1_11comp_targetILNS1_3genE9ELNS1_11target_archE1100ELNS1_3gpuE3ELNS1_3repE0EEENS1_30default_config_static_selectorELNS0_4arch9wavefront6targetE1EEEvSK_.num_vgpr, 0
	.set _ZN7rocprim17ROCPRIM_400000_NS6detail17trampoline_kernelINS0_14default_configENS1_22reduce_config_selectorIsEEZNS1_11reduce_implILb1ES3_N6thrust23THRUST_200600_302600_NS6detail15normal_iteratorINS8_10device_ptrIsEEEEPffNS8_4plusIfEEEE10hipError_tPvRmT1_T2_T3_mT4_P12ihipStream_tbEUlT_E1_NS1_11comp_targetILNS1_3genE9ELNS1_11target_archE1100ELNS1_3gpuE3ELNS1_3repE0EEENS1_30default_config_static_selectorELNS0_4arch9wavefront6targetE1EEEvSK_.num_agpr, 0
	.set _ZN7rocprim17ROCPRIM_400000_NS6detail17trampoline_kernelINS0_14default_configENS1_22reduce_config_selectorIsEEZNS1_11reduce_implILb1ES3_N6thrust23THRUST_200600_302600_NS6detail15normal_iteratorINS8_10device_ptrIsEEEEPffNS8_4plusIfEEEE10hipError_tPvRmT1_T2_T3_mT4_P12ihipStream_tbEUlT_E1_NS1_11comp_targetILNS1_3genE9ELNS1_11target_archE1100ELNS1_3gpuE3ELNS1_3repE0EEENS1_30default_config_static_selectorELNS0_4arch9wavefront6targetE1EEEvSK_.numbered_sgpr, 0
	.set _ZN7rocprim17ROCPRIM_400000_NS6detail17trampoline_kernelINS0_14default_configENS1_22reduce_config_selectorIsEEZNS1_11reduce_implILb1ES3_N6thrust23THRUST_200600_302600_NS6detail15normal_iteratorINS8_10device_ptrIsEEEEPffNS8_4plusIfEEEE10hipError_tPvRmT1_T2_T3_mT4_P12ihipStream_tbEUlT_E1_NS1_11comp_targetILNS1_3genE9ELNS1_11target_archE1100ELNS1_3gpuE3ELNS1_3repE0EEENS1_30default_config_static_selectorELNS0_4arch9wavefront6targetE1EEEvSK_.num_named_barrier, 0
	.set _ZN7rocprim17ROCPRIM_400000_NS6detail17trampoline_kernelINS0_14default_configENS1_22reduce_config_selectorIsEEZNS1_11reduce_implILb1ES3_N6thrust23THRUST_200600_302600_NS6detail15normal_iteratorINS8_10device_ptrIsEEEEPffNS8_4plusIfEEEE10hipError_tPvRmT1_T2_T3_mT4_P12ihipStream_tbEUlT_E1_NS1_11comp_targetILNS1_3genE9ELNS1_11target_archE1100ELNS1_3gpuE3ELNS1_3repE0EEENS1_30default_config_static_selectorELNS0_4arch9wavefront6targetE1EEEvSK_.private_seg_size, 0
	.set _ZN7rocprim17ROCPRIM_400000_NS6detail17trampoline_kernelINS0_14default_configENS1_22reduce_config_selectorIsEEZNS1_11reduce_implILb1ES3_N6thrust23THRUST_200600_302600_NS6detail15normal_iteratorINS8_10device_ptrIsEEEEPffNS8_4plusIfEEEE10hipError_tPvRmT1_T2_T3_mT4_P12ihipStream_tbEUlT_E1_NS1_11comp_targetILNS1_3genE9ELNS1_11target_archE1100ELNS1_3gpuE3ELNS1_3repE0EEENS1_30default_config_static_selectorELNS0_4arch9wavefront6targetE1EEEvSK_.uses_vcc, 0
	.set _ZN7rocprim17ROCPRIM_400000_NS6detail17trampoline_kernelINS0_14default_configENS1_22reduce_config_selectorIsEEZNS1_11reduce_implILb1ES3_N6thrust23THRUST_200600_302600_NS6detail15normal_iteratorINS8_10device_ptrIsEEEEPffNS8_4plusIfEEEE10hipError_tPvRmT1_T2_T3_mT4_P12ihipStream_tbEUlT_E1_NS1_11comp_targetILNS1_3genE9ELNS1_11target_archE1100ELNS1_3gpuE3ELNS1_3repE0EEENS1_30default_config_static_selectorELNS0_4arch9wavefront6targetE1EEEvSK_.uses_flat_scratch, 0
	.set _ZN7rocprim17ROCPRIM_400000_NS6detail17trampoline_kernelINS0_14default_configENS1_22reduce_config_selectorIsEEZNS1_11reduce_implILb1ES3_N6thrust23THRUST_200600_302600_NS6detail15normal_iteratorINS8_10device_ptrIsEEEEPffNS8_4plusIfEEEE10hipError_tPvRmT1_T2_T3_mT4_P12ihipStream_tbEUlT_E1_NS1_11comp_targetILNS1_3genE9ELNS1_11target_archE1100ELNS1_3gpuE3ELNS1_3repE0EEENS1_30default_config_static_selectorELNS0_4arch9wavefront6targetE1EEEvSK_.has_dyn_sized_stack, 0
	.set _ZN7rocprim17ROCPRIM_400000_NS6detail17trampoline_kernelINS0_14default_configENS1_22reduce_config_selectorIsEEZNS1_11reduce_implILb1ES3_N6thrust23THRUST_200600_302600_NS6detail15normal_iteratorINS8_10device_ptrIsEEEEPffNS8_4plusIfEEEE10hipError_tPvRmT1_T2_T3_mT4_P12ihipStream_tbEUlT_E1_NS1_11comp_targetILNS1_3genE9ELNS1_11target_archE1100ELNS1_3gpuE3ELNS1_3repE0EEENS1_30default_config_static_selectorELNS0_4arch9wavefront6targetE1EEEvSK_.has_recursion, 0
	.set _ZN7rocprim17ROCPRIM_400000_NS6detail17trampoline_kernelINS0_14default_configENS1_22reduce_config_selectorIsEEZNS1_11reduce_implILb1ES3_N6thrust23THRUST_200600_302600_NS6detail15normal_iteratorINS8_10device_ptrIsEEEEPffNS8_4plusIfEEEE10hipError_tPvRmT1_T2_T3_mT4_P12ihipStream_tbEUlT_E1_NS1_11comp_targetILNS1_3genE9ELNS1_11target_archE1100ELNS1_3gpuE3ELNS1_3repE0EEENS1_30default_config_static_selectorELNS0_4arch9wavefront6targetE1EEEvSK_.has_indirect_call, 0
	.section	.AMDGPU.csdata,"",@progbits
; Kernel info:
; codeLenInByte = 0
; TotalNumSgprs: 6
; NumVgprs: 0
; NumAgprs: 0
; TotalNumVgprs: 0
; ScratchSize: 0
; MemoryBound: 0
; FloatMode: 240
; IeeeMode: 1
; LDSByteSize: 0 bytes/workgroup (compile time only)
; SGPRBlocks: 0
; VGPRBlocks: 0
; NumSGPRsForWavesPerEU: 6
; NumVGPRsForWavesPerEU: 1
; AccumOffset: 4
; Occupancy: 8
; WaveLimiterHint : 0
; COMPUTE_PGM_RSRC2:SCRATCH_EN: 0
; COMPUTE_PGM_RSRC2:USER_SGPR: 2
; COMPUTE_PGM_RSRC2:TRAP_HANDLER: 0
; COMPUTE_PGM_RSRC2:TGID_X_EN: 1
; COMPUTE_PGM_RSRC2:TGID_Y_EN: 0
; COMPUTE_PGM_RSRC2:TGID_Z_EN: 0
; COMPUTE_PGM_RSRC2:TIDIG_COMP_CNT: 0
; COMPUTE_PGM_RSRC3_GFX90A:ACCUM_OFFSET: 0
; COMPUTE_PGM_RSRC3_GFX90A:TG_SPLIT: 0
	.section	.text._ZN7rocprim17ROCPRIM_400000_NS6detail17trampoline_kernelINS0_14default_configENS1_22reduce_config_selectorIsEEZNS1_11reduce_implILb1ES3_N6thrust23THRUST_200600_302600_NS6detail15normal_iteratorINS8_10device_ptrIsEEEEPffNS8_4plusIfEEEE10hipError_tPvRmT1_T2_T3_mT4_P12ihipStream_tbEUlT_E1_NS1_11comp_targetILNS1_3genE8ELNS1_11target_archE1030ELNS1_3gpuE2ELNS1_3repE0EEENS1_30default_config_static_selectorELNS0_4arch9wavefront6targetE1EEEvSK_,"axG",@progbits,_ZN7rocprim17ROCPRIM_400000_NS6detail17trampoline_kernelINS0_14default_configENS1_22reduce_config_selectorIsEEZNS1_11reduce_implILb1ES3_N6thrust23THRUST_200600_302600_NS6detail15normal_iteratorINS8_10device_ptrIsEEEEPffNS8_4plusIfEEEE10hipError_tPvRmT1_T2_T3_mT4_P12ihipStream_tbEUlT_E1_NS1_11comp_targetILNS1_3genE8ELNS1_11target_archE1030ELNS1_3gpuE2ELNS1_3repE0EEENS1_30default_config_static_selectorELNS0_4arch9wavefront6targetE1EEEvSK_,comdat
	.protected	_ZN7rocprim17ROCPRIM_400000_NS6detail17trampoline_kernelINS0_14default_configENS1_22reduce_config_selectorIsEEZNS1_11reduce_implILb1ES3_N6thrust23THRUST_200600_302600_NS6detail15normal_iteratorINS8_10device_ptrIsEEEEPffNS8_4plusIfEEEE10hipError_tPvRmT1_T2_T3_mT4_P12ihipStream_tbEUlT_E1_NS1_11comp_targetILNS1_3genE8ELNS1_11target_archE1030ELNS1_3gpuE2ELNS1_3repE0EEENS1_30default_config_static_selectorELNS0_4arch9wavefront6targetE1EEEvSK_ ; -- Begin function _ZN7rocprim17ROCPRIM_400000_NS6detail17trampoline_kernelINS0_14default_configENS1_22reduce_config_selectorIsEEZNS1_11reduce_implILb1ES3_N6thrust23THRUST_200600_302600_NS6detail15normal_iteratorINS8_10device_ptrIsEEEEPffNS8_4plusIfEEEE10hipError_tPvRmT1_T2_T3_mT4_P12ihipStream_tbEUlT_E1_NS1_11comp_targetILNS1_3genE8ELNS1_11target_archE1030ELNS1_3gpuE2ELNS1_3repE0EEENS1_30default_config_static_selectorELNS0_4arch9wavefront6targetE1EEEvSK_
	.globl	_ZN7rocprim17ROCPRIM_400000_NS6detail17trampoline_kernelINS0_14default_configENS1_22reduce_config_selectorIsEEZNS1_11reduce_implILb1ES3_N6thrust23THRUST_200600_302600_NS6detail15normal_iteratorINS8_10device_ptrIsEEEEPffNS8_4plusIfEEEE10hipError_tPvRmT1_T2_T3_mT4_P12ihipStream_tbEUlT_E1_NS1_11comp_targetILNS1_3genE8ELNS1_11target_archE1030ELNS1_3gpuE2ELNS1_3repE0EEENS1_30default_config_static_selectorELNS0_4arch9wavefront6targetE1EEEvSK_
	.p2align	8
	.type	_ZN7rocprim17ROCPRIM_400000_NS6detail17trampoline_kernelINS0_14default_configENS1_22reduce_config_selectorIsEEZNS1_11reduce_implILb1ES3_N6thrust23THRUST_200600_302600_NS6detail15normal_iteratorINS8_10device_ptrIsEEEEPffNS8_4plusIfEEEE10hipError_tPvRmT1_T2_T3_mT4_P12ihipStream_tbEUlT_E1_NS1_11comp_targetILNS1_3genE8ELNS1_11target_archE1030ELNS1_3gpuE2ELNS1_3repE0EEENS1_30default_config_static_selectorELNS0_4arch9wavefront6targetE1EEEvSK_,@function
_ZN7rocprim17ROCPRIM_400000_NS6detail17trampoline_kernelINS0_14default_configENS1_22reduce_config_selectorIsEEZNS1_11reduce_implILb1ES3_N6thrust23THRUST_200600_302600_NS6detail15normal_iteratorINS8_10device_ptrIsEEEEPffNS8_4plusIfEEEE10hipError_tPvRmT1_T2_T3_mT4_P12ihipStream_tbEUlT_E1_NS1_11comp_targetILNS1_3genE8ELNS1_11target_archE1030ELNS1_3gpuE2ELNS1_3repE0EEENS1_30default_config_static_selectorELNS0_4arch9wavefront6targetE1EEEvSK_: ; @_ZN7rocprim17ROCPRIM_400000_NS6detail17trampoline_kernelINS0_14default_configENS1_22reduce_config_selectorIsEEZNS1_11reduce_implILb1ES3_N6thrust23THRUST_200600_302600_NS6detail15normal_iteratorINS8_10device_ptrIsEEEEPffNS8_4plusIfEEEE10hipError_tPvRmT1_T2_T3_mT4_P12ihipStream_tbEUlT_E1_NS1_11comp_targetILNS1_3genE8ELNS1_11target_archE1030ELNS1_3gpuE2ELNS1_3repE0EEENS1_30default_config_static_selectorELNS0_4arch9wavefront6targetE1EEEvSK_
; %bb.0:
	.section	.rodata,"a",@progbits
	.p2align	6, 0x0
	.amdhsa_kernel _ZN7rocprim17ROCPRIM_400000_NS6detail17trampoline_kernelINS0_14default_configENS1_22reduce_config_selectorIsEEZNS1_11reduce_implILb1ES3_N6thrust23THRUST_200600_302600_NS6detail15normal_iteratorINS8_10device_ptrIsEEEEPffNS8_4plusIfEEEE10hipError_tPvRmT1_T2_T3_mT4_P12ihipStream_tbEUlT_E1_NS1_11comp_targetILNS1_3genE8ELNS1_11target_archE1030ELNS1_3gpuE2ELNS1_3repE0EEENS1_30default_config_static_selectorELNS0_4arch9wavefront6targetE1EEEvSK_
		.amdhsa_group_segment_fixed_size 0
		.amdhsa_private_segment_fixed_size 0
		.amdhsa_kernarg_size 40
		.amdhsa_user_sgpr_count 2
		.amdhsa_user_sgpr_dispatch_ptr 0
		.amdhsa_user_sgpr_queue_ptr 0
		.amdhsa_user_sgpr_kernarg_segment_ptr 1
		.amdhsa_user_sgpr_dispatch_id 0
		.amdhsa_user_sgpr_kernarg_preload_length 0
		.amdhsa_user_sgpr_kernarg_preload_offset 0
		.amdhsa_user_sgpr_private_segment_size 0
		.amdhsa_uses_dynamic_stack 0
		.amdhsa_enable_private_segment 0
		.amdhsa_system_sgpr_workgroup_id_x 1
		.amdhsa_system_sgpr_workgroup_id_y 0
		.amdhsa_system_sgpr_workgroup_id_z 0
		.amdhsa_system_sgpr_workgroup_info 0
		.amdhsa_system_vgpr_workitem_id 0
		.amdhsa_next_free_vgpr 1
		.amdhsa_next_free_sgpr 0
		.amdhsa_accum_offset 4
		.amdhsa_reserve_vcc 0
		.amdhsa_float_round_mode_32 0
		.amdhsa_float_round_mode_16_64 0
		.amdhsa_float_denorm_mode_32 3
		.amdhsa_float_denorm_mode_16_64 3
		.amdhsa_dx10_clamp 1
		.amdhsa_ieee_mode 1
		.amdhsa_fp16_overflow 0
		.amdhsa_tg_split 0
		.amdhsa_exception_fp_ieee_invalid_op 0
		.amdhsa_exception_fp_denorm_src 0
		.amdhsa_exception_fp_ieee_div_zero 0
		.amdhsa_exception_fp_ieee_overflow 0
		.amdhsa_exception_fp_ieee_underflow 0
		.amdhsa_exception_fp_ieee_inexact 0
		.amdhsa_exception_int_div_zero 0
	.end_amdhsa_kernel
	.section	.text._ZN7rocprim17ROCPRIM_400000_NS6detail17trampoline_kernelINS0_14default_configENS1_22reduce_config_selectorIsEEZNS1_11reduce_implILb1ES3_N6thrust23THRUST_200600_302600_NS6detail15normal_iteratorINS8_10device_ptrIsEEEEPffNS8_4plusIfEEEE10hipError_tPvRmT1_T2_T3_mT4_P12ihipStream_tbEUlT_E1_NS1_11comp_targetILNS1_3genE8ELNS1_11target_archE1030ELNS1_3gpuE2ELNS1_3repE0EEENS1_30default_config_static_selectorELNS0_4arch9wavefront6targetE1EEEvSK_,"axG",@progbits,_ZN7rocprim17ROCPRIM_400000_NS6detail17trampoline_kernelINS0_14default_configENS1_22reduce_config_selectorIsEEZNS1_11reduce_implILb1ES3_N6thrust23THRUST_200600_302600_NS6detail15normal_iteratorINS8_10device_ptrIsEEEEPffNS8_4plusIfEEEE10hipError_tPvRmT1_T2_T3_mT4_P12ihipStream_tbEUlT_E1_NS1_11comp_targetILNS1_3genE8ELNS1_11target_archE1030ELNS1_3gpuE2ELNS1_3repE0EEENS1_30default_config_static_selectorELNS0_4arch9wavefront6targetE1EEEvSK_,comdat
.Lfunc_end548:
	.size	_ZN7rocprim17ROCPRIM_400000_NS6detail17trampoline_kernelINS0_14default_configENS1_22reduce_config_selectorIsEEZNS1_11reduce_implILb1ES3_N6thrust23THRUST_200600_302600_NS6detail15normal_iteratorINS8_10device_ptrIsEEEEPffNS8_4plusIfEEEE10hipError_tPvRmT1_T2_T3_mT4_P12ihipStream_tbEUlT_E1_NS1_11comp_targetILNS1_3genE8ELNS1_11target_archE1030ELNS1_3gpuE2ELNS1_3repE0EEENS1_30default_config_static_selectorELNS0_4arch9wavefront6targetE1EEEvSK_, .Lfunc_end548-_ZN7rocprim17ROCPRIM_400000_NS6detail17trampoline_kernelINS0_14default_configENS1_22reduce_config_selectorIsEEZNS1_11reduce_implILb1ES3_N6thrust23THRUST_200600_302600_NS6detail15normal_iteratorINS8_10device_ptrIsEEEEPffNS8_4plusIfEEEE10hipError_tPvRmT1_T2_T3_mT4_P12ihipStream_tbEUlT_E1_NS1_11comp_targetILNS1_3genE8ELNS1_11target_archE1030ELNS1_3gpuE2ELNS1_3repE0EEENS1_30default_config_static_selectorELNS0_4arch9wavefront6targetE1EEEvSK_
                                        ; -- End function
	.set _ZN7rocprim17ROCPRIM_400000_NS6detail17trampoline_kernelINS0_14default_configENS1_22reduce_config_selectorIsEEZNS1_11reduce_implILb1ES3_N6thrust23THRUST_200600_302600_NS6detail15normal_iteratorINS8_10device_ptrIsEEEEPffNS8_4plusIfEEEE10hipError_tPvRmT1_T2_T3_mT4_P12ihipStream_tbEUlT_E1_NS1_11comp_targetILNS1_3genE8ELNS1_11target_archE1030ELNS1_3gpuE2ELNS1_3repE0EEENS1_30default_config_static_selectorELNS0_4arch9wavefront6targetE1EEEvSK_.num_vgpr, 0
	.set _ZN7rocprim17ROCPRIM_400000_NS6detail17trampoline_kernelINS0_14default_configENS1_22reduce_config_selectorIsEEZNS1_11reduce_implILb1ES3_N6thrust23THRUST_200600_302600_NS6detail15normal_iteratorINS8_10device_ptrIsEEEEPffNS8_4plusIfEEEE10hipError_tPvRmT1_T2_T3_mT4_P12ihipStream_tbEUlT_E1_NS1_11comp_targetILNS1_3genE8ELNS1_11target_archE1030ELNS1_3gpuE2ELNS1_3repE0EEENS1_30default_config_static_selectorELNS0_4arch9wavefront6targetE1EEEvSK_.num_agpr, 0
	.set _ZN7rocprim17ROCPRIM_400000_NS6detail17trampoline_kernelINS0_14default_configENS1_22reduce_config_selectorIsEEZNS1_11reduce_implILb1ES3_N6thrust23THRUST_200600_302600_NS6detail15normal_iteratorINS8_10device_ptrIsEEEEPffNS8_4plusIfEEEE10hipError_tPvRmT1_T2_T3_mT4_P12ihipStream_tbEUlT_E1_NS1_11comp_targetILNS1_3genE8ELNS1_11target_archE1030ELNS1_3gpuE2ELNS1_3repE0EEENS1_30default_config_static_selectorELNS0_4arch9wavefront6targetE1EEEvSK_.numbered_sgpr, 0
	.set _ZN7rocprim17ROCPRIM_400000_NS6detail17trampoline_kernelINS0_14default_configENS1_22reduce_config_selectorIsEEZNS1_11reduce_implILb1ES3_N6thrust23THRUST_200600_302600_NS6detail15normal_iteratorINS8_10device_ptrIsEEEEPffNS8_4plusIfEEEE10hipError_tPvRmT1_T2_T3_mT4_P12ihipStream_tbEUlT_E1_NS1_11comp_targetILNS1_3genE8ELNS1_11target_archE1030ELNS1_3gpuE2ELNS1_3repE0EEENS1_30default_config_static_selectorELNS0_4arch9wavefront6targetE1EEEvSK_.num_named_barrier, 0
	.set _ZN7rocprim17ROCPRIM_400000_NS6detail17trampoline_kernelINS0_14default_configENS1_22reduce_config_selectorIsEEZNS1_11reduce_implILb1ES3_N6thrust23THRUST_200600_302600_NS6detail15normal_iteratorINS8_10device_ptrIsEEEEPffNS8_4plusIfEEEE10hipError_tPvRmT1_T2_T3_mT4_P12ihipStream_tbEUlT_E1_NS1_11comp_targetILNS1_3genE8ELNS1_11target_archE1030ELNS1_3gpuE2ELNS1_3repE0EEENS1_30default_config_static_selectorELNS0_4arch9wavefront6targetE1EEEvSK_.private_seg_size, 0
	.set _ZN7rocprim17ROCPRIM_400000_NS6detail17trampoline_kernelINS0_14default_configENS1_22reduce_config_selectorIsEEZNS1_11reduce_implILb1ES3_N6thrust23THRUST_200600_302600_NS6detail15normal_iteratorINS8_10device_ptrIsEEEEPffNS8_4plusIfEEEE10hipError_tPvRmT1_T2_T3_mT4_P12ihipStream_tbEUlT_E1_NS1_11comp_targetILNS1_3genE8ELNS1_11target_archE1030ELNS1_3gpuE2ELNS1_3repE0EEENS1_30default_config_static_selectorELNS0_4arch9wavefront6targetE1EEEvSK_.uses_vcc, 0
	.set _ZN7rocprim17ROCPRIM_400000_NS6detail17trampoline_kernelINS0_14default_configENS1_22reduce_config_selectorIsEEZNS1_11reduce_implILb1ES3_N6thrust23THRUST_200600_302600_NS6detail15normal_iteratorINS8_10device_ptrIsEEEEPffNS8_4plusIfEEEE10hipError_tPvRmT1_T2_T3_mT4_P12ihipStream_tbEUlT_E1_NS1_11comp_targetILNS1_3genE8ELNS1_11target_archE1030ELNS1_3gpuE2ELNS1_3repE0EEENS1_30default_config_static_selectorELNS0_4arch9wavefront6targetE1EEEvSK_.uses_flat_scratch, 0
	.set _ZN7rocprim17ROCPRIM_400000_NS6detail17trampoline_kernelINS0_14default_configENS1_22reduce_config_selectorIsEEZNS1_11reduce_implILb1ES3_N6thrust23THRUST_200600_302600_NS6detail15normal_iteratorINS8_10device_ptrIsEEEEPffNS8_4plusIfEEEE10hipError_tPvRmT1_T2_T3_mT4_P12ihipStream_tbEUlT_E1_NS1_11comp_targetILNS1_3genE8ELNS1_11target_archE1030ELNS1_3gpuE2ELNS1_3repE0EEENS1_30default_config_static_selectorELNS0_4arch9wavefront6targetE1EEEvSK_.has_dyn_sized_stack, 0
	.set _ZN7rocprim17ROCPRIM_400000_NS6detail17trampoline_kernelINS0_14default_configENS1_22reduce_config_selectorIsEEZNS1_11reduce_implILb1ES3_N6thrust23THRUST_200600_302600_NS6detail15normal_iteratorINS8_10device_ptrIsEEEEPffNS8_4plusIfEEEE10hipError_tPvRmT1_T2_T3_mT4_P12ihipStream_tbEUlT_E1_NS1_11comp_targetILNS1_3genE8ELNS1_11target_archE1030ELNS1_3gpuE2ELNS1_3repE0EEENS1_30default_config_static_selectorELNS0_4arch9wavefront6targetE1EEEvSK_.has_recursion, 0
	.set _ZN7rocprim17ROCPRIM_400000_NS6detail17trampoline_kernelINS0_14default_configENS1_22reduce_config_selectorIsEEZNS1_11reduce_implILb1ES3_N6thrust23THRUST_200600_302600_NS6detail15normal_iteratorINS8_10device_ptrIsEEEEPffNS8_4plusIfEEEE10hipError_tPvRmT1_T2_T3_mT4_P12ihipStream_tbEUlT_E1_NS1_11comp_targetILNS1_3genE8ELNS1_11target_archE1030ELNS1_3gpuE2ELNS1_3repE0EEENS1_30default_config_static_selectorELNS0_4arch9wavefront6targetE1EEEvSK_.has_indirect_call, 0
	.section	.AMDGPU.csdata,"",@progbits
; Kernel info:
; codeLenInByte = 0
; TotalNumSgprs: 6
; NumVgprs: 0
; NumAgprs: 0
; TotalNumVgprs: 0
; ScratchSize: 0
; MemoryBound: 0
; FloatMode: 240
; IeeeMode: 1
; LDSByteSize: 0 bytes/workgroup (compile time only)
; SGPRBlocks: 0
; VGPRBlocks: 0
; NumSGPRsForWavesPerEU: 6
; NumVGPRsForWavesPerEU: 1
; AccumOffset: 4
; Occupancy: 8
; WaveLimiterHint : 0
; COMPUTE_PGM_RSRC2:SCRATCH_EN: 0
; COMPUTE_PGM_RSRC2:USER_SGPR: 2
; COMPUTE_PGM_RSRC2:TRAP_HANDLER: 0
; COMPUTE_PGM_RSRC2:TGID_X_EN: 1
; COMPUTE_PGM_RSRC2:TGID_Y_EN: 0
; COMPUTE_PGM_RSRC2:TGID_Z_EN: 0
; COMPUTE_PGM_RSRC2:TIDIG_COMP_CNT: 0
; COMPUTE_PGM_RSRC3_GFX90A:ACCUM_OFFSET: 0
; COMPUTE_PGM_RSRC3_GFX90A:TG_SPLIT: 0
	.section	.text._ZN7rocprim17ROCPRIM_400000_NS6detail17trampoline_kernelINS0_14default_configENS1_22reduce_config_selectorImEEZNS1_11reduce_implILb1ES3_PmS7_m11plus_mod_10ImEEE10hipError_tPvRmT1_T2_T3_mT4_P12ihipStream_tbEUlT_E0_NS1_11comp_targetILNS1_3genE0ELNS1_11target_archE4294967295ELNS1_3gpuE0ELNS1_3repE0EEENS1_30default_config_static_selectorELNS0_4arch9wavefront6targetE1EEEvSD_,"axG",@progbits,_ZN7rocprim17ROCPRIM_400000_NS6detail17trampoline_kernelINS0_14default_configENS1_22reduce_config_selectorImEEZNS1_11reduce_implILb1ES3_PmS7_m11plus_mod_10ImEEE10hipError_tPvRmT1_T2_T3_mT4_P12ihipStream_tbEUlT_E0_NS1_11comp_targetILNS1_3genE0ELNS1_11target_archE4294967295ELNS1_3gpuE0ELNS1_3repE0EEENS1_30default_config_static_selectorELNS0_4arch9wavefront6targetE1EEEvSD_,comdat
	.protected	_ZN7rocprim17ROCPRIM_400000_NS6detail17trampoline_kernelINS0_14default_configENS1_22reduce_config_selectorImEEZNS1_11reduce_implILb1ES3_PmS7_m11plus_mod_10ImEEE10hipError_tPvRmT1_T2_T3_mT4_P12ihipStream_tbEUlT_E0_NS1_11comp_targetILNS1_3genE0ELNS1_11target_archE4294967295ELNS1_3gpuE0ELNS1_3repE0EEENS1_30default_config_static_selectorELNS0_4arch9wavefront6targetE1EEEvSD_ ; -- Begin function _ZN7rocprim17ROCPRIM_400000_NS6detail17trampoline_kernelINS0_14default_configENS1_22reduce_config_selectorImEEZNS1_11reduce_implILb1ES3_PmS7_m11plus_mod_10ImEEE10hipError_tPvRmT1_T2_T3_mT4_P12ihipStream_tbEUlT_E0_NS1_11comp_targetILNS1_3genE0ELNS1_11target_archE4294967295ELNS1_3gpuE0ELNS1_3repE0EEENS1_30default_config_static_selectorELNS0_4arch9wavefront6targetE1EEEvSD_
	.globl	_ZN7rocprim17ROCPRIM_400000_NS6detail17trampoline_kernelINS0_14default_configENS1_22reduce_config_selectorImEEZNS1_11reduce_implILb1ES3_PmS7_m11plus_mod_10ImEEE10hipError_tPvRmT1_T2_T3_mT4_P12ihipStream_tbEUlT_E0_NS1_11comp_targetILNS1_3genE0ELNS1_11target_archE4294967295ELNS1_3gpuE0ELNS1_3repE0EEENS1_30default_config_static_selectorELNS0_4arch9wavefront6targetE1EEEvSD_
	.p2align	8
	.type	_ZN7rocprim17ROCPRIM_400000_NS6detail17trampoline_kernelINS0_14default_configENS1_22reduce_config_selectorImEEZNS1_11reduce_implILb1ES3_PmS7_m11plus_mod_10ImEEE10hipError_tPvRmT1_T2_T3_mT4_P12ihipStream_tbEUlT_E0_NS1_11comp_targetILNS1_3genE0ELNS1_11target_archE4294967295ELNS1_3gpuE0ELNS1_3repE0EEENS1_30default_config_static_selectorELNS0_4arch9wavefront6targetE1EEEvSD_,@function
_ZN7rocprim17ROCPRIM_400000_NS6detail17trampoline_kernelINS0_14default_configENS1_22reduce_config_selectorImEEZNS1_11reduce_implILb1ES3_PmS7_m11plus_mod_10ImEEE10hipError_tPvRmT1_T2_T3_mT4_P12ihipStream_tbEUlT_E0_NS1_11comp_targetILNS1_3genE0ELNS1_11target_archE4294967295ELNS1_3gpuE0ELNS1_3repE0EEENS1_30default_config_static_selectorELNS0_4arch9wavefront6targetE1EEEvSD_: ; @_ZN7rocprim17ROCPRIM_400000_NS6detail17trampoline_kernelINS0_14default_configENS1_22reduce_config_selectorImEEZNS1_11reduce_implILb1ES3_PmS7_m11plus_mod_10ImEEE10hipError_tPvRmT1_T2_T3_mT4_P12ihipStream_tbEUlT_E0_NS1_11comp_targetILNS1_3genE0ELNS1_11target_archE4294967295ELNS1_3gpuE0ELNS1_3repE0EEENS1_30default_config_static_selectorELNS0_4arch9wavefront6targetE1EEEvSD_
; %bb.0:
	s_load_dwordx8 s[36:43], s[0:1], 0x0
	s_load_dwordx4 s[44:47], s[0:1], 0x20
	s_load_dwordx2 s[30:31], s[0:1], 0x30
	v_lshlrev_b32_e32 v34, 3, v0
	s_waitcnt lgkmcnt(0)
	s_lshl_b64 s[0:1], s[38:39], 3
	s_add_u32 s8, s36, s0
	s_addc_u32 s9, s37, s1
	s_lshl_b32 s0, s2, 12
	s_mov_b32 s1, 0
	s_lshr_b64 s[4:5], s[40:41], 12
	s_lshl_b64 s[6:7], s[0:1], 3
	s_add_u32 s34, s8, s6
	s_mov_b32 s3, s1
	s_addc_u32 s35, s9, s7
	s_cmp_lg_u64 s[4:5], s[2:3]
	s_cbranch_scc0 .LBB549_6
; %bb.1:
	global_load_dwordx2 v[20:21], v34, s[34:35] offset:2048
	global_load_dwordx2 v[22:23], v34, s[34:35]
	v_mov_b32_e32 v35, 0
	v_lshl_add_u64 v[2:3], s[34:35], 0, v[34:35]
	v_add_co_u32_e32 v4, vcc, 0x1000, v2
	s_mov_b32 s4, 0xcccccccd
	s_nop 0
	v_addc_co_u32_e32 v5, vcc, 0, v3, vcc
	global_load_dwordx2 v[32:33], v[4:5], off
	v_add_co_u32_e32 v6, vcc, 0x2000, v2
	v_mov_b32_e32 v25, v35
	s_nop 0
	v_addc_co_u32_e32 v7, vcc, 0, v3, vcc
	global_load_dwordx2 v[42:43], v[4:5], off offset:2048
	global_load_dwordx2 v[44:45], v[6:7], off
	global_load_dwordx2 v[46:47], v[6:7], off offset:2048
	v_mov_b32_e32 v31, v35
	v_add_co_u32_e32 v8, vcc, 0x3000, v2
	s_mov_b32 s1, 0xcccccccc
	s_nop 0
	v_addc_co_u32_e32 v9, vcc, 0, v3, vcc
	v_add_co_u32_e32 v4, vcc, 0x4000, v2
	v_mov_b32_e32 v27, v35
	v_mov_b32_e32 v29, v35
	;; [unrolled: 1-line block ×4, first 2 shown]
	v_addc_co_u32_e32 v5, vcc, 0, v3, vcc
	v_add_co_u32_e32 v48, vcc, 0x5000, v2
	global_load_dwordx2 v[50:51], v[8:9], off
	global_load_dwordx2 v[18:19], v[8:9], off offset:2048
	global_load_dwordx2 v[16:17], v[4:5], off
	global_load_dwordx2 v[14:15], v[4:5], off offset:2048
	v_addc_co_u32_e32 v49, vcc, 0, v3, vcc
	v_add_co_u32_e32 v4, vcc, 0x6000, v2
	v_mov_b32_e32 v41, v35
	s_nop 0
	v_addc_co_u32_e32 v5, vcc, 0, v3, vcc
	v_add_co_u32_e32 v52, vcc, 0x7000, v2
	global_load_dwordx2 v[12:13], v[48:49], off
	global_load_dwordx2 v[10:11], v[48:49], off offset:2048
	global_load_dwordx2 v[8:9], v[4:5], off
	global_load_dwordx2 v[6:7], v[4:5], off offset:2048
	v_addc_co_u32_e32 v53, vcc, 0, v3, vcc
	global_load_dwordx2 v[4:5], v[52:53], off
	global_load_dwordx2 v[2:3], v[52:53], off offset:2048
	s_waitcnt vmcnt(15)
	v_mul_hi_u32 v24, v20, s4
	s_waitcnt vmcnt(14)
	v_mul_hi_u32 v30, v22, s4
	v_mad_u64_u32 v[24:25], s[6:7], v21, s4, v[24:25]
	v_mad_u64_u32 v[30:31], s[6:7], v23, s4, v[30:31]
	v_mov_b32_e32 v26, v25
	v_mov_b32_e32 v25, v35
	;; [unrolled: 1-line block ×4, first 2 shown]
	v_mad_u64_u32 v[24:25], s[6:7], v20, s1, v[24:25]
	v_mad_u64_u32 v[30:31], s[6:7], v22, s1, v[30:31]
	v_mov_b32_e32 v28, v25
	v_mov_b32_e32 v38, v31
	v_lshl_add_u64 v[24:25], v[26:27], 0, v[28:29]
	v_lshl_add_u64 v[26:27], v[36:37], 0, v[38:39]
	v_mad_u64_u32 v[24:25], s[6:7], v21, s1, v[24:25]
	v_mad_u64_u32 v[26:27], s[6:7], v23, s1, v[26:27]
	v_alignbit_b32 v1, v25, v24, 3
	v_alignbit_b32 v21, v27, v26, 3
	v_mul_lo_u32 v1, v1, 10
	v_mul_lo_u32 v21, v21, 10
	v_sub_u32_e32 v1, v20, v1
	v_sub_u32_e32 v20, v22, v21
	v_add_u32_e32 v40, v1, v20
	v_lshl_add_u64 v[20:21], v[40:41], 0, -10
	v_cmp_gt_u32_e32 vcc, 10, v40
	v_mov_b32_e32 v23, v35
	s_nop 0
	v_cndmask_b32_e64 v1, v21, 0, vcc
	v_cndmask_b32_e32 v24, v20, v40, vcc
	s_waitcnt vmcnt(13)
	v_mul_hi_u32 v20, v32, s4
	v_mov_b32_e32 v21, v35
	v_mad_u64_u32 v[20:21], s[6:7], v33, s4, v[20:21]
	v_mov_b32_e32 v22, v21
	v_mov_b32_e32 v21, v35
	v_mad_u64_u32 v[20:21], s[6:7], v32, s1, v[20:21]
	v_mov_b32_e32 v20, v21
	v_mov_b32_e32 v21, v35
	v_lshl_add_u64 v[20:21], v[22:23], 0, v[20:21]
	v_mad_u64_u32 v[20:21], s[6:7], v33, s1, v[20:21]
	v_alignbit_b32 v20, v21, v20, 3
	v_mul_lo_u32 v20, v20, 10
	v_sub_u32_e32 v25, v32, v20
	v_mul_hi_u32 v20, v24, s4
	v_mov_b32_e32 v21, v35
	v_mad_u64_u32 v[20:21], s[6:7], v1, s4, v[20:21]
	v_mov_b32_e32 v22, v21
	v_mov_b32_e32 v21, v35
	v_mad_u64_u32 v[20:21], s[6:7], v24, s1, v[20:21]
	v_mov_b32_e32 v20, v21
	v_mov_b32_e32 v21, v35
	v_lshl_add_u64 v[20:21], v[22:23], 0, v[20:21]
	v_mad_u64_u32 v[20:21], s[6:7], v1, s1, v[20:21]
	v_alignbit_b32 v1, v21, v20, 3
	v_mul_lo_u32 v1, v1, 10
	v_sub_u32_e32 v1, v24, v1
	v_add_u32_e32 v20, v1, v25
	v_mov_b32_e32 v21, v35
	v_lshl_add_u64 v[22:23], v[20:21], 0, -10
	v_cmp_gt_u32_e32 vcc, 10, v20
	s_nop 1
	v_cndmask_b32_e32 v24, v22, v20, vcc
	s_waitcnt vmcnt(12)
	v_mul_hi_u32 v20, v42, s4
	v_mad_u64_u32 v[20:21], s[6:7], v43, s4, v[20:21]
	v_mov_b32_e32 v22, v21
	v_mov_b32_e32 v21, v35
	v_mad_u64_u32 v[20:21], s[6:7], v42, s1, v[20:21]
	v_cndmask_b32_e64 v1, v23, 0, vcc
	v_mov_b32_e32 v23, v35
	v_mov_b32_e32 v20, v21
	v_mov_b32_e32 v21, v35
	v_lshl_add_u64 v[20:21], v[22:23], 0, v[20:21]
	v_mad_u64_u32 v[20:21], s[6:7], v43, s1, v[20:21]
	v_alignbit_b32 v20, v21, v20, 3
	v_mul_lo_u32 v20, v20, 10
	v_sub_u32_e32 v25, v42, v20
	v_mul_hi_u32 v20, v24, s4
	v_mov_b32_e32 v21, v35
	v_mad_u64_u32 v[20:21], s[6:7], v1, s4, v[20:21]
	v_mov_b32_e32 v22, v21
	v_mov_b32_e32 v21, v35
	v_mad_u64_u32 v[20:21], s[6:7], v24, s1, v[20:21]
	v_mov_b32_e32 v20, v21
	v_mov_b32_e32 v21, v35
	v_lshl_add_u64 v[20:21], v[22:23], 0, v[20:21]
	v_mad_u64_u32 v[20:21], s[6:7], v1, s1, v[20:21]
	v_alignbit_b32 v1, v21, v20, 3
	v_mul_lo_u32 v1, v1, 10
	v_sub_u32_e32 v1, v24, v1
	v_add_u32_e32 v20, v1, v25
	v_mov_b32_e32 v21, v35
	v_lshl_add_u64 v[22:23], v[20:21], 0, -10
	v_cmp_gt_u32_e32 vcc, 10, v20
	s_nop 1
	v_cndmask_b32_e32 v24, v22, v20, vcc
	s_waitcnt vmcnt(11)
	v_mul_hi_u32 v20, v44, s4
	v_mad_u64_u32 v[20:21], s[6:7], v45, s4, v[20:21]
	v_mov_b32_e32 v22, v21
	v_mov_b32_e32 v21, v35
	v_mad_u64_u32 v[20:21], s[6:7], v44, s1, v[20:21]
	v_cndmask_b32_e64 v1, v23, 0, vcc
	v_mov_b32_e32 v23, v35
	;; [unrolled: 34-line block ×5, first 2 shown]
	v_mov_b32_e32 v20, v21
	v_mov_b32_e32 v21, v35
	v_lshl_add_u64 v[20:21], v[22:23], 0, v[20:21]
	v_mad_u64_u32 v[20:21], s[6:7], v19, s1, v[20:21]
	v_alignbit_b32 v19, v21, v20, 3
	v_mul_lo_u32 v19, v19, 10
	v_sub_u32_e32 v22, v18, v19
	v_mul_hi_u32 v18, v24, s4
	v_mov_b32_e32 v19, v35
	v_mad_u64_u32 v[18:19], s[6:7], v1, s4, v[18:19]
	v_mov_b32_e32 v20, v19
	v_mov_b32_e32 v19, v35
	v_mad_u64_u32 v[18:19], s[6:7], v24, s1, v[18:19]
	v_mov_b32_e32 v21, v35
	v_mov_b32_e32 v18, v19
	v_mov_b32_e32 v19, v35
	v_lshl_add_u64 v[18:19], v[20:21], 0, v[18:19]
	v_mad_u64_u32 v[18:19], s[6:7], v1, s1, v[18:19]
	v_alignbit_b32 v1, v19, v18, 3
	v_mul_lo_u32 v1, v1, 10
	v_sub_u32_e32 v1, v24, v1
	v_add_u32_e32 v18, v1, v22
	v_mov_b32_e32 v19, v35
	v_lshl_add_u64 v[20:21], v[18:19], 0, -10
	v_cmp_gt_u32_e32 vcc, 10, v18
	s_nop 1
	v_cndmask_b32_e32 v22, v20, v18, vcc
	s_waitcnt vmcnt(7)
	v_mul_hi_u32 v18, v16, s4
	v_mad_u64_u32 v[18:19], s[6:7], v17, s4, v[18:19]
	v_mov_b32_e32 v20, v19
	v_mov_b32_e32 v19, v35
	v_mad_u64_u32 v[18:19], s[6:7], v16, s1, v[18:19]
	v_cndmask_b32_e64 v1, v21, 0, vcc
	v_mov_b32_e32 v21, v35
	v_mov_b32_e32 v18, v19
	v_mov_b32_e32 v19, v35
	v_lshl_add_u64 v[18:19], v[20:21], 0, v[18:19]
	v_mad_u64_u32 v[18:19], s[6:7], v17, s1, v[18:19]
	v_alignbit_b32 v17, v19, v18, 3
	v_mul_lo_u32 v17, v17, 10
	v_sub_u32_e32 v20, v16, v17
	v_mul_hi_u32 v16, v22, s4
	v_mov_b32_e32 v17, v35
	v_mad_u64_u32 v[16:17], s[6:7], v1, s4, v[16:17]
	v_mov_b32_e32 v18, v17
	v_mov_b32_e32 v17, v35
	v_mad_u64_u32 v[16:17], s[6:7], v22, s1, v[16:17]
	v_mov_b32_e32 v19, v35
	v_mov_b32_e32 v16, v17
	v_mov_b32_e32 v17, v35
	v_lshl_add_u64 v[16:17], v[18:19], 0, v[16:17]
	v_mad_u64_u32 v[16:17], s[6:7], v1, s1, v[16:17]
	v_alignbit_b32 v1, v17, v16, 3
	v_mul_lo_u32 v1, v1, 10
	v_sub_u32_e32 v1, v22, v1
	v_add_u32_e32 v16, v1, v20
	v_mov_b32_e32 v17, v35
	v_lshl_add_u64 v[18:19], v[16:17], 0, -10
	v_cmp_gt_u32_e32 vcc, 10, v16
	s_nop 1
	v_cndmask_b32_e32 v20, v18, v16, vcc
	s_waitcnt vmcnt(6)
	v_mul_hi_u32 v16, v14, s4
	v_mad_u64_u32 v[16:17], s[6:7], v15, s4, v[16:17]
	v_mov_b32_e32 v18, v17
	v_mov_b32_e32 v17, v35
	v_mad_u64_u32 v[16:17], s[6:7], v14, s1, v[16:17]
	v_cndmask_b32_e64 v1, v19, 0, vcc
	v_mov_b32_e32 v19, v35
	;; [unrolled: 35-line block ×8, first 2 shown]
	v_mov_b32_e32 v4, v5
	v_mov_b32_e32 v5, v35
	v_lshl_add_u64 v[4:5], v[6:7], 0, v[4:5]
	v_mad_u64_u32 v[4:5], s[6:7], v3, s1, v[4:5]
	v_alignbit_b32 v3, v5, v4, 3
	v_mul_lo_u32 v3, v3, 10
	v_sub_u32_e32 v6, v2, v3
	v_mul_hi_u32 v2, v8, s4
	v_mov_b32_e32 v3, v35
	v_mad_u64_u32 v[2:3], s[6:7], v1, s4, v[2:3]
	v_mov_b32_e32 v4, v3
	v_mov_b32_e32 v3, v35
	v_mad_u64_u32 v[2:3], s[6:7], v8, s1, v[2:3]
	v_mov_b32_e32 v5, v35
	v_mov_b32_e32 v2, v3
	;; [unrolled: 1-line block ×3, first 2 shown]
	v_lshl_add_u64 v[2:3], v[4:5], 0, v[2:3]
	v_mad_u64_u32 v[2:3], s[6:7], v1, s1, v[2:3]
	v_alignbit_b32 v1, v3, v2, 3
	v_mul_lo_u32 v1, v1, 10
	v_sub_u32_e32 v1, v8, v1
	v_add_u32_e32 v2, v1, v6
	v_mov_b32_e32 v3, v35
	v_lshl_add_u64 v[4:5], v[2:3], 0, -10
	v_cmp_gt_u32_e32 vcc, 10, v2
	v_mbcnt_lo_u32_b32 v1, -1, 0
	v_mbcnt_hi_u32_b32 v1, -1, v1
	v_cndmask_b32_e32 v7, v4, v2, vcc
	v_cndmask_b32_e64 v6, v5, 0, vcc
	v_mul_hi_u32 v2, v7, s4
	v_mad_u64_u32 v[2:3], s[6:7], v6, s4, v[2:3]
	v_mov_b32_e32 v4, v3
	v_mov_b32_e32 v3, v35
	v_mad_u64_u32 v[2:3], s[6:7], v7, s1, v[2:3]
	v_mov_b32_e32 v5, v35
	v_mov_b32_e32 v2, v3
	;; [unrolled: 1-line block ×3, first 2 shown]
	v_lshl_add_u64 v[2:3], v[4:5], 0, v[2:3]
	v_mad_u64_u32 v[2:3], s[6:7], v6, s1, v[2:3]
	v_alignbit_b32 v2, v3, v2, 3
	v_mov_b32_dpp v8, v7 quad_perm:[1,0,3,2] row_mask:0xf bank_mask:0xf bound_ctrl:1
	v_mul_lo_u32 v2, v2, 10
	v_mov_b32_dpp v9, v6 quad_perm:[1,0,3,2] row_mask:0xf bank_mask:0xf bound_ctrl:1
	v_sub_u32_e32 v6, v7, v2
	v_mul_hi_u32 v2, v8, s4
	v_mov_b32_e32 v3, v35
	v_mad_u64_u32 v[2:3], s[6:7], v9, s4, v[2:3]
	v_mov_b32_e32 v4, v3
	v_mov_b32_e32 v3, v35
	v_mad_u64_u32 v[2:3], s[6:7], v8, s1, v[2:3]
	v_mov_b32_e32 v2, v3
	v_mov_b32_e32 v3, v35
	v_lshl_add_u64 v[2:3], v[4:5], 0, v[2:3]
	v_mad_u64_u32 v[2:3], s[6:7], v9, s1, v[2:3]
	v_alignbit_b32 v2, v3, v2, 3
	v_mul_lo_u32 v2, v2, 10
	v_sub_u32_e32 v2, v8, v2
	v_add_u32_e32 v2, v6, v2
	v_mov_b32_e32 v3, v35
	v_lshl_add_u64 v[4:5], v[2:3], 0, -10
	v_cmp_gt_u32_e32 vcc, 10, v2
	s_nop 1
	v_cndmask_b32_e32 v7, v4, v2, vcc
	v_cndmask_b32_e64 v6, v5, 0, vcc
	v_mul_hi_u32 v2, v7, s4
	v_mad_u64_u32 v[2:3], s[6:7], v6, s4, v[2:3]
	v_mov_b32_e32 v4, v3
	v_mov_b32_e32 v3, v35
	v_mad_u64_u32 v[2:3], s[6:7], v7, s1, v[2:3]
	v_mov_b32_e32 v5, v35
	v_mov_b32_e32 v2, v3
	;; [unrolled: 1-line block ×3, first 2 shown]
	v_lshl_add_u64 v[2:3], v[4:5], 0, v[2:3]
	v_mad_u64_u32 v[2:3], s[6:7], v6, s1, v[2:3]
	v_alignbit_b32 v2, v3, v2, 3
	v_mov_b32_dpp v8, v7 quad_perm:[2,3,0,1] row_mask:0xf bank_mask:0xf bound_ctrl:1
	v_mul_lo_u32 v2, v2, 10
	v_mov_b32_dpp v9, v6 quad_perm:[2,3,0,1] row_mask:0xf bank_mask:0xf bound_ctrl:1
	v_sub_u32_e32 v6, v7, v2
	v_mul_hi_u32 v2, v8, s4
	v_mov_b32_e32 v3, v35
	v_mad_u64_u32 v[2:3], s[6:7], v9, s4, v[2:3]
	v_mov_b32_e32 v4, v3
	v_mov_b32_e32 v3, v35
	v_mad_u64_u32 v[2:3], s[6:7], v8, s1, v[2:3]
	v_mov_b32_e32 v2, v3
	v_mov_b32_e32 v3, v35
	v_lshl_add_u64 v[2:3], v[4:5], 0, v[2:3]
	v_mad_u64_u32 v[2:3], s[6:7], v9, s1, v[2:3]
	v_alignbit_b32 v2, v3, v2, 3
	v_mul_lo_u32 v2, v2, 10
	v_sub_u32_e32 v2, v8, v2
	v_add_u32_e32 v2, v6, v2
	v_mov_b32_e32 v3, v35
	v_lshl_add_u64 v[4:5], v[2:3], 0, -10
	v_cmp_gt_u32_e32 vcc, 10, v2
	s_nop 1
	v_cndmask_b32_e32 v7, v4, v2, vcc
	v_cndmask_b32_e64 v6, v5, 0, vcc
	v_mul_hi_u32 v2, v7, s4
	v_mad_u64_u32 v[2:3], s[6:7], v6, s4, v[2:3]
	v_mov_b32_e32 v4, v3
	v_mov_b32_e32 v3, v35
	v_mad_u64_u32 v[2:3], s[6:7], v7, s1, v[2:3]
	v_mov_b32_e32 v5, v35
	v_mov_b32_e32 v2, v3
	;; [unrolled: 1-line block ×3, first 2 shown]
	v_lshl_add_u64 v[2:3], v[4:5], 0, v[2:3]
	v_mad_u64_u32 v[2:3], s[6:7], v6, s1, v[2:3]
	v_alignbit_b32 v2, v3, v2, 3
	v_mov_b32_dpp v8, v7 row_ror:4 row_mask:0xf bank_mask:0xf bound_ctrl:1
	v_mul_lo_u32 v2, v2, 10
	v_mov_b32_dpp v9, v6 row_ror:4 row_mask:0xf bank_mask:0xf bound_ctrl:1
	v_sub_u32_e32 v6, v7, v2
	v_mul_hi_u32 v2, v8, s4
	v_mov_b32_e32 v3, v35
	v_mad_u64_u32 v[2:3], s[6:7], v9, s4, v[2:3]
	v_mov_b32_e32 v4, v3
	v_mov_b32_e32 v3, v35
	v_mad_u64_u32 v[2:3], s[6:7], v8, s1, v[2:3]
	v_mov_b32_e32 v2, v3
	v_mov_b32_e32 v3, v35
	v_lshl_add_u64 v[2:3], v[4:5], 0, v[2:3]
	v_mad_u64_u32 v[2:3], s[6:7], v9, s1, v[2:3]
	v_alignbit_b32 v2, v3, v2, 3
	v_mul_lo_u32 v2, v2, 10
	v_sub_u32_e32 v2, v8, v2
	v_add_u32_e32 v2, v6, v2
	v_mov_b32_e32 v3, v35
	v_lshl_add_u64 v[4:5], v[2:3], 0, -10
	v_cmp_gt_u32_e32 vcc, 10, v2
	s_nop 1
	v_cndmask_b32_e32 v7, v4, v2, vcc
	v_cndmask_b32_e64 v6, v5, 0, vcc
	v_mul_hi_u32 v2, v7, s4
	v_mad_u64_u32 v[2:3], s[6:7], v6, s4, v[2:3]
	v_mov_b32_e32 v4, v3
	v_mov_b32_e32 v3, v35
	v_mad_u64_u32 v[2:3], s[6:7], v7, s1, v[2:3]
	v_mov_b32_e32 v5, v35
	v_mov_b32_e32 v2, v3
	;; [unrolled: 1-line block ×3, first 2 shown]
	v_lshl_add_u64 v[2:3], v[4:5], 0, v[2:3]
	v_mad_u64_u32 v[2:3], s[6:7], v6, s1, v[2:3]
	v_alignbit_b32 v2, v3, v2, 3
	v_mov_b32_dpp v8, v7 row_ror:8 row_mask:0xf bank_mask:0xf bound_ctrl:1
	v_mul_lo_u32 v2, v2, 10
	v_mov_b32_dpp v9, v6 row_ror:8 row_mask:0xf bank_mask:0xf bound_ctrl:1
	v_sub_u32_e32 v6, v7, v2
	v_mul_hi_u32 v2, v8, s4
	v_mov_b32_e32 v3, v35
	v_mad_u64_u32 v[2:3], s[6:7], v9, s4, v[2:3]
	v_mov_b32_e32 v4, v3
	v_mov_b32_e32 v3, v35
	v_mad_u64_u32 v[2:3], s[6:7], v8, s1, v[2:3]
	v_mov_b32_e32 v2, v3
	v_mov_b32_e32 v3, v35
	v_lshl_add_u64 v[2:3], v[4:5], 0, v[2:3]
	v_mad_u64_u32 v[2:3], s[6:7], v9, s1, v[2:3]
	v_alignbit_b32 v2, v3, v2, 3
	v_mul_lo_u32 v2, v2, 10
	v_sub_u32_e32 v2, v8, v2
	v_add_u32_e32 v2, v6, v2
	v_mov_b32_e32 v3, v35
	v_lshl_add_u64 v[4:5], v[2:3], 0, -10
	v_cmp_gt_u32_e32 vcc, 10, v2
	s_nop 1
	v_cndmask_b32_e32 v7, v4, v2, vcc
	v_cndmask_b32_e64 v6, v5, 0, vcc
	v_mul_hi_u32 v2, v7, s4
	v_mad_u64_u32 v[2:3], s[6:7], v6, s4, v[2:3]
	v_mov_b32_e32 v4, v3
	v_mov_b32_e32 v3, v35
	v_mad_u64_u32 v[2:3], s[6:7], v7, s1, v[2:3]
	v_mov_b32_e32 v5, v35
	v_mov_b32_e32 v2, v3
	;; [unrolled: 1-line block ×3, first 2 shown]
	v_lshl_add_u64 v[2:3], v[4:5], 0, v[2:3]
	v_mad_u64_u32 v[2:3], s[6:7], v6, s1, v[2:3]
	v_alignbit_b32 v2, v3, v2, 3
	v_mov_b32_dpp v8, v7 row_bcast:15 row_mask:0xf bank_mask:0xf bound_ctrl:1
	v_mul_lo_u32 v2, v2, 10
	v_mov_b32_dpp v9, v6 row_bcast:15 row_mask:0xf bank_mask:0xf bound_ctrl:1
	v_sub_u32_e32 v6, v7, v2
	v_mul_hi_u32 v2, v8, s4
	v_mov_b32_e32 v3, v35
	v_mad_u64_u32 v[2:3], s[6:7], v9, s4, v[2:3]
	v_mov_b32_e32 v4, v3
	v_mov_b32_e32 v3, v35
	v_mad_u64_u32 v[2:3], s[6:7], v8, s1, v[2:3]
	v_mov_b32_e32 v2, v3
	v_mov_b32_e32 v3, v35
	v_lshl_add_u64 v[2:3], v[4:5], 0, v[2:3]
	v_mad_u64_u32 v[2:3], s[6:7], v9, s1, v[2:3]
	v_alignbit_b32 v2, v3, v2, 3
	v_mul_lo_u32 v2, v2, 10
	v_sub_u32_e32 v2, v8, v2
	v_add_u32_e32 v2, v6, v2
	v_mov_b32_e32 v3, v35
	v_lshl_add_u64 v[4:5], v[2:3], 0, -10
	v_cmp_gt_u32_e32 vcc, 10, v2
	s_nop 1
	v_cndmask_b32_e32 v7, v4, v2, vcc
	v_cndmask_b32_e64 v6, v5, 0, vcc
	v_mul_hi_u32 v2, v7, s4
	v_mad_u64_u32 v[2:3], s[6:7], v6, s4, v[2:3]
	v_mov_b32_e32 v4, v3
	v_mov_b32_e32 v3, v35
	v_mad_u64_u32 v[2:3], s[6:7], v7, s1, v[2:3]
	v_mov_b32_e32 v5, v35
	v_mov_b32_e32 v2, v3
	v_mov_b32_e32 v3, v35
	v_lshl_add_u64 v[2:3], v[4:5], 0, v[2:3]
	v_mad_u64_u32 v[2:3], s[6:7], v6, s1, v[2:3]
	v_alignbit_b32 v2, v3, v2, 3
	v_mov_b32_dpp v8, v7 row_bcast:31 row_mask:0xf bank_mask:0xf bound_ctrl:1
	v_mul_lo_u32 v2, v2, 10
	v_mov_b32_dpp v9, v6 row_bcast:31 row_mask:0xf bank_mask:0xf bound_ctrl:1
	v_sub_u32_e32 v6, v7, v2
	v_mul_hi_u32 v2, v8, s4
	v_mov_b32_e32 v3, v35
	v_mad_u64_u32 v[2:3], s[4:5], v9, s4, v[2:3]
	v_mov_b32_e32 v4, v3
	v_mov_b32_e32 v3, v35
	v_mad_u64_u32 v[2:3], s[4:5], v8, s1, v[2:3]
	v_mov_b32_e32 v2, v3
	v_mov_b32_e32 v3, v35
	v_lshl_add_u64 v[2:3], v[4:5], 0, v[2:3]
	v_mad_u64_u32 v[2:3], s[4:5], v9, s1, v[2:3]
	v_alignbit_b32 v2, v3, v2, 3
	v_mul_lo_u32 v2, v2, 10
	v_sub_u32_e32 v2, v8, v2
	v_add_u32_e32 v2, v6, v2
	v_mov_b32_e32 v3, v35
	v_lshl_add_u64 v[4:5], v[2:3], 0, -10
	v_cmp_gt_u32_e32 vcc, 10, v2
	s_nop 1
	v_cndmask_b32_e32 v2, v4, v2, vcc
	v_lshlrev_b32_e32 v4, 2, v1
	v_cndmask_b32_e64 v3, v5, 0, vcc
	v_or_b32_e32 v5, 0xfc, v4
	ds_bpermute_b32 v2, v5, v2
	ds_bpermute_b32 v3, v5, v3
	v_cmp_eq_u32_e32 vcc, 0, v1
	s_and_saveexec_b64 s[4:5], vcc
	s_cbranch_execz .LBB549_3
; %bb.2:
	v_lshrrev_b32_e32 v5, 3, v0
	v_and_b32_e32 v5, 24, v5
	s_waitcnt lgkmcnt(0)
	ds_write_b64 v5, v[2:3] offset:32
.LBB549_3:
	s_or_b64 exec, exec, s[4:5]
	v_cmp_gt_u32_e32 vcc, 64, v0
	s_waitcnt lgkmcnt(0)
	s_barrier
	s_and_saveexec_b64 s[4:5], vcc
	s_cbranch_execz .LBB549_5
; %bb.4:
	v_and_b32_e32 v5, 3, v1
	v_lshlrev_b32_e32 v2, 3, v5
	ds_read_b64 v[2:3], v2 offset:32
	v_cmp_ne_u32_e32 vcc, 3, v5
	s_mov_b32 s1, 0xcccccccd
	v_mov_b32_e32 v7, 0
	v_addc_co_u32_e32 v1, vcc, 0, v1, vcc
	v_lshlrev_b32_e32 v1, 2, v1
	s_waitcnt lgkmcnt(0)
	ds_bpermute_b32 v5, v1, v2
	ds_bpermute_b32 v1, v1, v3
	s_mov_b32 s8, 0xcccccccc
	s_waitcnt lgkmcnt(1)
	v_mul_hi_u32 v6, v5, s1
	s_waitcnt lgkmcnt(0)
	v_mad_u64_u32 v[8:9], s[6:7], v1, s1, v[6:7]
	v_mov_b32_e32 v6, v9
	v_mov_b32_e32 v9, v7
	v_mad_u64_u32 v[8:9], s[6:7], v5, s8, v[8:9]
	v_mov_b32_e32 v8, v9
	v_mov_b32_e32 v9, v7
	v_lshl_add_u64 v[8:9], v[6:7], 0, v[8:9]
	v_mad_u64_u32 v[8:9], s[6:7], v1, s8, v[8:9]
	v_mul_hi_u32 v6, v2, s1
	v_alignbit_b32 v1, v9, v8, 3
	v_mad_u64_u32 v[8:9], s[6:7], v3, s1, v[6:7]
	v_mov_b32_e32 v6, v9
	v_mov_b32_e32 v9, v7
	v_mad_u64_u32 v[8:9], s[6:7], v2, s8, v[8:9]
	v_mov_b32_e32 v8, v9
	v_mov_b32_e32 v9, v7
	v_lshl_add_u64 v[8:9], v[6:7], 0, v[8:9]
	v_mad_u64_u32 v[8:9], s[6:7], v3, s8, v[8:9]
	v_alignbit_b32 v3, v9, v8, 3
	v_mul_lo_u32 v1, v1, 10
	v_mul_lo_u32 v3, v3, 10
	v_sub_u32_e32 v1, v5, v1
	v_sub_u32_e32 v2, v2, v3
	v_add_u32_e32 v6, v1, v2
	v_lshl_add_u64 v[2:3], v[6:7], 0, -10
	v_cmp_gt_u32_e32 vcc, 10, v6
	s_nop 1
	v_cndmask_b32_e32 v5, v2, v6, vcc
	v_or_b32_e32 v2, 8, v4
	v_cndmask_b32_e64 v1, v3, 0, vcc
	ds_bpermute_b32 v4, v2, v5
	ds_bpermute_b32 v8, v2, v1
	s_waitcnt lgkmcnt(1)
	v_mul_hi_u32 v6, v4, s1
	s_waitcnt lgkmcnt(0)
	v_mad_u64_u32 v[2:3], s[6:7], v8, s1, v[6:7]
	v_mov_b32_e32 v6, v3
	v_mov_b32_e32 v3, v7
	v_mad_u64_u32 v[2:3], s[6:7], v4, s8, v[2:3]
	v_mov_b32_e32 v2, v3
	v_mov_b32_e32 v3, v7
	v_lshl_add_u64 v[2:3], v[6:7], 0, v[2:3]
	v_mad_u64_u32 v[2:3], s[6:7], v8, s8, v[2:3]
	v_alignbit_b32 v2, v3, v2, 3
	v_mul_lo_u32 v2, v2, 10
	v_mul_hi_u32 v6, v5, s1
	v_sub_u32_e32 v4, v4, v2
	v_mad_u64_u32 v[2:3], s[6:7], v1, s1, v[6:7]
	v_mov_b32_e32 v6, v3
	v_mov_b32_e32 v3, v7
	v_mad_u64_u32 v[2:3], s[6:7], v5, s8, v[2:3]
	v_mov_b32_e32 v2, v3
	v_mov_b32_e32 v3, v7
	v_lshl_add_u64 v[2:3], v[6:7], 0, v[2:3]
	v_mad_u64_u32 v[2:3], s[6:7], v1, s8, v[2:3]
	v_alignbit_b32 v1, v3, v2, 3
	v_mul_lo_u32 v1, v1, 10
	v_sub_u32_e32 v1, v5, v1
	v_add_u32_e32 v6, v1, v4
	v_lshl_add_u64 v[2:3], v[6:7], 0, -10
	v_cmp_gt_u32_e32 vcc, 10, v6
	s_nop 1
	v_cndmask_b32_e64 v3, v3, 0, vcc
	v_cndmask_b32_e32 v2, v2, v6, vcc
.LBB549_5:
	s_or_b64 exec, exec, s[4:5]
	s_branch .LBB549_75
.LBB549_6:
                                        ; implicit-def: $vgpr2_vgpr3
	s_cbranch_execz .LBB549_75
; %bb.7:
	s_sub_i32 s33, s40, s0
	v_mov_b32_e32 v2, 0
	v_cmp_gt_u32_e32 vcc, s33, v0
	v_mov_b32_e32 v3, v2
	v_mov_b32_e32 v4, v2
	v_mov_b32_e32 v5, v2
	v_mov_b32_e32 v6, v2
	v_mov_b32_e32 v7, v2
	v_mov_b32_e32 v8, v2
	v_mov_b32_e32 v9, v2
	v_mov_b32_e32 v10, v2
	v_mov_b32_e32 v11, v2
	v_mov_b32_e32 v12, v2
	v_mov_b32_e32 v13, v2
	v_mov_b32_e32 v14, v2
	v_mov_b32_e32 v15, v2
	v_mov_b32_e32 v16, v2
	v_mov_b32_e32 v17, v2
	v_mov_b32_e32 v18, v2
	v_mov_b32_e32 v19, v2
	v_mov_b32_e32 v20, v2
	v_mov_b32_e32 v21, v2
	v_mov_b32_e32 v22, v2
	v_mov_b32_e32 v23, v2
	v_mov_b32_e32 v24, v2
	v_mov_b32_e32 v25, v2
	v_mov_b32_e32 v26, v2
	v_mov_b32_e32 v27, v2
	v_mov_b32_e32 v28, v2
	v_mov_b32_e32 v29, v2
	v_mov_b32_e32 v30, v2
	v_mov_b32_e32 v31, v2
	v_mov_b32_e32 v32, v2
	v_mov_b32_e32 v33, v2
	s_and_saveexec_b64 s[0:1], vcc
	s_cbranch_execz .LBB549_9
; %bb.8:
	global_load_dwordx2 v[36:37], v34, s[34:35]
	v_mov_b32_e32 v38, v2
	v_mov_b32_e32 v39, v2
	;; [unrolled: 1-line block ×30, first 2 shown]
	s_waitcnt vmcnt(0)
	v_mov_b64_e32 v[2:3], v[36:37]
	v_mov_b64_e32 v[4:5], v[38:39]
	;; [unrolled: 1-line block ×16, first 2 shown]
.LBB549_9:
	s_or_b64 exec, exec, s[0:1]
	v_or_b32_e32 v1, 0x100, v0
	v_cmp_gt_u32_e64 s[28:29], s33, v1
	s_and_saveexec_b64 s[0:1], s[28:29]
	s_cbranch_execz .LBB549_11
; %bb.10:
	global_load_dwordx2 v[4:5], v34, s[34:35] offset:2048
.LBB549_11:
	s_or_b64 exec, exec, s[0:1]
	v_or_b32_e32 v1, 0x200, v0
	v_cmp_gt_u32_e64 s[26:27], s33, v1
	s_and_saveexec_b64 s[0:1], s[26:27]
	s_cbranch_execz .LBB549_13
; %bb.12:
	v_lshlrev_b32_e32 v1, 3, v1
	global_load_dwordx2 v[6:7], v1, s[34:35]
.LBB549_13:
	s_or_b64 exec, exec, s[0:1]
	v_or_b32_e32 v1, 0x300, v0
	v_cmp_gt_u32_e64 s[24:25], s33, v1
	s_and_saveexec_b64 s[0:1], s[24:25]
	s_cbranch_execz .LBB549_15
; %bb.14:
	v_lshlrev_b32_e32 v1, 3, v1
	global_load_dwordx2 v[8:9], v1, s[34:35]
.LBB549_15:
	;; [unrolled: 9-line block ×13, first 2 shown]
	s_or_b64 exec, exec, s[36:37]
	v_or_b32_e32 v1, 0xf00, v0
	v_cmp_gt_u32_e32 vcc, s33, v1
	s_and_saveexec_b64 s[36:37], vcc
	s_cbranch_execnz .LBB549_78
; %bb.38:
	s_or_b64 exec, exec, s[36:37]
	s_and_saveexec_b64 s[34:35], s[28:29]
	s_cbranch_execnz .LBB549_79
.LBB549_39:
	s_or_b64 exec, exec, s[34:35]
	s_and_saveexec_b64 s[28:29], s[26:27]
	s_cbranch_execnz .LBB549_80
.LBB549_40:
	s_or_b64 exec, exec, s[28:29]
	s_and_saveexec_b64 s[26:27], s[24:25]
	s_cbranch_execnz .LBB549_81
.LBB549_41:
	s_or_b64 exec, exec, s[26:27]
	s_and_saveexec_b64 s[24:25], s[22:23]
	s_cbranch_execnz .LBB549_82
.LBB549_42:
	s_or_b64 exec, exec, s[24:25]
	s_and_saveexec_b64 s[22:23], s[20:21]
	s_cbranch_execnz .LBB549_83
.LBB549_43:
	s_or_b64 exec, exec, s[22:23]
	s_and_saveexec_b64 s[20:21], s[18:19]
	s_cbranch_execnz .LBB549_84
.LBB549_44:
	s_or_b64 exec, exec, s[20:21]
	s_and_saveexec_b64 s[18:19], s[16:17]
	s_cbranch_execnz .LBB549_85
.LBB549_45:
	s_or_b64 exec, exec, s[18:19]
	s_and_saveexec_b64 s[16:17], s[14:15]
	s_cbranch_execnz .LBB549_86
.LBB549_46:
	s_or_b64 exec, exec, s[16:17]
	s_and_saveexec_b64 s[14:15], s[12:13]
	s_cbranch_execnz .LBB549_87
.LBB549_47:
	s_or_b64 exec, exec, s[14:15]
	s_and_saveexec_b64 s[12:13], s[10:11]
	s_cbranch_execnz .LBB549_88
.LBB549_48:
	s_or_b64 exec, exec, s[12:13]
	s_and_saveexec_b64 s[10:11], s[8:9]
	s_cbranch_execnz .LBB549_89
.LBB549_49:
	s_or_b64 exec, exec, s[10:11]
	s_and_saveexec_b64 s[8:9], s[6:7]
	s_cbranch_execnz .LBB549_90
.LBB549_50:
	s_or_b64 exec, exec, s[8:9]
	s_and_saveexec_b64 s[6:7], s[4:5]
	s_cbranch_execnz .LBB549_91
.LBB549_51:
	s_or_b64 exec, exec, s[6:7]
	s_and_saveexec_b64 s[4:5], s[0:1]
	s_cbranch_execnz .LBB549_92
.LBB549_52:
	s_or_b64 exec, exec, s[4:5]
	s_and_saveexec_b64 s[0:1], vcc
	s_cbranch_execz .LBB549_54
.LBB549_53:
	s_mov_b32 s6, 0xcccccccd
	s_waitcnt vmcnt(0)
	v_mul_hi_u32 v4, v32, s6
	v_mov_b32_e32 v5, 0
	v_mad_u64_u32 v[6:7], s[4:5], v33, s6, v[4:5]
	v_mov_b32_e32 v4, v7
	v_mov_b32_e32 v7, v5
	s_mov_b32 s7, 0xcccccccc
	v_mad_u64_u32 v[6:7], s[4:5], v32, s7, v[6:7]
	v_mov_b32_e32 v6, v7
	v_mov_b32_e32 v7, v5
	v_lshl_add_u64 v[6:7], v[4:5], 0, v[6:7]
	v_mad_u64_u32 v[6:7], s[4:5], v33, s7, v[6:7]
	v_mul_hi_u32 v4, v2, s6
	v_alignbit_b32 v1, v7, v6, 3
	v_mad_u64_u32 v[6:7], s[4:5], v3, s6, v[4:5]
	v_mov_b32_e32 v4, v7
	v_mov_b32_e32 v7, v5
	v_mad_u64_u32 v[6:7], s[4:5], v2, s7, v[6:7]
	v_mov_b32_e32 v6, v7
	v_mov_b32_e32 v7, v5
	v_lshl_add_u64 v[6:7], v[4:5], 0, v[6:7]
	v_mad_u64_u32 v[6:7], s[4:5], v3, s7, v[6:7]
	v_alignbit_b32 v3, v7, v6, 3
	v_mul_lo_u32 v1, v1, 10
	v_mul_lo_u32 v3, v3, 10
	v_sub_u32_e32 v1, v32, v1
	v_sub_u32_e32 v2, v2, v3
	v_add_u32_e32 v4, v2, v1
	v_lshl_add_u64 v[2:3], v[4:5], 0, -10
	v_cmp_gt_u32_e32 vcc, 10, v4
	s_nop 1
	v_cndmask_b32_e64 v3, v3, 0, vcc
	v_cndmask_b32_e32 v2, v2, v4, vcc
.LBB549_54:
	s_or_b64 exec, exec, s[0:1]
	v_mbcnt_lo_u32_b32 v1, -1, 0
	v_mbcnt_hi_u32_b32 v1, -1, v1
	s_waitcnt vmcnt(0)
	v_and_b32_e32 v4, 63, v1
	v_cmp_ne_u32_e32 vcc, 63, v4
	s_min_u32 s4, s33, 0x100
	v_add_u32_e32 v8, 1, v4
	v_addc_co_u32_e32 v5, vcc, 0, v1, vcc
	v_lshlrev_b32_e32 v5, 2, v5
	ds_bpermute_b32 v6, v5, v2
	ds_bpermute_b32 v7, v5, v3
	v_and_b32_e32 v5, 0xc0, v0
	v_sub_u32_e64 v5, s4, v5 clamp
	v_cmp_lt_u32_e32 vcc, v8, v5
	s_and_saveexec_b64 s[0:1], vcc
	s_xor_b64 s[0:1], exec, s[0:1]
	s_cbranch_execz .LBB549_56
; %bb.55:
	s_mov_b32 s5, 0xcccccccd
	s_waitcnt lgkmcnt(1)
	v_mul_hi_u32 v8, v6, s5
	v_mov_b32_e32 v9, 0
	s_waitcnt lgkmcnt(0)
	v_mad_u64_u32 v[10:11], s[6:7], v7, s5, v[8:9]
	v_mov_b32_e32 v8, v11
	v_mov_b32_e32 v11, v9
	s_mov_b32 s8, 0xcccccccc
	v_mad_u64_u32 v[10:11], s[6:7], v6, s8, v[10:11]
	v_mov_b32_e32 v10, v11
	v_mov_b32_e32 v11, v9
	v_lshl_add_u64 v[10:11], v[8:9], 0, v[10:11]
	v_mad_u64_u32 v[10:11], s[6:7], v7, s8, v[10:11]
	v_alignbit_b32 v7, v11, v10, 3
	v_mul_lo_u32 v7, v7, 10
	v_mul_hi_u32 v8, v2, s5
	v_sub_u32_e32 v10, v6, v7
	v_mad_u64_u32 v[6:7], s[6:7], v3, s5, v[8:9]
	v_mov_b32_e32 v8, v7
	v_mov_b32_e32 v7, v9
	v_mad_u64_u32 v[6:7], s[6:7], v2, s8, v[6:7]
	v_mov_b32_e32 v6, v7
	v_mov_b32_e32 v7, v9
	v_lshl_add_u64 v[6:7], v[8:9], 0, v[6:7]
	v_mad_u64_u32 v[6:7], s[6:7], v3, s8, v[6:7]
	v_alignbit_b32 v3, v7, v6, 3
	v_mul_lo_u32 v3, v3, 10
	v_sub_u32_e32 v2, v2, v3
	v_add_u32_e32 v8, v10, v2
	v_lshl_add_u64 v[2:3], v[8:9], 0, -10
	v_cmp_gt_u32_e32 vcc, 10, v8
	s_nop 1
	v_cndmask_b32_e64 v3, v3, 0, vcc
	v_cndmask_b32_e32 v2, v2, v8, vcc
.LBB549_56:
	s_or_b64 exec, exec, s[0:1]
	v_cmp_gt_u32_e32 vcc, 62, v4
	v_add_u32_e32 v8, 2, v4
	s_waitcnt lgkmcnt(1)
	v_cndmask_b32_e64 v6, 0, 2, vcc
	s_waitcnt lgkmcnt(0)
	v_add_lshl_u32 v7, v6, v1, 2
	ds_bpermute_b32 v6, v7, v2
	ds_bpermute_b32 v7, v7, v3
	v_cmp_lt_u32_e32 vcc, v8, v5
	s_and_saveexec_b64 s[0:1], vcc
	s_cbranch_execz .LBB549_58
; %bb.57:
	s_mov_b32 s5, 0xcccccccd
	s_waitcnt lgkmcnt(1)
	v_mul_hi_u32 v8, v6, s5
	v_mov_b32_e32 v9, 0
	s_waitcnt lgkmcnt(0)
	v_mad_u64_u32 v[10:11], s[6:7], v7, s5, v[8:9]
	v_mov_b32_e32 v8, v11
	v_mov_b32_e32 v11, v9
	s_mov_b32 s8, 0xcccccccc
	v_mad_u64_u32 v[10:11], s[6:7], v6, s8, v[10:11]
	v_mov_b32_e32 v10, v11
	v_mov_b32_e32 v11, v9
	v_lshl_add_u64 v[10:11], v[8:9], 0, v[10:11]
	v_mad_u64_u32 v[10:11], s[6:7], v7, s8, v[10:11]
	v_alignbit_b32 v7, v11, v10, 3
	v_mul_lo_u32 v7, v7, 10
	v_mul_hi_u32 v8, v2, s5
	v_sub_u32_e32 v10, v6, v7
	v_mad_u64_u32 v[6:7], s[6:7], v3, s5, v[8:9]
	v_mov_b32_e32 v8, v7
	v_mov_b32_e32 v7, v9
	v_mad_u64_u32 v[6:7], s[6:7], v2, s8, v[6:7]
	v_mov_b32_e32 v6, v7
	v_mov_b32_e32 v7, v9
	v_lshl_add_u64 v[6:7], v[8:9], 0, v[6:7]
	v_mad_u64_u32 v[6:7], s[6:7], v3, s8, v[6:7]
	v_alignbit_b32 v3, v7, v6, 3
	v_mul_lo_u32 v3, v3, 10
	v_sub_u32_e32 v2, v2, v3
	v_add_u32_e32 v8, v10, v2
	v_lshl_add_u64 v[2:3], v[8:9], 0, -10
	v_cmp_gt_u32_e32 vcc, 10, v8
	s_nop 1
	v_cndmask_b32_e64 v3, v3, 0, vcc
	v_cndmask_b32_e32 v2, v2, v8, vcc
.LBB549_58:
	s_or_b64 exec, exec, s[0:1]
	v_cmp_gt_u32_e32 vcc, 60, v4
	v_add_u32_e32 v8, 4, v4
	s_waitcnt lgkmcnt(1)
	v_cndmask_b32_e64 v6, 0, 4, vcc
	s_waitcnt lgkmcnt(0)
	v_add_lshl_u32 v7, v6, v1, 2
	ds_bpermute_b32 v6, v7, v2
	ds_bpermute_b32 v7, v7, v3
	v_cmp_lt_u32_e32 vcc, v8, v5
	s_and_saveexec_b64 s[0:1], vcc
	;; [unrolled: 49-line block ×4, first 2 shown]
	s_cbranch_execz .LBB549_64
; %bb.63:
	s_mov_b32 s5, 0xcccccccd
	s_waitcnt lgkmcnt(1)
	v_mul_hi_u32 v8, v6, s5
	v_mov_b32_e32 v9, 0
	s_waitcnt lgkmcnt(0)
	v_mad_u64_u32 v[10:11], s[6:7], v7, s5, v[8:9]
	v_mov_b32_e32 v8, v11
	v_mov_b32_e32 v11, v9
	s_mov_b32 s8, 0xcccccccc
	v_mad_u64_u32 v[10:11], s[6:7], v6, s8, v[10:11]
	v_mov_b32_e32 v10, v11
	v_mov_b32_e32 v11, v9
	v_lshl_add_u64 v[10:11], v[8:9], 0, v[10:11]
	v_mad_u64_u32 v[10:11], s[6:7], v7, s8, v[10:11]
	v_alignbit_b32 v7, v11, v10, 3
	v_mul_lo_u32 v7, v7, 10
	v_mul_hi_u32 v8, v2, s5
	v_sub_u32_e32 v10, v6, v7
	v_mad_u64_u32 v[6:7], s[6:7], v3, s5, v[8:9]
	v_mov_b32_e32 v8, v7
	v_mov_b32_e32 v7, v9
	v_mad_u64_u32 v[6:7], s[6:7], v2, s8, v[6:7]
	v_mov_b32_e32 v6, v7
	v_mov_b32_e32 v7, v9
	v_lshl_add_u64 v[6:7], v[8:9], 0, v[6:7]
	v_mad_u64_u32 v[6:7], s[6:7], v3, s8, v[6:7]
	v_alignbit_b32 v3, v7, v6, 3
	v_mul_lo_u32 v3, v3, 10
	v_sub_u32_e32 v2, v2, v3
	v_add_u32_e32 v8, v10, v2
	v_lshl_add_u64 v[2:3], v[8:9], 0, -10
	v_cmp_gt_u32_e32 vcc, 10, v8
	s_nop 1
	v_cndmask_b32_e64 v3, v3, 0, vcc
	v_cndmask_b32_e32 v2, v2, v8, vcc
.LBB549_64:
	s_or_b64 exec, exec, s[0:1]
	s_waitcnt lgkmcnt(1)
	v_lshlrev_b32_e32 v6, 2, v1
	v_or_b32_e32 v8, 0x80, v6
	s_waitcnt lgkmcnt(0)
	ds_bpermute_b32 v7, v8, v2
	ds_bpermute_b32 v8, v8, v3
	v_add_u32_e32 v4, 32, v4
	v_cmp_lt_u32_e32 vcc, v4, v5
	s_and_saveexec_b64 s[0:1], vcc
	s_cbranch_execz .LBB549_66
; %bb.65:
	s_mov_b32 s5, 0xcccccccd
	s_waitcnt lgkmcnt(1)
	v_mul_hi_u32 v4, v7, s5
	v_mov_b32_e32 v5, 0
	s_waitcnt lgkmcnt(0)
	v_mad_u64_u32 v[10:11], s[6:7], v8, s5, v[4:5]
	v_mov_b32_e32 v4, v11
	v_mov_b32_e32 v11, v5
	s_mov_b32 s8, 0xcccccccc
	v_mad_u64_u32 v[10:11], s[6:7], v7, s8, v[10:11]
	v_mov_b32_e32 v10, v11
	v_mov_b32_e32 v11, v5
	v_lshl_add_u64 v[10:11], v[4:5], 0, v[10:11]
	v_mad_u64_u32 v[8:9], s[6:7], v8, s8, v[10:11]
	v_alignbit_b32 v4, v9, v8, 3
	v_mul_lo_u32 v4, v4, 10
	v_sub_u32_e32 v7, v7, v4
	v_mul_hi_u32 v4, v2, s5
	v_mad_u64_u32 v[8:9], s[6:7], v3, s5, v[4:5]
	v_mov_b32_e32 v4, v9
	v_mov_b32_e32 v9, v5
	v_mad_u64_u32 v[8:9], s[6:7], v2, s8, v[8:9]
	v_mov_b32_e32 v8, v9
	v_mov_b32_e32 v9, v5
	v_lshl_add_u64 v[8:9], v[4:5], 0, v[8:9]
	v_mad_u64_u32 v[8:9], s[6:7], v3, s8, v[8:9]
	v_alignbit_b32 v3, v9, v8, 3
	v_mul_lo_u32 v3, v3, 10
	v_sub_u32_e32 v2, v2, v3
	v_add_u32_e32 v4, v7, v2
	v_lshl_add_u64 v[2:3], v[4:5], 0, -10
	v_cmp_gt_u32_e32 vcc, 10, v4
	s_nop 1
	v_cndmask_b32_e64 v3, v3, 0, vcc
	v_cndmask_b32_e32 v2, v2, v4, vcc
.LBB549_66:
	s_or_b64 exec, exec, s[0:1]
	v_cmp_eq_u32_e32 vcc, 0, v1
	s_and_saveexec_b64 s[0:1], vcc
; %bb.67:
	v_lshrrev_b32_e32 v4, 3, v0
	v_and_b32_e32 v4, 24, v4
	ds_write_b64 v4, v[2:3]
; %bb.68:
	s_or_b64 exec, exec, s[0:1]
	v_cmp_gt_u32_e32 vcc, 4, v0
	s_waitcnt lgkmcnt(0)
	s_barrier
	s_and_saveexec_b64 s[0:1], vcc
	s_cbranch_execz .LBB549_74
; %bb.69:
	v_lshlrev_b32_e32 v2, 3, v1
	ds_read_b64 v[2:3], v2
	v_and_b32_e32 v4, 3, v1
	v_cmp_ne_u32_e32 vcc, 3, v4
	s_add_i32 s4, s4, 63
	s_lshr_b32 s6, s4, 6
	v_addc_co_u32_e32 v1, vcc, 0, v1, vcc
	v_lshlrev_b32_e32 v5, 2, v1
	s_waitcnt lgkmcnt(0)
	ds_bpermute_b32 v1, v5, v2
	ds_bpermute_b32 v5, v5, v3
	v_add_u32_e32 v7, 1, v4
	v_cmp_gt_u32_e32 vcc, s6, v7
	s_and_saveexec_b64 s[4:5], vcc
	s_cbranch_execz .LBB549_71
; %bb.70:
	s_mov_b32 s7, 0xcccccccd
	s_waitcnt lgkmcnt(1)
	v_mul_hi_u32 v8, v1, s7
	v_mov_b32_e32 v9, 0
	s_waitcnt lgkmcnt(0)
	v_mad_u64_u32 v[10:11], s[8:9], v5, s7, v[8:9]
	v_mov_b32_e32 v8, v11
	v_mov_b32_e32 v11, v9
	s_mov_b32 s10, 0xcccccccc
	v_mad_u64_u32 v[10:11], s[8:9], v1, s10, v[10:11]
	v_mov_b32_e32 v10, v11
	v_mov_b32_e32 v11, v9
	v_lshl_add_u64 v[10:11], v[8:9], 0, v[10:11]
	v_mad_u64_u32 v[10:11], s[8:9], v5, s10, v[10:11]
	v_mul_hi_u32 v8, v2, s7
	v_alignbit_b32 v5, v11, v10, 3
	v_mad_u64_u32 v[10:11], s[8:9], v3, s7, v[8:9]
	v_mov_b32_e32 v8, v11
	v_mov_b32_e32 v11, v9
	v_mad_u64_u32 v[10:11], s[8:9], v2, s10, v[10:11]
	v_mov_b32_e32 v10, v11
	v_mov_b32_e32 v11, v9
	v_lshl_add_u64 v[10:11], v[8:9], 0, v[10:11]
	v_mad_u64_u32 v[10:11], s[8:9], v3, s10, v[10:11]
	v_alignbit_b32 v3, v11, v10, 3
	v_mul_lo_u32 v5, v5, 10
	v_mul_lo_u32 v3, v3, 10
	v_sub_u32_e32 v1, v1, v5
	v_sub_u32_e32 v2, v2, v3
	v_add_u32_e32 v8, v1, v2
	v_lshl_add_u64 v[2:3], v[8:9], 0, -10
	v_cmp_gt_u32_e32 vcc, 10, v8
	s_nop 1
	v_cndmask_b32_e64 v3, v3, 0, vcc
	v_cndmask_b32_e32 v2, v2, v8, vcc
.LBB549_71:
	s_or_b64 exec, exec, s[4:5]
	s_waitcnt lgkmcnt(0)
	v_or_b32_e32 v5, 8, v6
	ds_bpermute_b32 v1, v5, v2
	ds_bpermute_b32 v5, v5, v3
	v_add_u32_e32 v4, 2, v4
	v_cmp_gt_u32_e32 vcc, s6, v4
	s_and_saveexec_b64 s[4:5], vcc
	s_cbranch_execz .LBB549_73
; %bb.72:
	s_mov_b32 s8, 0xcccccccd
	s_waitcnt lgkmcnt(1)
	v_mul_hi_u32 v6, v1, s8
	v_mov_b32_e32 v7, 0
	s_waitcnt lgkmcnt(0)
	v_mad_u64_u32 v[8:9], s[6:7], v5, s8, v[6:7]
	v_mov_b32_e32 v6, v9
	v_mov_b32_e32 v9, v7
	s_mov_b32 s9, 0xcccccccc
	v_mad_u64_u32 v[8:9], s[6:7], v1, s9, v[8:9]
	v_mov_b32_e32 v8, v9
	v_mov_b32_e32 v9, v7
	v_lshl_add_u64 v[8:9], v[6:7], 0, v[8:9]
	v_mad_u64_u32 v[4:5], s[6:7], v5, s9, v[8:9]
	v_alignbit_b32 v4, v5, v4, 3
	v_mul_lo_u32 v4, v4, 10
	v_mul_hi_u32 v6, v2, s8
	v_sub_u32_e32 v1, v1, v4
	v_mad_u64_u32 v[4:5], s[6:7], v3, s8, v[6:7]
	v_mov_b32_e32 v6, v5
	v_mov_b32_e32 v5, v7
	v_mad_u64_u32 v[4:5], s[6:7], v2, s9, v[4:5]
	v_mov_b32_e32 v4, v5
	v_mov_b32_e32 v5, v7
	v_lshl_add_u64 v[4:5], v[6:7], 0, v[4:5]
	v_mad_u64_u32 v[4:5], s[6:7], v3, s9, v[4:5]
	v_alignbit_b32 v3, v5, v4, 3
	v_mul_lo_u32 v3, v3, 10
	v_sub_u32_e32 v2, v2, v3
	v_add_u32_e32 v6, v1, v2
	v_lshl_add_u64 v[2:3], v[6:7], 0, -10
	v_cmp_gt_u32_e32 vcc, 10, v6
	s_nop 1
	v_cndmask_b32_e64 v3, v3, 0, vcc
	v_cndmask_b32_e32 v2, v2, v6, vcc
.LBB549_73:
	s_or_b64 exec, exec, s[4:5]
.LBB549_74:
	s_or_b64 exec, exec, s[0:1]
.LBB549_75:
	v_cmp_eq_u32_e32 vcc, 0, v0
	s_and_saveexec_b64 s[0:1], vcc
	s_cbranch_execnz .LBB549_77
; %bb.76:
	s_endpgm
.LBB549_77:
	s_mul_i32 s0, s46, s45
	s_mul_hi_u32 s1, s46, s44
	s_add_i32 s0, s1, s0
	s_mul_i32 s1, s47, s44
	s_add_i32 s1, s0, s1
	s_mul_i32 s0, s46, s44
	s_lshl_b64 s[0:1], s[0:1], 3
	s_add_u32 s4, s42, s0
	s_addc_u32 s5, s43, s1
	s_cmp_eq_u64 s[40:41], 0
	v_mov_b32_e32 v0, s31
	s_cselect_b64 vcc, -1, 0
	s_lshl_b64 s[0:1], s[2:3], 3
	s_waitcnt lgkmcnt(1)
	v_cndmask_b32_e32 v1, v3, v0, vcc
	v_mov_b32_e32 v0, s30
	s_add_u32 s0, s4, s0
	v_cndmask_b32_e32 v0, v2, v0, vcc
	s_addc_u32 s1, s5, s1
	v_mov_b32_e32 v2, 0
	global_store_dwordx2 v2, v[0:1], s[0:1]
	s_endpgm
.LBB549_78:
	v_lshlrev_b32_e32 v1, 3, v1
	global_load_dwordx2 v[32:33], v1, s[34:35]
	s_or_b64 exec, exec, s[36:37]
	s_and_saveexec_b64 s[34:35], s[28:29]
	s_cbranch_execz .LBB549_39
.LBB549_79:
	s_mov_b32 s36, 0xcccccccd
	s_waitcnt vmcnt(0)
	v_mul_hi_u32 v34, v4, s36
	v_mov_b32_e32 v35, 0
	v_mad_u64_u32 v[36:37], s[28:29], v5, s36, v[34:35]
	v_mov_b32_e32 v34, v37
	v_mov_b32_e32 v37, v35
	s_mov_b32 s37, 0xcccccccc
	v_mad_u64_u32 v[36:37], s[28:29], v4, s37, v[36:37]
	v_mov_b32_e32 v36, v37
	v_mov_b32_e32 v37, v35
	v_lshl_add_u64 v[36:37], v[34:35], 0, v[36:37]
	v_mad_u64_u32 v[36:37], s[28:29], v5, s37, v[36:37]
	v_alignbit_b32 v1, v37, v36, 3
	v_mul_lo_u32 v1, v1, 10
	v_mul_hi_u32 v34, v2, s36
	v_sub_u32_e32 v1, v4, v1
	v_mad_u64_u32 v[4:5], s[28:29], v3, s36, v[34:35]
	v_mov_b32_e32 v34, v5
	v_mov_b32_e32 v5, v35
	v_mad_u64_u32 v[4:5], s[28:29], v2, s37, v[4:5]
	v_mov_b32_e32 v4, v5
	v_mov_b32_e32 v5, v35
	v_lshl_add_u64 v[4:5], v[34:35], 0, v[4:5]
	v_mad_u64_u32 v[4:5], s[28:29], v3, s37, v[4:5]
	v_alignbit_b32 v3, v5, v4, 3
	v_mul_lo_u32 v3, v3, 10
	v_sub_u32_e32 v2, v2, v3
	v_add_u32_e32 v34, v1, v2
	v_lshl_add_u64 v[2:3], v[34:35], 0, -10
	v_cmp_gt_u32_e64 s[28:29], 10, v34
	s_nop 1
	v_cndmask_b32_e64 v3, v3, 0, s[28:29]
	v_cndmask_b32_e64 v2, v2, v34, s[28:29]
	s_or_b64 exec, exec, s[34:35]
	s_and_saveexec_b64 s[28:29], s[26:27]
	s_cbranch_execz .LBB549_40
.LBB549_80:
	s_mov_b32 s34, 0xcccccccd
	s_waitcnt vmcnt(0)
	v_mul_hi_u32 v4, v6, s34
	v_mov_b32_e32 v5, 0
	v_mad_u64_u32 v[34:35], s[26:27], v7, s34, v[4:5]
	v_mov_b32_e32 v4, v35
	v_mov_b32_e32 v35, v5
	s_mov_b32 s35, 0xcccccccc
	v_mad_u64_u32 v[34:35], s[26:27], v6, s35, v[34:35]
	v_mov_b32_e32 v34, v35
	v_mov_b32_e32 v35, v5
	v_lshl_add_u64 v[34:35], v[4:5], 0, v[34:35]
	v_mad_u64_u32 v[34:35], s[26:27], v7, s35, v[34:35]
	v_alignbit_b32 v1, v35, v34, 3
	v_mul_lo_u32 v1, v1, 10
	v_mul_hi_u32 v4, v2, s34
	v_sub_u32_e32 v1, v6, v1
	v_mad_u64_u32 v[6:7], s[26:27], v3, s34, v[4:5]
	v_mov_b32_e32 v4, v7
	v_mov_b32_e32 v7, v5
	v_mad_u64_u32 v[6:7], s[26:27], v2, s35, v[6:7]
	v_mov_b32_e32 v6, v7
	v_mov_b32_e32 v7, v5
	v_lshl_add_u64 v[6:7], v[4:5], 0, v[6:7]
	v_mad_u64_u32 v[6:7], s[26:27], v3, s35, v[6:7]
	v_alignbit_b32 v3, v7, v6, 3
	v_mul_lo_u32 v3, v3, 10
	v_sub_u32_e32 v2, v2, v3
	v_add_u32_e32 v4, v2, v1
	v_lshl_add_u64 v[2:3], v[4:5], 0, -10
	v_cmp_gt_u32_e64 s[26:27], 10, v4
	s_nop 1
	v_cndmask_b32_e64 v3, v3, 0, s[26:27]
	v_cndmask_b32_e64 v2, v2, v4, s[26:27]
	s_or_b64 exec, exec, s[28:29]
	s_and_saveexec_b64 s[26:27], s[24:25]
	s_cbranch_execz .LBB549_41
.LBB549_81:
	s_mov_b32 s28, 0xcccccccd
	s_waitcnt vmcnt(0)
	v_mul_hi_u32 v4, v8, s28
	v_mov_b32_e32 v5, 0
	v_mad_u64_u32 v[6:7], s[24:25], v9, s28, v[4:5]
	v_mov_b32_e32 v4, v7
	v_mov_b32_e32 v7, v5
	s_mov_b32 s29, 0xcccccccc
	v_mad_u64_u32 v[6:7], s[24:25], v8, s29, v[6:7]
	v_mov_b32_e32 v6, v7
	v_mov_b32_e32 v7, v5
	v_lshl_add_u64 v[6:7], v[4:5], 0, v[6:7]
	v_mad_u64_u32 v[6:7], s[24:25], v9, s29, v[6:7]
	v_mul_hi_u32 v4, v2, s28
	v_alignbit_b32 v1, v7, v6, 3
	v_mad_u64_u32 v[6:7], s[24:25], v3, s28, v[4:5]
	v_mov_b32_e32 v4, v7
	v_mov_b32_e32 v7, v5
	v_mad_u64_u32 v[6:7], s[24:25], v2, s29, v[6:7]
	v_mov_b32_e32 v6, v7
	v_mov_b32_e32 v7, v5
	v_lshl_add_u64 v[6:7], v[4:5], 0, v[6:7]
	v_mad_u64_u32 v[6:7], s[24:25], v3, s29, v[6:7]
	v_alignbit_b32 v3, v7, v6, 3
	v_mul_lo_u32 v1, v1, 10
	v_mul_lo_u32 v3, v3, 10
	v_sub_u32_e32 v1, v8, v1
	v_sub_u32_e32 v2, v2, v3
	v_add_u32_e32 v4, v2, v1
	v_lshl_add_u64 v[2:3], v[4:5], 0, -10
	v_cmp_gt_u32_e64 s[24:25], 10, v4
	s_nop 1
	v_cndmask_b32_e64 v3, v3, 0, s[24:25]
	v_cndmask_b32_e64 v2, v2, v4, s[24:25]
	s_or_b64 exec, exec, s[26:27]
	s_and_saveexec_b64 s[24:25], s[22:23]
	s_cbranch_execz .LBB549_42
.LBB549_82:
	s_mov_b32 s26, 0xcccccccd
	s_waitcnt vmcnt(0)
	v_mul_hi_u32 v4, v10, s26
	v_mov_b32_e32 v5, 0
	v_mad_u64_u32 v[6:7], s[22:23], v11, s26, v[4:5]
	v_mov_b32_e32 v4, v7
	v_mov_b32_e32 v7, v5
	s_mov_b32 s27, 0xcccccccc
	v_mad_u64_u32 v[6:7], s[22:23], v10, s27, v[6:7]
	v_mov_b32_e32 v6, v7
	v_mov_b32_e32 v7, v5
	v_lshl_add_u64 v[6:7], v[4:5], 0, v[6:7]
	v_mad_u64_u32 v[6:7], s[22:23], v11, s27, v[6:7]
	v_mul_hi_u32 v4, v2, s26
	v_alignbit_b32 v1, v7, v6, 3
	v_mad_u64_u32 v[6:7], s[22:23], v3, s26, v[4:5]
	v_mov_b32_e32 v4, v7
	v_mov_b32_e32 v7, v5
	v_mad_u64_u32 v[6:7], s[22:23], v2, s27, v[6:7]
	v_mov_b32_e32 v6, v7
	v_mov_b32_e32 v7, v5
	v_lshl_add_u64 v[6:7], v[4:5], 0, v[6:7]
	v_mad_u64_u32 v[6:7], s[22:23], v3, s27, v[6:7]
	v_alignbit_b32 v3, v7, v6, 3
	v_mul_lo_u32 v1, v1, 10
	v_mul_lo_u32 v3, v3, 10
	v_sub_u32_e32 v1, v10, v1
	v_sub_u32_e32 v2, v2, v3
	v_add_u32_e32 v4, v2, v1
	v_lshl_add_u64 v[2:3], v[4:5], 0, -10
	v_cmp_gt_u32_e64 s[22:23], 10, v4
	s_nop 1
	v_cndmask_b32_e64 v3, v3, 0, s[22:23]
	v_cndmask_b32_e64 v2, v2, v4, s[22:23]
	s_or_b64 exec, exec, s[24:25]
	s_and_saveexec_b64 s[22:23], s[20:21]
	s_cbranch_execz .LBB549_43
.LBB549_83:
	s_mov_b32 s24, 0xcccccccd
	s_waitcnt vmcnt(0)
	v_mul_hi_u32 v4, v12, s24
	v_mov_b32_e32 v5, 0
	v_mad_u64_u32 v[6:7], s[20:21], v13, s24, v[4:5]
	v_mov_b32_e32 v4, v7
	v_mov_b32_e32 v7, v5
	s_mov_b32 s25, 0xcccccccc
	v_mad_u64_u32 v[6:7], s[20:21], v12, s25, v[6:7]
	v_mov_b32_e32 v6, v7
	v_mov_b32_e32 v7, v5
	v_lshl_add_u64 v[6:7], v[4:5], 0, v[6:7]
	v_mad_u64_u32 v[6:7], s[20:21], v13, s25, v[6:7]
	v_mul_hi_u32 v4, v2, s24
	v_alignbit_b32 v1, v7, v6, 3
	v_mad_u64_u32 v[6:7], s[20:21], v3, s24, v[4:5]
	v_mov_b32_e32 v4, v7
	v_mov_b32_e32 v7, v5
	v_mad_u64_u32 v[6:7], s[20:21], v2, s25, v[6:7]
	v_mov_b32_e32 v6, v7
	v_mov_b32_e32 v7, v5
	v_lshl_add_u64 v[6:7], v[4:5], 0, v[6:7]
	v_mad_u64_u32 v[6:7], s[20:21], v3, s25, v[6:7]
	v_alignbit_b32 v3, v7, v6, 3
	v_mul_lo_u32 v1, v1, 10
	v_mul_lo_u32 v3, v3, 10
	v_sub_u32_e32 v1, v12, v1
	v_sub_u32_e32 v2, v2, v3
	v_add_u32_e32 v4, v2, v1
	v_lshl_add_u64 v[2:3], v[4:5], 0, -10
	v_cmp_gt_u32_e64 s[20:21], 10, v4
	s_nop 1
	v_cndmask_b32_e64 v3, v3, 0, s[20:21]
	v_cndmask_b32_e64 v2, v2, v4, s[20:21]
	s_or_b64 exec, exec, s[22:23]
	s_and_saveexec_b64 s[20:21], s[18:19]
	s_cbranch_execz .LBB549_44
.LBB549_84:
	s_mov_b32 s22, 0xcccccccd
	s_waitcnt vmcnt(0)
	v_mul_hi_u32 v4, v14, s22
	v_mov_b32_e32 v5, 0
	v_mad_u64_u32 v[6:7], s[18:19], v15, s22, v[4:5]
	v_mov_b32_e32 v4, v7
	v_mov_b32_e32 v7, v5
	s_mov_b32 s23, 0xcccccccc
	v_mad_u64_u32 v[6:7], s[18:19], v14, s23, v[6:7]
	v_mov_b32_e32 v6, v7
	v_mov_b32_e32 v7, v5
	v_lshl_add_u64 v[6:7], v[4:5], 0, v[6:7]
	v_mad_u64_u32 v[6:7], s[18:19], v15, s23, v[6:7]
	v_mul_hi_u32 v4, v2, s22
	v_alignbit_b32 v1, v7, v6, 3
	v_mad_u64_u32 v[6:7], s[18:19], v3, s22, v[4:5]
	v_mov_b32_e32 v4, v7
	v_mov_b32_e32 v7, v5
	v_mad_u64_u32 v[6:7], s[18:19], v2, s23, v[6:7]
	v_mov_b32_e32 v6, v7
	v_mov_b32_e32 v7, v5
	v_lshl_add_u64 v[6:7], v[4:5], 0, v[6:7]
	v_mad_u64_u32 v[6:7], s[18:19], v3, s23, v[6:7]
	v_alignbit_b32 v3, v7, v6, 3
	v_mul_lo_u32 v1, v1, 10
	v_mul_lo_u32 v3, v3, 10
	v_sub_u32_e32 v1, v14, v1
	v_sub_u32_e32 v2, v2, v3
	v_add_u32_e32 v4, v2, v1
	v_lshl_add_u64 v[2:3], v[4:5], 0, -10
	v_cmp_gt_u32_e64 s[18:19], 10, v4
	s_nop 1
	v_cndmask_b32_e64 v3, v3, 0, s[18:19]
	v_cndmask_b32_e64 v2, v2, v4, s[18:19]
	s_or_b64 exec, exec, s[20:21]
	s_and_saveexec_b64 s[18:19], s[16:17]
	s_cbranch_execz .LBB549_45
.LBB549_85:
	s_mov_b32 s20, 0xcccccccd
	s_waitcnt vmcnt(0)
	v_mul_hi_u32 v4, v16, s20
	v_mov_b32_e32 v5, 0
	v_mad_u64_u32 v[6:7], s[16:17], v17, s20, v[4:5]
	v_mov_b32_e32 v4, v7
	v_mov_b32_e32 v7, v5
	s_mov_b32 s21, 0xcccccccc
	v_mad_u64_u32 v[6:7], s[16:17], v16, s21, v[6:7]
	v_mov_b32_e32 v6, v7
	v_mov_b32_e32 v7, v5
	v_lshl_add_u64 v[6:7], v[4:5], 0, v[6:7]
	v_mad_u64_u32 v[6:7], s[16:17], v17, s21, v[6:7]
	v_mul_hi_u32 v4, v2, s20
	v_alignbit_b32 v1, v7, v6, 3
	v_mad_u64_u32 v[6:7], s[16:17], v3, s20, v[4:5]
	v_mov_b32_e32 v4, v7
	v_mov_b32_e32 v7, v5
	v_mad_u64_u32 v[6:7], s[16:17], v2, s21, v[6:7]
	v_mov_b32_e32 v6, v7
	v_mov_b32_e32 v7, v5
	v_lshl_add_u64 v[6:7], v[4:5], 0, v[6:7]
	v_mad_u64_u32 v[6:7], s[16:17], v3, s21, v[6:7]
	v_alignbit_b32 v3, v7, v6, 3
	v_mul_lo_u32 v1, v1, 10
	v_mul_lo_u32 v3, v3, 10
	v_sub_u32_e32 v1, v16, v1
	v_sub_u32_e32 v2, v2, v3
	v_add_u32_e32 v4, v2, v1
	v_lshl_add_u64 v[2:3], v[4:5], 0, -10
	v_cmp_gt_u32_e64 s[16:17], 10, v4
	s_nop 1
	v_cndmask_b32_e64 v3, v3, 0, s[16:17]
	v_cndmask_b32_e64 v2, v2, v4, s[16:17]
	s_or_b64 exec, exec, s[18:19]
	s_and_saveexec_b64 s[16:17], s[14:15]
	s_cbranch_execz .LBB549_46
.LBB549_86:
	s_mov_b32 s18, 0xcccccccd
	s_waitcnt vmcnt(0)
	v_mul_hi_u32 v4, v18, s18
	v_mov_b32_e32 v5, 0
	v_mad_u64_u32 v[6:7], s[14:15], v19, s18, v[4:5]
	v_mov_b32_e32 v4, v7
	v_mov_b32_e32 v7, v5
	s_mov_b32 s19, 0xcccccccc
	v_mad_u64_u32 v[6:7], s[14:15], v18, s19, v[6:7]
	v_mov_b32_e32 v6, v7
	v_mov_b32_e32 v7, v5
	v_lshl_add_u64 v[6:7], v[4:5], 0, v[6:7]
	v_mad_u64_u32 v[6:7], s[14:15], v19, s19, v[6:7]
	v_mul_hi_u32 v4, v2, s18
	v_alignbit_b32 v1, v7, v6, 3
	v_mad_u64_u32 v[6:7], s[14:15], v3, s18, v[4:5]
	v_mov_b32_e32 v4, v7
	v_mov_b32_e32 v7, v5
	v_mad_u64_u32 v[6:7], s[14:15], v2, s19, v[6:7]
	v_mov_b32_e32 v6, v7
	v_mov_b32_e32 v7, v5
	v_lshl_add_u64 v[6:7], v[4:5], 0, v[6:7]
	v_mad_u64_u32 v[6:7], s[14:15], v3, s19, v[6:7]
	v_alignbit_b32 v3, v7, v6, 3
	v_mul_lo_u32 v1, v1, 10
	v_mul_lo_u32 v3, v3, 10
	v_sub_u32_e32 v1, v18, v1
	v_sub_u32_e32 v2, v2, v3
	v_add_u32_e32 v4, v2, v1
	v_lshl_add_u64 v[2:3], v[4:5], 0, -10
	v_cmp_gt_u32_e64 s[14:15], 10, v4
	s_nop 1
	v_cndmask_b32_e64 v3, v3, 0, s[14:15]
	v_cndmask_b32_e64 v2, v2, v4, s[14:15]
	s_or_b64 exec, exec, s[16:17]
	s_and_saveexec_b64 s[14:15], s[12:13]
	s_cbranch_execz .LBB549_47
.LBB549_87:
	s_mov_b32 s16, 0xcccccccd
	s_waitcnt vmcnt(0)
	v_mul_hi_u32 v4, v20, s16
	v_mov_b32_e32 v5, 0
	v_mad_u64_u32 v[6:7], s[12:13], v21, s16, v[4:5]
	v_mov_b32_e32 v4, v7
	v_mov_b32_e32 v7, v5
	s_mov_b32 s17, 0xcccccccc
	v_mad_u64_u32 v[6:7], s[12:13], v20, s17, v[6:7]
	v_mov_b32_e32 v6, v7
	v_mov_b32_e32 v7, v5
	v_lshl_add_u64 v[6:7], v[4:5], 0, v[6:7]
	v_mad_u64_u32 v[6:7], s[12:13], v21, s17, v[6:7]
	v_mul_hi_u32 v4, v2, s16
	v_alignbit_b32 v1, v7, v6, 3
	v_mad_u64_u32 v[6:7], s[12:13], v3, s16, v[4:5]
	v_mov_b32_e32 v4, v7
	v_mov_b32_e32 v7, v5
	v_mad_u64_u32 v[6:7], s[12:13], v2, s17, v[6:7]
	v_mov_b32_e32 v6, v7
	v_mov_b32_e32 v7, v5
	v_lshl_add_u64 v[6:7], v[4:5], 0, v[6:7]
	v_mad_u64_u32 v[6:7], s[12:13], v3, s17, v[6:7]
	v_alignbit_b32 v3, v7, v6, 3
	v_mul_lo_u32 v1, v1, 10
	v_mul_lo_u32 v3, v3, 10
	v_sub_u32_e32 v1, v20, v1
	v_sub_u32_e32 v2, v2, v3
	v_add_u32_e32 v4, v2, v1
	v_lshl_add_u64 v[2:3], v[4:5], 0, -10
	v_cmp_gt_u32_e64 s[12:13], 10, v4
	s_nop 1
	v_cndmask_b32_e64 v3, v3, 0, s[12:13]
	v_cndmask_b32_e64 v2, v2, v4, s[12:13]
	s_or_b64 exec, exec, s[14:15]
	s_and_saveexec_b64 s[12:13], s[10:11]
	s_cbranch_execz .LBB549_48
.LBB549_88:
	s_mov_b32 s14, 0xcccccccd
	s_waitcnt vmcnt(0)
	v_mul_hi_u32 v4, v22, s14
	v_mov_b32_e32 v5, 0
	v_mad_u64_u32 v[6:7], s[10:11], v23, s14, v[4:5]
	v_mov_b32_e32 v4, v7
	v_mov_b32_e32 v7, v5
	s_mov_b32 s15, 0xcccccccc
	v_mad_u64_u32 v[6:7], s[10:11], v22, s15, v[6:7]
	v_mov_b32_e32 v6, v7
	v_mov_b32_e32 v7, v5
	v_lshl_add_u64 v[6:7], v[4:5], 0, v[6:7]
	v_mad_u64_u32 v[6:7], s[10:11], v23, s15, v[6:7]
	v_mul_hi_u32 v4, v2, s14
	v_alignbit_b32 v1, v7, v6, 3
	v_mad_u64_u32 v[6:7], s[10:11], v3, s14, v[4:5]
	v_mov_b32_e32 v4, v7
	v_mov_b32_e32 v7, v5
	v_mad_u64_u32 v[6:7], s[10:11], v2, s15, v[6:7]
	v_mov_b32_e32 v6, v7
	v_mov_b32_e32 v7, v5
	v_lshl_add_u64 v[6:7], v[4:5], 0, v[6:7]
	v_mad_u64_u32 v[6:7], s[10:11], v3, s15, v[6:7]
	v_alignbit_b32 v3, v7, v6, 3
	v_mul_lo_u32 v1, v1, 10
	v_mul_lo_u32 v3, v3, 10
	v_sub_u32_e32 v1, v22, v1
	v_sub_u32_e32 v2, v2, v3
	v_add_u32_e32 v4, v2, v1
	v_lshl_add_u64 v[2:3], v[4:5], 0, -10
	v_cmp_gt_u32_e64 s[10:11], 10, v4
	s_nop 1
	v_cndmask_b32_e64 v3, v3, 0, s[10:11]
	v_cndmask_b32_e64 v2, v2, v4, s[10:11]
	s_or_b64 exec, exec, s[12:13]
	s_and_saveexec_b64 s[10:11], s[8:9]
	s_cbranch_execz .LBB549_49
.LBB549_89:
	s_mov_b32 s12, 0xcccccccd
	s_waitcnt vmcnt(0)
	v_mul_hi_u32 v4, v24, s12
	v_mov_b32_e32 v5, 0
	v_mad_u64_u32 v[6:7], s[8:9], v25, s12, v[4:5]
	v_mov_b32_e32 v4, v7
	v_mov_b32_e32 v7, v5
	s_mov_b32 s13, 0xcccccccc
	v_mad_u64_u32 v[6:7], s[8:9], v24, s13, v[6:7]
	v_mov_b32_e32 v6, v7
	v_mov_b32_e32 v7, v5
	v_lshl_add_u64 v[6:7], v[4:5], 0, v[6:7]
	v_mad_u64_u32 v[6:7], s[8:9], v25, s13, v[6:7]
	v_mul_hi_u32 v4, v2, s12
	v_alignbit_b32 v1, v7, v6, 3
	v_mad_u64_u32 v[6:7], s[8:9], v3, s12, v[4:5]
	v_mov_b32_e32 v4, v7
	v_mov_b32_e32 v7, v5
	v_mad_u64_u32 v[6:7], s[8:9], v2, s13, v[6:7]
	v_mov_b32_e32 v6, v7
	v_mov_b32_e32 v7, v5
	v_lshl_add_u64 v[6:7], v[4:5], 0, v[6:7]
	v_mad_u64_u32 v[6:7], s[8:9], v3, s13, v[6:7]
	v_alignbit_b32 v3, v7, v6, 3
	v_mul_lo_u32 v1, v1, 10
	v_mul_lo_u32 v3, v3, 10
	v_sub_u32_e32 v1, v24, v1
	v_sub_u32_e32 v2, v2, v3
	v_add_u32_e32 v4, v2, v1
	v_lshl_add_u64 v[2:3], v[4:5], 0, -10
	v_cmp_gt_u32_e64 s[8:9], 10, v4
	s_nop 1
	v_cndmask_b32_e64 v3, v3, 0, s[8:9]
	v_cndmask_b32_e64 v2, v2, v4, s[8:9]
	s_or_b64 exec, exec, s[10:11]
	s_and_saveexec_b64 s[8:9], s[6:7]
	s_cbranch_execz .LBB549_50
.LBB549_90:
	s_mov_b32 s10, 0xcccccccd
	s_waitcnt vmcnt(0)
	v_mul_hi_u32 v4, v26, s10
	v_mov_b32_e32 v5, 0
	v_mad_u64_u32 v[6:7], s[6:7], v27, s10, v[4:5]
	v_mov_b32_e32 v4, v7
	v_mov_b32_e32 v7, v5
	s_mov_b32 s11, 0xcccccccc
	v_mad_u64_u32 v[6:7], s[6:7], v26, s11, v[6:7]
	v_mov_b32_e32 v6, v7
	v_mov_b32_e32 v7, v5
	v_lshl_add_u64 v[6:7], v[4:5], 0, v[6:7]
	v_mad_u64_u32 v[6:7], s[6:7], v27, s11, v[6:7]
	v_mul_hi_u32 v4, v2, s10
	v_alignbit_b32 v1, v7, v6, 3
	v_mad_u64_u32 v[6:7], s[6:7], v3, s10, v[4:5]
	v_mov_b32_e32 v4, v7
	v_mov_b32_e32 v7, v5
	v_mad_u64_u32 v[6:7], s[6:7], v2, s11, v[6:7]
	v_mov_b32_e32 v6, v7
	v_mov_b32_e32 v7, v5
	v_lshl_add_u64 v[6:7], v[4:5], 0, v[6:7]
	v_mad_u64_u32 v[6:7], s[6:7], v3, s11, v[6:7]
	v_alignbit_b32 v3, v7, v6, 3
	v_mul_lo_u32 v1, v1, 10
	v_mul_lo_u32 v3, v3, 10
	v_sub_u32_e32 v1, v26, v1
	v_sub_u32_e32 v2, v2, v3
	v_add_u32_e32 v4, v2, v1
	v_lshl_add_u64 v[2:3], v[4:5], 0, -10
	v_cmp_gt_u32_e64 s[6:7], 10, v4
	s_nop 1
	v_cndmask_b32_e64 v3, v3, 0, s[6:7]
	v_cndmask_b32_e64 v2, v2, v4, s[6:7]
	s_or_b64 exec, exec, s[8:9]
	s_and_saveexec_b64 s[6:7], s[4:5]
	s_cbranch_execz .LBB549_51
.LBB549_91:
	s_mov_b32 s8, 0xcccccccd
	s_waitcnt vmcnt(0)
	v_mul_hi_u32 v4, v28, s8
	v_mov_b32_e32 v5, 0
	v_mad_u64_u32 v[6:7], s[4:5], v29, s8, v[4:5]
	v_mov_b32_e32 v4, v7
	v_mov_b32_e32 v7, v5
	s_mov_b32 s9, 0xcccccccc
	v_mad_u64_u32 v[6:7], s[4:5], v28, s9, v[6:7]
	v_mov_b32_e32 v6, v7
	v_mov_b32_e32 v7, v5
	v_lshl_add_u64 v[6:7], v[4:5], 0, v[6:7]
	v_mad_u64_u32 v[6:7], s[4:5], v29, s9, v[6:7]
	v_mul_hi_u32 v4, v2, s8
	v_alignbit_b32 v1, v7, v6, 3
	v_mad_u64_u32 v[6:7], s[4:5], v3, s8, v[4:5]
	v_mov_b32_e32 v4, v7
	v_mov_b32_e32 v7, v5
	v_mad_u64_u32 v[6:7], s[4:5], v2, s9, v[6:7]
	v_mov_b32_e32 v6, v7
	v_mov_b32_e32 v7, v5
	v_lshl_add_u64 v[6:7], v[4:5], 0, v[6:7]
	v_mad_u64_u32 v[6:7], s[4:5], v3, s9, v[6:7]
	v_alignbit_b32 v3, v7, v6, 3
	v_mul_lo_u32 v1, v1, 10
	v_mul_lo_u32 v3, v3, 10
	v_sub_u32_e32 v1, v28, v1
	v_sub_u32_e32 v2, v2, v3
	v_add_u32_e32 v4, v2, v1
	v_lshl_add_u64 v[2:3], v[4:5], 0, -10
	v_cmp_gt_u32_e64 s[4:5], 10, v4
	s_nop 1
	v_cndmask_b32_e64 v3, v3, 0, s[4:5]
	v_cndmask_b32_e64 v2, v2, v4, s[4:5]
	s_or_b64 exec, exec, s[6:7]
	s_and_saveexec_b64 s[4:5], s[0:1]
	s_cbranch_execz .LBB549_52
.LBB549_92:
	s_mov_b32 s6, 0xcccccccd
	s_waitcnt vmcnt(0)
	v_mul_hi_u32 v4, v30, s6
	v_mov_b32_e32 v5, 0
	v_mad_u64_u32 v[6:7], s[0:1], v31, s6, v[4:5]
	v_mov_b32_e32 v4, v7
	v_mov_b32_e32 v7, v5
	s_mov_b32 s7, 0xcccccccc
	v_mad_u64_u32 v[6:7], s[0:1], v30, s7, v[6:7]
	v_mov_b32_e32 v6, v7
	v_mov_b32_e32 v7, v5
	v_lshl_add_u64 v[6:7], v[4:5], 0, v[6:7]
	v_mad_u64_u32 v[6:7], s[0:1], v31, s7, v[6:7]
	v_mul_hi_u32 v4, v2, s6
	v_alignbit_b32 v1, v7, v6, 3
	v_mad_u64_u32 v[6:7], s[0:1], v3, s6, v[4:5]
	v_mov_b32_e32 v4, v7
	v_mov_b32_e32 v7, v5
	v_mad_u64_u32 v[6:7], s[0:1], v2, s7, v[6:7]
	v_mov_b32_e32 v6, v7
	v_mov_b32_e32 v7, v5
	v_lshl_add_u64 v[6:7], v[4:5], 0, v[6:7]
	v_mad_u64_u32 v[6:7], s[0:1], v3, s7, v[6:7]
	v_alignbit_b32 v3, v7, v6, 3
	v_mul_lo_u32 v1, v1, 10
	v_mul_lo_u32 v3, v3, 10
	v_sub_u32_e32 v1, v30, v1
	v_sub_u32_e32 v2, v2, v3
	v_add_u32_e32 v4, v2, v1
	v_lshl_add_u64 v[2:3], v[4:5], 0, -10
	v_cmp_gt_u32_e64 s[0:1], 10, v4
	s_nop 1
	v_cndmask_b32_e64 v3, v3, 0, s[0:1]
	v_cndmask_b32_e64 v2, v2, v4, s[0:1]
	s_or_b64 exec, exec, s[4:5]
	s_and_saveexec_b64 s[0:1], vcc
	s_cbranch_execnz .LBB549_53
	s_branch .LBB549_54
	.section	.rodata,"a",@progbits
	.p2align	6, 0x0
	.amdhsa_kernel _ZN7rocprim17ROCPRIM_400000_NS6detail17trampoline_kernelINS0_14default_configENS1_22reduce_config_selectorImEEZNS1_11reduce_implILb1ES3_PmS7_m11plus_mod_10ImEEE10hipError_tPvRmT1_T2_T3_mT4_P12ihipStream_tbEUlT_E0_NS1_11comp_targetILNS1_3genE0ELNS1_11target_archE4294967295ELNS1_3gpuE0ELNS1_3repE0EEENS1_30default_config_static_selectorELNS0_4arch9wavefront6targetE1EEEvSD_
		.amdhsa_group_segment_fixed_size 64
		.amdhsa_private_segment_fixed_size 0
		.amdhsa_kernarg_size 64
		.amdhsa_user_sgpr_count 2
		.amdhsa_user_sgpr_dispatch_ptr 0
		.amdhsa_user_sgpr_queue_ptr 0
		.amdhsa_user_sgpr_kernarg_segment_ptr 1
		.amdhsa_user_sgpr_dispatch_id 0
		.amdhsa_user_sgpr_kernarg_preload_length 0
		.amdhsa_user_sgpr_kernarg_preload_offset 0
		.amdhsa_user_sgpr_private_segment_size 0
		.amdhsa_uses_dynamic_stack 0
		.amdhsa_enable_private_segment 0
		.amdhsa_system_sgpr_workgroup_id_x 1
		.amdhsa_system_sgpr_workgroup_id_y 0
		.amdhsa_system_sgpr_workgroup_id_z 0
		.amdhsa_system_sgpr_workgroup_info 0
		.amdhsa_system_vgpr_workitem_id 0
		.amdhsa_next_free_vgpr 68
		.amdhsa_next_free_sgpr 48
		.amdhsa_accum_offset 68
		.amdhsa_reserve_vcc 1
		.amdhsa_float_round_mode_32 0
		.amdhsa_float_round_mode_16_64 0
		.amdhsa_float_denorm_mode_32 3
		.amdhsa_float_denorm_mode_16_64 3
		.amdhsa_dx10_clamp 1
		.amdhsa_ieee_mode 1
		.amdhsa_fp16_overflow 0
		.amdhsa_tg_split 0
		.amdhsa_exception_fp_ieee_invalid_op 0
		.amdhsa_exception_fp_denorm_src 0
		.amdhsa_exception_fp_ieee_div_zero 0
		.amdhsa_exception_fp_ieee_overflow 0
		.amdhsa_exception_fp_ieee_underflow 0
		.amdhsa_exception_fp_ieee_inexact 0
		.amdhsa_exception_int_div_zero 0
	.end_amdhsa_kernel
	.section	.text._ZN7rocprim17ROCPRIM_400000_NS6detail17trampoline_kernelINS0_14default_configENS1_22reduce_config_selectorImEEZNS1_11reduce_implILb1ES3_PmS7_m11plus_mod_10ImEEE10hipError_tPvRmT1_T2_T3_mT4_P12ihipStream_tbEUlT_E0_NS1_11comp_targetILNS1_3genE0ELNS1_11target_archE4294967295ELNS1_3gpuE0ELNS1_3repE0EEENS1_30default_config_static_selectorELNS0_4arch9wavefront6targetE1EEEvSD_,"axG",@progbits,_ZN7rocprim17ROCPRIM_400000_NS6detail17trampoline_kernelINS0_14default_configENS1_22reduce_config_selectorImEEZNS1_11reduce_implILb1ES3_PmS7_m11plus_mod_10ImEEE10hipError_tPvRmT1_T2_T3_mT4_P12ihipStream_tbEUlT_E0_NS1_11comp_targetILNS1_3genE0ELNS1_11target_archE4294967295ELNS1_3gpuE0ELNS1_3repE0EEENS1_30default_config_static_selectorELNS0_4arch9wavefront6targetE1EEEvSD_,comdat
.Lfunc_end549:
	.size	_ZN7rocprim17ROCPRIM_400000_NS6detail17trampoline_kernelINS0_14default_configENS1_22reduce_config_selectorImEEZNS1_11reduce_implILb1ES3_PmS7_m11plus_mod_10ImEEE10hipError_tPvRmT1_T2_T3_mT4_P12ihipStream_tbEUlT_E0_NS1_11comp_targetILNS1_3genE0ELNS1_11target_archE4294967295ELNS1_3gpuE0ELNS1_3repE0EEENS1_30default_config_static_selectorELNS0_4arch9wavefront6targetE1EEEvSD_, .Lfunc_end549-_ZN7rocprim17ROCPRIM_400000_NS6detail17trampoline_kernelINS0_14default_configENS1_22reduce_config_selectorImEEZNS1_11reduce_implILb1ES3_PmS7_m11plus_mod_10ImEEE10hipError_tPvRmT1_T2_T3_mT4_P12ihipStream_tbEUlT_E0_NS1_11comp_targetILNS1_3genE0ELNS1_11target_archE4294967295ELNS1_3gpuE0ELNS1_3repE0EEENS1_30default_config_static_selectorELNS0_4arch9wavefront6targetE1EEEvSD_
                                        ; -- End function
	.set _ZN7rocprim17ROCPRIM_400000_NS6detail17trampoline_kernelINS0_14default_configENS1_22reduce_config_selectorImEEZNS1_11reduce_implILb1ES3_PmS7_m11plus_mod_10ImEEE10hipError_tPvRmT1_T2_T3_mT4_P12ihipStream_tbEUlT_E0_NS1_11comp_targetILNS1_3genE0ELNS1_11target_archE4294967295ELNS1_3gpuE0ELNS1_3repE0EEENS1_30default_config_static_selectorELNS0_4arch9wavefront6targetE1EEEvSD_.num_vgpr, 68
	.set _ZN7rocprim17ROCPRIM_400000_NS6detail17trampoline_kernelINS0_14default_configENS1_22reduce_config_selectorImEEZNS1_11reduce_implILb1ES3_PmS7_m11plus_mod_10ImEEE10hipError_tPvRmT1_T2_T3_mT4_P12ihipStream_tbEUlT_E0_NS1_11comp_targetILNS1_3genE0ELNS1_11target_archE4294967295ELNS1_3gpuE0ELNS1_3repE0EEENS1_30default_config_static_selectorELNS0_4arch9wavefront6targetE1EEEvSD_.num_agpr, 0
	.set _ZN7rocprim17ROCPRIM_400000_NS6detail17trampoline_kernelINS0_14default_configENS1_22reduce_config_selectorImEEZNS1_11reduce_implILb1ES3_PmS7_m11plus_mod_10ImEEE10hipError_tPvRmT1_T2_T3_mT4_P12ihipStream_tbEUlT_E0_NS1_11comp_targetILNS1_3genE0ELNS1_11target_archE4294967295ELNS1_3gpuE0ELNS1_3repE0EEENS1_30default_config_static_selectorELNS0_4arch9wavefront6targetE1EEEvSD_.numbered_sgpr, 48
	.set _ZN7rocprim17ROCPRIM_400000_NS6detail17trampoline_kernelINS0_14default_configENS1_22reduce_config_selectorImEEZNS1_11reduce_implILb1ES3_PmS7_m11plus_mod_10ImEEE10hipError_tPvRmT1_T2_T3_mT4_P12ihipStream_tbEUlT_E0_NS1_11comp_targetILNS1_3genE0ELNS1_11target_archE4294967295ELNS1_3gpuE0ELNS1_3repE0EEENS1_30default_config_static_selectorELNS0_4arch9wavefront6targetE1EEEvSD_.num_named_barrier, 0
	.set _ZN7rocprim17ROCPRIM_400000_NS6detail17trampoline_kernelINS0_14default_configENS1_22reduce_config_selectorImEEZNS1_11reduce_implILb1ES3_PmS7_m11plus_mod_10ImEEE10hipError_tPvRmT1_T2_T3_mT4_P12ihipStream_tbEUlT_E0_NS1_11comp_targetILNS1_3genE0ELNS1_11target_archE4294967295ELNS1_3gpuE0ELNS1_3repE0EEENS1_30default_config_static_selectorELNS0_4arch9wavefront6targetE1EEEvSD_.private_seg_size, 0
	.set _ZN7rocprim17ROCPRIM_400000_NS6detail17trampoline_kernelINS0_14default_configENS1_22reduce_config_selectorImEEZNS1_11reduce_implILb1ES3_PmS7_m11plus_mod_10ImEEE10hipError_tPvRmT1_T2_T3_mT4_P12ihipStream_tbEUlT_E0_NS1_11comp_targetILNS1_3genE0ELNS1_11target_archE4294967295ELNS1_3gpuE0ELNS1_3repE0EEENS1_30default_config_static_selectorELNS0_4arch9wavefront6targetE1EEEvSD_.uses_vcc, 1
	.set _ZN7rocprim17ROCPRIM_400000_NS6detail17trampoline_kernelINS0_14default_configENS1_22reduce_config_selectorImEEZNS1_11reduce_implILb1ES3_PmS7_m11plus_mod_10ImEEE10hipError_tPvRmT1_T2_T3_mT4_P12ihipStream_tbEUlT_E0_NS1_11comp_targetILNS1_3genE0ELNS1_11target_archE4294967295ELNS1_3gpuE0ELNS1_3repE0EEENS1_30default_config_static_selectorELNS0_4arch9wavefront6targetE1EEEvSD_.uses_flat_scratch, 0
	.set _ZN7rocprim17ROCPRIM_400000_NS6detail17trampoline_kernelINS0_14default_configENS1_22reduce_config_selectorImEEZNS1_11reduce_implILb1ES3_PmS7_m11plus_mod_10ImEEE10hipError_tPvRmT1_T2_T3_mT4_P12ihipStream_tbEUlT_E0_NS1_11comp_targetILNS1_3genE0ELNS1_11target_archE4294967295ELNS1_3gpuE0ELNS1_3repE0EEENS1_30default_config_static_selectorELNS0_4arch9wavefront6targetE1EEEvSD_.has_dyn_sized_stack, 0
	.set _ZN7rocprim17ROCPRIM_400000_NS6detail17trampoline_kernelINS0_14default_configENS1_22reduce_config_selectorImEEZNS1_11reduce_implILb1ES3_PmS7_m11plus_mod_10ImEEE10hipError_tPvRmT1_T2_T3_mT4_P12ihipStream_tbEUlT_E0_NS1_11comp_targetILNS1_3genE0ELNS1_11target_archE4294967295ELNS1_3gpuE0ELNS1_3repE0EEENS1_30default_config_static_selectorELNS0_4arch9wavefront6targetE1EEEvSD_.has_recursion, 0
	.set _ZN7rocprim17ROCPRIM_400000_NS6detail17trampoline_kernelINS0_14default_configENS1_22reduce_config_selectorImEEZNS1_11reduce_implILb1ES3_PmS7_m11plus_mod_10ImEEE10hipError_tPvRmT1_T2_T3_mT4_P12ihipStream_tbEUlT_E0_NS1_11comp_targetILNS1_3genE0ELNS1_11target_archE4294967295ELNS1_3gpuE0ELNS1_3repE0EEENS1_30default_config_static_selectorELNS0_4arch9wavefront6targetE1EEEvSD_.has_indirect_call, 0
	.section	.AMDGPU.csdata,"",@progbits
; Kernel info:
; codeLenInByte = 12160
; TotalNumSgprs: 54
; NumVgprs: 68
; NumAgprs: 0
; TotalNumVgprs: 68
; ScratchSize: 0
; MemoryBound: 0
; FloatMode: 240
; IeeeMode: 1
; LDSByteSize: 64 bytes/workgroup (compile time only)
; SGPRBlocks: 6
; VGPRBlocks: 8
; NumSGPRsForWavesPerEU: 54
; NumVGPRsForWavesPerEU: 68
; AccumOffset: 68
; Occupancy: 7
; WaveLimiterHint : 1
; COMPUTE_PGM_RSRC2:SCRATCH_EN: 0
; COMPUTE_PGM_RSRC2:USER_SGPR: 2
; COMPUTE_PGM_RSRC2:TRAP_HANDLER: 0
; COMPUTE_PGM_RSRC2:TGID_X_EN: 1
; COMPUTE_PGM_RSRC2:TGID_Y_EN: 0
; COMPUTE_PGM_RSRC2:TGID_Z_EN: 0
; COMPUTE_PGM_RSRC2:TIDIG_COMP_CNT: 0
; COMPUTE_PGM_RSRC3_GFX90A:ACCUM_OFFSET: 16
; COMPUTE_PGM_RSRC3_GFX90A:TG_SPLIT: 0
	.section	.text._ZN7rocprim17ROCPRIM_400000_NS6detail17trampoline_kernelINS0_14default_configENS1_22reduce_config_selectorImEEZNS1_11reduce_implILb1ES3_PmS7_m11plus_mod_10ImEEE10hipError_tPvRmT1_T2_T3_mT4_P12ihipStream_tbEUlT_E0_NS1_11comp_targetILNS1_3genE5ELNS1_11target_archE942ELNS1_3gpuE9ELNS1_3repE0EEENS1_30default_config_static_selectorELNS0_4arch9wavefront6targetE1EEEvSD_,"axG",@progbits,_ZN7rocprim17ROCPRIM_400000_NS6detail17trampoline_kernelINS0_14default_configENS1_22reduce_config_selectorImEEZNS1_11reduce_implILb1ES3_PmS7_m11plus_mod_10ImEEE10hipError_tPvRmT1_T2_T3_mT4_P12ihipStream_tbEUlT_E0_NS1_11comp_targetILNS1_3genE5ELNS1_11target_archE942ELNS1_3gpuE9ELNS1_3repE0EEENS1_30default_config_static_selectorELNS0_4arch9wavefront6targetE1EEEvSD_,comdat
	.protected	_ZN7rocprim17ROCPRIM_400000_NS6detail17trampoline_kernelINS0_14default_configENS1_22reduce_config_selectorImEEZNS1_11reduce_implILb1ES3_PmS7_m11plus_mod_10ImEEE10hipError_tPvRmT1_T2_T3_mT4_P12ihipStream_tbEUlT_E0_NS1_11comp_targetILNS1_3genE5ELNS1_11target_archE942ELNS1_3gpuE9ELNS1_3repE0EEENS1_30default_config_static_selectorELNS0_4arch9wavefront6targetE1EEEvSD_ ; -- Begin function _ZN7rocprim17ROCPRIM_400000_NS6detail17trampoline_kernelINS0_14default_configENS1_22reduce_config_selectorImEEZNS1_11reduce_implILb1ES3_PmS7_m11plus_mod_10ImEEE10hipError_tPvRmT1_T2_T3_mT4_P12ihipStream_tbEUlT_E0_NS1_11comp_targetILNS1_3genE5ELNS1_11target_archE942ELNS1_3gpuE9ELNS1_3repE0EEENS1_30default_config_static_selectorELNS0_4arch9wavefront6targetE1EEEvSD_
	.globl	_ZN7rocprim17ROCPRIM_400000_NS6detail17trampoline_kernelINS0_14default_configENS1_22reduce_config_selectorImEEZNS1_11reduce_implILb1ES3_PmS7_m11plus_mod_10ImEEE10hipError_tPvRmT1_T2_T3_mT4_P12ihipStream_tbEUlT_E0_NS1_11comp_targetILNS1_3genE5ELNS1_11target_archE942ELNS1_3gpuE9ELNS1_3repE0EEENS1_30default_config_static_selectorELNS0_4arch9wavefront6targetE1EEEvSD_
	.p2align	8
	.type	_ZN7rocprim17ROCPRIM_400000_NS6detail17trampoline_kernelINS0_14default_configENS1_22reduce_config_selectorImEEZNS1_11reduce_implILb1ES3_PmS7_m11plus_mod_10ImEEE10hipError_tPvRmT1_T2_T3_mT4_P12ihipStream_tbEUlT_E0_NS1_11comp_targetILNS1_3genE5ELNS1_11target_archE942ELNS1_3gpuE9ELNS1_3repE0EEENS1_30default_config_static_selectorELNS0_4arch9wavefront6targetE1EEEvSD_,@function
_ZN7rocprim17ROCPRIM_400000_NS6detail17trampoline_kernelINS0_14default_configENS1_22reduce_config_selectorImEEZNS1_11reduce_implILb1ES3_PmS7_m11plus_mod_10ImEEE10hipError_tPvRmT1_T2_T3_mT4_P12ihipStream_tbEUlT_E0_NS1_11comp_targetILNS1_3genE5ELNS1_11target_archE942ELNS1_3gpuE9ELNS1_3repE0EEENS1_30default_config_static_selectorELNS0_4arch9wavefront6targetE1EEEvSD_: ; @_ZN7rocprim17ROCPRIM_400000_NS6detail17trampoline_kernelINS0_14default_configENS1_22reduce_config_selectorImEEZNS1_11reduce_implILb1ES3_PmS7_m11plus_mod_10ImEEE10hipError_tPvRmT1_T2_T3_mT4_P12ihipStream_tbEUlT_E0_NS1_11comp_targetILNS1_3genE5ELNS1_11target_archE942ELNS1_3gpuE9ELNS1_3repE0EEENS1_30default_config_static_selectorELNS0_4arch9wavefront6targetE1EEEvSD_
; %bb.0:
	.section	.rodata,"a",@progbits
	.p2align	6, 0x0
	.amdhsa_kernel _ZN7rocprim17ROCPRIM_400000_NS6detail17trampoline_kernelINS0_14default_configENS1_22reduce_config_selectorImEEZNS1_11reduce_implILb1ES3_PmS7_m11plus_mod_10ImEEE10hipError_tPvRmT1_T2_T3_mT4_P12ihipStream_tbEUlT_E0_NS1_11comp_targetILNS1_3genE5ELNS1_11target_archE942ELNS1_3gpuE9ELNS1_3repE0EEENS1_30default_config_static_selectorELNS0_4arch9wavefront6targetE1EEEvSD_
		.amdhsa_group_segment_fixed_size 0
		.amdhsa_private_segment_fixed_size 0
		.amdhsa_kernarg_size 64
		.amdhsa_user_sgpr_count 2
		.amdhsa_user_sgpr_dispatch_ptr 0
		.amdhsa_user_sgpr_queue_ptr 0
		.amdhsa_user_sgpr_kernarg_segment_ptr 1
		.amdhsa_user_sgpr_dispatch_id 0
		.amdhsa_user_sgpr_kernarg_preload_length 0
		.amdhsa_user_sgpr_kernarg_preload_offset 0
		.amdhsa_user_sgpr_private_segment_size 0
		.amdhsa_uses_dynamic_stack 0
		.amdhsa_enable_private_segment 0
		.amdhsa_system_sgpr_workgroup_id_x 1
		.amdhsa_system_sgpr_workgroup_id_y 0
		.amdhsa_system_sgpr_workgroup_id_z 0
		.amdhsa_system_sgpr_workgroup_info 0
		.amdhsa_system_vgpr_workitem_id 0
		.amdhsa_next_free_vgpr 1
		.amdhsa_next_free_sgpr 0
		.amdhsa_accum_offset 4
		.amdhsa_reserve_vcc 0
		.amdhsa_float_round_mode_32 0
		.amdhsa_float_round_mode_16_64 0
		.amdhsa_float_denorm_mode_32 3
		.amdhsa_float_denorm_mode_16_64 3
		.amdhsa_dx10_clamp 1
		.amdhsa_ieee_mode 1
		.amdhsa_fp16_overflow 0
		.amdhsa_tg_split 0
		.amdhsa_exception_fp_ieee_invalid_op 0
		.amdhsa_exception_fp_denorm_src 0
		.amdhsa_exception_fp_ieee_div_zero 0
		.amdhsa_exception_fp_ieee_overflow 0
		.amdhsa_exception_fp_ieee_underflow 0
		.amdhsa_exception_fp_ieee_inexact 0
		.amdhsa_exception_int_div_zero 0
	.end_amdhsa_kernel
	.section	.text._ZN7rocprim17ROCPRIM_400000_NS6detail17trampoline_kernelINS0_14default_configENS1_22reduce_config_selectorImEEZNS1_11reduce_implILb1ES3_PmS7_m11plus_mod_10ImEEE10hipError_tPvRmT1_T2_T3_mT4_P12ihipStream_tbEUlT_E0_NS1_11comp_targetILNS1_3genE5ELNS1_11target_archE942ELNS1_3gpuE9ELNS1_3repE0EEENS1_30default_config_static_selectorELNS0_4arch9wavefront6targetE1EEEvSD_,"axG",@progbits,_ZN7rocprim17ROCPRIM_400000_NS6detail17trampoline_kernelINS0_14default_configENS1_22reduce_config_selectorImEEZNS1_11reduce_implILb1ES3_PmS7_m11plus_mod_10ImEEE10hipError_tPvRmT1_T2_T3_mT4_P12ihipStream_tbEUlT_E0_NS1_11comp_targetILNS1_3genE5ELNS1_11target_archE942ELNS1_3gpuE9ELNS1_3repE0EEENS1_30default_config_static_selectorELNS0_4arch9wavefront6targetE1EEEvSD_,comdat
.Lfunc_end550:
	.size	_ZN7rocprim17ROCPRIM_400000_NS6detail17trampoline_kernelINS0_14default_configENS1_22reduce_config_selectorImEEZNS1_11reduce_implILb1ES3_PmS7_m11plus_mod_10ImEEE10hipError_tPvRmT1_T2_T3_mT4_P12ihipStream_tbEUlT_E0_NS1_11comp_targetILNS1_3genE5ELNS1_11target_archE942ELNS1_3gpuE9ELNS1_3repE0EEENS1_30default_config_static_selectorELNS0_4arch9wavefront6targetE1EEEvSD_, .Lfunc_end550-_ZN7rocprim17ROCPRIM_400000_NS6detail17trampoline_kernelINS0_14default_configENS1_22reduce_config_selectorImEEZNS1_11reduce_implILb1ES3_PmS7_m11plus_mod_10ImEEE10hipError_tPvRmT1_T2_T3_mT4_P12ihipStream_tbEUlT_E0_NS1_11comp_targetILNS1_3genE5ELNS1_11target_archE942ELNS1_3gpuE9ELNS1_3repE0EEENS1_30default_config_static_selectorELNS0_4arch9wavefront6targetE1EEEvSD_
                                        ; -- End function
	.set _ZN7rocprim17ROCPRIM_400000_NS6detail17trampoline_kernelINS0_14default_configENS1_22reduce_config_selectorImEEZNS1_11reduce_implILb1ES3_PmS7_m11plus_mod_10ImEEE10hipError_tPvRmT1_T2_T3_mT4_P12ihipStream_tbEUlT_E0_NS1_11comp_targetILNS1_3genE5ELNS1_11target_archE942ELNS1_3gpuE9ELNS1_3repE0EEENS1_30default_config_static_selectorELNS0_4arch9wavefront6targetE1EEEvSD_.num_vgpr, 0
	.set _ZN7rocprim17ROCPRIM_400000_NS6detail17trampoline_kernelINS0_14default_configENS1_22reduce_config_selectorImEEZNS1_11reduce_implILb1ES3_PmS7_m11plus_mod_10ImEEE10hipError_tPvRmT1_T2_T3_mT4_P12ihipStream_tbEUlT_E0_NS1_11comp_targetILNS1_3genE5ELNS1_11target_archE942ELNS1_3gpuE9ELNS1_3repE0EEENS1_30default_config_static_selectorELNS0_4arch9wavefront6targetE1EEEvSD_.num_agpr, 0
	.set _ZN7rocprim17ROCPRIM_400000_NS6detail17trampoline_kernelINS0_14default_configENS1_22reduce_config_selectorImEEZNS1_11reduce_implILb1ES3_PmS7_m11plus_mod_10ImEEE10hipError_tPvRmT1_T2_T3_mT4_P12ihipStream_tbEUlT_E0_NS1_11comp_targetILNS1_3genE5ELNS1_11target_archE942ELNS1_3gpuE9ELNS1_3repE0EEENS1_30default_config_static_selectorELNS0_4arch9wavefront6targetE1EEEvSD_.numbered_sgpr, 0
	.set _ZN7rocprim17ROCPRIM_400000_NS6detail17trampoline_kernelINS0_14default_configENS1_22reduce_config_selectorImEEZNS1_11reduce_implILb1ES3_PmS7_m11plus_mod_10ImEEE10hipError_tPvRmT1_T2_T3_mT4_P12ihipStream_tbEUlT_E0_NS1_11comp_targetILNS1_3genE5ELNS1_11target_archE942ELNS1_3gpuE9ELNS1_3repE0EEENS1_30default_config_static_selectorELNS0_4arch9wavefront6targetE1EEEvSD_.num_named_barrier, 0
	.set _ZN7rocprim17ROCPRIM_400000_NS6detail17trampoline_kernelINS0_14default_configENS1_22reduce_config_selectorImEEZNS1_11reduce_implILb1ES3_PmS7_m11plus_mod_10ImEEE10hipError_tPvRmT1_T2_T3_mT4_P12ihipStream_tbEUlT_E0_NS1_11comp_targetILNS1_3genE5ELNS1_11target_archE942ELNS1_3gpuE9ELNS1_3repE0EEENS1_30default_config_static_selectorELNS0_4arch9wavefront6targetE1EEEvSD_.private_seg_size, 0
	.set _ZN7rocprim17ROCPRIM_400000_NS6detail17trampoline_kernelINS0_14default_configENS1_22reduce_config_selectorImEEZNS1_11reduce_implILb1ES3_PmS7_m11plus_mod_10ImEEE10hipError_tPvRmT1_T2_T3_mT4_P12ihipStream_tbEUlT_E0_NS1_11comp_targetILNS1_3genE5ELNS1_11target_archE942ELNS1_3gpuE9ELNS1_3repE0EEENS1_30default_config_static_selectorELNS0_4arch9wavefront6targetE1EEEvSD_.uses_vcc, 0
	.set _ZN7rocprim17ROCPRIM_400000_NS6detail17trampoline_kernelINS0_14default_configENS1_22reduce_config_selectorImEEZNS1_11reduce_implILb1ES3_PmS7_m11plus_mod_10ImEEE10hipError_tPvRmT1_T2_T3_mT4_P12ihipStream_tbEUlT_E0_NS1_11comp_targetILNS1_3genE5ELNS1_11target_archE942ELNS1_3gpuE9ELNS1_3repE0EEENS1_30default_config_static_selectorELNS0_4arch9wavefront6targetE1EEEvSD_.uses_flat_scratch, 0
	.set _ZN7rocprim17ROCPRIM_400000_NS6detail17trampoline_kernelINS0_14default_configENS1_22reduce_config_selectorImEEZNS1_11reduce_implILb1ES3_PmS7_m11plus_mod_10ImEEE10hipError_tPvRmT1_T2_T3_mT4_P12ihipStream_tbEUlT_E0_NS1_11comp_targetILNS1_3genE5ELNS1_11target_archE942ELNS1_3gpuE9ELNS1_3repE0EEENS1_30default_config_static_selectorELNS0_4arch9wavefront6targetE1EEEvSD_.has_dyn_sized_stack, 0
	.set _ZN7rocprim17ROCPRIM_400000_NS6detail17trampoline_kernelINS0_14default_configENS1_22reduce_config_selectorImEEZNS1_11reduce_implILb1ES3_PmS7_m11plus_mod_10ImEEE10hipError_tPvRmT1_T2_T3_mT4_P12ihipStream_tbEUlT_E0_NS1_11comp_targetILNS1_3genE5ELNS1_11target_archE942ELNS1_3gpuE9ELNS1_3repE0EEENS1_30default_config_static_selectorELNS0_4arch9wavefront6targetE1EEEvSD_.has_recursion, 0
	.set _ZN7rocprim17ROCPRIM_400000_NS6detail17trampoline_kernelINS0_14default_configENS1_22reduce_config_selectorImEEZNS1_11reduce_implILb1ES3_PmS7_m11plus_mod_10ImEEE10hipError_tPvRmT1_T2_T3_mT4_P12ihipStream_tbEUlT_E0_NS1_11comp_targetILNS1_3genE5ELNS1_11target_archE942ELNS1_3gpuE9ELNS1_3repE0EEENS1_30default_config_static_selectorELNS0_4arch9wavefront6targetE1EEEvSD_.has_indirect_call, 0
	.section	.AMDGPU.csdata,"",@progbits
; Kernel info:
; codeLenInByte = 0
; TotalNumSgprs: 6
; NumVgprs: 0
; NumAgprs: 0
; TotalNumVgprs: 0
; ScratchSize: 0
; MemoryBound: 0
; FloatMode: 240
; IeeeMode: 1
; LDSByteSize: 0 bytes/workgroup (compile time only)
; SGPRBlocks: 0
; VGPRBlocks: 0
; NumSGPRsForWavesPerEU: 6
; NumVGPRsForWavesPerEU: 1
; AccumOffset: 4
; Occupancy: 8
; WaveLimiterHint : 0
; COMPUTE_PGM_RSRC2:SCRATCH_EN: 0
; COMPUTE_PGM_RSRC2:USER_SGPR: 2
; COMPUTE_PGM_RSRC2:TRAP_HANDLER: 0
; COMPUTE_PGM_RSRC2:TGID_X_EN: 1
; COMPUTE_PGM_RSRC2:TGID_Y_EN: 0
; COMPUTE_PGM_RSRC2:TGID_Z_EN: 0
; COMPUTE_PGM_RSRC2:TIDIG_COMP_CNT: 0
; COMPUTE_PGM_RSRC3_GFX90A:ACCUM_OFFSET: 0
; COMPUTE_PGM_RSRC3_GFX90A:TG_SPLIT: 0
	.section	.text._ZN7rocprim17ROCPRIM_400000_NS6detail17trampoline_kernelINS0_14default_configENS1_22reduce_config_selectorImEEZNS1_11reduce_implILb1ES3_PmS7_m11plus_mod_10ImEEE10hipError_tPvRmT1_T2_T3_mT4_P12ihipStream_tbEUlT_E0_NS1_11comp_targetILNS1_3genE4ELNS1_11target_archE910ELNS1_3gpuE8ELNS1_3repE0EEENS1_30default_config_static_selectorELNS0_4arch9wavefront6targetE1EEEvSD_,"axG",@progbits,_ZN7rocprim17ROCPRIM_400000_NS6detail17trampoline_kernelINS0_14default_configENS1_22reduce_config_selectorImEEZNS1_11reduce_implILb1ES3_PmS7_m11plus_mod_10ImEEE10hipError_tPvRmT1_T2_T3_mT4_P12ihipStream_tbEUlT_E0_NS1_11comp_targetILNS1_3genE4ELNS1_11target_archE910ELNS1_3gpuE8ELNS1_3repE0EEENS1_30default_config_static_selectorELNS0_4arch9wavefront6targetE1EEEvSD_,comdat
	.protected	_ZN7rocprim17ROCPRIM_400000_NS6detail17trampoline_kernelINS0_14default_configENS1_22reduce_config_selectorImEEZNS1_11reduce_implILb1ES3_PmS7_m11plus_mod_10ImEEE10hipError_tPvRmT1_T2_T3_mT4_P12ihipStream_tbEUlT_E0_NS1_11comp_targetILNS1_3genE4ELNS1_11target_archE910ELNS1_3gpuE8ELNS1_3repE0EEENS1_30default_config_static_selectorELNS0_4arch9wavefront6targetE1EEEvSD_ ; -- Begin function _ZN7rocprim17ROCPRIM_400000_NS6detail17trampoline_kernelINS0_14default_configENS1_22reduce_config_selectorImEEZNS1_11reduce_implILb1ES3_PmS7_m11plus_mod_10ImEEE10hipError_tPvRmT1_T2_T3_mT4_P12ihipStream_tbEUlT_E0_NS1_11comp_targetILNS1_3genE4ELNS1_11target_archE910ELNS1_3gpuE8ELNS1_3repE0EEENS1_30default_config_static_selectorELNS0_4arch9wavefront6targetE1EEEvSD_
	.globl	_ZN7rocprim17ROCPRIM_400000_NS6detail17trampoline_kernelINS0_14default_configENS1_22reduce_config_selectorImEEZNS1_11reduce_implILb1ES3_PmS7_m11plus_mod_10ImEEE10hipError_tPvRmT1_T2_T3_mT4_P12ihipStream_tbEUlT_E0_NS1_11comp_targetILNS1_3genE4ELNS1_11target_archE910ELNS1_3gpuE8ELNS1_3repE0EEENS1_30default_config_static_selectorELNS0_4arch9wavefront6targetE1EEEvSD_
	.p2align	8
	.type	_ZN7rocprim17ROCPRIM_400000_NS6detail17trampoline_kernelINS0_14default_configENS1_22reduce_config_selectorImEEZNS1_11reduce_implILb1ES3_PmS7_m11plus_mod_10ImEEE10hipError_tPvRmT1_T2_T3_mT4_P12ihipStream_tbEUlT_E0_NS1_11comp_targetILNS1_3genE4ELNS1_11target_archE910ELNS1_3gpuE8ELNS1_3repE0EEENS1_30default_config_static_selectorELNS0_4arch9wavefront6targetE1EEEvSD_,@function
_ZN7rocprim17ROCPRIM_400000_NS6detail17trampoline_kernelINS0_14default_configENS1_22reduce_config_selectorImEEZNS1_11reduce_implILb1ES3_PmS7_m11plus_mod_10ImEEE10hipError_tPvRmT1_T2_T3_mT4_P12ihipStream_tbEUlT_E0_NS1_11comp_targetILNS1_3genE4ELNS1_11target_archE910ELNS1_3gpuE8ELNS1_3repE0EEENS1_30default_config_static_selectorELNS0_4arch9wavefront6targetE1EEEvSD_: ; @_ZN7rocprim17ROCPRIM_400000_NS6detail17trampoline_kernelINS0_14default_configENS1_22reduce_config_selectorImEEZNS1_11reduce_implILb1ES3_PmS7_m11plus_mod_10ImEEE10hipError_tPvRmT1_T2_T3_mT4_P12ihipStream_tbEUlT_E0_NS1_11comp_targetILNS1_3genE4ELNS1_11target_archE910ELNS1_3gpuE8ELNS1_3repE0EEENS1_30default_config_static_selectorELNS0_4arch9wavefront6targetE1EEEvSD_
; %bb.0:
	.section	.rodata,"a",@progbits
	.p2align	6, 0x0
	.amdhsa_kernel _ZN7rocprim17ROCPRIM_400000_NS6detail17trampoline_kernelINS0_14default_configENS1_22reduce_config_selectorImEEZNS1_11reduce_implILb1ES3_PmS7_m11plus_mod_10ImEEE10hipError_tPvRmT1_T2_T3_mT4_P12ihipStream_tbEUlT_E0_NS1_11comp_targetILNS1_3genE4ELNS1_11target_archE910ELNS1_3gpuE8ELNS1_3repE0EEENS1_30default_config_static_selectorELNS0_4arch9wavefront6targetE1EEEvSD_
		.amdhsa_group_segment_fixed_size 0
		.amdhsa_private_segment_fixed_size 0
		.amdhsa_kernarg_size 64
		.amdhsa_user_sgpr_count 2
		.amdhsa_user_sgpr_dispatch_ptr 0
		.amdhsa_user_sgpr_queue_ptr 0
		.amdhsa_user_sgpr_kernarg_segment_ptr 1
		.amdhsa_user_sgpr_dispatch_id 0
		.amdhsa_user_sgpr_kernarg_preload_length 0
		.amdhsa_user_sgpr_kernarg_preload_offset 0
		.amdhsa_user_sgpr_private_segment_size 0
		.amdhsa_uses_dynamic_stack 0
		.amdhsa_enable_private_segment 0
		.amdhsa_system_sgpr_workgroup_id_x 1
		.amdhsa_system_sgpr_workgroup_id_y 0
		.amdhsa_system_sgpr_workgroup_id_z 0
		.amdhsa_system_sgpr_workgroup_info 0
		.amdhsa_system_vgpr_workitem_id 0
		.amdhsa_next_free_vgpr 1
		.amdhsa_next_free_sgpr 0
		.amdhsa_accum_offset 4
		.amdhsa_reserve_vcc 0
		.amdhsa_float_round_mode_32 0
		.amdhsa_float_round_mode_16_64 0
		.amdhsa_float_denorm_mode_32 3
		.amdhsa_float_denorm_mode_16_64 3
		.amdhsa_dx10_clamp 1
		.amdhsa_ieee_mode 1
		.amdhsa_fp16_overflow 0
		.amdhsa_tg_split 0
		.amdhsa_exception_fp_ieee_invalid_op 0
		.amdhsa_exception_fp_denorm_src 0
		.amdhsa_exception_fp_ieee_div_zero 0
		.amdhsa_exception_fp_ieee_overflow 0
		.amdhsa_exception_fp_ieee_underflow 0
		.amdhsa_exception_fp_ieee_inexact 0
		.amdhsa_exception_int_div_zero 0
	.end_amdhsa_kernel
	.section	.text._ZN7rocprim17ROCPRIM_400000_NS6detail17trampoline_kernelINS0_14default_configENS1_22reduce_config_selectorImEEZNS1_11reduce_implILb1ES3_PmS7_m11plus_mod_10ImEEE10hipError_tPvRmT1_T2_T3_mT4_P12ihipStream_tbEUlT_E0_NS1_11comp_targetILNS1_3genE4ELNS1_11target_archE910ELNS1_3gpuE8ELNS1_3repE0EEENS1_30default_config_static_selectorELNS0_4arch9wavefront6targetE1EEEvSD_,"axG",@progbits,_ZN7rocprim17ROCPRIM_400000_NS6detail17trampoline_kernelINS0_14default_configENS1_22reduce_config_selectorImEEZNS1_11reduce_implILb1ES3_PmS7_m11plus_mod_10ImEEE10hipError_tPvRmT1_T2_T3_mT4_P12ihipStream_tbEUlT_E0_NS1_11comp_targetILNS1_3genE4ELNS1_11target_archE910ELNS1_3gpuE8ELNS1_3repE0EEENS1_30default_config_static_selectorELNS0_4arch9wavefront6targetE1EEEvSD_,comdat
.Lfunc_end551:
	.size	_ZN7rocprim17ROCPRIM_400000_NS6detail17trampoline_kernelINS0_14default_configENS1_22reduce_config_selectorImEEZNS1_11reduce_implILb1ES3_PmS7_m11plus_mod_10ImEEE10hipError_tPvRmT1_T2_T3_mT4_P12ihipStream_tbEUlT_E0_NS1_11comp_targetILNS1_3genE4ELNS1_11target_archE910ELNS1_3gpuE8ELNS1_3repE0EEENS1_30default_config_static_selectorELNS0_4arch9wavefront6targetE1EEEvSD_, .Lfunc_end551-_ZN7rocprim17ROCPRIM_400000_NS6detail17trampoline_kernelINS0_14default_configENS1_22reduce_config_selectorImEEZNS1_11reduce_implILb1ES3_PmS7_m11plus_mod_10ImEEE10hipError_tPvRmT1_T2_T3_mT4_P12ihipStream_tbEUlT_E0_NS1_11comp_targetILNS1_3genE4ELNS1_11target_archE910ELNS1_3gpuE8ELNS1_3repE0EEENS1_30default_config_static_selectorELNS0_4arch9wavefront6targetE1EEEvSD_
                                        ; -- End function
	.set _ZN7rocprim17ROCPRIM_400000_NS6detail17trampoline_kernelINS0_14default_configENS1_22reduce_config_selectorImEEZNS1_11reduce_implILb1ES3_PmS7_m11plus_mod_10ImEEE10hipError_tPvRmT1_T2_T3_mT4_P12ihipStream_tbEUlT_E0_NS1_11comp_targetILNS1_3genE4ELNS1_11target_archE910ELNS1_3gpuE8ELNS1_3repE0EEENS1_30default_config_static_selectorELNS0_4arch9wavefront6targetE1EEEvSD_.num_vgpr, 0
	.set _ZN7rocprim17ROCPRIM_400000_NS6detail17trampoline_kernelINS0_14default_configENS1_22reduce_config_selectorImEEZNS1_11reduce_implILb1ES3_PmS7_m11plus_mod_10ImEEE10hipError_tPvRmT1_T2_T3_mT4_P12ihipStream_tbEUlT_E0_NS1_11comp_targetILNS1_3genE4ELNS1_11target_archE910ELNS1_3gpuE8ELNS1_3repE0EEENS1_30default_config_static_selectorELNS0_4arch9wavefront6targetE1EEEvSD_.num_agpr, 0
	.set _ZN7rocprim17ROCPRIM_400000_NS6detail17trampoline_kernelINS0_14default_configENS1_22reduce_config_selectorImEEZNS1_11reduce_implILb1ES3_PmS7_m11plus_mod_10ImEEE10hipError_tPvRmT1_T2_T3_mT4_P12ihipStream_tbEUlT_E0_NS1_11comp_targetILNS1_3genE4ELNS1_11target_archE910ELNS1_3gpuE8ELNS1_3repE0EEENS1_30default_config_static_selectorELNS0_4arch9wavefront6targetE1EEEvSD_.numbered_sgpr, 0
	.set _ZN7rocprim17ROCPRIM_400000_NS6detail17trampoline_kernelINS0_14default_configENS1_22reduce_config_selectorImEEZNS1_11reduce_implILb1ES3_PmS7_m11plus_mod_10ImEEE10hipError_tPvRmT1_T2_T3_mT4_P12ihipStream_tbEUlT_E0_NS1_11comp_targetILNS1_3genE4ELNS1_11target_archE910ELNS1_3gpuE8ELNS1_3repE0EEENS1_30default_config_static_selectorELNS0_4arch9wavefront6targetE1EEEvSD_.num_named_barrier, 0
	.set _ZN7rocprim17ROCPRIM_400000_NS6detail17trampoline_kernelINS0_14default_configENS1_22reduce_config_selectorImEEZNS1_11reduce_implILb1ES3_PmS7_m11plus_mod_10ImEEE10hipError_tPvRmT1_T2_T3_mT4_P12ihipStream_tbEUlT_E0_NS1_11comp_targetILNS1_3genE4ELNS1_11target_archE910ELNS1_3gpuE8ELNS1_3repE0EEENS1_30default_config_static_selectorELNS0_4arch9wavefront6targetE1EEEvSD_.private_seg_size, 0
	.set _ZN7rocprim17ROCPRIM_400000_NS6detail17trampoline_kernelINS0_14default_configENS1_22reduce_config_selectorImEEZNS1_11reduce_implILb1ES3_PmS7_m11plus_mod_10ImEEE10hipError_tPvRmT1_T2_T3_mT4_P12ihipStream_tbEUlT_E0_NS1_11comp_targetILNS1_3genE4ELNS1_11target_archE910ELNS1_3gpuE8ELNS1_3repE0EEENS1_30default_config_static_selectorELNS0_4arch9wavefront6targetE1EEEvSD_.uses_vcc, 0
	.set _ZN7rocprim17ROCPRIM_400000_NS6detail17trampoline_kernelINS0_14default_configENS1_22reduce_config_selectorImEEZNS1_11reduce_implILb1ES3_PmS7_m11plus_mod_10ImEEE10hipError_tPvRmT1_T2_T3_mT4_P12ihipStream_tbEUlT_E0_NS1_11comp_targetILNS1_3genE4ELNS1_11target_archE910ELNS1_3gpuE8ELNS1_3repE0EEENS1_30default_config_static_selectorELNS0_4arch9wavefront6targetE1EEEvSD_.uses_flat_scratch, 0
	.set _ZN7rocprim17ROCPRIM_400000_NS6detail17trampoline_kernelINS0_14default_configENS1_22reduce_config_selectorImEEZNS1_11reduce_implILb1ES3_PmS7_m11plus_mod_10ImEEE10hipError_tPvRmT1_T2_T3_mT4_P12ihipStream_tbEUlT_E0_NS1_11comp_targetILNS1_3genE4ELNS1_11target_archE910ELNS1_3gpuE8ELNS1_3repE0EEENS1_30default_config_static_selectorELNS0_4arch9wavefront6targetE1EEEvSD_.has_dyn_sized_stack, 0
	.set _ZN7rocprim17ROCPRIM_400000_NS6detail17trampoline_kernelINS0_14default_configENS1_22reduce_config_selectorImEEZNS1_11reduce_implILb1ES3_PmS7_m11plus_mod_10ImEEE10hipError_tPvRmT1_T2_T3_mT4_P12ihipStream_tbEUlT_E0_NS1_11comp_targetILNS1_3genE4ELNS1_11target_archE910ELNS1_3gpuE8ELNS1_3repE0EEENS1_30default_config_static_selectorELNS0_4arch9wavefront6targetE1EEEvSD_.has_recursion, 0
	.set _ZN7rocprim17ROCPRIM_400000_NS6detail17trampoline_kernelINS0_14default_configENS1_22reduce_config_selectorImEEZNS1_11reduce_implILb1ES3_PmS7_m11plus_mod_10ImEEE10hipError_tPvRmT1_T2_T3_mT4_P12ihipStream_tbEUlT_E0_NS1_11comp_targetILNS1_3genE4ELNS1_11target_archE910ELNS1_3gpuE8ELNS1_3repE0EEENS1_30default_config_static_selectorELNS0_4arch9wavefront6targetE1EEEvSD_.has_indirect_call, 0
	.section	.AMDGPU.csdata,"",@progbits
; Kernel info:
; codeLenInByte = 0
; TotalNumSgprs: 6
; NumVgprs: 0
; NumAgprs: 0
; TotalNumVgprs: 0
; ScratchSize: 0
; MemoryBound: 0
; FloatMode: 240
; IeeeMode: 1
; LDSByteSize: 0 bytes/workgroup (compile time only)
; SGPRBlocks: 0
; VGPRBlocks: 0
; NumSGPRsForWavesPerEU: 6
; NumVGPRsForWavesPerEU: 1
; AccumOffset: 4
; Occupancy: 8
; WaveLimiterHint : 0
; COMPUTE_PGM_RSRC2:SCRATCH_EN: 0
; COMPUTE_PGM_RSRC2:USER_SGPR: 2
; COMPUTE_PGM_RSRC2:TRAP_HANDLER: 0
; COMPUTE_PGM_RSRC2:TGID_X_EN: 1
; COMPUTE_PGM_RSRC2:TGID_Y_EN: 0
; COMPUTE_PGM_RSRC2:TGID_Z_EN: 0
; COMPUTE_PGM_RSRC2:TIDIG_COMP_CNT: 0
; COMPUTE_PGM_RSRC3_GFX90A:ACCUM_OFFSET: 0
; COMPUTE_PGM_RSRC3_GFX90A:TG_SPLIT: 0
	.section	.text._ZN7rocprim17ROCPRIM_400000_NS6detail17trampoline_kernelINS0_14default_configENS1_22reduce_config_selectorImEEZNS1_11reduce_implILb1ES3_PmS7_m11plus_mod_10ImEEE10hipError_tPvRmT1_T2_T3_mT4_P12ihipStream_tbEUlT_E0_NS1_11comp_targetILNS1_3genE3ELNS1_11target_archE908ELNS1_3gpuE7ELNS1_3repE0EEENS1_30default_config_static_selectorELNS0_4arch9wavefront6targetE1EEEvSD_,"axG",@progbits,_ZN7rocprim17ROCPRIM_400000_NS6detail17trampoline_kernelINS0_14default_configENS1_22reduce_config_selectorImEEZNS1_11reduce_implILb1ES3_PmS7_m11plus_mod_10ImEEE10hipError_tPvRmT1_T2_T3_mT4_P12ihipStream_tbEUlT_E0_NS1_11comp_targetILNS1_3genE3ELNS1_11target_archE908ELNS1_3gpuE7ELNS1_3repE0EEENS1_30default_config_static_selectorELNS0_4arch9wavefront6targetE1EEEvSD_,comdat
	.protected	_ZN7rocprim17ROCPRIM_400000_NS6detail17trampoline_kernelINS0_14default_configENS1_22reduce_config_selectorImEEZNS1_11reduce_implILb1ES3_PmS7_m11plus_mod_10ImEEE10hipError_tPvRmT1_T2_T3_mT4_P12ihipStream_tbEUlT_E0_NS1_11comp_targetILNS1_3genE3ELNS1_11target_archE908ELNS1_3gpuE7ELNS1_3repE0EEENS1_30default_config_static_selectorELNS0_4arch9wavefront6targetE1EEEvSD_ ; -- Begin function _ZN7rocprim17ROCPRIM_400000_NS6detail17trampoline_kernelINS0_14default_configENS1_22reduce_config_selectorImEEZNS1_11reduce_implILb1ES3_PmS7_m11plus_mod_10ImEEE10hipError_tPvRmT1_T2_T3_mT4_P12ihipStream_tbEUlT_E0_NS1_11comp_targetILNS1_3genE3ELNS1_11target_archE908ELNS1_3gpuE7ELNS1_3repE0EEENS1_30default_config_static_selectorELNS0_4arch9wavefront6targetE1EEEvSD_
	.globl	_ZN7rocprim17ROCPRIM_400000_NS6detail17trampoline_kernelINS0_14default_configENS1_22reduce_config_selectorImEEZNS1_11reduce_implILb1ES3_PmS7_m11plus_mod_10ImEEE10hipError_tPvRmT1_T2_T3_mT4_P12ihipStream_tbEUlT_E0_NS1_11comp_targetILNS1_3genE3ELNS1_11target_archE908ELNS1_3gpuE7ELNS1_3repE0EEENS1_30default_config_static_selectorELNS0_4arch9wavefront6targetE1EEEvSD_
	.p2align	8
	.type	_ZN7rocprim17ROCPRIM_400000_NS6detail17trampoline_kernelINS0_14default_configENS1_22reduce_config_selectorImEEZNS1_11reduce_implILb1ES3_PmS7_m11plus_mod_10ImEEE10hipError_tPvRmT1_T2_T3_mT4_P12ihipStream_tbEUlT_E0_NS1_11comp_targetILNS1_3genE3ELNS1_11target_archE908ELNS1_3gpuE7ELNS1_3repE0EEENS1_30default_config_static_selectorELNS0_4arch9wavefront6targetE1EEEvSD_,@function
_ZN7rocprim17ROCPRIM_400000_NS6detail17trampoline_kernelINS0_14default_configENS1_22reduce_config_selectorImEEZNS1_11reduce_implILb1ES3_PmS7_m11plus_mod_10ImEEE10hipError_tPvRmT1_T2_T3_mT4_P12ihipStream_tbEUlT_E0_NS1_11comp_targetILNS1_3genE3ELNS1_11target_archE908ELNS1_3gpuE7ELNS1_3repE0EEENS1_30default_config_static_selectorELNS0_4arch9wavefront6targetE1EEEvSD_: ; @_ZN7rocprim17ROCPRIM_400000_NS6detail17trampoline_kernelINS0_14default_configENS1_22reduce_config_selectorImEEZNS1_11reduce_implILb1ES3_PmS7_m11plus_mod_10ImEEE10hipError_tPvRmT1_T2_T3_mT4_P12ihipStream_tbEUlT_E0_NS1_11comp_targetILNS1_3genE3ELNS1_11target_archE908ELNS1_3gpuE7ELNS1_3repE0EEENS1_30default_config_static_selectorELNS0_4arch9wavefront6targetE1EEEvSD_
; %bb.0:
	.section	.rodata,"a",@progbits
	.p2align	6, 0x0
	.amdhsa_kernel _ZN7rocprim17ROCPRIM_400000_NS6detail17trampoline_kernelINS0_14default_configENS1_22reduce_config_selectorImEEZNS1_11reduce_implILb1ES3_PmS7_m11plus_mod_10ImEEE10hipError_tPvRmT1_T2_T3_mT4_P12ihipStream_tbEUlT_E0_NS1_11comp_targetILNS1_3genE3ELNS1_11target_archE908ELNS1_3gpuE7ELNS1_3repE0EEENS1_30default_config_static_selectorELNS0_4arch9wavefront6targetE1EEEvSD_
		.amdhsa_group_segment_fixed_size 0
		.amdhsa_private_segment_fixed_size 0
		.amdhsa_kernarg_size 64
		.amdhsa_user_sgpr_count 2
		.amdhsa_user_sgpr_dispatch_ptr 0
		.amdhsa_user_sgpr_queue_ptr 0
		.amdhsa_user_sgpr_kernarg_segment_ptr 1
		.amdhsa_user_sgpr_dispatch_id 0
		.amdhsa_user_sgpr_kernarg_preload_length 0
		.amdhsa_user_sgpr_kernarg_preload_offset 0
		.amdhsa_user_sgpr_private_segment_size 0
		.amdhsa_uses_dynamic_stack 0
		.amdhsa_enable_private_segment 0
		.amdhsa_system_sgpr_workgroup_id_x 1
		.amdhsa_system_sgpr_workgroup_id_y 0
		.amdhsa_system_sgpr_workgroup_id_z 0
		.amdhsa_system_sgpr_workgroup_info 0
		.amdhsa_system_vgpr_workitem_id 0
		.amdhsa_next_free_vgpr 1
		.amdhsa_next_free_sgpr 0
		.amdhsa_accum_offset 4
		.amdhsa_reserve_vcc 0
		.amdhsa_float_round_mode_32 0
		.amdhsa_float_round_mode_16_64 0
		.amdhsa_float_denorm_mode_32 3
		.amdhsa_float_denorm_mode_16_64 3
		.amdhsa_dx10_clamp 1
		.amdhsa_ieee_mode 1
		.amdhsa_fp16_overflow 0
		.amdhsa_tg_split 0
		.amdhsa_exception_fp_ieee_invalid_op 0
		.amdhsa_exception_fp_denorm_src 0
		.amdhsa_exception_fp_ieee_div_zero 0
		.amdhsa_exception_fp_ieee_overflow 0
		.amdhsa_exception_fp_ieee_underflow 0
		.amdhsa_exception_fp_ieee_inexact 0
		.amdhsa_exception_int_div_zero 0
	.end_amdhsa_kernel
	.section	.text._ZN7rocprim17ROCPRIM_400000_NS6detail17trampoline_kernelINS0_14default_configENS1_22reduce_config_selectorImEEZNS1_11reduce_implILb1ES3_PmS7_m11plus_mod_10ImEEE10hipError_tPvRmT1_T2_T3_mT4_P12ihipStream_tbEUlT_E0_NS1_11comp_targetILNS1_3genE3ELNS1_11target_archE908ELNS1_3gpuE7ELNS1_3repE0EEENS1_30default_config_static_selectorELNS0_4arch9wavefront6targetE1EEEvSD_,"axG",@progbits,_ZN7rocprim17ROCPRIM_400000_NS6detail17trampoline_kernelINS0_14default_configENS1_22reduce_config_selectorImEEZNS1_11reduce_implILb1ES3_PmS7_m11plus_mod_10ImEEE10hipError_tPvRmT1_T2_T3_mT4_P12ihipStream_tbEUlT_E0_NS1_11comp_targetILNS1_3genE3ELNS1_11target_archE908ELNS1_3gpuE7ELNS1_3repE0EEENS1_30default_config_static_selectorELNS0_4arch9wavefront6targetE1EEEvSD_,comdat
.Lfunc_end552:
	.size	_ZN7rocprim17ROCPRIM_400000_NS6detail17trampoline_kernelINS0_14default_configENS1_22reduce_config_selectorImEEZNS1_11reduce_implILb1ES3_PmS7_m11plus_mod_10ImEEE10hipError_tPvRmT1_T2_T3_mT4_P12ihipStream_tbEUlT_E0_NS1_11comp_targetILNS1_3genE3ELNS1_11target_archE908ELNS1_3gpuE7ELNS1_3repE0EEENS1_30default_config_static_selectorELNS0_4arch9wavefront6targetE1EEEvSD_, .Lfunc_end552-_ZN7rocprim17ROCPRIM_400000_NS6detail17trampoline_kernelINS0_14default_configENS1_22reduce_config_selectorImEEZNS1_11reduce_implILb1ES3_PmS7_m11plus_mod_10ImEEE10hipError_tPvRmT1_T2_T3_mT4_P12ihipStream_tbEUlT_E0_NS1_11comp_targetILNS1_3genE3ELNS1_11target_archE908ELNS1_3gpuE7ELNS1_3repE0EEENS1_30default_config_static_selectorELNS0_4arch9wavefront6targetE1EEEvSD_
                                        ; -- End function
	.set _ZN7rocprim17ROCPRIM_400000_NS6detail17trampoline_kernelINS0_14default_configENS1_22reduce_config_selectorImEEZNS1_11reduce_implILb1ES3_PmS7_m11plus_mod_10ImEEE10hipError_tPvRmT1_T2_T3_mT4_P12ihipStream_tbEUlT_E0_NS1_11comp_targetILNS1_3genE3ELNS1_11target_archE908ELNS1_3gpuE7ELNS1_3repE0EEENS1_30default_config_static_selectorELNS0_4arch9wavefront6targetE1EEEvSD_.num_vgpr, 0
	.set _ZN7rocprim17ROCPRIM_400000_NS6detail17trampoline_kernelINS0_14default_configENS1_22reduce_config_selectorImEEZNS1_11reduce_implILb1ES3_PmS7_m11plus_mod_10ImEEE10hipError_tPvRmT1_T2_T3_mT4_P12ihipStream_tbEUlT_E0_NS1_11comp_targetILNS1_3genE3ELNS1_11target_archE908ELNS1_3gpuE7ELNS1_3repE0EEENS1_30default_config_static_selectorELNS0_4arch9wavefront6targetE1EEEvSD_.num_agpr, 0
	.set _ZN7rocprim17ROCPRIM_400000_NS6detail17trampoline_kernelINS0_14default_configENS1_22reduce_config_selectorImEEZNS1_11reduce_implILb1ES3_PmS7_m11plus_mod_10ImEEE10hipError_tPvRmT1_T2_T3_mT4_P12ihipStream_tbEUlT_E0_NS1_11comp_targetILNS1_3genE3ELNS1_11target_archE908ELNS1_3gpuE7ELNS1_3repE0EEENS1_30default_config_static_selectorELNS0_4arch9wavefront6targetE1EEEvSD_.numbered_sgpr, 0
	.set _ZN7rocprim17ROCPRIM_400000_NS6detail17trampoline_kernelINS0_14default_configENS1_22reduce_config_selectorImEEZNS1_11reduce_implILb1ES3_PmS7_m11plus_mod_10ImEEE10hipError_tPvRmT1_T2_T3_mT4_P12ihipStream_tbEUlT_E0_NS1_11comp_targetILNS1_3genE3ELNS1_11target_archE908ELNS1_3gpuE7ELNS1_3repE0EEENS1_30default_config_static_selectorELNS0_4arch9wavefront6targetE1EEEvSD_.num_named_barrier, 0
	.set _ZN7rocprim17ROCPRIM_400000_NS6detail17trampoline_kernelINS0_14default_configENS1_22reduce_config_selectorImEEZNS1_11reduce_implILb1ES3_PmS7_m11plus_mod_10ImEEE10hipError_tPvRmT1_T2_T3_mT4_P12ihipStream_tbEUlT_E0_NS1_11comp_targetILNS1_3genE3ELNS1_11target_archE908ELNS1_3gpuE7ELNS1_3repE0EEENS1_30default_config_static_selectorELNS0_4arch9wavefront6targetE1EEEvSD_.private_seg_size, 0
	.set _ZN7rocprim17ROCPRIM_400000_NS6detail17trampoline_kernelINS0_14default_configENS1_22reduce_config_selectorImEEZNS1_11reduce_implILb1ES3_PmS7_m11plus_mod_10ImEEE10hipError_tPvRmT1_T2_T3_mT4_P12ihipStream_tbEUlT_E0_NS1_11comp_targetILNS1_3genE3ELNS1_11target_archE908ELNS1_3gpuE7ELNS1_3repE0EEENS1_30default_config_static_selectorELNS0_4arch9wavefront6targetE1EEEvSD_.uses_vcc, 0
	.set _ZN7rocprim17ROCPRIM_400000_NS6detail17trampoline_kernelINS0_14default_configENS1_22reduce_config_selectorImEEZNS1_11reduce_implILb1ES3_PmS7_m11plus_mod_10ImEEE10hipError_tPvRmT1_T2_T3_mT4_P12ihipStream_tbEUlT_E0_NS1_11comp_targetILNS1_3genE3ELNS1_11target_archE908ELNS1_3gpuE7ELNS1_3repE0EEENS1_30default_config_static_selectorELNS0_4arch9wavefront6targetE1EEEvSD_.uses_flat_scratch, 0
	.set _ZN7rocprim17ROCPRIM_400000_NS6detail17trampoline_kernelINS0_14default_configENS1_22reduce_config_selectorImEEZNS1_11reduce_implILb1ES3_PmS7_m11plus_mod_10ImEEE10hipError_tPvRmT1_T2_T3_mT4_P12ihipStream_tbEUlT_E0_NS1_11comp_targetILNS1_3genE3ELNS1_11target_archE908ELNS1_3gpuE7ELNS1_3repE0EEENS1_30default_config_static_selectorELNS0_4arch9wavefront6targetE1EEEvSD_.has_dyn_sized_stack, 0
	.set _ZN7rocprim17ROCPRIM_400000_NS6detail17trampoline_kernelINS0_14default_configENS1_22reduce_config_selectorImEEZNS1_11reduce_implILb1ES3_PmS7_m11plus_mod_10ImEEE10hipError_tPvRmT1_T2_T3_mT4_P12ihipStream_tbEUlT_E0_NS1_11comp_targetILNS1_3genE3ELNS1_11target_archE908ELNS1_3gpuE7ELNS1_3repE0EEENS1_30default_config_static_selectorELNS0_4arch9wavefront6targetE1EEEvSD_.has_recursion, 0
	.set _ZN7rocprim17ROCPRIM_400000_NS6detail17trampoline_kernelINS0_14default_configENS1_22reduce_config_selectorImEEZNS1_11reduce_implILb1ES3_PmS7_m11plus_mod_10ImEEE10hipError_tPvRmT1_T2_T3_mT4_P12ihipStream_tbEUlT_E0_NS1_11comp_targetILNS1_3genE3ELNS1_11target_archE908ELNS1_3gpuE7ELNS1_3repE0EEENS1_30default_config_static_selectorELNS0_4arch9wavefront6targetE1EEEvSD_.has_indirect_call, 0
	.section	.AMDGPU.csdata,"",@progbits
; Kernel info:
; codeLenInByte = 0
; TotalNumSgprs: 6
; NumVgprs: 0
; NumAgprs: 0
; TotalNumVgprs: 0
; ScratchSize: 0
; MemoryBound: 0
; FloatMode: 240
; IeeeMode: 1
; LDSByteSize: 0 bytes/workgroup (compile time only)
; SGPRBlocks: 0
; VGPRBlocks: 0
; NumSGPRsForWavesPerEU: 6
; NumVGPRsForWavesPerEU: 1
; AccumOffset: 4
; Occupancy: 8
; WaveLimiterHint : 0
; COMPUTE_PGM_RSRC2:SCRATCH_EN: 0
; COMPUTE_PGM_RSRC2:USER_SGPR: 2
; COMPUTE_PGM_RSRC2:TRAP_HANDLER: 0
; COMPUTE_PGM_RSRC2:TGID_X_EN: 1
; COMPUTE_PGM_RSRC2:TGID_Y_EN: 0
; COMPUTE_PGM_RSRC2:TGID_Z_EN: 0
; COMPUTE_PGM_RSRC2:TIDIG_COMP_CNT: 0
; COMPUTE_PGM_RSRC3_GFX90A:ACCUM_OFFSET: 0
; COMPUTE_PGM_RSRC3_GFX90A:TG_SPLIT: 0
	.section	.text._ZN7rocprim17ROCPRIM_400000_NS6detail17trampoline_kernelINS0_14default_configENS1_22reduce_config_selectorImEEZNS1_11reduce_implILb1ES3_PmS7_m11plus_mod_10ImEEE10hipError_tPvRmT1_T2_T3_mT4_P12ihipStream_tbEUlT_E0_NS1_11comp_targetILNS1_3genE2ELNS1_11target_archE906ELNS1_3gpuE6ELNS1_3repE0EEENS1_30default_config_static_selectorELNS0_4arch9wavefront6targetE1EEEvSD_,"axG",@progbits,_ZN7rocprim17ROCPRIM_400000_NS6detail17trampoline_kernelINS0_14default_configENS1_22reduce_config_selectorImEEZNS1_11reduce_implILb1ES3_PmS7_m11plus_mod_10ImEEE10hipError_tPvRmT1_T2_T3_mT4_P12ihipStream_tbEUlT_E0_NS1_11comp_targetILNS1_3genE2ELNS1_11target_archE906ELNS1_3gpuE6ELNS1_3repE0EEENS1_30default_config_static_selectorELNS0_4arch9wavefront6targetE1EEEvSD_,comdat
	.protected	_ZN7rocprim17ROCPRIM_400000_NS6detail17trampoline_kernelINS0_14default_configENS1_22reduce_config_selectorImEEZNS1_11reduce_implILb1ES3_PmS7_m11plus_mod_10ImEEE10hipError_tPvRmT1_T2_T3_mT4_P12ihipStream_tbEUlT_E0_NS1_11comp_targetILNS1_3genE2ELNS1_11target_archE906ELNS1_3gpuE6ELNS1_3repE0EEENS1_30default_config_static_selectorELNS0_4arch9wavefront6targetE1EEEvSD_ ; -- Begin function _ZN7rocprim17ROCPRIM_400000_NS6detail17trampoline_kernelINS0_14default_configENS1_22reduce_config_selectorImEEZNS1_11reduce_implILb1ES3_PmS7_m11plus_mod_10ImEEE10hipError_tPvRmT1_T2_T3_mT4_P12ihipStream_tbEUlT_E0_NS1_11comp_targetILNS1_3genE2ELNS1_11target_archE906ELNS1_3gpuE6ELNS1_3repE0EEENS1_30default_config_static_selectorELNS0_4arch9wavefront6targetE1EEEvSD_
	.globl	_ZN7rocprim17ROCPRIM_400000_NS6detail17trampoline_kernelINS0_14default_configENS1_22reduce_config_selectorImEEZNS1_11reduce_implILb1ES3_PmS7_m11plus_mod_10ImEEE10hipError_tPvRmT1_T2_T3_mT4_P12ihipStream_tbEUlT_E0_NS1_11comp_targetILNS1_3genE2ELNS1_11target_archE906ELNS1_3gpuE6ELNS1_3repE0EEENS1_30default_config_static_selectorELNS0_4arch9wavefront6targetE1EEEvSD_
	.p2align	8
	.type	_ZN7rocprim17ROCPRIM_400000_NS6detail17trampoline_kernelINS0_14default_configENS1_22reduce_config_selectorImEEZNS1_11reduce_implILb1ES3_PmS7_m11plus_mod_10ImEEE10hipError_tPvRmT1_T2_T3_mT4_P12ihipStream_tbEUlT_E0_NS1_11comp_targetILNS1_3genE2ELNS1_11target_archE906ELNS1_3gpuE6ELNS1_3repE0EEENS1_30default_config_static_selectorELNS0_4arch9wavefront6targetE1EEEvSD_,@function
_ZN7rocprim17ROCPRIM_400000_NS6detail17trampoline_kernelINS0_14default_configENS1_22reduce_config_selectorImEEZNS1_11reduce_implILb1ES3_PmS7_m11plus_mod_10ImEEE10hipError_tPvRmT1_T2_T3_mT4_P12ihipStream_tbEUlT_E0_NS1_11comp_targetILNS1_3genE2ELNS1_11target_archE906ELNS1_3gpuE6ELNS1_3repE0EEENS1_30default_config_static_selectorELNS0_4arch9wavefront6targetE1EEEvSD_: ; @_ZN7rocprim17ROCPRIM_400000_NS6detail17trampoline_kernelINS0_14default_configENS1_22reduce_config_selectorImEEZNS1_11reduce_implILb1ES3_PmS7_m11plus_mod_10ImEEE10hipError_tPvRmT1_T2_T3_mT4_P12ihipStream_tbEUlT_E0_NS1_11comp_targetILNS1_3genE2ELNS1_11target_archE906ELNS1_3gpuE6ELNS1_3repE0EEENS1_30default_config_static_selectorELNS0_4arch9wavefront6targetE1EEEvSD_
; %bb.0:
	.section	.rodata,"a",@progbits
	.p2align	6, 0x0
	.amdhsa_kernel _ZN7rocprim17ROCPRIM_400000_NS6detail17trampoline_kernelINS0_14default_configENS1_22reduce_config_selectorImEEZNS1_11reduce_implILb1ES3_PmS7_m11plus_mod_10ImEEE10hipError_tPvRmT1_T2_T3_mT4_P12ihipStream_tbEUlT_E0_NS1_11comp_targetILNS1_3genE2ELNS1_11target_archE906ELNS1_3gpuE6ELNS1_3repE0EEENS1_30default_config_static_selectorELNS0_4arch9wavefront6targetE1EEEvSD_
		.amdhsa_group_segment_fixed_size 0
		.amdhsa_private_segment_fixed_size 0
		.amdhsa_kernarg_size 64
		.amdhsa_user_sgpr_count 2
		.amdhsa_user_sgpr_dispatch_ptr 0
		.amdhsa_user_sgpr_queue_ptr 0
		.amdhsa_user_sgpr_kernarg_segment_ptr 1
		.amdhsa_user_sgpr_dispatch_id 0
		.amdhsa_user_sgpr_kernarg_preload_length 0
		.amdhsa_user_sgpr_kernarg_preload_offset 0
		.amdhsa_user_sgpr_private_segment_size 0
		.amdhsa_uses_dynamic_stack 0
		.amdhsa_enable_private_segment 0
		.amdhsa_system_sgpr_workgroup_id_x 1
		.amdhsa_system_sgpr_workgroup_id_y 0
		.amdhsa_system_sgpr_workgroup_id_z 0
		.amdhsa_system_sgpr_workgroup_info 0
		.amdhsa_system_vgpr_workitem_id 0
		.amdhsa_next_free_vgpr 1
		.amdhsa_next_free_sgpr 0
		.amdhsa_accum_offset 4
		.amdhsa_reserve_vcc 0
		.amdhsa_float_round_mode_32 0
		.amdhsa_float_round_mode_16_64 0
		.amdhsa_float_denorm_mode_32 3
		.amdhsa_float_denorm_mode_16_64 3
		.amdhsa_dx10_clamp 1
		.amdhsa_ieee_mode 1
		.amdhsa_fp16_overflow 0
		.amdhsa_tg_split 0
		.amdhsa_exception_fp_ieee_invalid_op 0
		.amdhsa_exception_fp_denorm_src 0
		.amdhsa_exception_fp_ieee_div_zero 0
		.amdhsa_exception_fp_ieee_overflow 0
		.amdhsa_exception_fp_ieee_underflow 0
		.amdhsa_exception_fp_ieee_inexact 0
		.amdhsa_exception_int_div_zero 0
	.end_amdhsa_kernel
	.section	.text._ZN7rocprim17ROCPRIM_400000_NS6detail17trampoline_kernelINS0_14default_configENS1_22reduce_config_selectorImEEZNS1_11reduce_implILb1ES3_PmS7_m11plus_mod_10ImEEE10hipError_tPvRmT1_T2_T3_mT4_P12ihipStream_tbEUlT_E0_NS1_11comp_targetILNS1_3genE2ELNS1_11target_archE906ELNS1_3gpuE6ELNS1_3repE0EEENS1_30default_config_static_selectorELNS0_4arch9wavefront6targetE1EEEvSD_,"axG",@progbits,_ZN7rocprim17ROCPRIM_400000_NS6detail17trampoline_kernelINS0_14default_configENS1_22reduce_config_selectorImEEZNS1_11reduce_implILb1ES3_PmS7_m11plus_mod_10ImEEE10hipError_tPvRmT1_T2_T3_mT4_P12ihipStream_tbEUlT_E0_NS1_11comp_targetILNS1_3genE2ELNS1_11target_archE906ELNS1_3gpuE6ELNS1_3repE0EEENS1_30default_config_static_selectorELNS0_4arch9wavefront6targetE1EEEvSD_,comdat
.Lfunc_end553:
	.size	_ZN7rocprim17ROCPRIM_400000_NS6detail17trampoline_kernelINS0_14default_configENS1_22reduce_config_selectorImEEZNS1_11reduce_implILb1ES3_PmS7_m11plus_mod_10ImEEE10hipError_tPvRmT1_T2_T3_mT4_P12ihipStream_tbEUlT_E0_NS1_11comp_targetILNS1_3genE2ELNS1_11target_archE906ELNS1_3gpuE6ELNS1_3repE0EEENS1_30default_config_static_selectorELNS0_4arch9wavefront6targetE1EEEvSD_, .Lfunc_end553-_ZN7rocprim17ROCPRIM_400000_NS6detail17trampoline_kernelINS0_14default_configENS1_22reduce_config_selectorImEEZNS1_11reduce_implILb1ES3_PmS7_m11plus_mod_10ImEEE10hipError_tPvRmT1_T2_T3_mT4_P12ihipStream_tbEUlT_E0_NS1_11comp_targetILNS1_3genE2ELNS1_11target_archE906ELNS1_3gpuE6ELNS1_3repE0EEENS1_30default_config_static_selectorELNS0_4arch9wavefront6targetE1EEEvSD_
                                        ; -- End function
	.set _ZN7rocprim17ROCPRIM_400000_NS6detail17trampoline_kernelINS0_14default_configENS1_22reduce_config_selectorImEEZNS1_11reduce_implILb1ES3_PmS7_m11plus_mod_10ImEEE10hipError_tPvRmT1_T2_T3_mT4_P12ihipStream_tbEUlT_E0_NS1_11comp_targetILNS1_3genE2ELNS1_11target_archE906ELNS1_3gpuE6ELNS1_3repE0EEENS1_30default_config_static_selectorELNS0_4arch9wavefront6targetE1EEEvSD_.num_vgpr, 0
	.set _ZN7rocprim17ROCPRIM_400000_NS6detail17trampoline_kernelINS0_14default_configENS1_22reduce_config_selectorImEEZNS1_11reduce_implILb1ES3_PmS7_m11plus_mod_10ImEEE10hipError_tPvRmT1_T2_T3_mT4_P12ihipStream_tbEUlT_E0_NS1_11comp_targetILNS1_3genE2ELNS1_11target_archE906ELNS1_3gpuE6ELNS1_3repE0EEENS1_30default_config_static_selectorELNS0_4arch9wavefront6targetE1EEEvSD_.num_agpr, 0
	.set _ZN7rocprim17ROCPRIM_400000_NS6detail17trampoline_kernelINS0_14default_configENS1_22reduce_config_selectorImEEZNS1_11reduce_implILb1ES3_PmS7_m11plus_mod_10ImEEE10hipError_tPvRmT1_T2_T3_mT4_P12ihipStream_tbEUlT_E0_NS1_11comp_targetILNS1_3genE2ELNS1_11target_archE906ELNS1_3gpuE6ELNS1_3repE0EEENS1_30default_config_static_selectorELNS0_4arch9wavefront6targetE1EEEvSD_.numbered_sgpr, 0
	.set _ZN7rocprim17ROCPRIM_400000_NS6detail17trampoline_kernelINS0_14default_configENS1_22reduce_config_selectorImEEZNS1_11reduce_implILb1ES3_PmS7_m11plus_mod_10ImEEE10hipError_tPvRmT1_T2_T3_mT4_P12ihipStream_tbEUlT_E0_NS1_11comp_targetILNS1_3genE2ELNS1_11target_archE906ELNS1_3gpuE6ELNS1_3repE0EEENS1_30default_config_static_selectorELNS0_4arch9wavefront6targetE1EEEvSD_.num_named_barrier, 0
	.set _ZN7rocprim17ROCPRIM_400000_NS6detail17trampoline_kernelINS0_14default_configENS1_22reduce_config_selectorImEEZNS1_11reduce_implILb1ES3_PmS7_m11plus_mod_10ImEEE10hipError_tPvRmT1_T2_T3_mT4_P12ihipStream_tbEUlT_E0_NS1_11comp_targetILNS1_3genE2ELNS1_11target_archE906ELNS1_3gpuE6ELNS1_3repE0EEENS1_30default_config_static_selectorELNS0_4arch9wavefront6targetE1EEEvSD_.private_seg_size, 0
	.set _ZN7rocprim17ROCPRIM_400000_NS6detail17trampoline_kernelINS0_14default_configENS1_22reduce_config_selectorImEEZNS1_11reduce_implILb1ES3_PmS7_m11plus_mod_10ImEEE10hipError_tPvRmT1_T2_T3_mT4_P12ihipStream_tbEUlT_E0_NS1_11comp_targetILNS1_3genE2ELNS1_11target_archE906ELNS1_3gpuE6ELNS1_3repE0EEENS1_30default_config_static_selectorELNS0_4arch9wavefront6targetE1EEEvSD_.uses_vcc, 0
	.set _ZN7rocprim17ROCPRIM_400000_NS6detail17trampoline_kernelINS0_14default_configENS1_22reduce_config_selectorImEEZNS1_11reduce_implILb1ES3_PmS7_m11plus_mod_10ImEEE10hipError_tPvRmT1_T2_T3_mT4_P12ihipStream_tbEUlT_E0_NS1_11comp_targetILNS1_3genE2ELNS1_11target_archE906ELNS1_3gpuE6ELNS1_3repE0EEENS1_30default_config_static_selectorELNS0_4arch9wavefront6targetE1EEEvSD_.uses_flat_scratch, 0
	.set _ZN7rocprim17ROCPRIM_400000_NS6detail17trampoline_kernelINS0_14default_configENS1_22reduce_config_selectorImEEZNS1_11reduce_implILb1ES3_PmS7_m11plus_mod_10ImEEE10hipError_tPvRmT1_T2_T3_mT4_P12ihipStream_tbEUlT_E0_NS1_11comp_targetILNS1_3genE2ELNS1_11target_archE906ELNS1_3gpuE6ELNS1_3repE0EEENS1_30default_config_static_selectorELNS0_4arch9wavefront6targetE1EEEvSD_.has_dyn_sized_stack, 0
	.set _ZN7rocprim17ROCPRIM_400000_NS6detail17trampoline_kernelINS0_14default_configENS1_22reduce_config_selectorImEEZNS1_11reduce_implILb1ES3_PmS7_m11plus_mod_10ImEEE10hipError_tPvRmT1_T2_T3_mT4_P12ihipStream_tbEUlT_E0_NS1_11comp_targetILNS1_3genE2ELNS1_11target_archE906ELNS1_3gpuE6ELNS1_3repE0EEENS1_30default_config_static_selectorELNS0_4arch9wavefront6targetE1EEEvSD_.has_recursion, 0
	.set _ZN7rocprim17ROCPRIM_400000_NS6detail17trampoline_kernelINS0_14default_configENS1_22reduce_config_selectorImEEZNS1_11reduce_implILb1ES3_PmS7_m11plus_mod_10ImEEE10hipError_tPvRmT1_T2_T3_mT4_P12ihipStream_tbEUlT_E0_NS1_11comp_targetILNS1_3genE2ELNS1_11target_archE906ELNS1_3gpuE6ELNS1_3repE0EEENS1_30default_config_static_selectorELNS0_4arch9wavefront6targetE1EEEvSD_.has_indirect_call, 0
	.section	.AMDGPU.csdata,"",@progbits
; Kernel info:
; codeLenInByte = 0
; TotalNumSgprs: 6
; NumVgprs: 0
; NumAgprs: 0
; TotalNumVgprs: 0
; ScratchSize: 0
; MemoryBound: 0
; FloatMode: 240
; IeeeMode: 1
; LDSByteSize: 0 bytes/workgroup (compile time only)
; SGPRBlocks: 0
; VGPRBlocks: 0
; NumSGPRsForWavesPerEU: 6
; NumVGPRsForWavesPerEU: 1
; AccumOffset: 4
; Occupancy: 8
; WaveLimiterHint : 0
; COMPUTE_PGM_RSRC2:SCRATCH_EN: 0
; COMPUTE_PGM_RSRC2:USER_SGPR: 2
; COMPUTE_PGM_RSRC2:TRAP_HANDLER: 0
; COMPUTE_PGM_RSRC2:TGID_X_EN: 1
; COMPUTE_PGM_RSRC2:TGID_Y_EN: 0
; COMPUTE_PGM_RSRC2:TGID_Z_EN: 0
; COMPUTE_PGM_RSRC2:TIDIG_COMP_CNT: 0
; COMPUTE_PGM_RSRC3_GFX90A:ACCUM_OFFSET: 0
; COMPUTE_PGM_RSRC3_GFX90A:TG_SPLIT: 0
	.section	.text._ZN7rocprim17ROCPRIM_400000_NS6detail17trampoline_kernelINS0_14default_configENS1_22reduce_config_selectorImEEZNS1_11reduce_implILb1ES3_PmS7_m11plus_mod_10ImEEE10hipError_tPvRmT1_T2_T3_mT4_P12ihipStream_tbEUlT_E0_NS1_11comp_targetILNS1_3genE10ELNS1_11target_archE1201ELNS1_3gpuE5ELNS1_3repE0EEENS1_30default_config_static_selectorELNS0_4arch9wavefront6targetE1EEEvSD_,"axG",@progbits,_ZN7rocprim17ROCPRIM_400000_NS6detail17trampoline_kernelINS0_14default_configENS1_22reduce_config_selectorImEEZNS1_11reduce_implILb1ES3_PmS7_m11plus_mod_10ImEEE10hipError_tPvRmT1_T2_T3_mT4_P12ihipStream_tbEUlT_E0_NS1_11comp_targetILNS1_3genE10ELNS1_11target_archE1201ELNS1_3gpuE5ELNS1_3repE0EEENS1_30default_config_static_selectorELNS0_4arch9wavefront6targetE1EEEvSD_,comdat
	.protected	_ZN7rocprim17ROCPRIM_400000_NS6detail17trampoline_kernelINS0_14default_configENS1_22reduce_config_selectorImEEZNS1_11reduce_implILb1ES3_PmS7_m11plus_mod_10ImEEE10hipError_tPvRmT1_T2_T3_mT4_P12ihipStream_tbEUlT_E0_NS1_11comp_targetILNS1_3genE10ELNS1_11target_archE1201ELNS1_3gpuE5ELNS1_3repE0EEENS1_30default_config_static_selectorELNS0_4arch9wavefront6targetE1EEEvSD_ ; -- Begin function _ZN7rocprim17ROCPRIM_400000_NS6detail17trampoline_kernelINS0_14default_configENS1_22reduce_config_selectorImEEZNS1_11reduce_implILb1ES3_PmS7_m11plus_mod_10ImEEE10hipError_tPvRmT1_T2_T3_mT4_P12ihipStream_tbEUlT_E0_NS1_11comp_targetILNS1_3genE10ELNS1_11target_archE1201ELNS1_3gpuE5ELNS1_3repE0EEENS1_30default_config_static_selectorELNS0_4arch9wavefront6targetE1EEEvSD_
	.globl	_ZN7rocprim17ROCPRIM_400000_NS6detail17trampoline_kernelINS0_14default_configENS1_22reduce_config_selectorImEEZNS1_11reduce_implILb1ES3_PmS7_m11plus_mod_10ImEEE10hipError_tPvRmT1_T2_T3_mT4_P12ihipStream_tbEUlT_E0_NS1_11comp_targetILNS1_3genE10ELNS1_11target_archE1201ELNS1_3gpuE5ELNS1_3repE0EEENS1_30default_config_static_selectorELNS0_4arch9wavefront6targetE1EEEvSD_
	.p2align	8
	.type	_ZN7rocprim17ROCPRIM_400000_NS6detail17trampoline_kernelINS0_14default_configENS1_22reduce_config_selectorImEEZNS1_11reduce_implILb1ES3_PmS7_m11plus_mod_10ImEEE10hipError_tPvRmT1_T2_T3_mT4_P12ihipStream_tbEUlT_E0_NS1_11comp_targetILNS1_3genE10ELNS1_11target_archE1201ELNS1_3gpuE5ELNS1_3repE0EEENS1_30default_config_static_selectorELNS0_4arch9wavefront6targetE1EEEvSD_,@function
_ZN7rocprim17ROCPRIM_400000_NS6detail17trampoline_kernelINS0_14default_configENS1_22reduce_config_selectorImEEZNS1_11reduce_implILb1ES3_PmS7_m11plus_mod_10ImEEE10hipError_tPvRmT1_T2_T3_mT4_P12ihipStream_tbEUlT_E0_NS1_11comp_targetILNS1_3genE10ELNS1_11target_archE1201ELNS1_3gpuE5ELNS1_3repE0EEENS1_30default_config_static_selectorELNS0_4arch9wavefront6targetE1EEEvSD_: ; @_ZN7rocprim17ROCPRIM_400000_NS6detail17trampoline_kernelINS0_14default_configENS1_22reduce_config_selectorImEEZNS1_11reduce_implILb1ES3_PmS7_m11plus_mod_10ImEEE10hipError_tPvRmT1_T2_T3_mT4_P12ihipStream_tbEUlT_E0_NS1_11comp_targetILNS1_3genE10ELNS1_11target_archE1201ELNS1_3gpuE5ELNS1_3repE0EEENS1_30default_config_static_selectorELNS0_4arch9wavefront6targetE1EEEvSD_
; %bb.0:
	.section	.rodata,"a",@progbits
	.p2align	6, 0x0
	.amdhsa_kernel _ZN7rocprim17ROCPRIM_400000_NS6detail17trampoline_kernelINS0_14default_configENS1_22reduce_config_selectorImEEZNS1_11reduce_implILb1ES3_PmS7_m11plus_mod_10ImEEE10hipError_tPvRmT1_T2_T3_mT4_P12ihipStream_tbEUlT_E0_NS1_11comp_targetILNS1_3genE10ELNS1_11target_archE1201ELNS1_3gpuE5ELNS1_3repE0EEENS1_30default_config_static_selectorELNS0_4arch9wavefront6targetE1EEEvSD_
		.amdhsa_group_segment_fixed_size 0
		.amdhsa_private_segment_fixed_size 0
		.amdhsa_kernarg_size 64
		.amdhsa_user_sgpr_count 2
		.amdhsa_user_sgpr_dispatch_ptr 0
		.amdhsa_user_sgpr_queue_ptr 0
		.amdhsa_user_sgpr_kernarg_segment_ptr 1
		.amdhsa_user_sgpr_dispatch_id 0
		.amdhsa_user_sgpr_kernarg_preload_length 0
		.amdhsa_user_sgpr_kernarg_preload_offset 0
		.amdhsa_user_sgpr_private_segment_size 0
		.amdhsa_uses_dynamic_stack 0
		.amdhsa_enable_private_segment 0
		.amdhsa_system_sgpr_workgroup_id_x 1
		.amdhsa_system_sgpr_workgroup_id_y 0
		.amdhsa_system_sgpr_workgroup_id_z 0
		.amdhsa_system_sgpr_workgroup_info 0
		.amdhsa_system_vgpr_workitem_id 0
		.amdhsa_next_free_vgpr 1
		.amdhsa_next_free_sgpr 0
		.amdhsa_accum_offset 4
		.amdhsa_reserve_vcc 0
		.amdhsa_float_round_mode_32 0
		.amdhsa_float_round_mode_16_64 0
		.amdhsa_float_denorm_mode_32 3
		.amdhsa_float_denorm_mode_16_64 3
		.amdhsa_dx10_clamp 1
		.amdhsa_ieee_mode 1
		.amdhsa_fp16_overflow 0
		.amdhsa_tg_split 0
		.amdhsa_exception_fp_ieee_invalid_op 0
		.amdhsa_exception_fp_denorm_src 0
		.amdhsa_exception_fp_ieee_div_zero 0
		.amdhsa_exception_fp_ieee_overflow 0
		.amdhsa_exception_fp_ieee_underflow 0
		.amdhsa_exception_fp_ieee_inexact 0
		.amdhsa_exception_int_div_zero 0
	.end_amdhsa_kernel
	.section	.text._ZN7rocprim17ROCPRIM_400000_NS6detail17trampoline_kernelINS0_14default_configENS1_22reduce_config_selectorImEEZNS1_11reduce_implILb1ES3_PmS7_m11plus_mod_10ImEEE10hipError_tPvRmT1_T2_T3_mT4_P12ihipStream_tbEUlT_E0_NS1_11comp_targetILNS1_3genE10ELNS1_11target_archE1201ELNS1_3gpuE5ELNS1_3repE0EEENS1_30default_config_static_selectorELNS0_4arch9wavefront6targetE1EEEvSD_,"axG",@progbits,_ZN7rocprim17ROCPRIM_400000_NS6detail17trampoline_kernelINS0_14default_configENS1_22reduce_config_selectorImEEZNS1_11reduce_implILb1ES3_PmS7_m11plus_mod_10ImEEE10hipError_tPvRmT1_T2_T3_mT4_P12ihipStream_tbEUlT_E0_NS1_11comp_targetILNS1_3genE10ELNS1_11target_archE1201ELNS1_3gpuE5ELNS1_3repE0EEENS1_30default_config_static_selectorELNS0_4arch9wavefront6targetE1EEEvSD_,comdat
.Lfunc_end554:
	.size	_ZN7rocprim17ROCPRIM_400000_NS6detail17trampoline_kernelINS0_14default_configENS1_22reduce_config_selectorImEEZNS1_11reduce_implILb1ES3_PmS7_m11plus_mod_10ImEEE10hipError_tPvRmT1_T2_T3_mT4_P12ihipStream_tbEUlT_E0_NS1_11comp_targetILNS1_3genE10ELNS1_11target_archE1201ELNS1_3gpuE5ELNS1_3repE0EEENS1_30default_config_static_selectorELNS0_4arch9wavefront6targetE1EEEvSD_, .Lfunc_end554-_ZN7rocprim17ROCPRIM_400000_NS6detail17trampoline_kernelINS0_14default_configENS1_22reduce_config_selectorImEEZNS1_11reduce_implILb1ES3_PmS7_m11plus_mod_10ImEEE10hipError_tPvRmT1_T2_T3_mT4_P12ihipStream_tbEUlT_E0_NS1_11comp_targetILNS1_3genE10ELNS1_11target_archE1201ELNS1_3gpuE5ELNS1_3repE0EEENS1_30default_config_static_selectorELNS0_4arch9wavefront6targetE1EEEvSD_
                                        ; -- End function
	.set _ZN7rocprim17ROCPRIM_400000_NS6detail17trampoline_kernelINS0_14default_configENS1_22reduce_config_selectorImEEZNS1_11reduce_implILb1ES3_PmS7_m11plus_mod_10ImEEE10hipError_tPvRmT1_T2_T3_mT4_P12ihipStream_tbEUlT_E0_NS1_11comp_targetILNS1_3genE10ELNS1_11target_archE1201ELNS1_3gpuE5ELNS1_3repE0EEENS1_30default_config_static_selectorELNS0_4arch9wavefront6targetE1EEEvSD_.num_vgpr, 0
	.set _ZN7rocprim17ROCPRIM_400000_NS6detail17trampoline_kernelINS0_14default_configENS1_22reduce_config_selectorImEEZNS1_11reduce_implILb1ES3_PmS7_m11plus_mod_10ImEEE10hipError_tPvRmT1_T2_T3_mT4_P12ihipStream_tbEUlT_E0_NS1_11comp_targetILNS1_3genE10ELNS1_11target_archE1201ELNS1_3gpuE5ELNS1_3repE0EEENS1_30default_config_static_selectorELNS0_4arch9wavefront6targetE1EEEvSD_.num_agpr, 0
	.set _ZN7rocprim17ROCPRIM_400000_NS6detail17trampoline_kernelINS0_14default_configENS1_22reduce_config_selectorImEEZNS1_11reduce_implILb1ES3_PmS7_m11plus_mod_10ImEEE10hipError_tPvRmT1_T2_T3_mT4_P12ihipStream_tbEUlT_E0_NS1_11comp_targetILNS1_3genE10ELNS1_11target_archE1201ELNS1_3gpuE5ELNS1_3repE0EEENS1_30default_config_static_selectorELNS0_4arch9wavefront6targetE1EEEvSD_.numbered_sgpr, 0
	.set _ZN7rocprim17ROCPRIM_400000_NS6detail17trampoline_kernelINS0_14default_configENS1_22reduce_config_selectorImEEZNS1_11reduce_implILb1ES3_PmS7_m11plus_mod_10ImEEE10hipError_tPvRmT1_T2_T3_mT4_P12ihipStream_tbEUlT_E0_NS1_11comp_targetILNS1_3genE10ELNS1_11target_archE1201ELNS1_3gpuE5ELNS1_3repE0EEENS1_30default_config_static_selectorELNS0_4arch9wavefront6targetE1EEEvSD_.num_named_barrier, 0
	.set _ZN7rocprim17ROCPRIM_400000_NS6detail17trampoline_kernelINS0_14default_configENS1_22reduce_config_selectorImEEZNS1_11reduce_implILb1ES3_PmS7_m11plus_mod_10ImEEE10hipError_tPvRmT1_T2_T3_mT4_P12ihipStream_tbEUlT_E0_NS1_11comp_targetILNS1_3genE10ELNS1_11target_archE1201ELNS1_3gpuE5ELNS1_3repE0EEENS1_30default_config_static_selectorELNS0_4arch9wavefront6targetE1EEEvSD_.private_seg_size, 0
	.set _ZN7rocprim17ROCPRIM_400000_NS6detail17trampoline_kernelINS0_14default_configENS1_22reduce_config_selectorImEEZNS1_11reduce_implILb1ES3_PmS7_m11plus_mod_10ImEEE10hipError_tPvRmT1_T2_T3_mT4_P12ihipStream_tbEUlT_E0_NS1_11comp_targetILNS1_3genE10ELNS1_11target_archE1201ELNS1_3gpuE5ELNS1_3repE0EEENS1_30default_config_static_selectorELNS0_4arch9wavefront6targetE1EEEvSD_.uses_vcc, 0
	.set _ZN7rocprim17ROCPRIM_400000_NS6detail17trampoline_kernelINS0_14default_configENS1_22reduce_config_selectorImEEZNS1_11reduce_implILb1ES3_PmS7_m11plus_mod_10ImEEE10hipError_tPvRmT1_T2_T3_mT4_P12ihipStream_tbEUlT_E0_NS1_11comp_targetILNS1_3genE10ELNS1_11target_archE1201ELNS1_3gpuE5ELNS1_3repE0EEENS1_30default_config_static_selectorELNS0_4arch9wavefront6targetE1EEEvSD_.uses_flat_scratch, 0
	.set _ZN7rocprim17ROCPRIM_400000_NS6detail17trampoline_kernelINS0_14default_configENS1_22reduce_config_selectorImEEZNS1_11reduce_implILb1ES3_PmS7_m11plus_mod_10ImEEE10hipError_tPvRmT1_T2_T3_mT4_P12ihipStream_tbEUlT_E0_NS1_11comp_targetILNS1_3genE10ELNS1_11target_archE1201ELNS1_3gpuE5ELNS1_3repE0EEENS1_30default_config_static_selectorELNS0_4arch9wavefront6targetE1EEEvSD_.has_dyn_sized_stack, 0
	.set _ZN7rocprim17ROCPRIM_400000_NS6detail17trampoline_kernelINS0_14default_configENS1_22reduce_config_selectorImEEZNS1_11reduce_implILb1ES3_PmS7_m11plus_mod_10ImEEE10hipError_tPvRmT1_T2_T3_mT4_P12ihipStream_tbEUlT_E0_NS1_11comp_targetILNS1_3genE10ELNS1_11target_archE1201ELNS1_3gpuE5ELNS1_3repE0EEENS1_30default_config_static_selectorELNS0_4arch9wavefront6targetE1EEEvSD_.has_recursion, 0
	.set _ZN7rocprim17ROCPRIM_400000_NS6detail17trampoline_kernelINS0_14default_configENS1_22reduce_config_selectorImEEZNS1_11reduce_implILb1ES3_PmS7_m11plus_mod_10ImEEE10hipError_tPvRmT1_T2_T3_mT4_P12ihipStream_tbEUlT_E0_NS1_11comp_targetILNS1_3genE10ELNS1_11target_archE1201ELNS1_3gpuE5ELNS1_3repE0EEENS1_30default_config_static_selectorELNS0_4arch9wavefront6targetE1EEEvSD_.has_indirect_call, 0
	.section	.AMDGPU.csdata,"",@progbits
; Kernel info:
; codeLenInByte = 0
; TotalNumSgprs: 6
; NumVgprs: 0
; NumAgprs: 0
; TotalNumVgprs: 0
; ScratchSize: 0
; MemoryBound: 0
; FloatMode: 240
; IeeeMode: 1
; LDSByteSize: 0 bytes/workgroup (compile time only)
; SGPRBlocks: 0
; VGPRBlocks: 0
; NumSGPRsForWavesPerEU: 6
; NumVGPRsForWavesPerEU: 1
; AccumOffset: 4
; Occupancy: 8
; WaveLimiterHint : 0
; COMPUTE_PGM_RSRC2:SCRATCH_EN: 0
; COMPUTE_PGM_RSRC2:USER_SGPR: 2
; COMPUTE_PGM_RSRC2:TRAP_HANDLER: 0
; COMPUTE_PGM_RSRC2:TGID_X_EN: 1
; COMPUTE_PGM_RSRC2:TGID_Y_EN: 0
; COMPUTE_PGM_RSRC2:TGID_Z_EN: 0
; COMPUTE_PGM_RSRC2:TIDIG_COMP_CNT: 0
; COMPUTE_PGM_RSRC3_GFX90A:ACCUM_OFFSET: 0
; COMPUTE_PGM_RSRC3_GFX90A:TG_SPLIT: 0
	.section	.text._ZN7rocprim17ROCPRIM_400000_NS6detail17trampoline_kernelINS0_14default_configENS1_22reduce_config_selectorImEEZNS1_11reduce_implILb1ES3_PmS7_m11plus_mod_10ImEEE10hipError_tPvRmT1_T2_T3_mT4_P12ihipStream_tbEUlT_E0_NS1_11comp_targetILNS1_3genE10ELNS1_11target_archE1200ELNS1_3gpuE4ELNS1_3repE0EEENS1_30default_config_static_selectorELNS0_4arch9wavefront6targetE1EEEvSD_,"axG",@progbits,_ZN7rocprim17ROCPRIM_400000_NS6detail17trampoline_kernelINS0_14default_configENS1_22reduce_config_selectorImEEZNS1_11reduce_implILb1ES3_PmS7_m11plus_mod_10ImEEE10hipError_tPvRmT1_T2_T3_mT4_P12ihipStream_tbEUlT_E0_NS1_11comp_targetILNS1_3genE10ELNS1_11target_archE1200ELNS1_3gpuE4ELNS1_3repE0EEENS1_30default_config_static_selectorELNS0_4arch9wavefront6targetE1EEEvSD_,comdat
	.protected	_ZN7rocprim17ROCPRIM_400000_NS6detail17trampoline_kernelINS0_14default_configENS1_22reduce_config_selectorImEEZNS1_11reduce_implILb1ES3_PmS7_m11plus_mod_10ImEEE10hipError_tPvRmT1_T2_T3_mT4_P12ihipStream_tbEUlT_E0_NS1_11comp_targetILNS1_3genE10ELNS1_11target_archE1200ELNS1_3gpuE4ELNS1_3repE0EEENS1_30default_config_static_selectorELNS0_4arch9wavefront6targetE1EEEvSD_ ; -- Begin function _ZN7rocprim17ROCPRIM_400000_NS6detail17trampoline_kernelINS0_14default_configENS1_22reduce_config_selectorImEEZNS1_11reduce_implILb1ES3_PmS7_m11plus_mod_10ImEEE10hipError_tPvRmT1_T2_T3_mT4_P12ihipStream_tbEUlT_E0_NS1_11comp_targetILNS1_3genE10ELNS1_11target_archE1200ELNS1_3gpuE4ELNS1_3repE0EEENS1_30default_config_static_selectorELNS0_4arch9wavefront6targetE1EEEvSD_
	.globl	_ZN7rocprim17ROCPRIM_400000_NS6detail17trampoline_kernelINS0_14default_configENS1_22reduce_config_selectorImEEZNS1_11reduce_implILb1ES3_PmS7_m11plus_mod_10ImEEE10hipError_tPvRmT1_T2_T3_mT4_P12ihipStream_tbEUlT_E0_NS1_11comp_targetILNS1_3genE10ELNS1_11target_archE1200ELNS1_3gpuE4ELNS1_3repE0EEENS1_30default_config_static_selectorELNS0_4arch9wavefront6targetE1EEEvSD_
	.p2align	8
	.type	_ZN7rocprim17ROCPRIM_400000_NS6detail17trampoline_kernelINS0_14default_configENS1_22reduce_config_selectorImEEZNS1_11reduce_implILb1ES3_PmS7_m11plus_mod_10ImEEE10hipError_tPvRmT1_T2_T3_mT4_P12ihipStream_tbEUlT_E0_NS1_11comp_targetILNS1_3genE10ELNS1_11target_archE1200ELNS1_3gpuE4ELNS1_3repE0EEENS1_30default_config_static_selectorELNS0_4arch9wavefront6targetE1EEEvSD_,@function
_ZN7rocprim17ROCPRIM_400000_NS6detail17trampoline_kernelINS0_14default_configENS1_22reduce_config_selectorImEEZNS1_11reduce_implILb1ES3_PmS7_m11plus_mod_10ImEEE10hipError_tPvRmT1_T2_T3_mT4_P12ihipStream_tbEUlT_E0_NS1_11comp_targetILNS1_3genE10ELNS1_11target_archE1200ELNS1_3gpuE4ELNS1_3repE0EEENS1_30default_config_static_selectorELNS0_4arch9wavefront6targetE1EEEvSD_: ; @_ZN7rocprim17ROCPRIM_400000_NS6detail17trampoline_kernelINS0_14default_configENS1_22reduce_config_selectorImEEZNS1_11reduce_implILb1ES3_PmS7_m11plus_mod_10ImEEE10hipError_tPvRmT1_T2_T3_mT4_P12ihipStream_tbEUlT_E0_NS1_11comp_targetILNS1_3genE10ELNS1_11target_archE1200ELNS1_3gpuE4ELNS1_3repE0EEENS1_30default_config_static_selectorELNS0_4arch9wavefront6targetE1EEEvSD_
; %bb.0:
	.section	.rodata,"a",@progbits
	.p2align	6, 0x0
	.amdhsa_kernel _ZN7rocprim17ROCPRIM_400000_NS6detail17trampoline_kernelINS0_14default_configENS1_22reduce_config_selectorImEEZNS1_11reduce_implILb1ES3_PmS7_m11plus_mod_10ImEEE10hipError_tPvRmT1_T2_T3_mT4_P12ihipStream_tbEUlT_E0_NS1_11comp_targetILNS1_3genE10ELNS1_11target_archE1200ELNS1_3gpuE4ELNS1_3repE0EEENS1_30default_config_static_selectorELNS0_4arch9wavefront6targetE1EEEvSD_
		.amdhsa_group_segment_fixed_size 0
		.amdhsa_private_segment_fixed_size 0
		.amdhsa_kernarg_size 64
		.amdhsa_user_sgpr_count 2
		.amdhsa_user_sgpr_dispatch_ptr 0
		.amdhsa_user_sgpr_queue_ptr 0
		.amdhsa_user_sgpr_kernarg_segment_ptr 1
		.amdhsa_user_sgpr_dispatch_id 0
		.amdhsa_user_sgpr_kernarg_preload_length 0
		.amdhsa_user_sgpr_kernarg_preload_offset 0
		.amdhsa_user_sgpr_private_segment_size 0
		.amdhsa_uses_dynamic_stack 0
		.amdhsa_enable_private_segment 0
		.amdhsa_system_sgpr_workgroup_id_x 1
		.amdhsa_system_sgpr_workgroup_id_y 0
		.amdhsa_system_sgpr_workgroup_id_z 0
		.amdhsa_system_sgpr_workgroup_info 0
		.amdhsa_system_vgpr_workitem_id 0
		.amdhsa_next_free_vgpr 1
		.amdhsa_next_free_sgpr 0
		.amdhsa_accum_offset 4
		.amdhsa_reserve_vcc 0
		.amdhsa_float_round_mode_32 0
		.amdhsa_float_round_mode_16_64 0
		.amdhsa_float_denorm_mode_32 3
		.amdhsa_float_denorm_mode_16_64 3
		.amdhsa_dx10_clamp 1
		.amdhsa_ieee_mode 1
		.amdhsa_fp16_overflow 0
		.amdhsa_tg_split 0
		.amdhsa_exception_fp_ieee_invalid_op 0
		.amdhsa_exception_fp_denorm_src 0
		.amdhsa_exception_fp_ieee_div_zero 0
		.amdhsa_exception_fp_ieee_overflow 0
		.amdhsa_exception_fp_ieee_underflow 0
		.amdhsa_exception_fp_ieee_inexact 0
		.amdhsa_exception_int_div_zero 0
	.end_amdhsa_kernel
	.section	.text._ZN7rocprim17ROCPRIM_400000_NS6detail17trampoline_kernelINS0_14default_configENS1_22reduce_config_selectorImEEZNS1_11reduce_implILb1ES3_PmS7_m11plus_mod_10ImEEE10hipError_tPvRmT1_T2_T3_mT4_P12ihipStream_tbEUlT_E0_NS1_11comp_targetILNS1_3genE10ELNS1_11target_archE1200ELNS1_3gpuE4ELNS1_3repE0EEENS1_30default_config_static_selectorELNS0_4arch9wavefront6targetE1EEEvSD_,"axG",@progbits,_ZN7rocprim17ROCPRIM_400000_NS6detail17trampoline_kernelINS0_14default_configENS1_22reduce_config_selectorImEEZNS1_11reduce_implILb1ES3_PmS7_m11plus_mod_10ImEEE10hipError_tPvRmT1_T2_T3_mT4_P12ihipStream_tbEUlT_E0_NS1_11comp_targetILNS1_3genE10ELNS1_11target_archE1200ELNS1_3gpuE4ELNS1_3repE0EEENS1_30default_config_static_selectorELNS0_4arch9wavefront6targetE1EEEvSD_,comdat
.Lfunc_end555:
	.size	_ZN7rocprim17ROCPRIM_400000_NS6detail17trampoline_kernelINS0_14default_configENS1_22reduce_config_selectorImEEZNS1_11reduce_implILb1ES3_PmS7_m11plus_mod_10ImEEE10hipError_tPvRmT1_T2_T3_mT4_P12ihipStream_tbEUlT_E0_NS1_11comp_targetILNS1_3genE10ELNS1_11target_archE1200ELNS1_3gpuE4ELNS1_3repE0EEENS1_30default_config_static_selectorELNS0_4arch9wavefront6targetE1EEEvSD_, .Lfunc_end555-_ZN7rocprim17ROCPRIM_400000_NS6detail17trampoline_kernelINS0_14default_configENS1_22reduce_config_selectorImEEZNS1_11reduce_implILb1ES3_PmS7_m11plus_mod_10ImEEE10hipError_tPvRmT1_T2_T3_mT4_P12ihipStream_tbEUlT_E0_NS1_11comp_targetILNS1_3genE10ELNS1_11target_archE1200ELNS1_3gpuE4ELNS1_3repE0EEENS1_30default_config_static_selectorELNS0_4arch9wavefront6targetE1EEEvSD_
                                        ; -- End function
	.set _ZN7rocprim17ROCPRIM_400000_NS6detail17trampoline_kernelINS0_14default_configENS1_22reduce_config_selectorImEEZNS1_11reduce_implILb1ES3_PmS7_m11plus_mod_10ImEEE10hipError_tPvRmT1_T2_T3_mT4_P12ihipStream_tbEUlT_E0_NS1_11comp_targetILNS1_3genE10ELNS1_11target_archE1200ELNS1_3gpuE4ELNS1_3repE0EEENS1_30default_config_static_selectorELNS0_4arch9wavefront6targetE1EEEvSD_.num_vgpr, 0
	.set _ZN7rocprim17ROCPRIM_400000_NS6detail17trampoline_kernelINS0_14default_configENS1_22reduce_config_selectorImEEZNS1_11reduce_implILb1ES3_PmS7_m11plus_mod_10ImEEE10hipError_tPvRmT1_T2_T3_mT4_P12ihipStream_tbEUlT_E0_NS1_11comp_targetILNS1_3genE10ELNS1_11target_archE1200ELNS1_3gpuE4ELNS1_3repE0EEENS1_30default_config_static_selectorELNS0_4arch9wavefront6targetE1EEEvSD_.num_agpr, 0
	.set _ZN7rocprim17ROCPRIM_400000_NS6detail17trampoline_kernelINS0_14default_configENS1_22reduce_config_selectorImEEZNS1_11reduce_implILb1ES3_PmS7_m11plus_mod_10ImEEE10hipError_tPvRmT1_T2_T3_mT4_P12ihipStream_tbEUlT_E0_NS1_11comp_targetILNS1_3genE10ELNS1_11target_archE1200ELNS1_3gpuE4ELNS1_3repE0EEENS1_30default_config_static_selectorELNS0_4arch9wavefront6targetE1EEEvSD_.numbered_sgpr, 0
	.set _ZN7rocprim17ROCPRIM_400000_NS6detail17trampoline_kernelINS0_14default_configENS1_22reduce_config_selectorImEEZNS1_11reduce_implILb1ES3_PmS7_m11plus_mod_10ImEEE10hipError_tPvRmT1_T2_T3_mT4_P12ihipStream_tbEUlT_E0_NS1_11comp_targetILNS1_3genE10ELNS1_11target_archE1200ELNS1_3gpuE4ELNS1_3repE0EEENS1_30default_config_static_selectorELNS0_4arch9wavefront6targetE1EEEvSD_.num_named_barrier, 0
	.set _ZN7rocprim17ROCPRIM_400000_NS6detail17trampoline_kernelINS0_14default_configENS1_22reduce_config_selectorImEEZNS1_11reduce_implILb1ES3_PmS7_m11plus_mod_10ImEEE10hipError_tPvRmT1_T2_T3_mT4_P12ihipStream_tbEUlT_E0_NS1_11comp_targetILNS1_3genE10ELNS1_11target_archE1200ELNS1_3gpuE4ELNS1_3repE0EEENS1_30default_config_static_selectorELNS0_4arch9wavefront6targetE1EEEvSD_.private_seg_size, 0
	.set _ZN7rocprim17ROCPRIM_400000_NS6detail17trampoline_kernelINS0_14default_configENS1_22reduce_config_selectorImEEZNS1_11reduce_implILb1ES3_PmS7_m11plus_mod_10ImEEE10hipError_tPvRmT1_T2_T3_mT4_P12ihipStream_tbEUlT_E0_NS1_11comp_targetILNS1_3genE10ELNS1_11target_archE1200ELNS1_3gpuE4ELNS1_3repE0EEENS1_30default_config_static_selectorELNS0_4arch9wavefront6targetE1EEEvSD_.uses_vcc, 0
	.set _ZN7rocprim17ROCPRIM_400000_NS6detail17trampoline_kernelINS0_14default_configENS1_22reduce_config_selectorImEEZNS1_11reduce_implILb1ES3_PmS7_m11plus_mod_10ImEEE10hipError_tPvRmT1_T2_T3_mT4_P12ihipStream_tbEUlT_E0_NS1_11comp_targetILNS1_3genE10ELNS1_11target_archE1200ELNS1_3gpuE4ELNS1_3repE0EEENS1_30default_config_static_selectorELNS0_4arch9wavefront6targetE1EEEvSD_.uses_flat_scratch, 0
	.set _ZN7rocprim17ROCPRIM_400000_NS6detail17trampoline_kernelINS0_14default_configENS1_22reduce_config_selectorImEEZNS1_11reduce_implILb1ES3_PmS7_m11plus_mod_10ImEEE10hipError_tPvRmT1_T2_T3_mT4_P12ihipStream_tbEUlT_E0_NS1_11comp_targetILNS1_3genE10ELNS1_11target_archE1200ELNS1_3gpuE4ELNS1_3repE0EEENS1_30default_config_static_selectorELNS0_4arch9wavefront6targetE1EEEvSD_.has_dyn_sized_stack, 0
	.set _ZN7rocprim17ROCPRIM_400000_NS6detail17trampoline_kernelINS0_14default_configENS1_22reduce_config_selectorImEEZNS1_11reduce_implILb1ES3_PmS7_m11plus_mod_10ImEEE10hipError_tPvRmT1_T2_T3_mT4_P12ihipStream_tbEUlT_E0_NS1_11comp_targetILNS1_3genE10ELNS1_11target_archE1200ELNS1_3gpuE4ELNS1_3repE0EEENS1_30default_config_static_selectorELNS0_4arch9wavefront6targetE1EEEvSD_.has_recursion, 0
	.set _ZN7rocprim17ROCPRIM_400000_NS6detail17trampoline_kernelINS0_14default_configENS1_22reduce_config_selectorImEEZNS1_11reduce_implILb1ES3_PmS7_m11plus_mod_10ImEEE10hipError_tPvRmT1_T2_T3_mT4_P12ihipStream_tbEUlT_E0_NS1_11comp_targetILNS1_3genE10ELNS1_11target_archE1200ELNS1_3gpuE4ELNS1_3repE0EEENS1_30default_config_static_selectorELNS0_4arch9wavefront6targetE1EEEvSD_.has_indirect_call, 0
	.section	.AMDGPU.csdata,"",@progbits
; Kernel info:
; codeLenInByte = 0
; TotalNumSgprs: 6
; NumVgprs: 0
; NumAgprs: 0
; TotalNumVgprs: 0
; ScratchSize: 0
; MemoryBound: 0
; FloatMode: 240
; IeeeMode: 1
; LDSByteSize: 0 bytes/workgroup (compile time only)
; SGPRBlocks: 0
; VGPRBlocks: 0
; NumSGPRsForWavesPerEU: 6
; NumVGPRsForWavesPerEU: 1
; AccumOffset: 4
; Occupancy: 8
; WaveLimiterHint : 0
; COMPUTE_PGM_RSRC2:SCRATCH_EN: 0
; COMPUTE_PGM_RSRC2:USER_SGPR: 2
; COMPUTE_PGM_RSRC2:TRAP_HANDLER: 0
; COMPUTE_PGM_RSRC2:TGID_X_EN: 1
; COMPUTE_PGM_RSRC2:TGID_Y_EN: 0
; COMPUTE_PGM_RSRC2:TGID_Z_EN: 0
; COMPUTE_PGM_RSRC2:TIDIG_COMP_CNT: 0
; COMPUTE_PGM_RSRC3_GFX90A:ACCUM_OFFSET: 0
; COMPUTE_PGM_RSRC3_GFX90A:TG_SPLIT: 0
	.section	.text._ZN7rocprim17ROCPRIM_400000_NS6detail17trampoline_kernelINS0_14default_configENS1_22reduce_config_selectorImEEZNS1_11reduce_implILb1ES3_PmS7_m11plus_mod_10ImEEE10hipError_tPvRmT1_T2_T3_mT4_P12ihipStream_tbEUlT_E0_NS1_11comp_targetILNS1_3genE9ELNS1_11target_archE1100ELNS1_3gpuE3ELNS1_3repE0EEENS1_30default_config_static_selectorELNS0_4arch9wavefront6targetE1EEEvSD_,"axG",@progbits,_ZN7rocprim17ROCPRIM_400000_NS6detail17trampoline_kernelINS0_14default_configENS1_22reduce_config_selectorImEEZNS1_11reduce_implILb1ES3_PmS7_m11plus_mod_10ImEEE10hipError_tPvRmT1_T2_T3_mT4_P12ihipStream_tbEUlT_E0_NS1_11comp_targetILNS1_3genE9ELNS1_11target_archE1100ELNS1_3gpuE3ELNS1_3repE0EEENS1_30default_config_static_selectorELNS0_4arch9wavefront6targetE1EEEvSD_,comdat
	.protected	_ZN7rocprim17ROCPRIM_400000_NS6detail17trampoline_kernelINS0_14default_configENS1_22reduce_config_selectorImEEZNS1_11reduce_implILb1ES3_PmS7_m11plus_mod_10ImEEE10hipError_tPvRmT1_T2_T3_mT4_P12ihipStream_tbEUlT_E0_NS1_11comp_targetILNS1_3genE9ELNS1_11target_archE1100ELNS1_3gpuE3ELNS1_3repE0EEENS1_30default_config_static_selectorELNS0_4arch9wavefront6targetE1EEEvSD_ ; -- Begin function _ZN7rocprim17ROCPRIM_400000_NS6detail17trampoline_kernelINS0_14default_configENS1_22reduce_config_selectorImEEZNS1_11reduce_implILb1ES3_PmS7_m11plus_mod_10ImEEE10hipError_tPvRmT1_T2_T3_mT4_P12ihipStream_tbEUlT_E0_NS1_11comp_targetILNS1_3genE9ELNS1_11target_archE1100ELNS1_3gpuE3ELNS1_3repE0EEENS1_30default_config_static_selectorELNS0_4arch9wavefront6targetE1EEEvSD_
	.globl	_ZN7rocprim17ROCPRIM_400000_NS6detail17trampoline_kernelINS0_14default_configENS1_22reduce_config_selectorImEEZNS1_11reduce_implILb1ES3_PmS7_m11plus_mod_10ImEEE10hipError_tPvRmT1_T2_T3_mT4_P12ihipStream_tbEUlT_E0_NS1_11comp_targetILNS1_3genE9ELNS1_11target_archE1100ELNS1_3gpuE3ELNS1_3repE0EEENS1_30default_config_static_selectorELNS0_4arch9wavefront6targetE1EEEvSD_
	.p2align	8
	.type	_ZN7rocprim17ROCPRIM_400000_NS6detail17trampoline_kernelINS0_14default_configENS1_22reduce_config_selectorImEEZNS1_11reduce_implILb1ES3_PmS7_m11plus_mod_10ImEEE10hipError_tPvRmT1_T2_T3_mT4_P12ihipStream_tbEUlT_E0_NS1_11comp_targetILNS1_3genE9ELNS1_11target_archE1100ELNS1_3gpuE3ELNS1_3repE0EEENS1_30default_config_static_selectorELNS0_4arch9wavefront6targetE1EEEvSD_,@function
_ZN7rocprim17ROCPRIM_400000_NS6detail17trampoline_kernelINS0_14default_configENS1_22reduce_config_selectorImEEZNS1_11reduce_implILb1ES3_PmS7_m11plus_mod_10ImEEE10hipError_tPvRmT1_T2_T3_mT4_P12ihipStream_tbEUlT_E0_NS1_11comp_targetILNS1_3genE9ELNS1_11target_archE1100ELNS1_3gpuE3ELNS1_3repE0EEENS1_30default_config_static_selectorELNS0_4arch9wavefront6targetE1EEEvSD_: ; @_ZN7rocprim17ROCPRIM_400000_NS6detail17trampoline_kernelINS0_14default_configENS1_22reduce_config_selectorImEEZNS1_11reduce_implILb1ES3_PmS7_m11plus_mod_10ImEEE10hipError_tPvRmT1_T2_T3_mT4_P12ihipStream_tbEUlT_E0_NS1_11comp_targetILNS1_3genE9ELNS1_11target_archE1100ELNS1_3gpuE3ELNS1_3repE0EEENS1_30default_config_static_selectorELNS0_4arch9wavefront6targetE1EEEvSD_
; %bb.0:
	.section	.rodata,"a",@progbits
	.p2align	6, 0x0
	.amdhsa_kernel _ZN7rocprim17ROCPRIM_400000_NS6detail17trampoline_kernelINS0_14default_configENS1_22reduce_config_selectorImEEZNS1_11reduce_implILb1ES3_PmS7_m11plus_mod_10ImEEE10hipError_tPvRmT1_T2_T3_mT4_P12ihipStream_tbEUlT_E0_NS1_11comp_targetILNS1_3genE9ELNS1_11target_archE1100ELNS1_3gpuE3ELNS1_3repE0EEENS1_30default_config_static_selectorELNS0_4arch9wavefront6targetE1EEEvSD_
		.amdhsa_group_segment_fixed_size 0
		.amdhsa_private_segment_fixed_size 0
		.amdhsa_kernarg_size 64
		.amdhsa_user_sgpr_count 2
		.amdhsa_user_sgpr_dispatch_ptr 0
		.amdhsa_user_sgpr_queue_ptr 0
		.amdhsa_user_sgpr_kernarg_segment_ptr 1
		.amdhsa_user_sgpr_dispatch_id 0
		.amdhsa_user_sgpr_kernarg_preload_length 0
		.amdhsa_user_sgpr_kernarg_preload_offset 0
		.amdhsa_user_sgpr_private_segment_size 0
		.amdhsa_uses_dynamic_stack 0
		.amdhsa_enable_private_segment 0
		.amdhsa_system_sgpr_workgroup_id_x 1
		.amdhsa_system_sgpr_workgroup_id_y 0
		.amdhsa_system_sgpr_workgroup_id_z 0
		.amdhsa_system_sgpr_workgroup_info 0
		.amdhsa_system_vgpr_workitem_id 0
		.amdhsa_next_free_vgpr 1
		.amdhsa_next_free_sgpr 0
		.amdhsa_accum_offset 4
		.amdhsa_reserve_vcc 0
		.amdhsa_float_round_mode_32 0
		.amdhsa_float_round_mode_16_64 0
		.amdhsa_float_denorm_mode_32 3
		.amdhsa_float_denorm_mode_16_64 3
		.amdhsa_dx10_clamp 1
		.amdhsa_ieee_mode 1
		.amdhsa_fp16_overflow 0
		.amdhsa_tg_split 0
		.amdhsa_exception_fp_ieee_invalid_op 0
		.amdhsa_exception_fp_denorm_src 0
		.amdhsa_exception_fp_ieee_div_zero 0
		.amdhsa_exception_fp_ieee_overflow 0
		.amdhsa_exception_fp_ieee_underflow 0
		.amdhsa_exception_fp_ieee_inexact 0
		.amdhsa_exception_int_div_zero 0
	.end_amdhsa_kernel
	.section	.text._ZN7rocprim17ROCPRIM_400000_NS6detail17trampoline_kernelINS0_14default_configENS1_22reduce_config_selectorImEEZNS1_11reduce_implILb1ES3_PmS7_m11plus_mod_10ImEEE10hipError_tPvRmT1_T2_T3_mT4_P12ihipStream_tbEUlT_E0_NS1_11comp_targetILNS1_3genE9ELNS1_11target_archE1100ELNS1_3gpuE3ELNS1_3repE0EEENS1_30default_config_static_selectorELNS0_4arch9wavefront6targetE1EEEvSD_,"axG",@progbits,_ZN7rocprim17ROCPRIM_400000_NS6detail17trampoline_kernelINS0_14default_configENS1_22reduce_config_selectorImEEZNS1_11reduce_implILb1ES3_PmS7_m11plus_mod_10ImEEE10hipError_tPvRmT1_T2_T3_mT4_P12ihipStream_tbEUlT_E0_NS1_11comp_targetILNS1_3genE9ELNS1_11target_archE1100ELNS1_3gpuE3ELNS1_3repE0EEENS1_30default_config_static_selectorELNS0_4arch9wavefront6targetE1EEEvSD_,comdat
.Lfunc_end556:
	.size	_ZN7rocprim17ROCPRIM_400000_NS6detail17trampoline_kernelINS0_14default_configENS1_22reduce_config_selectorImEEZNS1_11reduce_implILb1ES3_PmS7_m11plus_mod_10ImEEE10hipError_tPvRmT1_T2_T3_mT4_P12ihipStream_tbEUlT_E0_NS1_11comp_targetILNS1_3genE9ELNS1_11target_archE1100ELNS1_3gpuE3ELNS1_3repE0EEENS1_30default_config_static_selectorELNS0_4arch9wavefront6targetE1EEEvSD_, .Lfunc_end556-_ZN7rocprim17ROCPRIM_400000_NS6detail17trampoline_kernelINS0_14default_configENS1_22reduce_config_selectorImEEZNS1_11reduce_implILb1ES3_PmS7_m11plus_mod_10ImEEE10hipError_tPvRmT1_T2_T3_mT4_P12ihipStream_tbEUlT_E0_NS1_11comp_targetILNS1_3genE9ELNS1_11target_archE1100ELNS1_3gpuE3ELNS1_3repE0EEENS1_30default_config_static_selectorELNS0_4arch9wavefront6targetE1EEEvSD_
                                        ; -- End function
	.set _ZN7rocprim17ROCPRIM_400000_NS6detail17trampoline_kernelINS0_14default_configENS1_22reduce_config_selectorImEEZNS1_11reduce_implILb1ES3_PmS7_m11plus_mod_10ImEEE10hipError_tPvRmT1_T2_T3_mT4_P12ihipStream_tbEUlT_E0_NS1_11comp_targetILNS1_3genE9ELNS1_11target_archE1100ELNS1_3gpuE3ELNS1_3repE0EEENS1_30default_config_static_selectorELNS0_4arch9wavefront6targetE1EEEvSD_.num_vgpr, 0
	.set _ZN7rocprim17ROCPRIM_400000_NS6detail17trampoline_kernelINS0_14default_configENS1_22reduce_config_selectorImEEZNS1_11reduce_implILb1ES3_PmS7_m11plus_mod_10ImEEE10hipError_tPvRmT1_T2_T3_mT4_P12ihipStream_tbEUlT_E0_NS1_11comp_targetILNS1_3genE9ELNS1_11target_archE1100ELNS1_3gpuE3ELNS1_3repE0EEENS1_30default_config_static_selectorELNS0_4arch9wavefront6targetE1EEEvSD_.num_agpr, 0
	.set _ZN7rocprim17ROCPRIM_400000_NS6detail17trampoline_kernelINS0_14default_configENS1_22reduce_config_selectorImEEZNS1_11reduce_implILb1ES3_PmS7_m11plus_mod_10ImEEE10hipError_tPvRmT1_T2_T3_mT4_P12ihipStream_tbEUlT_E0_NS1_11comp_targetILNS1_3genE9ELNS1_11target_archE1100ELNS1_3gpuE3ELNS1_3repE0EEENS1_30default_config_static_selectorELNS0_4arch9wavefront6targetE1EEEvSD_.numbered_sgpr, 0
	.set _ZN7rocprim17ROCPRIM_400000_NS6detail17trampoline_kernelINS0_14default_configENS1_22reduce_config_selectorImEEZNS1_11reduce_implILb1ES3_PmS7_m11plus_mod_10ImEEE10hipError_tPvRmT1_T2_T3_mT4_P12ihipStream_tbEUlT_E0_NS1_11comp_targetILNS1_3genE9ELNS1_11target_archE1100ELNS1_3gpuE3ELNS1_3repE0EEENS1_30default_config_static_selectorELNS0_4arch9wavefront6targetE1EEEvSD_.num_named_barrier, 0
	.set _ZN7rocprim17ROCPRIM_400000_NS6detail17trampoline_kernelINS0_14default_configENS1_22reduce_config_selectorImEEZNS1_11reduce_implILb1ES3_PmS7_m11plus_mod_10ImEEE10hipError_tPvRmT1_T2_T3_mT4_P12ihipStream_tbEUlT_E0_NS1_11comp_targetILNS1_3genE9ELNS1_11target_archE1100ELNS1_3gpuE3ELNS1_3repE0EEENS1_30default_config_static_selectorELNS0_4arch9wavefront6targetE1EEEvSD_.private_seg_size, 0
	.set _ZN7rocprim17ROCPRIM_400000_NS6detail17trampoline_kernelINS0_14default_configENS1_22reduce_config_selectorImEEZNS1_11reduce_implILb1ES3_PmS7_m11plus_mod_10ImEEE10hipError_tPvRmT1_T2_T3_mT4_P12ihipStream_tbEUlT_E0_NS1_11comp_targetILNS1_3genE9ELNS1_11target_archE1100ELNS1_3gpuE3ELNS1_3repE0EEENS1_30default_config_static_selectorELNS0_4arch9wavefront6targetE1EEEvSD_.uses_vcc, 0
	.set _ZN7rocprim17ROCPRIM_400000_NS6detail17trampoline_kernelINS0_14default_configENS1_22reduce_config_selectorImEEZNS1_11reduce_implILb1ES3_PmS7_m11plus_mod_10ImEEE10hipError_tPvRmT1_T2_T3_mT4_P12ihipStream_tbEUlT_E0_NS1_11comp_targetILNS1_3genE9ELNS1_11target_archE1100ELNS1_3gpuE3ELNS1_3repE0EEENS1_30default_config_static_selectorELNS0_4arch9wavefront6targetE1EEEvSD_.uses_flat_scratch, 0
	.set _ZN7rocprim17ROCPRIM_400000_NS6detail17trampoline_kernelINS0_14default_configENS1_22reduce_config_selectorImEEZNS1_11reduce_implILb1ES3_PmS7_m11plus_mod_10ImEEE10hipError_tPvRmT1_T2_T3_mT4_P12ihipStream_tbEUlT_E0_NS1_11comp_targetILNS1_3genE9ELNS1_11target_archE1100ELNS1_3gpuE3ELNS1_3repE0EEENS1_30default_config_static_selectorELNS0_4arch9wavefront6targetE1EEEvSD_.has_dyn_sized_stack, 0
	.set _ZN7rocprim17ROCPRIM_400000_NS6detail17trampoline_kernelINS0_14default_configENS1_22reduce_config_selectorImEEZNS1_11reduce_implILb1ES3_PmS7_m11plus_mod_10ImEEE10hipError_tPvRmT1_T2_T3_mT4_P12ihipStream_tbEUlT_E0_NS1_11comp_targetILNS1_3genE9ELNS1_11target_archE1100ELNS1_3gpuE3ELNS1_3repE0EEENS1_30default_config_static_selectorELNS0_4arch9wavefront6targetE1EEEvSD_.has_recursion, 0
	.set _ZN7rocprim17ROCPRIM_400000_NS6detail17trampoline_kernelINS0_14default_configENS1_22reduce_config_selectorImEEZNS1_11reduce_implILb1ES3_PmS7_m11plus_mod_10ImEEE10hipError_tPvRmT1_T2_T3_mT4_P12ihipStream_tbEUlT_E0_NS1_11comp_targetILNS1_3genE9ELNS1_11target_archE1100ELNS1_3gpuE3ELNS1_3repE0EEENS1_30default_config_static_selectorELNS0_4arch9wavefront6targetE1EEEvSD_.has_indirect_call, 0
	.section	.AMDGPU.csdata,"",@progbits
; Kernel info:
; codeLenInByte = 0
; TotalNumSgprs: 6
; NumVgprs: 0
; NumAgprs: 0
; TotalNumVgprs: 0
; ScratchSize: 0
; MemoryBound: 0
; FloatMode: 240
; IeeeMode: 1
; LDSByteSize: 0 bytes/workgroup (compile time only)
; SGPRBlocks: 0
; VGPRBlocks: 0
; NumSGPRsForWavesPerEU: 6
; NumVGPRsForWavesPerEU: 1
; AccumOffset: 4
; Occupancy: 8
; WaveLimiterHint : 0
; COMPUTE_PGM_RSRC2:SCRATCH_EN: 0
; COMPUTE_PGM_RSRC2:USER_SGPR: 2
; COMPUTE_PGM_RSRC2:TRAP_HANDLER: 0
; COMPUTE_PGM_RSRC2:TGID_X_EN: 1
; COMPUTE_PGM_RSRC2:TGID_Y_EN: 0
; COMPUTE_PGM_RSRC2:TGID_Z_EN: 0
; COMPUTE_PGM_RSRC2:TIDIG_COMP_CNT: 0
; COMPUTE_PGM_RSRC3_GFX90A:ACCUM_OFFSET: 0
; COMPUTE_PGM_RSRC3_GFX90A:TG_SPLIT: 0
	.section	.text._ZN7rocprim17ROCPRIM_400000_NS6detail17trampoline_kernelINS0_14default_configENS1_22reduce_config_selectorImEEZNS1_11reduce_implILb1ES3_PmS7_m11plus_mod_10ImEEE10hipError_tPvRmT1_T2_T3_mT4_P12ihipStream_tbEUlT_E0_NS1_11comp_targetILNS1_3genE8ELNS1_11target_archE1030ELNS1_3gpuE2ELNS1_3repE0EEENS1_30default_config_static_selectorELNS0_4arch9wavefront6targetE1EEEvSD_,"axG",@progbits,_ZN7rocprim17ROCPRIM_400000_NS6detail17trampoline_kernelINS0_14default_configENS1_22reduce_config_selectorImEEZNS1_11reduce_implILb1ES3_PmS7_m11plus_mod_10ImEEE10hipError_tPvRmT1_T2_T3_mT4_P12ihipStream_tbEUlT_E0_NS1_11comp_targetILNS1_3genE8ELNS1_11target_archE1030ELNS1_3gpuE2ELNS1_3repE0EEENS1_30default_config_static_selectorELNS0_4arch9wavefront6targetE1EEEvSD_,comdat
	.protected	_ZN7rocprim17ROCPRIM_400000_NS6detail17trampoline_kernelINS0_14default_configENS1_22reduce_config_selectorImEEZNS1_11reduce_implILb1ES3_PmS7_m11plus_mod_10ImEEE10hipError_tPvRmT1_T2_T3_mT4_P12ihipStream_tbEUlT_E0_NS1_11comp_targetILNS1_3genE8ELNS1_11target_archE1030ELNS1_3gpuE2ELNS1_3repE0EEENS1_30default_config_static_selectorELNS0_4arch9wavefront6targetE1EEEvSD_ ; -- Begin function _ZN7rocprim17ROCPRIM_400000_NS6detail17trampoline_kernelINS0_14default_configENS1_22reduce_config_selectorImEEZNS1_11reduce_implILb1ES3_PmS7_m11plus_mod_10ImEEE10hipError_tPvRmT1_T2_T3_mT4_P12ihipStream_tbEUlT_E0_NS1_11comp_targetILNS1_3genE8ELNS1_11target_archE1030ELNS1_3gpuE2ELNS1_3repE0EEENS1_30default_config_static_selectorELNS0_4arch9wavefront6targetE1EEEvSD_
	.globl	_ZN7rocprim17ROCPRIM_400000_NS6detail17trampoline_kernelINS0_14default_configENS1_22reduce_config_selectorImEEZNS1_11reduce_implILb1ES3_PmS7_m11plus_mod_10ImEEE10hipError_tPvRmT1_T2_T3_mT4_P12ihipStream_tbEUlT_E0_NS1_11comp_targetILNS1_3genE8ELNS1_11target_archE1030ELNS1_3gpuE2ELNS1_3repE0EEENS1_30default_config_static_selectorELNS0_4arch9wavefront6targetE1EEEvSD_
	.p2align	8
	.type	_ZN7rocprim17ROCPRIM_400000_NS6detail17trampoline_kernelINS0_14default_configENS1_22reduce_config_selectorImEEZNS1_11reduce_implILb1ES3_PmS7_m11plus_mod_10ImEEE10hipError_tPvRmT1_T2_T3_mT4_P12ihipStream_tbEUlT_E0_NS1_11comp_targetILNS1_3genE8ELNS1_11target_archE1030ELNS1_3gpuE2ELNS1_3repE0EEENS1_30default_config_static_selectorELNS0_4arch9wavefront6targetE1EEEvSD_,@function
_ZN7rocprim17ROCPRIM_400000_NS6detail17trampoline_kernelINS0_14default_configENS1_22reduce_config_selectorImEEZNS1_11reduce_implILb1ES3_PmS7_m11plus_mod_10ImEEE10hipError_tPvRmT1_T2_T3_mT4_P12ihipStream_tbEUlT_E0_NS1_11comp_targetILNS1_3genE8ELNS1_11target_archE1030ELNS1_3gpuE2ELNS1_3repE0EEENS1_30default_config_static_selectorELNS0_4arch9wavefront6targetE1EEEvSD_: ; @_ZN7rocprim17ROCPRIM_400000_NS6detail17trampoline_kernelINS0_14default_configENS1_22reduce_config_selectorImEEZNS1_11reduce_implILb1ES3_PmS7_m11plus_mod_10ImEEE10hipError_tPvRmT1_T2_T3_mT4_P12ihipStream_tbEUlT_E0_NS1_11comp_targetILNS1_3genE8ELNS1_11target_archE1030ELNS1_3gpuE2ELNS1_3repE0EEENS1_30default_config_static_selectorELNS0_4arch9wavefront6targetE1EEEvSD_
; %bb.0:
	.section	.rodata,"a",@progbits
	.p2align	6, 0x0
	.amdhsa_kernel _ZN7rocprim17ROCPRIM_400000_NS6detail17trampoline_kernelINS0_14default_configENS1_22reduce_config_selectorImEEZNS1_11reduce_implILb1ES3_PmS7_m11plus_mod_10ImEEE10hipError_tPvRmT1_T2_T3_mT4_P12ihipStream_tbEUlT_E0_NS1_11comp_targetILNS1_3genE8ELNS1_11target_archE1030ELNS1_3gpuE2ELNS1_3repE0EEENS1_30default_config_static_selectorELNS0_4arch9wavefront6targetE1EEEvSD_
		.amdhsa_group_segment_fixed_size 0
		.amdhsa_private_segment_fixed_size 0
		.amdhsa_kernarg_size 64
		.amdhsa_user_sgpr_count 2
		.amdhsa_user_sgpr_dispatch_ptr 0
		.amdhsa_user_sgpr_queue_ptr 0
		.amdhsa_user_sgpr_kernarg_segment_ptr 1
		.amdhsa_user_sgpr_dispatch_id 0
		.amdhsa_user_sgpr_kernarg_preload_length 0
		.amdhsa_user_sgpr_kernarg_preload_offset 0
		.amdhsa_user_sgpr_private_segment_size 0
		.amdhsa_uses_dynamic_stack 0
		.amdhsa_enable_private_segment 0
		.amdhsa_system_sgpr_workgroup_id_x 1
		.amdhsa_system_sgpr_workgroup_id_y 0
		.amdhsa_system_sgpr_workgroup_id_z 0
		.amdhsa_system_sgpr_workgroup_info 0
		.amdhsa_system_vgpr_workitem_id 0
		.amdhsa_next_free_vgpr 1
		.amdhsa_next_free_sgpr 0
		.amdhsa_accum_offset 4
		.amdhsa_reserve_vcc 0
		.amdhsa_float_round_mode_32 0
		.amdhsa_float_round_mode_16_64 0
		.amdhsa_float_denorm_mode_32 3
		.amdhsa_float_denorm_mode_16_64 3
		.amdhsa_dx10_clamp 1
		.amdhsa_ieee_mode 1
		.amdhsa_fp16_overflow 0
		.amdhsa_tg_split 0
		.amdhsa_exception_fp_ieee_invalid_op 0
		.amdhsa_exception_fp_denorm_src 0
		.amdhsa_exception_fp_ieee_div_zero 0
		.amdhsa_exception_fp_ieee_overflow 0
		.amdhsa_exception_fp_ieee_underflow 0
		.amdhsa_exception_fp_ieee_inexact 0
		.amdhsa_exception_int_div_zero 0
	.end_amdhsa_kernel
	.section	.text._ZN7rocprim17ROCPRIM_400000_NS6detail17trampoline_kernelINS0_14default_configENS1_22reduce_config_selectorImEEZNS1_11reduce_implILb1ES3_PmS7_m11plus_mod_10ImEEE10hipError_tPvRmT1_T2_T3_mT4_P12ihipStream_tbEUlT_E0_NS1_11comp_targetILNS1_3genE8ELNS1_11target_archE1030ELNS1_3gpuE2ELNS1_3repE0EEENS1_30default_config_static_selectorELNS0_4arch9wavefront6targetE1EEEvSD_,"axG",@progbits,_ZN7rocprim17ROCPRIM_400000_NS6detail17trampoline_kernelINS0_14default_configENS1_22reduce_config_selectorImEEZNS1_11reduce_implILb1ES3_PmS7_m11plus_mod_10ImEEE10hipError_tPvRmT1_T2_T3_mT4_P12ihipStream_tbEUlT_E0_NS1_11comp_targetILNS1_3genE8ELNS1_11target_archE1030ELNS1_3gpuE2ELNS1_3repE0EEENS1_30default_config_static_selectorELNS0_4arch9wavefront6targetE1EEEvSD_,comdat
.Lfunc_end557:
	.size	_ZN7rocprim17ROCPRIM_400000_NS6detail17trampoline_kernelINS0_14default_configENS1_22reduce_config_selectorImEEZNS1_11reduce_implILb1ES3_PmS7_m11plus_mod_10ImEEE10hipError_tPvRmT1_T2_T3_mT4_P12ihipStream_tbEUlT_E0_NS1_11comp_targetILNS1_3genE8ELNS1_11target_archE1030ELNS1_3gpuE2ELNS1_3repE0EEENS1_30default_config_static_selectorELNS0_4arch9wavefront6targetE1EEEvSD_, .Lfunc_end557-_ZN7rocprim17ROCPRIM_400000_NS6detail17trampoline_kernelINS0_14default_configENS1_22reduce_config_selectorImEEZNS1_11reduce_implILb1ES3_PmS7_m11plus_mod_10ImEEE10hipError_tPvRmT1_T2_T3_mT4_P12ihipStream_tbEUlT_E0_NS1_11comp_targetILNS1_3genE8ELNS1_11target_archE1030ELNS1_3gpuE2ELNS1_3repE0EEENS1_30default_config_static_selectorELNS0_4arch9wavefront6targetE1EEEvSD_
                                        ; -- End function
	.set _ZN7rocprim17ROCPRIM_400000_NS6detail17trampoline_kernelINS0_14default_configENS1_22reduce_config_selectorImEEZNS1_11reduce_implILb1ES3_PmS7_m11plus_mod_10ImEEE10hipError_tPvRmT1_T2_T3_mT4_P12ihipStream_tbEUlT_E0_NS1_11comp_targetILNS1_3genE8ELNS1_11target_archE1030ELNS1_3gpuE2ELNS1_3repE0EEENS1_30default_config_static_selectorELNS0_4arch9wavefront6targetE1EEEvSD_.num_vgpr, 0
	.set _ZN7rocprim17ROCPRIM_400000_NS6detail17trampoline_kernelINS0_14default_configENS1_22reduce_config_selectorImEEZNS1_11reduce_implILb1ES3_PmS7_m11plus_mod_10ImEEE10hipError_tPvRmT1_T2_T3_mT4_P12ihipStream_tbEUlT_E0_NS1_11comp_targetILNS1_3genE8ELNS1_11target_archE1030ELNS1_3gpuE2ELNS1_3repE0EEENS1_30default_config_static_selectorELNS0_4arch9wavefront6targetE1EEEvSD_.num_agpr, 0
	.set _ZN7rocprim17ROCPRIM_400000_NS6detail17trampoline_kernelINS0_14default_configENS1_22reduce_config_selectorImEEZNS1_11reduce_implILb1ES3_PmS7_m11plus_mod_10ImEEE10hipError_tPvRmT1_T2_T3_mT4_P12ihipStream_tbEUlT_E0_NS1_11comp_targetILNS1_3genE8ELNS1_11target_archE1030ELNS1_3gpuE2ELNS1_3repE0EEENS1_30default_config_static_selectorELNS0_4arch9wavefront6targetE1EEEvSD_.numbered_sgpr, 0
	.set _ZN7rocprim17ROCPRIM_400000_NS6detail17trampoline_kernelINS0_14default_configENS1_22reduce_config_selectorImEEZNS1_11reduce_implILb1ES3_PmS7_m11plus_mod_10ImEEE10hipError_tPvRmT1_T2_T3_mT4_P12ihipStream_tbEUlT_E0_NS1_11comp_targetILNS1_3genE8ELNS1_11target_archE1030ELNS1_3gpuE2ELNS1_3repE0EEENS1_30default_config_static_selectorELNS0_4arch9wavefront6targetE1EEEvSD_.num_named_barrier, 0
	.set _ZN7rocprim17ROCPRIM_400000_NS6detail17trampoline_kernelINS0_14default_configENS1_22reduce_config_selectorImEEZNS1_11reduce_implILb1ES3_PmS7_m11plus_mod_10ImEEE10hipError_tPvRmT1_T2_T3_mT4_P12ihipStream_tbEUlT_E0_NS1_11comp_targetILNS1_3genE8ELNS1_11target_archE1030ELNS1_3gpuE2ELNS1_3repE0EEENS1_30default_config_static_selectorELNS0_4arch9wavefront6targetE1EEEvSD_.private_seg_size, 0
	.set _ZN7rocprim17ROCPRIM_400000_NS6detail17trampoline_kernelINS0_14default_configENS1_22reduce_config_selectorImEEZNS1_11reduce_implILb1ES3_PmS7_m11plus_mod_10ImEEE10hipError_tPvRmT1_T2_T3_mT4_P12ihipStream_tbEUlT_E0_NS1_11comp_targetILNS1_3genE8ELNS1_11target_archE1030ELNS1_3gpuE2ELNS1_3repE0EEENS1_30default_config_static_selectorELNS0_4arch9wavefront6targetE1EEEvSD_.uses_vcc, 0
	.set _ZN7rocprim17ROCPRIM_400000_NS6detail17trampoline_kernelINS0_14default_configENS1_22reduce_config_selectorImEEZNS1_11reduce_implILb1ES3_PmS7_m11plus_mod_10ImEEE10hipError_tPvRmT1_T2_T3_mT4_P12ihipStream_tbEUlT_E0_NS1_11comp_targetILNS1_3genE8ELNS1_11target_archE1030ELNS1_3gpuE2ELNS1_3repE0EEENS1_30default_config_static_selectorELNS0_4arch9wavefront6targetE1EEEvSD_.uses_flat_scratch, 0
	.set _ZN7rocprim17ROCPRIM_400000_NS6detail17trampoline_kernelINS0_14default_configENS1_22reduce_config_selectorImEEZNS1_11reduce_implILb1ES3_PmS7_m11plus_mod_10ImEEE10hipError_tPvRmT1_T2_T3_mT4_P12ihipStream_tbEUlT_E0_NS1_11comp_targetILNS1_3genE8ELNS1_11target_archE1030ELNS1_3gpuE2ELNS1_3repE0EEENS1_30default_config_static_selectorELNS0_4arch9wavefront6targetE1EEEvSD_.has_dyn_sized_stack, 0
	.set _ZN7rocprim17ROCPRIM_400000_NS6detail17trampoline_kernelINS0_14default_configENS1_22reduce_config_selectorImEEZNS1_11reduce_implILb1ES3_PmS7_m11plus_mod_10ImEEE10hipError_tPvRmT1_T2_T3_mT4_P12ihipStream_tbEUlT_E0_NS1_11comp_targetILNS1_3genE8ELNS1_11target_archE1030ELNS1_3gpuE2ELNS1_3repE0EEENS1_30default_config_static_selectorELNS0_4arch9wavefront6targetE1EEEvSD_.has_recursion, 0
	.set _ZN7rocprim17ROCPRIM_400000_NS6detail17trampoline_kernelINS0_14default_configENS1_22reduce_config_selectorImEEZNS1_11reduce_implILb1ES3_PmS7_m11plus_mod_10ImEEE10hipError_tPvRmT1_T2_T3_mT4_P12ihipStream_tbEUlT_E0_NS1_11comp_targetILNS1_3genE8ELNS1_11target_archE1030ELNS1_3gpuE2ELNS1_3repE0EEENS1_30default_config_static_selectorELNS0_4arch9wavefront6targetE1EEEvSD_.has_indirect_call, 0
	.section	.AMDGPU.csdata,"",@progbits
; Kernel info:
; codeLenInByte = 0
; TotalNumSgprs: 6
; NumVgprs: 0
; NumAgprs: 0
; TotalNumVgprs: 0
; ScratchSize: 0
; MemoryBound: 0
; FloatMode: 240
; IeeeMode: 1
; LDSByteSize: 0 bytes/workgroup (compile time only)
; SGPRBlocks: 0
; VGPRBlocks: 0
; NumSGPRsForWavesPerEU: 6
; NumVGPRsForWavesPerEU: 1
; AccumOffset: 4
; Occupancy: 8
; WaveLimiterHint : 0
; COMPUTE_PGM_RSRC2:SCRATCH_EN: 0
; COMPUTE_PGM_RSRC2:USER_SGPR: 2
; COMPUTE_PGM_RSRC2:TRAP_HANDLER: 0
; COMPUTE_PGM_RSRC2:TGID_X_EN: 1
; COMPUTE_PGM_RSRC2:TGID_Y_EN: 0
; COMPUTE_PGM_RSRC2:TGID_Z_EN: 0
; COMPUTE_PGM_RSRC2:TIDIG_COMP_CNT: 0
; COMPUTE_PGM_RSRC3_GFX90A:ACCUM_OFFSET: 0
; COMPUTE_PGM_RSRC3_GFX90A:TG_SPLIT: 0
	.section	.text._ZN7rocprim17ROCPRIM_400000_NS6detail17trampoline_kernelINS0_14default_configENS1_22reduce_config_selectorImEEZNS1_11reduce_implILb1ES3_PmS7_m11plus_mod_10ImEEE10hipError_tPvRmT1_T2_T3_mT4_P12ihipStream_tbEUlT_E1_NS1_11comp_targetILNS1_3genE0ELNS1_11target_archE4294967295ELNS1_3gpuE0ELNS1_3repE0EEENS1_30default_config_static_selectorELNS0_4arch9wavefront6targetE1EEEvSD_,"axG",@progbits,_ZN7rocprim17ROCPRIM_400000_NS6detail17trampoline_kernelINS0_14default_configENS1_22reduce_config_selectorImEEZNS1_11reduce_implILb1ES3_PmS7_m11plus_mod_10ImEEE10hipError_tPvRmT1_T2_T3_mT4_P12ihipStream_tbEUlT_E1_NS1_11comp_targetILNS1_3genE0ELNS1_11target_archE4294967295ELNS1_3gpuE0ELNS1_3repE0EEENS1_30default_config_static_selectorELNS0_4arch9wavefront6targetE1EEEvSD_,comdat
	.protected	_ZN7rocprim17ROCPRIM_400000_NS6detail17trampoline_kernelINS0_14default_configENS1_22reduce_config_selectorImEEZNS1_11reduce_implILb1ES3_PmS7_m11plus_mod_10ImEEE10hipError_tPvRmT1_T2_T3_mT4_P12ihipStream_tbEUlT_E1_NS1_11comp_targetILNS1_3genE0ELNS1_11target_archE4294967295ELNS1_3gpuE0ELNS1_3repE0EEENS1_30default_config_static_selectorELNS0_4arch9wavefront6targetE1EEEvSD_ ; -- Begin function _ZN7rocprim17ROCPRIM_400000_NS6detail17trampoline_kernelINS0_14default_configENS1_22reduce_config_selectorImEEZNS1_11reduce_implILb1ES3_PmS7_m11plus_mod_10ImEEE10hipError_tPvRmT1_T2_T3_mT4_P12ihipStream_tbEUlT_E1_NS1_11comp_targetILNS1_3genE0ELNS1_11target_archE4294967295ELNS1_3gpuE0ELNS1_3repE0EEENS1_30default_config_static_selectorELNS0_4arch9wavefront6targetE1EEEvSD_
	.globl	_ZN7rocprim17ROCPRIM_400000_NS6detail17trampoline_kernelINS0_14default_configENS1_22reduce_config_selectorImEEZNS1_11reduce_implILb1ES3_PmS7_m11plus_mod_10ImEEE10hipError_tPvRmT1_T2_T3_mT4_P12ihipStream_tbEUlT_E1_NS1_11comp_targetILNS1_3genE0ELNS1_11target_archE4294967295ELNS1_3gpuE0ELNS1_3repE0EEENS1_30default_config_static_selectorELNS0_4arch9wavefront6targetE1EEEvSD_
	.p2align	8
	.type	_ZN7rocprim17ROCPRIM_400000_NS6detail17trampoline_kernelINS0_14default_configENS1_22reduce_config_selectorImEEZNS1_11reduce_implILb1ES3_PmS7_m11plus_mod_10ImEEE10hipError_tPvRmT1_T2_T3_mT4_P12ihipStream_tbEUlT_E1_NS1_11comp_targetILNS1_3genE0ELNS1_11target_archE4294967295ELNS1_3gpuE0ELNS1_3repE0EEENS1_30default_config_static_selectorELNS0_4arch9wavefront6targetE1EEEvSD_,@function
_ZN7rocprim17ROCPRIM_400000_NS6detail17trampoline_kernelINS0_14default_configENS1_22reduce_config_selectorImEEZNS1_11reduce_implILb1ES3_PmS7_m11plus_mod_10ImEEE10hipError_tPvRmT1_T2_T3_mT4_P12ihipStream_tbEUlT_E1_NS1_11comp_targetILNS1_3genE0ELNS1_11target_archE4294967295ELNS1_3gpuE0ELNS1_3repE0EEENS1_30default_config_static_selectorELNS0_4arch9wavefront6targetE1EEEvSD_: ; @_ZN7rocprim17ROCPRIM_400000_NS6detail17trampoline_kernelINS0_14default_configENS1_22reduce_config_selectorImEEZNS1_11reduce_implILb1ES3_PmS7_m11plus_mod_10ImEEE10hipError_tPvRmT1_T2_T3_mT4_P12ihipStream_tbEUlT_E1_NS1_11comp_targetILNS1_3genE0ELNS1_11target_archE4294967295ELNS1_3gpuE0ELNS1_3repE0EEENS1_30default_config_static_selectorELNS0_4arch9wavefront6targetE1EEEvSD_
; %bb.0:
	s_load_dword s33, s[0:1], 0x4
	s_load_dwordx8 s[36:43], s[0:1], 0x8
	s_waitcnt lgkmcnt(0)
	s_cmp_lt_i32 s33, 4
	s_cbranch_scc1 .LBB558_10
; %bb.1:
	s_cmp_gt_i32 s33, 7
	s_cbranch_scc0 .LBB558_11
; %bb.2:
	s_cmp_gt_i32 s33, 15
	s_cbranch_scc0 .LBB558_12
; %bb.3:
	s_mov_b64 s[30:31], 0
	s_cmp_eq_u32 s33, 16
	s_mov_b64 s[14:15], 0
                                        ; implicit-def: $vgpr4_vgpr5
                                        ; implicit-def: $vgpr2_vgpr3
	s_cbranch_scc0 .LBB558_13
; %bb.4:
	s_mov_b32 s3, 0
	s_lshl_b32 s0, s2, 12
	s_mov_b32 s1, s3
	s_lshr_b64 s[4:5], s[38:39], 12
	s_lshl_b64 s[6:7], s[0:1], 3
	s_add_u32 s34, s36, s6
	s_addc_u32 s35, s37, s7
	s_cmp_lg_u64 s[4:5], s[2:3]
	s_cbranch_scc0 .LBB558_22
; %bb.5:
	v_lshlrev_b32_e32 v2, 3, v0
	global_load_dwordx2 v[22:23], v2, s[34:35] offset:2048
	global_load_dwordx2 v[24:25], v2, s[34:35]
	v_mov_b32_e32 v3, 0
	v_lshl_add_u64 v[4:5], s[34:35], 0, v[2:3]
	v_add_co_u32_e32 v6, vcc, 0x1000, v4
	s_mov_b32 s4, 0xcccccccd
	s_nop 0
	v_addc_co_u32_e32 v7, vcc, 0, v5, vcc
	global_load_dwordx2 v[26:27], v[6:7], off
	v_add_co_u32_e32 v8, vcc, 0x2000, v4
	s_mov_b32 s1, 0xcccccccc
	s_nop 0
	v_addc_co_u32_e32 v9, vcc, 0, v5, vcc
	global_load_dwordx2 v[34:35], v[6:7], off offset:2048
	global_load_dwordx2 v[36:37], v[8:9], off
	global_load_dwordx2 v[38:39], v[8:9], off offset:2048
	v_add_co_u32_e32 v10, vcc, 0x3000, v4
	v_mov_b32_e32 v29, v3
	s_nop 0
	v_addc_co_u32_e32 v11, vcc, 0, v5, vcc
	v_add_co_u32_e32 v6, vcc, 0x4000, v4
	v_mov_b32_e32 v31, v3
	s_nop 0
	v_addc_co_u32_e32 v7, vcc, 0, v5, vcc
	v_add_co_u32_e32 v40, vcc, 0x5000, v4
	global_load_dwordx2 v[42:43], v[10:11], off
	global_load_dwordx2 v[20:21], v[10:11], off offset:2048
	global_load_dwordx2 v[18:19], v[6:7], off
	global_load_dwordx2 v[16:17], v[6:7], off offset:2048
	v_addc_co_u32_e32 v41, vcc, 0, v5, vcc
	v_add_co_u32_e32 v6, vcc, 0x6000, v4
	v_mov_b32_e32 v33, v3
	s_nop 0
	v_addc_co_u32_e32 v7, vcc, 0, v5, vcc
	global_load_dwordx2 v[14:15], v[40:41], off
	global_load_dwordx2 v[12:13], v[40:41], off offset:2048
	global_load_dwordx2 v[10:11], v[6:7], off
	global_load_dwordx2 v[8:9], v[6:7], off offset:2048
	v_add_co_u32_e32 v44, vcc, 0x7000, v4
	s_waitcnt vmcnt(13)
	v_mul_hi_u32 v2, v22, s4
	v_mad_u64_u32 v[40:41], s[6:7], v23, s4, v[2:3]
	v_mov_b32_e32 v2, v41
	v_mov_b32_e32 v41, v3
	v_mad_u64_u32 v[40:41], s[6:7], v22, s1, v[40:41]
	v_mov_b32_e32 v28, v41
	v_lshl_add_u64 v[28:29], v[2:3], 0, v[28:29]
	s_waitcnt vmcnt(12)
	v_mul_hi_u32 v2, v24, s4
	v_mad_u64_u32 v[40:41], s[6:7], v25, s4, v[2:3]
	v_mad_u64_u32 v[28:29], s[6:7], v23, s1, v[28:29]
	v_mov_b32_e32 v2, v41
	v_mov_b32_e32 v41, v3
	v_alignbit_b32 v1, v29, v28, 3
	v_mad_u64_u32 v[28:29], s[6:7], v24, s1, v[40:41]
	v_mul_lo_u32 v1, v1, 10
	v_mov_b32_e32 v30, v29
	v_sub_u32_e32 v1, v22, v1
	v_lshl_add_u64 v[22:23], v[2:3], 0, v[30:31]
	v_mad_u64_u32 v[22:23], s[6:7], v25, s1, v[22:23]
	v_alignbit_b32 v2, v23, v22, 3
	v_mul_lo_u32 v2, v2, 10
	v_sub_u32_e32 v2, v24, v2
	v_addc_co_u32_e32 v45, vcc, 0, v5, vcc
	v_add_u32_e32 v2, v1, v2
	v_lshl_add_u64 v[22:23], v[2:3], 0, -10
	v_cmp_gt_u32_e32 vcc, 10, v2
	global_load_dwordx2 v[6:7], v[44:45], off
	global_load_dwordx2 v[4:5], v[44:45], off offset:2048
	v_cndmask_b32_e32 v24, v22, v2, vcc
	s_waitcnt vmcnt(13)
	v_mul_hi_u32 v2, v26, s4
	v_cndmask_b32_e64 v1, v23, 0, vcc
	v_mad_u64_u32 v[22:23], s[6:7], v27, s4, v[2:3]
	v_mov_b32_e32 v2, v23
	v_mov_b32_e32 v23, v3
	v_mad_u64_u32 v[22:23], s[6:7], v26, s1, v[22:23]
	v_mov_b32_e32 v32, v23
	v_lshl_add_u64 v[22:23], v[2:3], 0, v[32:33]
	v_mad_u64_u32 v[22:23], s[6:7], v27, s1, v[22:23]
	v_alignbit_b32 v22, v23, v22, 3
	v_mul_hi_u32 v2, v24, s4
	v_mul_lo_u32 v22, v22, 10
	v_sub_u32_e32 v25, v26, v22
	v_mad_u64_u32 v[22:23], s[6:7], v1, s4, v[2:3]
	v_mov_b32_e32 v2, v23
	v_mov_b32_e32 v23, v3
	v_mad_u64_u32 v[22:23], s[6:7], v24, s1, v[22:23]
	v_mov_b32_e32 v22, v23
	v_mov_b32_e32 v23, v3
	v_lshl_add_u64 v[22:23], v[2:3], 0, v[22:23]
	v_mad_u64_u32 v[22:23], s[6:7], v1, s1, v[22:23]
	v_alignbit_b32 v1, v23, v22, 3
	v_mul_lo_u32 v1, v1, 10
	v_sub_u32_e32 v1, v24, v1
	v_add_u32_e32 v2, v1, v25
	v_lshl_add_u64 v[22:23], v[2:3], 0, -10
	v_cmp_gt_u32_e32 vcc, 10, v2
	s_nop 1
	v_cndmask_b32_e32 v24, v22, v2, vcc
	s_waitcnt vmcnt(12)
	v_mul_hi_u32 v2, v34, s4
	v_cndmask_b32_e64 v1, v23, 0, vcc
	v_mad_u64_u32 v[22:23], s[6:7], v35, s4, v[2:3]
	v_mov_b32_e32 v2, v23
	v_mov_b32_e32 v23, v3
	v_mad_u64_u32 v[22:23], s[6:7], v34, s1, v[22:23]
	v_mov_b32_e32 v22, v23
	v_mov_b32_e32 v23, v3
	v_lshl_add_u64 v[22:23], v[2:3], 0, v[22:23]
	v_mad_u64_u32 v[22:23], s[6:7], v35, s1, v[22:23]
	v_alignbit_b32 v2, v23, v22, 3
	v_mul_lo_u32 v2, v2, 10
	v_sub_u32_e32 v25, v34, v2
	v_mul_hi_u32 v2, v24, s4
	v_mad_u64_u32 v[22:23], s[6:7], v1, s4, v[2:3]
	v_mov_b32_e32 v2, v23
	v_mov_b32_e32 v23, v3
	v_mad_u64_u32 v[22:23], s[6:7], v24, s1, v[22:23]
	v_mov_b32_e32 v22, v23
	v_mov_b32_e32 v23, v3
	v_lshl_add_u64 v[22:23], v[2:3], 0, v[22:23]
	v_mad_u64_u32 v[22:23], s[6:7], v1, s1, v[22:23]
	v_alignbit_b32 v1, v23, v22, 3
	v_mul_lo_u32 v1, v1, 10
	v_sub_u32_e32 v1, v24, v1
	v_add_u32_e32 v2, v1, v25
	v_lshl_add_u64 v[22:23], v[2:3], 0, -10
	v_cmp_gt_u32_e32 vcc, 10, v2
	s_nop 1
	v_cndmask_b32_e32 v24, v22, v2, vcc
	s_waitcnt vmcnt(11)
	v_mul_hi_u32 v2, v36, s4
	v_cndmask_b32_e64 v1, v23, 0, vcc
	v_mad_u64_u32 v[22:23], s[6:7], v37, s4, v[2:3]
	v_mov_b32_e32 v2, v23
	v_mov_b32_e32 v23, v3
	v_mad_u64_u32 v[22:23], s[6:7], v36, s1, v[22:23]
	v_mov_b32_e32 v22, v23
	v_mov_b32_e32 v23, v3
	v_lshl_add_u64 v[22:23], v[2:3], 0, v[22:23]
	v_mad_u64_u32 v[22:23], s[6:7], v37, s1, v[22:23]
	v_alignbit_b32 v2, v23, v22, 3
	v_mul_lo_u32 v2, v2, 10
	v_sub_u32_e32 v25, v36, v2
	v_mul_hi_u32 v2, v24, s4
	;; [unrolled: 31-line block ×13, first 2 shown]
	v_mad_u64_u32 v[4:5], s[6:7], v1, s4, v[2:3]
	v_mov_b32_e32 v2, v5
	v_mov_b32_e32 v5, v3
	v_mad_u64_u32 v[4:5], s[6:7], v8, s1, v[4:5]
	v_mov_b32_e32 v4, v5
	v_mov_b32_e32 v5, v3
	v_lshl_add_u64 v[4:5], v[2:3], 0, v[4:5]
	v_mad_u64_u32 v[4:5], s[6:7], v1, s1, v[4:5]
	v_alignbit_b32 v1, v5, v4, 3
	v_mul_lo_u32 v1, v1, 10
	v_sub_u32_e32 v1, v8, v1
	v_add_u32_e32 v2, v1, v6
	v_lshl_add_u64 v[4:5], v[2:3], 0, -10
	v_cmp_gt_u32_e32 vcc, 10, v2
	v_mbcnt_lo_u32_b32 v1, -1, 0
	v_mbcnt_hi_u32_b32 v1, -1, v1
	v_cndmask_b32_e32 v7, v4, v2, vcc
	v_cndmask_b32_e64 v6, v5, 0, vcc
	v_mul_hi_u32 v2, v7, s4
	v_mad_u64_u32 v[4:5], s[6:7], v6, s4, v[2:3]
	v_mov_b32_e32 v2, v5
	v_mov_b32_e32 v5, v3
	v_mad_u64_u32 v[4:5], s[6:7], v7, s1, v[4:5]
	v_mov_b32_e32 v4, v5
	v_mov_b32_e32 v5, v3
	v_lshl_add_u64 v[4:5], v[2:3], 0, v[4:5]
	v_mad_u64_u32 v[4:5], s[6:7], v6, s1, v[4:5]
	v_alignbit_b32 v2, v5, v4, 3
	v_mov_b32_dpp v8, v7 quad_perm:[1,0,3,2] row_mask:0xf bank_mask:0xf bound_ctrl:1
	v_mul_lo_u32 v2, v2, 10
	v_mov_b32_dpp v9, v6 quad_perm:[1,0,3,2] row_mask:0xf bank_mask:0xf bound_ctrl:1
	v_sub_u32_e32 v6, v7, v2
	v_mul_hi_u32 v2, v8, s4
	v_mad_u64_u32 v[4:5], s[6:7], v9, s4, v[2:3]
	v_mov_b32_e32 v2, v5
	v_mov_b32_e32 v5, v3
	v_mad_u64_u32 v[4:5], s[6:7], v8, s1, v[4:5]
	v_mov_b32_e32 v4, v5
	v_mov_b32_e32 v5, v3
	v_lshl_add_u64 v[4:5], v[2:3], 0, v[4:5]
	v_mad_u64_u32 v[4:5], s[6:7], v9, s1, v[4:5]
	v_alignbit_b32 v2, v5, v4, 3
	v_mul_lo_u32 v2, v2, 10
	v_sub_u32_e32 v2, v8, v2
	v_add_u32_e32 v2, v6, v2
	v_lshl_add_u64 v[4:5], v[2:3], 0, -10
	v_cmp_gt_u32_e32 vcc, 10, v2
	s_nop 1
	v_cndmask_b32_e32 v7, v4, v2, vcc
	v_cndmask_b32_e64 v6, v5, 0, vcc
	v_mul_hi_u32 v2, v7, s4
	v_mad_u64_u32 v[4:5], s[6:7], v6, s4, v[2:3]
	v_mov_b32_e32 v2, v5
	v_mov_b32_e32 v5, v3
	v_mad_u64_u32 v[4:5], s[6:7], v7, s1, v[4:5]
	v_mov_b32_e32 v4, v5
	v_mov_b32_e32 v5, v3
	v_lshl_add_u64 v[4:5], v[2:3], 0, v[4:5]
	v_mad_u64_u32 v[4:5], s[6:7], v6, s1, v[4:5]
	v_alignbit_b32 v2, v5, v4, 3
	v_mov_b32_dpp v8, v7 quad_perm:[2,3,0,1] row_mask:0xf bank_mask:0xf bound_ctrl:1
	v_mul_lo_u32 v2, v2, 10
	v_mov_b32_dpp v9, v6 quad_perm:[2,3,0,1] row_mask:0xf bank_mask:0xf bound_ctrl:1
	v_sub_u32_e32 v6, v7, v2
	v_mul_hi_u32 v2, v8, s4
	v_mad_u64_u32 v[4:5], s[6:7], v9, s4, v[2:3]
	v_mov_b32_e32 v2, v5
	v_mov_b32_e32 v5, v3
	v_mad_u64_u32 v[4:5], s[6:7], v8, s1, v[4:5]
	v_mov_b32_e32 v4, v5
	v_mov_b32_e32 v5, v3
	v_lshl_add_u64 v[4:5], v[2:3], 0, v[4:5]
	v_mad_u64_u32 v[4:5], s[6:7], v9, s1, v[4:5]
	v_alignbit_b32 v2, v5, v4, 3
	v_mul_lo_u32 v2, v2, 10
	v_sub_u32_e32 v2, v8, v2
	v_add_u32_e32 v2, v6, v2
	v_lshl_add_u64 v[4:5], v[2:3], 0, -10
	v_cmp_gt_u32_e32 vcc, 10, v2
	s_nop 1
	v_cndmask_b32_e32 v7, v4, v2, vcc
	v_cndmask_b32_e64 v6, v5, 0, vcc
	v_mul_hi_u32 v2, v7, s4
	v_mad_u64_u32 v[4:5], s[6:7], v6, s4, v[2:3]
	v_mov_b32_e32 v2, v5
	v_mov_b32_e32 v5, v3
	v_mad_u64_u32 v[4:5], s[6:7], v7, s1, v[4:5]
	v_mov_b32_e32 v4, v5
	v_mov_b32_e32 v5, v3
	v_lshl_add_u64 v[4:5], v[2:3], 0, v[4:5]
	v_mad_u64_u32 v[4:5], s[6:7], v6, s1, v[4:5]
	v_alignbit_b32 v2, v5, v4, 3
	v_mov_b32_dpp v8, v7 row_ror:4 row_mask:0xf bank_mask:0xf bound_ctrl:1
	v_mul_lo_u32 v2, v2, 10
	v_mov_b32_dpp v9, v6 row_ror:4 row_mask:0xf bank_mask:0xf bound_ctrl:1
	v_sub_u32_e32 v6, v7, v2
	v_mul_hi_u32 v2, v8, s4
	v_mad_u64_u32 v[4:5], s[6:7], v9, s4, v[2:3]
	v_mov_b32_e32 v2, v5
	v_mov_b32_e32 v5, v3
	v_mad_u64_u32 v[4:5], s[6:7], v8, s1, v[4:5]
	v_mov_b32_e32 v4, v5
	v_mov_b32_e32 v5, v3
	v_lshl_add_u64 v[4:5], v[2:3], 0, v[4:5]
	v_mad_u64_u32 v[4:5], s[6:7], v9, s1, v[4:5]
	v_alignbit_b32 v2, v5, v4, 3
	v_mul_lo_u32 v2, v2, 10
	v_sub_u32_e32 v2, v8, v2
	v_add_u32_e32 v2, v6, v2
	v_lshl_add_u64 v[4:5], v[2:3], 0, -10
	v_cmp_gt_u32_e32 vcc, 10, v2
	s_nop 1
	v_cndmask_b32_e32 v7, v4, v2, vcc
	v_cndmask_b32_e64 v6, v5, 0, vcc
	v_mul_hi_u32 v2, v7, s4
	v_mad_u64_u32 v[4:5], s[6:7], v6, s4, v[2:3]
	v_mov_b32_e32 v2, v5
	v_mov_b32_e32 v5, v3
	v_mad_u64_u32 v[4:5], s[6:7], v7, s1, v[4:5]
	v_mov_b32_e32 v4, v5
	v_mov_b32_e32 v5, v3
	v_lshl_add_u64 v[4:5], v[2:3], 0, v[4:5]
	v_mad_u64_u32 v[4:5], s[6:7], v6, s1, v[4:5]
	v_alignbit_b32 v2, v5, v4, 3
	v_mov_b32_dpp v8, v7 row_ror:8 row_mask:0xf bank_mask:0xf bound_ctrl:1
	v_mul_lo_u32 v2, v2, 10
	v_mov_b32_dpp v9, v6 row_ror:8 row_mask:0xf bank_mask:0xf bound_ctrl:1
	v_sub_u32_e32 v6, v7, v2
	v_mul_hi_u32 v2, v8, s4
	v_mad_u64_u32 v[4:5], s[6:7], v9, s4, v[2:3]
	v_mov_b32_e32 v2, v5
	v_mov_b32_e32 v5, v3
	v_mad_u64_u32 v[4:5], s[6:7], v8, s1, v[4:5]
	v_mov_b32_e32 v4, v5
	v_mov_b32_e32 v5, v3
	v_lshl_add_u64 v[4:5], v[2:3], 0, v[4:5]
	v_mad_u64_u32 v[4:5], s[6:7], v9, s1, v[4:5]
	v_alignbit_b32 v2, v5, v4, 3
	v_mul_lo_u32 v2, v2, 10
	v_sub_u32_e32 v2, v8, v2
	v_add_u32_e32 v2, v6, v2
	v_lshl_add_u64 v[4:5], v[2:3], 0, -10
	v_cmp_gt_u32_e32 vcc, 10, v2
	s_nop 1
	v_cndmask_b32_e32 v7, v4, v2, vcc
	v_cndmask_b32_e64 v6, v5, 0, vcc
	v_mul_hi_u32 v2, v7, s4
	v_mad_u64_u32 v[4:5], s[6:7], v6, s4, v[2:3]
	v_mov_b32_e32 v2, v5
	v_mov_b32_e32 v5, v3
	v_mad_u64_u32 v[4:5], s[6:7], v7, s1, v[4:5]
	v_mov_b32_e32 v4, v5
	v_mov_b32_e32 v5, v3
	v_lshl_add_u64 v[4:5], v[2:3], 0, v[4:5]
	v_mad_u64_u32 v[4:5], s[6:7], v6, s1, v[4:5]
	v_alignbit_b32 v2, v5, v4, 3
	v_mov_b32_dpp v8, v7 row_bcast:15 row_mask:0xf bank_mask:0xf bound_ctrl:1
	v_mul_lo_u32 v2, v2, 10
	v_mov_b32_dpp v9, v6 row_bcast:15 row_mask:0xf bank_mask:0xf bound_ctrl:1
	v_sub_u32_e32 v6, v7, v2
	v_mul_hi_u32 v2, v8, s4
	v_mad_u64_u32 v[4:5], s[6:7], v9, s4, v[2:3]
	v_mov_b32_e32 v2, v5
	v_mov_b32_e32 v5, v3
	v_mad_u64_u32 v[4:5], s[6:7], v8, s1, v[4:5]
	v_mov_b32_e32 v4, v5
	v_mov_b32_e32 v5, v3
	v_lshl_add_u64 v[4:5], v[2:3], 0, v[4:5]
	v_mad_u64_u32 v[4:5], s[6:7], v9, s1, v[4:5]
	v_alignbit_b32 v2, v5, v4, 3
	v_mul_lo_u32 v2, v2, 10
	v_sub_u32_e32 v2, v8, v2
	v_add_u32_e32 v2, v6, v2
	v_lshl_add_u64 v[4:5], v[2:3], 0, -10
	v_cmp_gt_u32_e32 vcc, 10, v2
	s_nop 1
	v_cndmask_b32_e32 v7, v4, v2, vcc
	v_cndmask_b32_e64 v6, v5, 0, vcc
	v_mul_hi_u32 v2, v7, s4
	v_mad_u64_u32 v[4:5], s[6:7], v6, s4, v[2:3]
	v_mov_b32_e32 v2, v5
	v_mov_b32_e32 v5, v3
	v_mad_u64_u32 v[4:5], s[6:7], v7, s1, v[4:5]
	v_mov_b32_e32 v4, v5
	v_mov_b32_e32 v5, v3
	v_lshl_add_u64 v[4:5], v[2:3], 0, v[4:5]
	v_mad_u64_u32 v[4:5], s[6:7], v6, s1, v[4:5]
	v_alignbit_b32 v2, v5, v4, 3
	v_mov_b32_dpp v8, v7 row_bcast:31 row_mask:0xf bank_mask:0xf bound_ctrl:1
	v_mul_lo_u32 v2, v2, 10
	v_mov_b32_dpp v9, v6 row_bcast:31 row_mask:0xf bank_mask:0xf bound_ctrl:1
	v_sub_u32_e32 v6, v7, v2
	v_mul_hi_u32 v2, v8, s4
	v_mad_u64_u32 v[4:5], s[4:5], v9, s4, v[2:3]
	v_mov_b32_e32 v2, v5
	v_mov_b32_e32 v5, v3
	v_mad_u64_u32 v[4:5], s[4:5], v8, s1, v[4:5]
	v_mov_b32_e32 v4, v5
	v_mov_b32_e32 v5, v3
	v_lshl_add_u64 v[4:5], v[2:3], 0, v[4:5]
	v_mad_u64_u32 v[4:5], s[4:5], v9, s1, v[4:5]
	v_alignbit_b32 v2, v5, v4, 3
	v_mul_lo_u32 v2, v2, 10
	v_sub_u32_e32 v2, v8, v2
	v_add_u32_e32 v2, v6, v2
	v_lshl_add_u64 v[4:5], v[2:3], 0, -10
	v_cmp_gt_u32_e32 vcc, 10, v2
	s_nop 1
	v_cndmask_b32_e32 v2, v4, v2, vcc
	v_lshlrev_b32_e32 v4, 2, v1
	v_cndmask_b32_e64 v3, v5, 0, vcc
	v_or_b32_e32 v5, 0xfc, v4
	ds_bpermute_b32 v2, v5, v2
	ds_bpermute_b32 v3, v5, v3
	v_cmp_eq_u32_e32 vcc, 0, v1
	s_and_saveexec_b64 s[4:5], vcc
	s_cbranch_execz .LBB558_7
; %bb.6:
	v_lshrrev_b32_e32 v5, 3, v0
	v_and_b32_e32 v5, 24, v5
	s_waitcnt lgkmcnt(0)
	ds_write_b64 v5, v[2:3] offset:32
.LBB558_7:
	s_or_b64 exec, exec, s[4:5]
	v_cmp_gt_u32_e32 vcc, 64, v0
	s_waitcnt lgkmcnt(0)
	s_barrier
	s_and_saveexec_b64 s[4:5], vcc
	s_cbranch_execz .LBB558_9
; %bb.8:
	v_and_b32_e32 v5, 3, v1
	v_lshlrev_b32_e32 v2, 3, v5
	ds_read_b64 v[2:3], v2 offset:32
	v_cmp_ne_u32_e32 vcc, 3, v5
	s_mov_b32 s1, 0xcccccccd
	v_mov_b32_e32 v7, 0
	v_addc_co_u32_e32 v1, vcc, 0, v1, vcc
	v_lshlrev_b32_e32 v1, 2, v1
	s_waitcnt lgkmcnt(0)
	ds_bpermute_b32 v5, v1, v2
	ds_bpermute_b32 v1, v1, v3
	s_mov_b32 s8, 0xcccccccc
	s_waitcnt lgkmcnt(1)
	v_mul_hi_u32 v6, v5, s1
	s_waitcnt lgkmcnt(0)
	v_mad_u64_u32 v[8:9], s[6:7], v1, s1, v[6:7]
	v_mov_b32_e32 v6, v9
	v_mov_b32_e32 v9, v7
	v_mad_u64_u32 v[8:9], s[6:7], v5, s8, v[8:9]
	v_mov_b32_e32 v8, v9
	v_mov_b32_e32 v9, v7
	v_lshl_add_u64 v[8:9], v[6:7], 0, v[8:9]
	v_mad_u64_u32 v[8:9], s[6:7], v1, s8, v[8:9]
	v_mul_hi_u32 v6, v2, s1
	v_alignbit_b32 v1, v9, v8, 3
	v_mad_u64_u32 v[8:9], s[6:7], v3, s1, v[6:7]
	v_mov_b32_e32 v6, v9
	v_mov_b32_e32 v9, v7
	v_mad_u64_u32 v[8:9], s[6:7], v2, s8, v[8:9]
	v_mov_b32_e32 v8, v9
	v_mov_b32_e32 v9, v7
	v_lshl_add_u64 v[8:9], v[6:7], 0, v[8:9]
	v_mad_u64_u32 v[8:9], s[6:7], v3, s8, v[8:9]
	v_alignbit_b32 v3, v9, v8, 3
	v_mul_lo_u32 v1, v1, 10
	v_mul_lo_u32 v3, v3, 10
	v_sub_u32_e32 v1, v5, v1
	v_sub_u32_e32 v2, v2, v3
	v_add_u32_e32 v6, v1, v2
	v_lshl_add_u64 v[2:3], v[6:7], 0, -10
	v_cmp_gt_u32_e32 vcc, 10, v6
	s_nop 1
	v_cndmask_b32_e32 v5, v2, v6, vcc
	v_or_b32_e32 v2, 8, v4
	v_cndmask_b32_e64 v1, v3, 0, vcc
	ds_bpermute_b32 v4, v2, v5
	ds_bpermute_b32 v8, v2, v1
	s_waitcnt lgkmcnt(1)
	v_mul_hi_u32 v6, v4, s1
	s_waitcnt lgkmcnt(0)
	v_mad_u64_u32 v[2:3], s[6:7], v8, s1, v[6:7]
	v_mov_b32_e32 v6, v3
	v_mov_b32_e32 v3, v7
	v_mad_u64_u32 v[2:3], s[6:7], v4, s8, v[2:3]
	v_mov_b32_e32 v2, v3
	v_mov_b32_e32 v3, v7
	v_lshl_add_u64 v[2:3], v[6:7], 0, v[2:3]
	v_mad_u64_u32 v[2:3], s[6:7], v8, s8, v[2:3]
	v_alignbit_b32 v2, v3, v2, 3
	v_mul_lo_u32 v2, v2, 10
	v_mul_hi_u32 v6, v5, s1
	v_sub_u32_e32 v4, v4, v2
	v_mad_u64_u32 v[2:3], s[6:7], v1, s1, v[6:7]
	v_mov_b32_e32 v6, v3
	v_mov_b32_e32 v3, v7
	v_mad_u64_u32 v[2:3], s[6:7], v5, s8, v[2:3]
	v_mov_b32_e32 v2, v3
	v_mov_b32_e32 v3, v7
	v_lshl_add_u64 v[2:3], v[6:7], 0, v[2:3]
	v_mad_u64_u32 v[2:3], s[6:7], v1, s8, v[2:3]
	v_alignbit_b32 v1, v3, v2, 3
	v_mul_lo_u32 v1, v1, 10
	v_sub_u32_e32 v1, v5, v1
	v_add_u32_e32 v6, v1, v4
	v_lshl_add_u64 v[2:3], v[6:7], 0, -10
	v_cmp_gt_u32_e32 vcc, 10, v6
	s_nop 1
	v_cndmask_b32_e64 v3, v3, 0, vcc
	v_cndmask_b32_e32 v2, v2, v6, vcc
.LBB558_9:
	s_or_b64 exec, exec, s[4:5]
	s_mov_b64 s[4:5], 0
	s_branch .LBB558_23
.LBB558_10:
	s_mov_b64 s[14:15], 0
                                        ; implicit-def: $vgpr4_vgpr5
                                        ; implicit-def: $vgpr2_vgpr3
	s_cbranch_execnz .LBB558_196
	s_branch .LBB558_247
.LBB558_11:
	s_mov_b64 s[14:15], 0
                                        ; implicit-def: $vgpr4_vgpr5
                                        ; implicit-def: $vgpr2_vgpr3
	s_cbranch_execnz .LBB558_149
	s_branch .LBB558_157
.LBB558_12:
	s_mov_b64 s[30:31], -1
	s_mov_b64 s[14:15], 0
                                        ; implicit-def: $vgpr4_vgpr5
                                        ; implicit-def: $vgpr2_vgpr3
.LBB558_13:
	s_and_b64 vcc, exec, s[30:31]
	s_cbranch_vccz .LBB558_97
.LBB558_14:
	s_cmp_eq_u32 s33, 8
	s_cbranch_scc0 .LBB558_21
; %bb.15:
	s_mov_b32 s3, 0
	s_lshl_b32 s0, s2, 11
	s_mov_b32 s1, s3
	s_lshr_b64 s[4:5], s[38:39], 11
	s_lshl_b64 s[6:7], s[0:1], 3
	s_add_u32 s16, s36, s6
	s_addc_u32 s17, s37, s7
	s_cmp_lg_u64 s[4:5], s[2:3]
	s_cbranch_scc0 .LBB558_98
; %bb.16:
	v_lshlrev_b32_e32 v2, 3, v0
	s_waitcnt lgkmcnt(0)
	global_load_dwordx2 v[4:5], v2, s[16:17] offset:2048
	global_load_dwordx2 v[6:7], v2, s[16:17]
	v_mov_b32_e32 v3, 0
	v_lshl_add_u64 v[8:9], s[16:17], 0, v[2:3]
	v_add_co_u32_e32 v10, vcc, 0x1000, v8
	s_mov_b32 s4, 0xcccccccd
	s_nop 0
	v_addc_co_u32_e32 v11, vcc, 0, v9, vcc
	global_load_dwordx2 v[12:13], v[10:11], off
	v_add_co_u32_e32 v26, vcc, 0x2000, v8
	global_load_dwordx2 v[10:11], v[10:11], off offset:2048
	s_nop 0
	v_addc_co_u32_e32 v27, vcc, 0, v9, vcc
	global_load_dwordx2 v[28:29], v[26:27], off
	global_load_dwordx2 v[30:31], v[26:27], off offset:2048
	v_add_co_u32_e32 v8, vcc, 0x3000, v8
	s_mov_b32 s1, 0xcccccccc
	s_nop 0
	v_addc_co_u32_e32 v9, vcc, 0, v9, vcc
	global_load_dwordx2 v[26:27], v[8:9], off
	global_load_dwordx2 v[32:33], v[8:9], off offset:2048
	v_mov_b32_e32 v15, v3
	v_mov_b32_e32 v17, v3
	;; [unrolled: 1-line block ×6, first 2 shown]
	s_waitcnt vmcnt(7)
	v_mul_hi_u32 v2, v4, s4
	v_mad_u64_u32 v[8:9], s[6:7], v5, s4, v[2:3]
	v_mov_b32_e32 v2, v9
	v_mov_b32_e32 v9, v3
	v_mad_u64_u32 v[8:9], s[6:7], v4, s1, v[8:9]
	v_mov_b32_e32 v14, v9
	v_lshl_add_u64 v[8:9], v[2:3], 0, v[14:15]
	s_waitcnt vmcnt(6)
	v_mul_hi_u32 v2, v6, s4
	v_mad_u64_u32 v[14:15], s[6:7], v7, s4, v[2:3]
	v_mad_u64_u32 v[8:9], s[6:7], v5, s1, v[8:9]
	v_mov_b32_e32 v2, v15
	v_mov_b32_e32 v15, v3
	v_alignbit_b32 v1, v9, v8, 3
	v_mad_u64_u32 v[8:9], s[6:7], v6, s1, v[14:15]
	v_mul_lo_u32 v1, v1, 10
	v_mov_b32_e32 v16, v9
	v_sub_u32_e32 v1, v4, v1
	v_lshl_add_u64 v[4:5], v[2:3], 0, v[16:17]
	v_mad_u64_u32 v[4:5], s[6:7], v7, s1, v[4:5]
	v_alignbit_b32 v2, v5, v4, 3
	v_mul_lo_u32 v2, v2, 10
	v_sub_u32_e32 v2, v6, v2
	v_add_u32_e32 v2, v1, v2
	v_lshl_add_u64 v[4:5], v[2:3], 0, -10
	v_cmp_gt_u32_e32 vcc, 10, v2
	s_nop 1
	v_cndmask_b32_e32 v8, v4, v2, vcc
	s_waitcnt vmcnt(5)
	v_mul_hi_u32 v2, v12, s4
	v_cndmask_b32_e64 v1, v5, 0, vcc
	v_mad_u64_u32 v[4:5], s[6:7], v13, s4, v[2:3]
	v_mov_b32_e32 v2, v5
	v_mov_b32_e32 v5, v3
	v_mad_u64_u32 v[4:5], s[6:7], v12, s1, v[4:5]
	v_mov_b32_e32 v18, v5
	v_lshl_add_u64 v[4:5], v[2:3], 0, v[18:19]
	v_mul_hi_u32 v2, v8, s4
	v_mad_u64_u32 v[4:5], s[6:7], v13, s1, v[4:5]
	v_mad_u64_u32 v[6:7], s[6:7], v1, s4, v[2:3]
	v_alignbit_b32 v4, v5, v4, 3
	v_mov_b32_e32 v2, v7
	v_mov_b32_e32 v7, v3
	v_mul_lo_u32 v9, v4, 10
	v_mad_u64_u32 v[4:5], s[6:7], v8, s1, v[6:7]
	v_mov_b32_e32 v20, v5
	v_lshl_add_u64 v[4:5], v[2:3], 0, v[20:21]
	v_mad_u64_u32 v[4:5], s[6:7], v1, s1, v[4:5]
	v_alignbit_b32 v1, v5, v4, 3
	v_mul_lo_u32 v1, v1, 10
	v_sub_u32_e32 v6, v12, v9
	v_sub_u32_e32 v1, v8, v1
	v_add_u32_e32 v2, v1, v6
	v_lshl_add_u64 v[4:5], v[2:3], 0, -10
	v_cmp_gt_u32_e32 vcc, 10, v2
	s_nop 1
	v_cndmask_b32_e32 v8, v4, v2, vcc
	s_waitcnt vmcnt(4)
	v_mul_hi_u32 v2, v10, s4
	v_cndmask_b32_e64 v1, v5, 0, vcc
	v_mad_u64_u32 v[4:5], s[6:7], v11, s4, v[2:3]
	v_mov_b32_e32 v2, v5
	v_mov_b32_e32 v5, v3
	v_mad_u64_u32 v[4:5], s[6:7], v10, s1, v[4:5]
	v_mov_b32_e32 v22, v5
	v_lshl_add_u64 v[4:5], v[2:3], 0, v[22:23]
	v_mul_hi_u32 v2, v8, s4
	v_mad_u64_u32 v[4:5], s[6:7], v11, s1, v[4:5]
	v_mad_u64_u32 v[6:7], s[6:7], v1, s4, v[2:3]
	v_alignbit_b32 v4, v5, v4, 3
	v_mov_b32_e32 v2, v7
	v_mov_b32_e32 v7, v3
	v_mul_lo_u32 v9, v4, 10
	v_mad_u64_u32 v[4:5], s[6:7], v8, s1, v[6:7]
	v_mov_b32_e32 v24, v5
	v_lshl_add_u64 v[4:5], v[2:3], 0, v[24:25]
	v_mad_u64_u32 v[4:5], s[6:7], v1, s1, v[4:5]
	v_alignbit_b32 v1, v5, v4, 3
	v_mul_lo_u32 v1, v1, 10
	v_sub_u32_e32 v6, v10, v9
	v_sub_u32_e32 v1, v8, v1
	v_add_u32_e32 v2, v1, v6
	v_lshl_add_u64 v[4:5], v[2:3], 0, -10
	v_cmp_gt_u32_e32 vcc, 10, v2
	s_nop 1
	v_cndmask_b32_e32 v6, v4, v2, vcc
	s_waitcnt vmcnt(3)
	v_mul_hi_u32 v2, v28, s4
	v_cndmask_b32_e64 v1, v5, 0, vcc
	v_mad_u64_u32 v[4:5], s[6:7], v29, s4, v[2:3]
	v_mov_b32_e32 v2, v5
	v_mov_b32_e32 v5, v3
	v_mad_u64_u32 v[4:5], s[6:7], v28, s1, v[4:5]
	v_mov_b32_e32 v4, v5
	v_mov_b32_e32 v5, v3
	v_lshl_add_u64 v[4:5], v[2:3], 0, v[4:5]
	v_mad_u64_u32 v[4:5], s[6:7], v29, s1, v[4:5]
	v_alignbit_b32 v2, v5, v4, 3
	v_mul_lo_u32 v2, v2, 10
	v_sub_u32_e32 v7, v28, v2
	v_mul_hi_u32 v2, v6, s4
	v_mad_u64_u32 v[4:5], s[6:7], v1, s4, v[2:3]
	v_mov_b32_e32 v2, v5
	v_mov_b32_e32 v5, v3
	v_mad_u64_u32 v[4:5], s[6:7], v6, s1, v[4:5]
	v_mov_b32_e32 v4, v5
	v_mov_b32_e32 v5, v3
	v_lshl_add_u64 v[4:5], v[2:3], 0, v[4:5]
	v_mad_u64_u32 v[4:5], s[6:7], v1, s1, v[4:5]
	v_alignbit_b32 v1, v5, v4, 3
	v_mul_lo_u32 v1, v1, 10
	v_sub_u32_e32 v1, v6, v1
	v_add_u32_e32 v2, v1, v7
	v_lshl_add_u64 v[4:5], v[2:3], 0, -10
	v_cmp_gt_u32_e32 vcc, 10, v2
	s_nop 1
	v_cndmask_b32_e32 v6, v4, v2, vcc
	s_waitcnt vmcnt(2)
	v_mul_hi_u32 v2, v30, s4
	v_cndmask_b32_e64 v1, v5, 0, vcc
	v_mad_u64_u32 v[4:5], s[6:7], v31, s4, v[2:3]
	v_mov_b32_e32 v2, v5
	v_mov_b32_e32 v5, v3
	v_mad_u64_u32 v[4:5], s[6:7], v30, s1, v[4:5]
	v_mov_b32_e32 v4, v5
	v_mov_b32_e32 v5, v3
	v_lshl_add_u64 v[4:5], v[2:3], 0, v[4:5]
	v_mad_u64_u32 v[4:5], s[6:7], v31, s1, v[4:5]
	v_alignbit_b32 v2, v5, v4, 3
	v_mul_lo_u32 v2, v2, 10
	v_sub_u32_e32 v7, v30, v2
	v_mul_hi_u32 v2, v6, s4
	v_mad_u64_u32 v[4:5], s[6:7], v1, s4, v[2:3]
	v_mov_b32_e32 v2, v5
	v_mov_b32_e32 v5, v3
	v_mad_u64_u32 v[4:5], s[6:7], v6, s1, v[4:5]
	v_mov_b32_e32 v4, v5
	v_mov_b32_e32 v5, v3
	v_lshl_add_u64 v[4:5], v[2:3], 0, v[4:5]
	v_mad_u64_u32 v[4:5], s[6:7], v1, s1, v[4:5]
	v_alignbit_b32 v1, v5, v4, 3
	v_mul_lo_u32 v1, v1, 10
	;; [unrolled: 31-line block ×4, first 2 shown]
	v_sub_u32_e32 v1, v6, v1
	v_add_u32_e32 v2, v1, v7
	v_lshl_add_u64 v[4:5], v[2:3], 0, -10
	v_cmp_gt_u32_e32 vcc, 10, v2
	v_mbcnt_lo_u32_b32 v1, -1, 0
	v_mbcnt_hi_u32_b32 v1, -1, v1
	v_cndmask_b32_e32 v7, v4, v2, vcc
	v_cndmask_b32_e64 v6, v5, 0, vcc
	v_mul_hi_u32 v2, v7, s4
	v_mad_u64_u32 v[4:5], s[6:7], v6, s4, v[2:3]
	v_mov_b32_e32 v2, v5
	v_mov_b32_e32 v5, v3
	v_mad_u64_u32 v[4:5], s[6:7], v7, s1, v[4:5]
	v_mov_b32_e32 v4, v5
	v_mov_b32_e32 v5, v3
	v_lshl_add_u64 v[4:5], v[2:3], 0, v[4:5]
	v_mad_u64_u32 v[4:5], s[6:7], v6, s1, v[4:5]
	v_alignbit_b32 v2, v5, v4, 3
	v_mov_b32_dpp v8, v7 quad_perm:[1,0,3,2] row_mask:0xf bank_mask:0xf bound_ctrl:1
	v_mul_lo_u32 v2, v2, 10
	v_mov_b32_dpp v9, v6 quad_perm:[1,0,3,2] row_mask:0xf bank_mask:0xf bound_ctrl:1
	v_sub_u32_e32 v6, v7, v2
	v_mul_hi_u32 v2, v8, s4
	v_mad_u64_u32 v[4:5], s[6:7], v9, s4, v[2:3]
	v_mov_b32_e32 v2, v5
	v_mov_b32_e32 v5, v3
	v_mad_u64_u32 v[4:5], s[6:7], v8, s1, v[4:5]
	v_mov_b32_e32 v4, v5
	v_mov_b32_e32 v5, v3
	v_lshl_add_u64 v[4:5], v[2:3], 0, v[4:5]
	v_mad_u64_u32 v[4:5], s[6:7], v9, s1, v[4:5]
	v_alignbit_b32 v2, v5, v4, 3
	v_mul_lo_u32 v2, v2, 10
	v_sub_u32_e32 v2, v8, v2
	v_add_u32_e32 v2, v6, v2
	v_lshl_add_u64 v[4:5], v[2:3], 0, -10
	v_cmp_gt_u32_e32 vcc, 10, v2
	s_nop 1
	v_cndmask_b32_e32 v7, v4, v2, vcc
	v_cndmask_b32_e64 v6, v5, 0, vcc
	v_mul_hi_u32 v2, v7, s4
	v_mad_u64_u32 v[4:5], s[6:7], v6, s4, v[2:3]
	v_mov_b32_e32 v2, v5
	v_mov_b32_e32 v5, v3
	v_mad_u64_u32 v[4:5], s[6:7], v7, s1, v[4:5]
	v_mov_b32_e32 v4, v5
	v_mov_b32_e32 v5, v3
	v_lshl_add_u64 v[4:5], v[2:3], 0, v[4:5]
	v_mad_u64_u32 v[4:5], s[6:7], v6, s1, v[4:5]
	v_alignbit_b32 v2, v5, v4, 3
	v_mov_b32_dpp v8, v7 quad_perm:[2,3,0,1] row_mask:0xf bank_mask:0xf bound_ctrl:1
	v_mul_lo_u32 v2, v2, 10
	v_mov_b32_dpp v9, v6 quad_perm:[2,3,0,1] row_mask:0xf bank_mask:0xf bound_ctrl:1
	v_sub_u32_e32 v6, v7, v2
	v_mul_hi_u32 v2, v8, s4
	v_mad_u64_u32 v[4:5], s[6:7], v9, s4, v[2:3]
	v_mov_b32_e32 v2, v5
	v_mov_b32_e32 v5, v3
	v_mad_u64_u32 v[4:5], s[6:7], v8, s1, v[4:5]
	v_mov_b32_e32 v4, v5
	v_mov_b32_e32 v5, v3
	v_lshl_add_u64 v[4:5], v[2:3], 0, v[4:5]
	v_mad_u64_u32 v[4:5], s[6:7], v9, s1, v[4:5]
	v_alignbit_b32 v2, v5, v4, 3
	v_mul_lo_u32 v2, v2, 10
	v_sub_u32_e32 v2, v8, v2
	v_add_u32_e32 v2, v6, v2
	v_lshl_add_u64 v[4:5], v[2:3], 0, -10
	v_cmp_gt_u32_e32 vcc, 10, v2
	s_nop 1
	v_cndmask_b32_e32 v7, v4, v2, vcc
	v_cndmask_b32_e64 v6, v5, 0, vcc
	v_mul_hi_u32 v2, v7, s4
	v_mad_u64_u32 v[4:5], s[6:7], v6, s4, v[2:3]
	v_mov_b32_e32 v2, v5
	v_mov_b32_e32 v5, v3
	v_mad_u64_u32 v[4:5], s[6:7], v7, s1, v[4:5]
	v_mov_b32_e32 v4, v5
	v_mov_b32_e32 v5, v3
	v_lshl_add_u64 v[4:5], v[2:3], 0, v[4:5]
	v_mad_u64_u32 v[4:5], s[6:7], v6, s1, v[4:5]
	v_alignbit_b32 v2, v5, v4, 3
	v_mov_b32_dpp v8, v7 row_ror:4 row_mask:0xf bank_mask:0xf bound_ctrl:1
	v_mul_lo_u32 v2, v2, 10
	v_mov_b32_dpp v9, v6 row_ror:4 row_mask:0xf bank_mask:0xf bound_ctrl:1
	v_sub_u32_e32 v6, v7, v2
	v_mul_hi_u32 v2, v8, s4
	v_mad_u64_u32 v[4:5], s[6:7], v9, s4, v[2:3]
	v_mov_b32_e32 v2, v5
	v_mov_b32_e32 v5, v3
	v_mad_u64_u32 v[4:5], s[6:7], v8, s1, v[4:5]
	v_mov_b32_e32 v4, v5
	v_mov_b32_e32 v5, v3
	v_lshl_add_u64 v[4:5], v[2:3], 0, v[4:5]
	v_mad_u64_u32 v[4:5], s[6:7], v9, s1, v[4:5]
	v_alignbit_b32 v2, v5, v4, 3
	v_mul_lo_u32 v2, v2, 10
	v_sub_u32_e32 v2, v8, v2
	v_add_u32_e32 v2, v6, v2
	v_lshl_add_u64 v[4:5], v[2:3], 0, -10
	v_cmp_gt_u32_e32 vcc, 10, v2
	s_nop 1
	v_cndmask_b32_e32 v7, v4, v2, vcc
	v_cndmask_b32_e64 v6, v5, 0, vcc
	v_mul_hi_u32 v2, v7, s4
	v_mad_u64_u32 v[4:5], s[6:7], v6, s4, v[2:3]
	v_mov_b32_e32 v2, v5
	v_mov_b32_e32 v5, v3
	v_mad_u64_u32 v[4:5], s[6:7], v7, s1, v[4:5]
	v_mov_b32_e32 v4, v5
	v_mov_b32_e32 v5, v3
	v_lshl_add_u64 v[4:5], v[2:3], 0, v[4:5]
	v_mad_u64_u32 v[4:5], s[6:7], v6, s1, v[4:5]
	v_alignbit_b32 v2, v5, v4, 3
	v_mov_b32_dpp v8, v7 row_ror:8 row_mask:0xf bank_mask:0xf bound_ctrl:1
	v_mul_lo_u32 v2, v2, 10
	v_mov_b32_dpp v9, v6 row_ror:8 row_mask:0xf bank_mask:0xf bound_ctrl:1
	v_sub_u32_e32 v6, v7, v2
	v_mul_hi_u32 v2, v8, s4
	v_mad_u64_u32 v[4:5], s[6:7], v9, s4, v[2:3]
	v_mov_b32_e32 v2, v5
	v_mov_b32_e32 v5, v3
	v_mad_u64_u32 v[4:5], s[6:7], v8, s1, v[4:5]
	v_mov_b32_e32 v4, v5
	v_mov_b32_e32 v5, v3
	v_lshl_add_u64 v[4:5], v[2:3], 0, v[4:5]
	v_mad_u64_u32 v[4:5], s[6:7], v9, s1, v[4:5]
	v_alignbit_b32 v2, v5, v4, 3
	v_mul_lo_u32 v2, v2, 10
	v_sub_u32_e32 v2, v8, v2
	v_add_u32_e32 v2, v6, v2
	v_lshl_add_u64 v[4:5], v[2:3], 0, -10
	v_cmp_gt_u32_e32 vcc, 10, v2
	s_nop 1
	v_cndmask_b32_e32 v7, v4, v2, vcc
	v_cndmask_b32_e64 v6, v5, 0, vcc
	v_mul_hi_u32 v2, v7, s4
	v_mad_u64_u32 v[4:5], s[6:7], v6, s4, v[2:3]
	v_mov_b32_e32 v2, v5
	v_mov_b32_e32 v5, v3
	v_mad_u64_u32 v[4:5], s[6:7], v7, s1, v[4:5]
	v_mov_b32_e32 v4, v5
	v_mov_b32_e32 v5, v3
	v_lshl_add_u64 v[4:5], v[2:3], 0, v[4:5]
	v_mad_u64_u32 v[4:5], s[6:7], v6, s1, v[4:5]
	v_alignbit_b32 v2, v5, v4, 3
	v_mov_b32_dpp v8, v7 row_bcast:15 row_mask:0xf bank_mask:0xf bound_ctrl:1
	v_mul_lo_u32 v2, v2, 10
	v_mov_b32_dpp v9, v6 row_bcast:15 row_mask:0xf bank_mask:0xf bound_ctrl:1
	v_sub_u32_e32 v6, v7, v2
	v_mul_hi_u32 v2, v8, s4
	v_mad_u64_u32 v[4:5], s[6:7], v9, s4, v[2:3]
	v_mov_b32_e32 v2, v5
	v_mov_b32_e32 v5, v3
	v_mad_u64_u32 v[4:5], s[6:7], v8, s1, v[4:5]
	v_mov_b32_e32 v4, v5
	v_mov_b32_e32 v5, v3
	v_lshl_add_u64 v[4:5], v[2:3], 0, v[4:5]
	v_mad_u64_u32 v[4:5], s[6:7], v9, s1, v[4:5]
	v_alignbit_b32 v2, v5, v4, 3
	v_mul_lo_u32 v2, v2, 10
	v_sub_u32_e32 v2, v8, v2
	v_add_u32_e32 v2, v6, v2
	v_lshl_add_u64 v[4:5], v[2:3], 0, -10
	v_cmp_gt_u32_e32 vcc, 10, v2
	s_nop 1
	v_cndmask_b32_e32 v7, v4, v2, vcc
	v_cndmask_b32_e64 v6, v5, 0, vcc
	v_mul_hi_u32 v2, v7, s4
	v_mad_u64_u32 v[4:5], s[6:7], v6, s4, v[2:3]
	v_mov_b32_e32 v2, v5
	v_mov_b32_e32 v5, v3
	v_mad_u64_u32 v[4:5], s[6:7], v7, s1, v[4:5]
	v_mov_b32_e32 v4, v5
	v_mov_b32_e32 v5, v3
	v_lshl_add_u64 v[4:5], v[2:3], 0, v[4:5]
	v_mad_u64_u32 v[4:5], s[6:7], v6, s1, v[4:5]
	v_alignbit_b32 v2, v5, v4, 3
	v_mov_b32_dpp v8, v7 row_bcast:31 row_mask:0xf bank_mask:0xf bound_ctrl:1
	v_mul_lo_u32 v2, v2, 10
	v_mov_b32_dpp v9, v6 row_bcast:31 row_mask:0xf bank_mask:0xf bound_ctrl:1
	v_sub_u32_e32 v6, v7, v2
	v_mul_hi_u32 v2, v8, s4
	v_mad_u64_u32 v[4:5], s[4:5], v9, s4, v[2:3]
	v_mov_b32_e32 v2, v5
	v_mov_b32_e32 v5, v3
	v_mad_u64_u32 v[4:5], s[4:5], v8, s1, v[4:5]
	v_mov_b32_e32 v4, v5
	v_mov_b32_e32 v5, v3
	v_lshl_add_u64 v[4:5], v[2:3], 0, v[4:5]
	v_mad_u64_u32 v[4:5], s[4:5], v9, s1, v[4:5]
	v_alignbit_b32 v2, v5, v4, 3
	v_mul_lo_u32 v2, v2, 10
	v_sub_u32_e32 v2, v8, v2
	v_add_u32_e32 v2, v6, v2
	v_lshl_add_u64 v[4:5], v[2:3], 0, -10
	v_cmp_gt_u32_e32 vcc, 10, v2
	s_nop 1
	v_cndmask_b32_e32 v2, v4, v2, vcc
	v_lshlrev_b32_e32 v4, 2, v1
	v_cndmask_b32_e64 v3, v5, 0, vcc
	v_or_b32_e32 v5, 0xfc, v4
	ds_bpermute_b32 v2, v5, v2
	ds_bpermute_b32 v3, v5, v3
	v_cmp_eq_u32_e32 vcc, 0, v1
	s_and_saveexec_b64 s[4:5], vcc
	s_cbranch_execz .LBB558_18
; %bb.17:
	v_lshrrev_b32_e32 v5, 3, v0
	v_and_b32_e32 v5, 24, v5
	s_waitcnt lgkmcnt(0)
	ds_write_b64 v5, v[2:3] offset:160
.LBB558_18:
	s_or_b64 exec, exec, s[4:5]
	v_cmp_gt_u32_e32 vcc, 64, v0
	s_waitcnt lgkmcnt(0)
	s_barrier
	s_and_saveexec_b64 s[4:5], vcc
	s_cbranch_execz .LBB558_20
; %bb.19:
	v_and_b32_e32 v5, 3, v1
	v_lshlrev_b32_e32 v2, 3, v5
	ds_read_b64 v[2:3], v2 offset:160
	v_cmp_ne_u32_e32 vcc, 3, v5
	s_mov_b32 s1, 0xcccccccd
	v_mov_b32_e32 v7, 0
	v_addc_co_u32_e32 v1, vcc, 0, v1, vcc
	v_lshlrev_b32_e32 v1, 2, v1
	s_waitcnt lgkmcnt(0)
	ds_bpermute_b32 v5, v1, v2
	ds_bpermute_b32 v1, v1, v3
	s_mov_b32 s8, 0xcccccccc
	s_waitcnt lgkmcnt(1)
	v_mul_hi_u32 v6, v5, s1
	s_waitcnt lgkmcnt(0)
	v_mad_u64_u32 v[8:9], s[6:7], v1, s1, v[6:7]
	v_mov_b32_e32 v6, v9
	v_mov_b32_e32 v9, v7
	v_mad_u64_u32 v[8:9], s[6:7], v5, s8, v[8:9]
	v_mov_b32_e32 v8, v9
	v_mov_b32_e32 v9, v7
	v_lshl_add_u64 v[8:9], v[6:7], 0, v[8:9]
	v_mad_u64_u32 v[8:9], s[6:7], v1, s8, v[8:9]
	v_mul_hi_u32 v6, v2, s1
	v_alignbit_b32 v1, v9, v8, 3
	v_mad_u64_u32 v[8:9], s[6:7], v3, s1, v[6:7]
	v_mov_b32_e32 v6, v9
	v_mov_b32_e32 v9, v7
	v_mad_u64_u32 v[8:9], s[6:7], v2, s8, v[8:9]
	v_mov_b32_e32 v8, v9
	v_mov_b32_e32 v9, v7
	v_lshl_add_u64 v[8:9], v[6:7], 0, v[8:9]
	v_mad_u64_u32 v[8:9], s[6:7], v3, s8, v[8:9]
	v_alignbit_b32 v3, v9, v8, 3
	v_mul_lo_u32 v1, v1, 10
	v_mul_lo_u32 v3, v3, 10
	v_sub_u32_e32 v1, v5, v1
	v_sub_u32_e32 v2, v2, v3
	v_add_u32_e32 v6, v1, v2
	v_lshl_add_u64 v[2:3], v[6:7], 0, -10
	v_cmp_gt_u32_e32 vcc, 10, v6
	s_nop 1
	v_cndmask_b32_e32 v5, v2, v6, vcc
	v_or_b32_e32 v2, 8, v4
	v_cndmask_b32_e64 v1, v3, 0, vcc
	ds_bpermute_b32 v4, v2, v5
	ds_bpermute_b32 v8, v2, v1
	s_waitcnt lgkmcnt(1)
	v_mul_hi_u32 v6, v4, s1
	s_waitcnt lgkmcnt(0)
	v_mad_u64_u32 v[2:3], s[6:7], v8, s1, v[6:7]
	v_mov_b32_e32 v6, v3
	v_mov_b32_e32 v3, v7
	v_mad_u64_u32 v[2:3], s[6:7], v4, s8, v[2:3]
	v_mov_b32_e32 v2, v3
	v_mov_b32_e32 v3, v7
	v_lshl_add_u64 v[2:3], v[6:7], 0, v[2:3]
	v_mad_u64_u32 v[2:3], s[6:7], v8, s8, v[2:3]
	v_alignbit_b32 v2, v3, v2, 3
	v_mul_lo_u32 v2, v2, 10
	v_mul_hi_u32 v6, v5, s1
	v_sub_u32_e32 v4, v4, v2
	v_mad_u64_u32 v[2:3], s[6:7], v1, s1, v[6:7]
	v_mov_b32_e32 v6, v3
	v_mov_b32_e32 v3, v7
	v_mad_u64_u32 v[2:3], s[6:7], v5, s8, v[2:3]
	v_mov_b32_e32 v2, v3
	v_mov_b32_e32 v3, v7
	v_lshl_add_u64 v[2:3], v[6:7], 0, v[2:3]
	v_mad_u64_u32 v[2:3], s[6:7], v1, s8, v[2:3]
	v_alignbit_b32 v1, v3, v2, 3
	v_mul_lo_u32 v1, v1, 10
	v_sub_u32_e32 v1, v5, v1
	v_add_u32_e32 v6, v1, v4
	v_lshl_add_u64 v[2:3], v[6:7], 0, -10
	v_cmp_gt_u32_e32 vcc, 10, v6
	s_nop 1
	v_cndmask_b32_e64 v3, v3, 0, vcc
	v_cndmask_b32_e32 v2, v2, v6, vcc
.LBB558_20:
	s_or_b64 exec, exec, s[4:5]
	s_mov_b64 s[4:5], 0
	s_branch .LBB558_99
.LBB558_21:
                                        ; implicit-def: $vgpr4_vgpr5
                                        ; implicit-def: $vgpr2_vgpr3
	s_branch .LBB558_157
.LBB558_22:
	s_mov_b64 s[4:5], -1
                                        ; implicit-def: $vgpr2_vgpr3
.LBB558_23:
	s_and_b64 vcc, exec, s[4:5]
	s_cbranch_vccz .LBB558_92
; %bb.24:
	s_sub_i32 s46, s38, s0
	v_mov_b32_e32 v2, 0
	v_cmp_gt_u32_e32 vcc, s46, v0
	v_mov_b32_e32 v3, v2
	v_mov_b32_e32 v4, v2
	;; [unrolled: 1-line block ×31, first 2 shown]
	s_and_saveexec_b64 s[0:1], vcc
	s_cbranch_execz .LBB558_26
; %bb.25:
	v_lshlrev_b32_e32 v1, 3, v0
	global_load_dwordx2 v[4:5], v1, s[34:35]
	v_mov_b32_e32 v6, v2
	v_mov_b32_e32 v7, v2
	;; [unrolled: 1-line block ×30, first 2 shown]
	s_waitcnt vmcnt(0)
	v_mov_b64_e32 v[2:3], v[4:5]
	v_mov_b64_e32 v[4:5], v[6:7]
	;; [unrolled: 1-line block ×16, first 2 shown]
.LBB558_26:
	s_or_b64 exec, exec, s[0:1]
	v_or_b32_e32 v1, 0x100, v0
	v_cmp_gt_u32_e64 s[28:29], s46, v1
	s_and_saveexec_b64 s[0:1], s[28:29]
	s_cbranch_execz .LBB558_28
; %bb.27:
	v_lshlrev_b32_e32 v1, 3, v0
	global_load_dwordx2 v[4:5], v1, s[34:35] offset:2048
.LBB558_28:
	s_or_b64 exec, exec, s[0:1]
	v_or_b32_e32 v1, 0x200, v0
	v_cmp_gt_u32_e64 s[26:27], s46, v1
	s_and_saveexec_b64 s[0:1], s[26:27]
	s_cbranch_execz .LBB558_30
; %bb.29:
	v_lshlrev_b32_e32 v1, 3, v1
	global_load_dwordx2 v[6:7], v1, s[34:35]
.LBB558_30:
	s_or_b64 exec, exec, s[0:1]
	v_or_b32_e32 v1, 0x300, v0
	v_cmp_gt_u32_e64 s[24:25], s46, v1
	s_and_saveexec_b64 s[0:1], s[24:25]
	s_cbranch_execz .LBB558_32
; %bb.31:
	v_lshlrev_b32_e32 v1, 3, v1
	global_load_dwordx2 v[8:9], v1, s[34:35]
.LBB558_32:
	;; [unrolled: 9-line block ×13, first 2 shown]
	s_or_b64 exec, exec, s[44:45]
	v_or_b32_e32 v1, 0xf00, v0
	v_cmp_gt_u32_e32 vcc, s46, v1
	s_and_saveexec_b64 s[44:45], vcc
	s_cbranch_execnz .LBB558_282
; %bb.55:
	s_or_b64 exec, exec, s[44:45]
	s_and_saveexec_b64 s[34:35], s[28:29]
	s_cbranch_execnz .LBB558_283
.LBB558_56:
	s_or_b64 exec, exec, s[34:35]
	s_and_saveexec_b64 s[28:29], s[26:27]
	s_cbranch_execnz .LBB558_284
.LBB558_57:
	s_or_b64 exec, exec, s[28:29]
	s_and_saveexec_b64 s[26:27], s[24:25]
	s_cbranch_execnz .LBB558_285
.LBB558_58:
	s_or_b64 exec, exec, s[26:27]
	s_and_saveexec_b64 s[24:25], s[22:23]
	s_cbranch_execnz .LBB558_286
.LBB558_59:
	s_or_b64 exec, exec, s[24:25]
	s_and_saveexec_b64 s[22:23], s[20:21]
	s_cbranch_execnz .LBB558_287
.LBB558_60:
	s_or_b64 exec, exec, s[22:23]
	s_and_saveexec_b64 s[20:21], s[18:19]
	s_cbranch_execnz .LBB558_288
.LBB558_61:
	s_or_b64 exec, exec, s[20:21]
	s_and_saveexec_b64 s[18:19], s[16:17]
	s_cbranch_execnz .LBB558_289
.LBB558_62:
	s_or_b64 exec, exec, s[18:19]
	s_and_saveexec_b64 s[16:17], s[14:15]
	s_cbranch_execnz .LBB558_290
.LBB558_63:
	s_or_b64 exec, exec, s[16:17]
	s_and_saveexec_b64 s[14:15], s[12:13]
	s_cbranch_execnz .LBB558_291
.LBB558_64:
	s_or_b64 exec, exec, s[14:15]
	s_and_saveexec_b64 s[12:13], s[10:11]
	s_cbranch_execnz .LBB558_292
.LBB558_65:
	s_or_b64 exec, exec, s[12:13]
	s_and_saveexec_b64 s[10:11], s[8:9]
	s_cbranch_execnz .LBB558_293
.LBB558_66:
	s_or_b64 exec, exec, s[10:11]
	s_and_saveexec_b64 s[8:9], s[6:7]
	s_cbranch_execnz .LBB558_294
.LBB558_67:
	s_or_b64 exec, exec, s[8:9]
	s_and_saveexec_b64 s[6:7], s[4:5]
	s_cbranch_execnz .LBB558_295
.LBB558_68:
	s_or_b64 exec, exec, s[6:7]
	s_and_saveexec_b64 s[4:5], s[0:1]
	s_cbranch_execnz .LBB558_296
.LBB558_69:
	s_or_b64 exec, exec, s[4:5]
	s_and_saveexec_b64 s[0:1], vcc
	s_cbranch_execz .LBB558_71
.LBB558_70:
	s_mov_b32 s6, 0xcccccccd
	s_waitcnt vmcnt(0)
	v_mul_hi_u32 v4, v32, s6
	v_mov_b32_e32 v5, 0
	v_mad_u64_u32 v[6:7], s[4:5], v33, s6, v[4:5]
	v_mov_b32_e32 v4, v7
	v_mov_b32_e32 v7, v5
	s_mov_b32 s7, 0xcccccccc
	v_mad_u64_u32 v[6:7], s[4:5], v32, s7, v[6:7]
	v_mov_b32_e32 v6, v7
	v_mov_b32_e32 v7, v5
	v_lshl_add_u64 v[6:7], v[4:5], 0, v[6:7]
	v_mad_u64_u32 v[6:7], s[4:5], v33, s7, v[6:7]
	v_mul_hi_u32 v4, v2, s6
	v_alignbit_b32 v1, v7, v6, 3
	v_mad_u64_u32 v[6:7], s[4:5], v3, s6, v[4:5]
	v_mov_b32_e32 v4, v7
	v_mov_b32_e32 v7, v5
	v_mad_u64_u32 v[6:7], s[4:5], v2, s7, v[6:7]
	v_mov_b32_e32 v6, v7
	v_mov_b32_e32 v7, v5
	v_lshl_add_u64 v[6:7], v[4:5], 0, v[6:7]
	v_mad_u64_u32 v[6:7], s[4:5], v3, s7, v[6:7]
	v_alignbit_b32 v3, v7, v6, 3
	v_mul_lo_u32 v1, v1, 10
	v_mul_lo_u32 v3, v3, 10
	v_sub_u32_e32 v1, v32, v1
	v_sub_u32_e32 v2, v2, v3
	v_add_u32_e32 v4, v2, v1
	v_lshl_add_u64 v[2:3], v[4:5], 0, -10
	v_cmp_gt_u32_e32 vcc, 10, v4
	s_nop 1
	v_cndmask_b32_e64 v3, v3, 0, vcc
	v_cndmask_b32_e32 v2, v2, v4, vcc
.LBB558_71:
	s_or_b64 exec, exec, s[0:1]
	v_mbcnt_lo_u32_b32 v1, -1, 0
	v_mbcnt_hi_u32_b32 v1, -1, v1
	s_waitcnt vmcnt(0)
	v_and_b32_e32 v4, 63, v1
	v_cmp_ne_u32_e32 vcc, 63, v4
	s_min_u32 s4, s46, 0x100
	v_add_u32_e32 v8, 1, v4
	v_addc_co_u32_e32 v5, vcc, 0, v1, vcc
	v_lshlrev_b32_e32 v5, 2, v5
	ds_bpermute_b32 v6, v5, v2
	ds_bpermute_b32 v7, v5, v3
	v_and_b32_e32 v5, 0xc0, v0
	v_sub_u32_e64 v5, s4, v5 clamp
	v_cmp_lt_u32_e32 vcc, v8, v5
	s_and_saveexec_b64 s[0:1], vcc
	s_xor_b64 s[0:1], exec, s[0:1]
	s_cbranch_execz .LBB558_73
; %bb.72:
	s_mov_b32 s5, 0xcccccccd
	s_waitcnt lgkmcnt(1)
	v_mul_hi_u32 v8, v6, s5
	v_mov_b32_e32 v9, 0
	s_waitcnt lgkmcnt(0)
	v_mad_u64_u32 v[10:11], s[6:7], v7, s5, v[8:9]
	v_mov_b32_e32 v8, v11
	v_mov_b32_e32 v11, v9
	s_mov_b32 s8, 0xcccccccc
	v_mad_u64_u32 v[10:11], s[6:7], v6, s8, v[10:11]
	v_mov_b32_e32 v10, v11
	v_mov_b32_e32 v11, v9
	v_lshl_add_u64 v[10:11], v[8:9], 0, v[10:11]
	v_mad_u64_u32 v[10:11], s[6:7], v7, s8, v[10:11]
	v_alignbit_b32 v7, v11, v10, 3
	v_mul_lo_u32 v7, v7, 10
	v_mul_hi_u32 v8, v2, s5
	v_sub_u32_e32 v10, v6, v7
	v_mad_u64_u32 v[6:7], s[6:7], v3, s5, v[8:9]
	v_mov_b32_e32 v8, v7
	v_mov_b32_e32 v7, v9
	v_mad_u64_u32 v[6:7], s[6:7], v2, s8, v[6:7]
	v_mov_b32_e32 v6, v7
	v_mov_b32_e32 v7, v9
	v_lshl_add_u64 v[6:7], v[8:9], 0, v[6:7]
	v_mad_u64_u32 v[6:7], s[6:7], v3, s8, v[6:7]
	v_alignbit_b32 v3, v7, v6, 3
	v_mul_lo_u32 v3, v3, 10
	v_sub_u32_e32 v2, v2, v3
	v_add_u32_e32 v8, v10, v2
	v_lshl_add_u64 v[2:3], v[8:9], 0, -10
	v_cmp_gt_u32_e32 vcc, 10, v8
	s_nop 1
	v_cndmask_b32_e64 v3, v3, 0, vcc
	v_cndmask_b32_e32 v2, v2, v8, vcc
.LBB558_73:
	s_or_b64 exec, exec, s[0:1]
	v_cmp_gt_u32_e32 vcc, 62, v4
	v_add_u32_e32 v8, 2, v4
	s_waitcnt lgkmcnt(1)
	v_cndmask_b32_e64 v6, 0, 2, vcc
	s_waitcnt lgkmcnt(0)
	v_add_lshl_u32 v7, v6, v1, 2
	ds_bpermute_b32 v6, v7, v2
	ds_bpermute_b32 v7, v7, v3
	v_cmp_lt_u32_e32 vcc, v8, v5
	s_and_saveexec_b64 s[0:1], vcc
	s_cbranch_execz .LBB558_75
; %bb.74:
	s_mov_b32 s5, 0xcccccccd
	s_waitcnt lgkmcnt(1)
	v_mul_hi_u32 v8, v6, s5
	v_mov_b32_e32 v9, 0
	s_waitcnt lgkmcnt(0)
	v_mad_u64_u32 v[10:11], s[6:7], v7, s5, v[8:9]
	v_mov_b32_e32 v8, v11
	v_mov_b32_e32 v11, v9
	s_mov_b32 s8, 0xcccccccc
	v_mad_u64_u32 v[10:11], s[6:7], v6, s8, v[10:11]
	v_mov_b32_e32 v10, v11
	v_mov_b32_e32 v11, v9
	v_lshl_add_u64 v[10:11], v[8:9], 0, v[10:11]
	v_mad_u64_u32 v[10:11], s[6:7], v7, s8, v[10:11]
	v_alignbit_b32 v7, v11, v10, 3
	v_mul_lo_u32 v7, v7, 10
	v_mul_hi_u32 v8, v2, s5
	v_sub_u32_e32 v10, v6, v7
	v_mad_u64_u32 v[6:7], s[6:7], v3, s5, v[8:9]
	v_mov_b32_e32 v8, v7
	v_mov_b32_e32 v7, v9
	v_mad_u64_u32 v[6:7], s[6:7], v2, s8, v[6:7]
	v_mov_b32_e32 v6, v7
	v_mov_b32_e32 v7, v9
	v_lshl_add_u64 v[6:7], v[8:9], 0, v[6:7]
	v_mad_u64_u32 v[6:7], s[6:7], v3, s8, v[6:7]
	v_alignbit_b32 v3, v7, v6, 3
	v_mul_lo_u32 v3, v3, 10
	v_sub_u32_e32 v2, v2, v3
	v_add_u32_e32 v8, v10, v2
	v_lshl_add_u64 v[2:3], v[8:9], 0, -10
	v_cmp_gt_u32_e32 vcc, 10, v8
	s_nop 1
	v_cndmask_b32_e64 v3, v3, 0, vcc
	v_cndmask_b32_e32 v2, v2, v8, vcc
.LBB558_75:
	s_or_b64 exec, exec, s[0:1]
	v_cmp_gt_u32_e32 vcc, 60, v4
	v_add_u32_e32 v8, 4, v4
	s_waitcnt lgkmcnt(1)
	v_cndmask_b32_e64 v6, 0, 4, vcc
	s_waitcnt lgkmcnt(0)
	v_add_lshl_u32 v7, v6, v1, 2
	ds_bpermute_b32 v6, v7, v2
	ds_bpermute_b32 v7, v7, v3
	v_cmp_lt_u32_e32 vcc, v8, v5
	s_and_saveexec_b64 s[0:1], vcc
	;; [unrolled: 49-line block ×4, first 2 shown]
	s_cbranch_execz .LBB558_81
; %bb.80:
	s_mov_b32 s5, 0xcccccccd
	s_waitcnt lgkmcnt(1)
	v_mul_hi_u32 v8, v6, s5
	v_mov_b32_e32 v9, 0
	s_waitcnt lgkmcnt(0)
	v_mad_u64_u32 v[10:11], s[6:7], v7, s5, v[8:9]
	v_mov_b32_e32 v8, v11
	v_mov_b32_e32 v11, v9
	s_mov_b32 s8, 0xcccccccc
	v_mad_u64_u32 v[10:11], s[6:7], v6, s8, v[10:11]
	v_mov_b32_e32 v10, v11
	v_mov_b32_e32 v11, v9
	v_lshl_add_u64 v[10:11], v[8:9], 0, v[10:11]
	v_mad_u64_u32 v[10:11], s[6:7], v7, s8, v[10:11]
	v_alignbit_b32 v7, v11, v10, 3
	v_mul_lo_u32 v7, v7, 10
	v_mul_hi_u32 v8, v2, s5
	v_sub_u32_e32 v10, v6, v7
	v_mad_u64_u32 v[6:7], s[6:7], v3, s5, v[8:9]
	v_mov_b32_e32 v8, v7
	v_mov_b32_e32 v7, v9
	v_mad_u64_u32 v[6:7], s[6:7], v2, s8, v[6:7]
	v_mov_b32_e32 v6, v7
	v_mov_b32_e32 v7, v9
	v_lshl_add_u64 v[6:7], v[8:9], 0, v[6:7]
	v_mad_u64_u32 v[6:7], s[6:7], v3, s8, v[6:7]
	v_alignbit_b32 v3, v7, v6, 3
	v_mul_lo_u32 v3, v3, 10
	v_sub_u32_e32 v2, v2, v3
	v_add_u32_e32 v8, v10, v2
	v_lshl_add_u64 v[2:3], v[8:9], 0, -10
	v_cmp_gt_u32_e32 vcc, 10, v8
	s_nop 1
	v_cndmask_b32_e64 v3, v3, 0, vcc
	v_cndmask_b32_e32 v2, v2, v8, vcc
.LBB558_81:
	s_or_b64 exec, exec, s[0:1]
	s_waitcnt lgkmcnt(1)
	v_lshlrev_b32_e32 v6, 2, v1
	v_or_b32_e32 v8, 0x80, v6
	s_waitcnt lgkmcnt(0)
	ds_bpermute_b32 v7, v8, v2
	ds_bpermute_b32 v8, v8, v3
	v_add_u32_e32 v4, 32, v4
	v_cmp_lt_u32_e32 vcc, v4, v5
	s_and_saveexec_b64 s[0:1], vcc
	s_cbranch_execz .LBB558_83
; %bb.82:
	s_mov_b32 s5, 0xcccccccd
	s_waitcnt lgkmcnt(1)
	v_mul_hi_u32 v4, v7, s5
	v_mov_b32_e32 v5, 0
	s_waitcnt lgkmcnt(0)
	v_mad_u64_u32 v[10:11], s[6:7], v8, s5, v[4:5]
	v_mov_b32_e32 v4, v11
	v_mov_b32_e32 v11, v5
	s_mov_b32 s8, 0xcccccccc
	v_mad_u64_u32 v[10:11], s[6:7], v7, s8, v[10:11]
	v_mov_b32_e32 v10, v11
	v_mov_b32_e32 v11, v5
	v_lshl_add_u64 v[10:11], v[4:5], 0, v[10:11]
	v_mad_u64_u32 v[8:9], s[6:7], v8, s8, v[10:11]
	v_alignbit_b32 v4, v9, v8, 3
	v_mul_lo_u32 v4, v4, 10
	v_sub_u32_e32 v7, v7, v4
	v_mul_hi_u32 v4, v2, s5
	v_mad_u64_u32 v[8:9], s[6:7], v3, s5, v[4:5]
	v_mov_b32_e32 v4, v9
	v_mov_b32_e32 v9, v5
	v_mad_u64_u32 v[8:9], s[6:7], v2, s8, v[8:9]
	v_mov_b32_e32 v8, v9
	v_mov_b32_e32 v9, v5
	v_lshl_add_u64 v[8:9], v[4:5], 0, v[8:9]
	v_mad_u64_u32 v[8:9], s[6:7], v3, s8, v[8:9]
	v_alignbit_b32 v3, v9, v8, 3
	v_mul_lo_u32 v3, v3, 10
	v_sub_u32_e32 v2, v2, v3
	v_add_u32_e32 v4, v7, v2
	v_lshl_add_u64 v[2:3], v[4:5], 0, -10
	v_cmp_gt_u32_e32 vcc, 10, v4
	s_nop 1
	v_cndmask_b32_e64 v3, v3, 0, vcc
	v_cndmask_b32_e32 v2, v2, v4, vcc
.LBB558_83:
	s_or_b64 exec, exec, s[0:1]
	v_cmp_eq_u32_e32 vcc, 0, v1
	s_and_saveexec_b64 s[0:1], vcc
; %bb.84:
	v_lshrrev_b32_e32 v4, 3, v0
	v_and_b32_e32 v4, 24, v4
	ds_write_b64 v4, v[2:3]
; %bb.85:
	s_or_b64 exec, exec, s[0:1]
	v_cmp_gt_u32_e32 vcc, 4, v0
	s_waitcnt lgkmcnt(0)
	s_barrier
	s_and_saveexec_b64 s[0:1], vcc
	s_cbranch_execz .LBB558_91
; %bb.86:
	v_lshlrev_b32_e32 v2, 3, v1
	ds_read_b64 v[2:3], v2
	v_and_b32_e32 v4, 3, v1
	v_cmp_ne_u32_e32 vcc, 3, v4
	s_add_i32 s4, s4, 63
	s_lshr_b32 s6, s4, 6
	v_addc_co_u32_e32 v1, vcc, 0, v1, vcc
	v_lshlrev_b32_e32 v5, 2, v1
	s_waitcnt lgkmcnt(0)
	ds_bpermute_b32 v1, v5, v2
	ds_bpermute_b32 v5, v5, v3
	v_add_u32_e32 v7, 1, v4
	v_cmp_gt_u32_e32 vcc, s6, v7
	s_and_saveexec_b64 s[4:5], vcc
	s_cbranch_execz .LBB558_88
; %bb.87:
	s_mov_b32 s7, 0xcccccccd
	s_waitcnt lgkmcnt(1)
	v_mul_hi_u32 v8, v1, s7
	v_mov_b32_e32 v9, 0
	s_waitcnt lgkmcnt(0)
	v_mad_u64_u32 v[10:11], s[8:9], v5, s7, v[8:9]
	v_mov_b32_e32 v8, v11
	v_mov_b32_e32 v11, v9
	s_mov_b32 s10, 0xcccccccc
	v_mad_u64_u32 v[10:11], s[8:9], v1, s10, v[10:11]
	v_mov_b32_e32 v10, v11
	v_mov_b32_e32 v11, v9
	v_lshl_add_u64 v[10:11], v[8:9], 0, v[10:11]
	v_mad_u64_u32 v[10:11], s[8:9], v5, s10, v[10:11]
	v_mul_hi_u32 v8, v2, s7
	v_alignbit_b32 v5, v11, v10, 3
	v_mad_u64_u32 v[10:11], s[8:9], v3, s7, v[8:9]
	v_mov_b32_e32 v8, v11
	v_mov_b32_e32 v11, v9
	v_mad_u64_u32 v[10:11], s[8:9], v2, s10, v[10:11]
	v_mov_b32_e32 v10, v11
	v_mov_b32_e32 v11, v9
	v_lshl_add_u64 v[10:11], v[8:9], 0, v[10:11]
	v_mad_u64_u32 v[10:11], s[8:9], v3, s10, v[10:11]
	v_alignbit_b32 v3, v11, v10, 3
	v_mul_lo_u32 v5, v5, 10
	v_mul_lo_u32 v3, v3, 10
	v_sub_u32_e32 v1, v1, v5
	v_sub_u32_e32 v2, v2, v3
	v_add_u32_e32 v8, v1, v2
	v_lshl_add_u64 v[2:3], v[8:9], 0, -10
	v_cmp_gt_u32_e32 vcc, 10, v8
	s_nop 1
	v_cndmask_b32_e64 v3, v3, 0, vcc
	v_cndmask_b32_e32 v2, v2, v8, vcc
.LBB558_88:
	s_or_b64 exec, exec, s[4:5]
	s_waitcnt lgkmcnt(0)
	v_or_b32_e32 v5, 8, v6
	ds_bpermute_b32 v1, v5, v2
	ds_bpermute_b32 v5, v5, v3
	v_add_u32_e32 v4, 2, v4
	v_cmp_gt_u32_e32 vcc, s6, v4
	s_and_saveexec_b64 s[4:5], vcc
	s_cbranch_execz .LBB558_90
; %bb.89:
	s_mov_b32 s8, 0xcccccccd
	s_waitcnt lgkmcnt(1)
	v_mul_hi_u32 v6, v1, s8
	v_mov_b32_e32 v7, 0
	s_waitcnt lgkmcnt(0)
	v_mad_u64_u32 v[8:9], s[6:7], v5, s8, v[6:7]
	v_mov_b32_e32 v6, v9
	v_mov_b32_e32 v9, v7
	s_mov_b32 s9, 0xcccccccc
	v_mad_u64_u32 v[8:9], s[6:7], v1, s9, v[8:9]
	v_mov_b32_e32 v8, v9
	v_mov_b32_e32 v9, v7
	v_lshl_add_u64 v[8:9], v[6:7], 0, v[8:9]
	v_mad_u64_u32 v[4:5], s[6:7], v5, s9, v[8:9]
	v_alignbit_b32 v4, v5, v4, 3
	v_mul_lo_u32 v4, v4, 10
	v_mul_hi_u32 v6, v2, s8
	v_sub_u32_e32 v1, v1, v4
	v_mad_u64_u32 v[4:5], s[6:7], v3, s8, v[6:7]
	v_mov_b32_e32 v6, v5
	v_mov_b32_e32 v5, v7
	v_mad_u64_u32 v[4:5], s[6:7], v2, s9, v[4:5]
	v_mov_b32_e32 v4, v5
	v_mov_b32_e32 v5, v7
	v_lshl_add_u64 v[4:5], v[6:7], 0, v[4:5]
	v_mad_u64_u32 v[4:5], s[6:7], v3, s9, v[4:5]
	v_alignbit_b32 v3, v5, v4, 3
	v_mul_lo_u32 v3, v3, 10
	v_sub_u32_e32 v2, v2, v3
	v_add_u32_e32 v6, v1, v2
	v_lshl_add_u64 v[2:3], v[6:7], 0, -10
	v_cmp_gt_u32_e32 vcc, 10, v6
	s_nop 1
	v_cndmask_b32_e64 v3, v3, 0, vcc
	v_cndmask_b32_e32 v2, v2, v6, vcc
.LBB558_90:
	s_or_b64 exec, exec, s[4:5]
.LBB558_91:
	s_or_b64 exec, exec, s[0:1]
.LBB558_92:
	v_cmp_eq_u32_e32 vcc, 0, v0
	s_mov_b64 s[14:15], 0
                                        ; implicit-def: $vgpr4_vgpr5
	s_and_saveexec_b64 s[0:1], vcc
	s_xor_b64 s[0:1], exec, s[0:1]
	s_cbranch_execz .LBB558_96
; %bb.93:
	s_cmp_eq_u64 s[38:39], 0
	s_waitcnt lgkmcnt(0)
	v_mov_b64_e32 v[4:5], s[42:43]
	s_cbranch_scc1 .LBB558_95
; %bb.94:
	s_mov_b32 s4, 0xcccccccd
	v_mul_hi_u32 v4, v2, s4
	v_mov_b32_e32 v5, 0
	v_mad_u64_u32 v[6:7], s[4:5], v3, s4, v[4:5]
	v_mov_b32_e32 v4, v7
	v_mov_b32_e32 v7, v5
	s_mov_b32 s6, 0xcccccccc
	v_mad_u64_u32 v[6:7], s[4:5], v2, s6, v[6:7]
	v_mov_b32_e32 v6, v7
	v_mov_b32_e32 v7, v5
	v_lshl_add_u64 v[6:7], v[4:5], 0, v[6:7]
	s_mul_i32 s7, s43, 0xcccccccd
	s_mul_hi_u32 s8, s42, 0xcccccccd
	v_mad_u64_u32 v[6:7], s[4:5], v3, s6, v[6:7]
	s_mul_hi_u32 s6, s43, 0xcccccccd
	s_add_u32 s7, s7, s8
	s_mul_i32 s5, s42, 0xcccccccc
	s_addc_u32 s6, s6, 0
	s_mul_hi_u32 s4, s42, 0xcccccccc
	s_add_u32 s5, s5, s7
	s_addc_u32 s4, s4, 0
	s_add_u32 s4, s6, s4
	s_addc_u32 s5, 0, 0
	s_mul_i32 s7, s43, 0xcccccccc
	s_mul_hi_u32 s6, s43, 0xcccccccc
	s_add_u32 s4, s7, s4
	s_addc_u32 s5, s6, s5
	v_alignbit_b32 v1, v7, v6, 3
	s_lshr_b64 s[4:5], s[4:5], 3
	v_mul_lo_u32 v1, v1, 10
	s_mul_i32 s4, s4, 10
	v_sub_u32_e32 v1, v2, v1
	s_sub_i32 s4, s42, s4
	v_add_u32_e32 v4, s4, v1
	v_lshl_add_u64 v[2:3], v[4:5], 0, -10
	v_cmp_gt_u32_e32 vcc, 10, v4
	s_nop 1
	v_cndmask_b32_e64 v5, v3, 0, vcc
	v_cndmask_b32_e32 v4, v2, v4, vcc
.LBB558_95:
	s_mov_b64 s[14:15], exec
.LBB558_96:
	s_or_b64 exec, exec, s[0:1]
	v_mov_b64_e32 v[2:3], s[2:3]
	s_and_b64 vcc, exec, s[30:31]
	s_cbranch_vccnz .LBB558_14
.LBB558_97:
	s_branch .LBB558_157
.LBB558_98:
	s_mov_b64 s[4:5], -1
                                        ; implicit-def: $vgpr2_vgpr3
.LBB558_99:
	s_and_b64 vcc, exec, s[4:5]
	s_cbranch_vccz .LBB558_144
; %bb.100:
	s_sub_i32 s20, s38, s0
	v_mov_b32_e32 v2, 0
	v_cmp_gt_u32_e32 vcc, s20, v0
	v_mov_b32_e32 v3, v2
	v_mov_b32_e32 v4, v2
	s_waitcnt lgkmcnt(0)
	v_mov_b32_e32 v5, v2
	v_mov_b32_e32 v6, v2
	;; [unrolled: 1-line block ×13, first 2 shown]
	s_and_saveexec_b64 s[0:1], vcc
	s_cbranch_execz .LBB558_102
; %bb.101:
	v_lshlrev_b32_e32 v1, 3, v0
	global_load_dwordx2 v[4:5], v1, s[16:17]
	v_mov_b32_e32 v6, v2
	v_mov_b32_e32 v7, v2
	;; [unrolled: 1-line block ×14, first 2 shown]
	s_waitcnt vmcnt(0)
	v_mov_b64_e32 v[2:3], v[4:5]
	v_mov_b64_e32 v[4:5], v[6:7]
	;; [unrolled: 1-line block ×8, first 2 shown]
.LBB558_102:
	s_or_b64 exec, exec, s[0:1]
	v_or_b32_e32 v1, 0x100, v0
	v_cmp_gt_u32_e64 s[12:13], s20, v1
	s_and_saveexec_b64 s[0:1], s[12:13]
	s_cbranch_execz .LBB558_104
; %bb.103:
	v_lshlrev_b32_e32 v1, 3, v0
	global_load_dwordx2 v[4:5], v1, s[16:17] offset:2048
.LBB558_104:
	s_or_b64 exec, exec, s[0:1]
	v_or_b32_e32 v1, 0x200, v0
	v_cmp_gt_u32_e64 s[10:11], s20, v1
	s_and_saveexec_b64 s[0:1], s[10:11]
	s_cbranch_execz .LBB558_106
; %bb.105:
	v_lshlrev_b32_e32 v1, 3, v1
	global_load_dwordx2 v[6:7], v1, s[16:17]
.LBB558_106:
	s_or_b64 exec, exec, s[0:1]
	v_or_b32_e32 v1, 0x300, v0
	v_cmp_gt_u32_e64 s[8:9], s20, v1
	s_and_saveexec_b64 s[0:1], s[8:9]
	s_cbranch_execz .LBB558_108
; %bb.107:
	v_lshlrev_b32_e32 v1, 3, v1
	global_load_dwordx2 v[8:9], v1, s[16:17]
.LBB558_108:
	;; [unrolled: 9-line block ×5, first 2 shown]
	s_or_b64 exec, exec, s[18:19]
	v_or_b32_e32 v1, 0x700, v0
	v_cmp_gt_u32_e32 vcc, s20, v1
	s_and_saveexec_b64 s[18:19], vcc
	s_cbranch_execnz .LBB558_297
; %bb.115:
	s_or_b64 exec, exec, s[18:19]
	s_and_saveexec_b64 s[16:17], s[12:13]
	s_cbranch_execnz .LBB558_298
.LBB558_116:
	s_or_b64 exec, exec, s[16:17]
	s_and_saveexec_b64 s[12:13], s[10:11]
	s_cbranch_execnz .LBB558_299
.LBB558_117:
	s_or_b64 exec, exec, s[12:13]
	s_and_saveexec_b64 s[10:11], s[8:9]
	s_cbranch_execnz .LBB558_300
.LBB558_118:
	s_or_b64 exec, exec, s[10:11]
	s_and_saveexec_b64 s[8:9], s[6:7]
	s_cbranch_execnz .LBB558_301
.LBB558_119:
	s_or_b64 exec, exec, s[8:9]
	s_and_saveexec_b64 s[6:7], s[4:5]
	s_cbranch_execnz .LBB558_302
.LBB558_120:
	s_or_b64 exec, exec, s[6:7]
	s_and_saveexec_b64 s[4:5], s[0:1]
	s_cbranch_execnz .LBB558_303
.LBB558_121:
	s_or_b64 exec, exec, s[4:5]
	s_and_saveexec_b64 s[0:1], vcc
	s_cbranch_execz .LBB558_123
.LBB558_122:
	s_mov_b32 s6, 0xcccccccd
	s_waitcnt vmcnt(0)
	v_mul_hi_u32 v4, v16, s6
	v_mov_b32_e32 v5, 0
	v_mad_u64_u32 v[6:7], s[4:5], v17, s6, v[4:5]
	v_mov_b32_e32 v4, v7
	v_mov_b32_e32 v7, v5
	s_mov_b32 s7, 0xcccccccc
	v_mad_u64_u32 v[6:7], s[4:5], v16, s7, v[6:7]
	v_mov_b32_e32 v6, v7
	v_mov_b32_e32 v7, v5
	v_lshl_add_u64 v[6:7], v[4:5], 0, v[6:7]
	v_mad_u64_u32 v[6:7], s[4:5], v17, s7, v[6:7]
	v_mul_hi_u32 v4, v2, s6
	v_alignbit_b32 v1, v7, v6, 3
	v_mad_u64_u32 v[6:7], s[4:5], v3, s6, v[4:5]
	v_mov_b32_e32 v4, v7
	v_mov_b32_e32 v7, v5
	v_mad_u64_u32 v[6:7], s[4:5], v2, s7, v[6:7]
	v_mov_b32_e32 v6, v7
	v_mov_b32_e32 v7, v5
	v_lshl_add_u64 v[6:7], v[4:5], 0, v[6:7]
	v_mad_u64_u32 v[6:7], s[4:5], v3, s7, v[6:7]
	v_alignbit_b32 v3, v7, v6, 3
	v_mul_lo_u32 v1, v1, 10
	v_mul_lo_u32 v3, v3, 10
	v_sub_u32_e32 v1, v16, v1
	v_sub_u32_e32 v2, v2, v3
	v_add_u32_e32 v4, v2, v1
	v_lshl_add_u64 v[2:3], v[4:5], 0, -10
	v_cmp_gt_u32_e32 vcc, 10, v4
	s_nop 1
	v_cndmask_b32_e64 v3, v3, 0, vcc
	v_cndmask_b32_e32 v2, v2, v4, vcc
.LBB558_123:
	s_or_b64 exec, exec, s[0:1]
	v_mbcnt_lo_u32_b32 v1, -1, 0
	v_mbcnt_hi_u32_b32 v1, -1, v1
	s_waitcnt vmcnt(0)
	v_and_b32_e32 v4, 63, v1
	v_cmp_ne_u32_e32 vcc, 63, v4
	s_min_u32 s4, s20, 0x100
	v_add_u32_e32 v8, 1, v4
	v_addc_co_u32_e32 v5, vcc, 0, v1, vcc
	v_lshlrev_b32_e32 v5, 2, v5
	ds_bpermute_b32 v6, v5, v2
	ds_bpermute_b32 v7, v5, v3
	v_and_b32_e32 v5, 0xc0, v0
	v_sub_u32_e64 v5, s4, v5 clamp
	v_cmp_lt_u32_e32 vcc, v8, v5
	s_and_saveexec_b64 s[0:1], vcc
	s_xor_b64 s[0:1], exec, s[0:1]
	s_cbranch_execz .LBB558_125
; %bb.124:
	s_mov_b32 s5, 0xcccccccd
	s_waitcnt lgkmcnt(1)
	v_mul_hi_u32 v8, v6, s5
	v_mov_b32_e32 v9, 0
	s_waitcnt lgkmcnt(0)
	v_mad_u64_u32 v[10:11], s[6:7], v7, s5, v[8:9]
	v_mov_b32_e32 v8, v11
	v_mov_b32_e32 v11, v9
	s_mov_b32 s8, 0xcccccccc
	v_mad_u64_u32 v[10:11], s[6:7], v6, s8, v[10:11]
	v_mov_b32_e32 v10, v11
	v_mov_b32_e32 v11, v9
	v_lshl_add_u64 v[10:11], v[8:9], 0, v[10:11]
	v_mad_u64_u32 v[10:11], s[6:7], v7, s8, v[10:11]
	v_alignbit_b32 v7, v11, v10, 3
	v_mul_lo_u32 v7, v7, 10
	v_mul_hi_u32 v8, v2, s5
	v_sub_u32_e32 v10, v6, v7
	v_mad_u64_u32 v[6:7], s[6:7], v3, s5, v[8:9]
	v_mov_b32_e32 v8, v7
	v_mov_b32_e32 v7, v9
	v_mad_u64_u32 v[6:7], s[6:7], v2, s8, v[6:7]
	v_mov_b32_e32 v6, v7
	v_mov_b32_e32 v7, v9
	v_lshl_add_u64 v[6:7], v[8:9], 0, v[6:7]
	v_mad_u64_u32 v[6:7], s[6:7], v3, s8, v[6:7]
	v_alignbit_b32 v3, v7, v6, 3
	v_mul_lo_u32 v3, v3, 10
	v_sub_u32_e32 v2, v2, v3
	v_add_u32_e32 v8, v10, v2
	v_lshl_add_u64 v[2:3], v[8:9], 0, -10
	v_cmp_gt_u32_e32 vcc, 10, v8
	s_nop 1
	v_cndmask_b32_e64 v3, v3, 0, vcc
	v_cndmask_b32_e32 v2, v2, v8, vcc
.LBB558_125:
	s_or_b64 exec, exec, s[0:1]
	v_cmp_gt_u32_e32 vcc, 62, v4
	v_add_u32_e32 v8, 2, v4
	s_waitcnt lgkmcnt(1)
	v_cndmask_b32_e64 v6, 0, 2, vcc
	s_waitcnt lgkmcnt(0)
	v_add_lshl_u32 v7, v6, v1, 2
	ds_bpermute_b32 v6, v7, v2
	ds_bpermute_b32 v7, v7, v3
	v_cmp_lt_u32_e32 vcc, v8, v5
	s_and_saveexec_b64 s[0:1], vcc
	s_cbranch_execz .LBB558_127
; %bb.126:
	s_mov_b32 s5, 0xcccccccd
	s_waitcnt lgkmcnt(1)
	v_mul_hi_u32 v8, v6, s5
	v_mov_b32_e32 v9, 0
	s_waitcnt lgkmcnt(0)
	v_mad_u64_u32 v[10:11], s[6:7], v7, s5, v[8:9]
	v_mov_b32_e32 v8, v11
	v_mov_b32_e32 v11, v9
	s_mov_b32 s8, 0xcccccccc
	v_mad_u64_u32 v[10:11], s[6:7], v6, s8, v[10:11]
	v_mov_b32_e32 v10, v11
	v_mov_b32_e32 v11, v9
	v_lshl_add_u64 v[10:11], v[8:9], 0, v[10:11]
	v_mad_u64_u32 v[10:11], s[6:7], v7, s8, v[10:11]
	v_alignbit_b32 v7, v11, v10, 3
	v_mul_lo_u32 v7, v7, 10
	v_mul_hi_u32 v8, v2, s5
	v_sub_u32_e32 v10, v6, v7
	v_mad_u64_u32 v[6:7], s[6:7], v3, s5, v[8:9]
	v_mov_b32_e32 v8, v7
	v_mov_b32_e32 v7, v9
	v_mad_u64_u32 v[6:7], s[6:7], v2, s8, v[6:7]
	v_mov_b32_e32 v6, v7
	v_mov_b32_e32 v7, v9
	v_lshl_add_u64 v[6:7], v[8:9], 0, v[6:7]
	v_mad_u64_u32 v[6:7], s[6:7], v3, s8, v[6:7]
	v_alignbit_b32 v3, v7, v6, 3
	v_mul_lo_u32 v3, v3, 10
	v_sub_u32_e32 v2, v2, v3
	v_add_u32_e32 v8, v10, v2
	v_lshl_add_u64 v[2:3], v[8:9], 0, -10
	v_cmp_gt_u32_e32 vcc, 10, v8
	s_nop 1
	v_cndmask_b32_e64 v3, v3, 0, vcc
	v_cndmask_b32_e32 v2, v2, v8, vcc
.LBB558_127:
	s_or_b64 exec, exec, s[0:1]
	v_cmp_gt_u32_e32 vcc, 60, v4
	v_add_u32_e32 v8, 4, v4
	s_waitcnt lgkmcnt(1)
	v_cndmask_b32_e64 v6, 0, 4, vcc
	s_waitcnt lgkmcnt(0)
	v_add_lshl_u32 v7, v6, v1, 2
	ds_bpermute_b32 v6, v7, v2
	ds_bpermute_b32 v7, v7, v3
	v_cmp_lt_u32_e32 vcc, v8, v5
	s_and_saveexec_b64 s[0:1], vcc
	;; [unrolled: 49-line block ×4, first 2 shown]
	s_cbranch_execz .LBB558_133
; %bb.132:
	s_mov_b32 s5, 0xcccccccd
	s_waitcnt lgkmcnt(1)
	v_mul_hi_u32 v8, v6, s5
	v_mov_b32_e32 v9, 0
	s_waitcnt lgkmcnt(0)
	v_mad_u64_u32 v[10:11], s[6:7], v7, s5, v[8:9]
	v_mov_b32_e32 v8, v11
	v_mov_b32_e32 v11, v9
	s_mov_b32 s8, 0xcccccccc
	v_mad_u64_u32 v[10:11], s[6:7], v6, s8, v[10:11]
	v_mov_b32_e32 v10, v11
	v_mov_b32_e32 v11, v9
	v_lshl_add_u64 v[10:11], v[8:9], 0, v[10:11]
	v_mad_u64_u32 v[10:11], s[6:7], v7, s8, v[10:11]
	v_alignbit_b32 v7, v11, v10, 3
	v_mul_lo_u32 v7, v7, 10
	v_mul_hi_u32 v8, v2, s5
	v_sub_u32_e32 v10, v6, v7
	v_mad_u64_u32 v[6:7], s[6:7], v3, s5, v[8:9]
	v_mov_b32_e32 v8, v7
	v_mov_b32_e32 v7, v9
	v_mad_u64_u32 v[6:7], s[6:7], v2, s8, v[6:7]
	v_mov_b32_e32 v6, v7
	v_mov_b32_e32 v7, v9
	v_lshl_add_u64 v[6:7], v[8:9], 0, v[6:7]
	v_mad_u64_u32 v[6:7], s[6:7], v3, s8, v[6:7]
	v_alignbit_b32 v3, v7, v6, 3
	v_mul_lo_u32 v3, v3, 10
	v_sub_u32_e32 v2, v2, v3
	v_add_u32_e32 v8, v10, v2
	v_lshl_add_u64 v[2:3], v[8:9], 0, -10
	v_cmp_gt_u32_e32 vcc, 10, v8
	s_nop 1
	v_cndmask_b32_e64 v3, v3, 0, vcc
	v_cndmask_b32_e32 v2, v2, v8, vcc
.LBB558_133:
	s_or_b64 exec, exec, s[0:1]
	s_waitcnt lgkmcnt(1)
	v_lshlrev_b32_e32 v6, 2, v1
	v_or_b32_e32 v8, 0x80, v6
	s_waitcnt lgkmcnt(0)
	ds_bpermute_b32 v7, v8, v2
	ds_bpermute_b32 v8, v8, v3
	v_add_u32_e32 v4, 32, v4
	v_cmp_lt_u32_e32 vcc, v4, v5
	s_and_saveexec_b64 s[0:1], vcc
	s_cbranch_execz .LBB558_135
; %bb.134:
	s_mov_b32 s5, 0xcccccccd
	s_waitcnt lgkmcnt(1)
	v_mul_hi_u32 v4, v7, s5
	v_mov_b32_e32 v5, 0
	s_waitcnt lgkmcnt(0)
	v_mad_u64_u32 v[10:11], s[6:7], v8, s5, v[4:5]
	v_mov_b32_e32 v4, v11
	v_mov_b32_e32 v11, v5
	s_mov_b32 s8, 0xcccccccc
	v_mad_u64_u32 v[10:11], s[6:7], v7, s8, v[10:11]
	v_mov_b32_e32 v10, v11
	v_mov_b32_e32 v11, v5
	v_lshl_add_u64 v[10:11], v[4:5], 0, v[10:11]
	v_mad_u64_u32 v[8:9], s[6:7], v8, s8, v[10:11]
	v_alignbit_b32 v4, v9, v8, 3
	v_mul_lo_u32 v4, v4, 10
	v_sub_u32_e32 v7, v7, v4
	v_mul_hi_u32 v4, v2, s5
	v_mad_u64_u32 v[8:9], s[6:7], v3, s5, v[4:5]
	v_mov_b32_e32 v4, v9
	v_mov_b32_e32 v9, v5
	v_mad_u64_u32 v[8:9], s[6:7], v2, s8, v[8:9]
	v_mov_b32_e32 v8, v9
	v_mov_b32_e32 v9, v5
	v_lshl_add_u64 v[8:9], v[4:5], 0, v[8:9]
	v_mad_u64_u32 v[8:9], s[6:7], v3, s8, v[8:9]
	v_alignbit_b32 v3, v9, v8, 3
	v_mul_lo_u32 v3, v3, 10
	v_sub_u32_e32 v2, v2, v3
	v_add_u32_e32 v4, v7, v2
	v_lshl_add_u64 v[2:3], v[4:5], 0, -10
	v_cmp_gt_u32_e32 vcc, 10, v4
	s_nop 1
	v_cndmask_b32_e64 v3, v3, 0, vcc
	v_cndmask_b32_e32 v2, v2, v4, vcc
.LBB558_135:
	s_or_b64 exec, exec, s[0:1]
	v_cmp_eq_u32_e32 vcc, 0, v1
	s_and_saveexec_b64 s[0:1], vcc
; %bb.136:
	v_lshrrev_b32_e32 v4, 3, v0
	v_and_b32_e32 v4, 24, v4
	ds_write_b64 v4, v[2:3]
; %bb.137:
	s_or_b64 exec, exec, s[0:1]
	v_cmp_gt_u32_e32 vcc, 4, v0
	s_waitcnt lgkmcnt(0)
	s_barrier
	s_and_saveexec_b64 s[0:1], vcc
	s_cbranch_execz .LBB558_143
; %bb.138:
	v_lshlrev_b32_e32 v2, 3, v1
	ds_read_b64 v[2:3], v2
	v_and_b32_e32 v4, 3, v1
	v_cmp_ne_u32_e32 vcc, 3, v4
	s_add_i32 s4, s4, 63
	s_lshr_b32 s6, s4, 6
	v_addc_co_u32_e32 v1, vcc, 0, v1, vcc
	v_lshlrev_b32_e32 v5, 2, v1
	s_waitcnt lgkmcnt(0)
	ds_bpermute_b32 v1, v5, v2
	ds_bpermute_b32 v5, v5, v3
	v_add_u32_e32 v7, 1, v4
	v_cmp_gt_u32_e32 vcc, s6, v7
	s_and_saveexec_b64 s[4:5], vcc
	s_cbranch_execz .LBB558_140
; %bb.139:
	s_mov_b32 s7, 0xcccccccd
	s_waitcnt lgkmcnt(1)
	v_mul_hi_u32 v8, v1, s7
	v_mov_b32_e32 v9, 0
	s_waitcnt lgkmcnt(0)
	v_mad_u64_u32 v[10:11], s[8:9], v5, s7, v[8:9]
	v_mov_b32_e32 v8, v11
	v_mov_b32_e32 v11, v9
	s_mov_b32 s10, 0xcccccccc
	v_mad_u64_u32 v[10:11], s[8:9], v1, s10, v[10:11]
	v_mov_b32_e32 v10, v11
	v_mov_b32_e32 v11, v9
	v_lshl_add_u64 v[10:11], v[8:9], 0, v[10:11]
	v_mad_u64_u32 v[10:11], s[8:9], v5, s10, v[10:11]
	v_mul_hi_u32 v8, v2, s7
	v_alignbit_b32 v5, v11, v10, 3
	v_mad_u64_u32 v[10:11], s[8:9], v3, s7, v[8:9]
	v_mov_b32_e32 v8, v11
	v_mov_b32_e32 v11, v9
	v_mad_u64_u32 v[10:11], s[8:9], v2, s10, v[10:11]
	v_mov_b32_e32 v10, v11
	v_mov_b32_e32 v11, v9
	v_lshl_add_u64 v[10:11], v[8:9], 0, v[10:11]
	v_mad_u64_u32 v[10:11], s[8:9], v3, s10, v[10:11]
	v_alignbit_b32 v3, v11, v10, 3
	v_mul_lo_u32 v5, v5, 10
	v_mul_lo_u32 v3, v3, 10
	v_sub_u32_e32 v1, v1, v5
	v_sub_u32_e32 v2, v2, v3
	v_add_u32_e32 v8, v1, v2
	v_lshl_add_u64 v[2:3], v[8:9], 0, -10
	v_cmp_gt_u32_e32 vcc, 10, v8
	s_nop 1
	v_cndmask_b32_e64 v3, v3, 0, vcc
	v_cndmask_b32_e32 v2, v2, v8, vcc
.LBB558_140:
	s_or_b64 exec, exec, s[4:5]
	s_waitcnt lgkmcnt(0)
	v_or_b32_e32 v5, 8, v6
	ds_bpermute_b32 v1, v5, v2
	ds_bpermute_b32 v5, v5, v3
	v_add_u32_e32 v4, 2, v4
	v_cmp_gt_u32_e32 vcc, s6, v4
	s_and_saveexec_b64 s[4:5], vcc
	s_cbranch_execz .LBB558_142
; %bb.141:
	s_mov_b32 s8, 0xcccccccd
	s_waitcnt lgkmcnt(1)
	v_mul_hi_u32 v6, v1, s8
	v_mov_b32_e32 v7, 0
	s_waitcnt lgkmcnt(0)
	v_mad_u64_u32 v[8:9], s[6:7], v5, s8, v[6:7]
	v_mov_b32_e32 v6, v9
	v_mov_b32_e32 v9, v7
	s_mov_b32 s9, 0xcccccccc
	v_mad_u64_u32 v[8:9], s[6:7], v1, s9, v[8:9]
	v_mov_b32_e32 v8, v9
	v_mov_b32_e32 v9, v7
	v_lshl_add_u64 v[8:9], v[6:7], 0, v[8:9]
	v_mad_u64_u32 v[4:5], s[6:7], v5, s9, v[8:9]
	v_alignbit_b32 v4, v5, v4, 3
	v_mul_lo_u32 v4, v4, 10
	v_mul_hi_u32 v6, v2, s8
	v_sub_u32_e32 v1, v1, v4
	v_mad_u64_u32 v[4:5], s[6:7], v3, s8, v[6:7]
	v_mov_b32_e32 v6, v5
	v_mov_b32_e32 v5, v7
	v_mad_u64_u32 v[4:5], s[6:7], v2, s9, v[4:5]
	v_mov_b32_e32 v4, v5
	v_mov_b32_e32 v5, v7
	v_lshl_add_u64 v[4:5], v[6:7], 0, v[4:5]
	v_mad_u64_u32 v[4:5], s[6:7], v3, s9, v[4:5]
	v_alignbit_b32 v3, v5, v4, 3
	v_mul_lo_u32 v3, v3, 10
	v_sub_u32_e32 v2, v2, v3
	v_add_u32_e32 v6, v1, v2
	v_lshl_add_u64 v[2:3], v[6:7], 0, -10
	v_cmp_gt_u32_e32 vcc, 10, v6
	s_nop 1
	v_cndmask_b32_e64 v3, v3, 0, vcc
	v_cndmask_b32_e32 v2, v2, v6, vcc
.LBB558_142:
	s_or_b64 exec, exec, s[4:5]
.LBB558_143:
	s_or_b64 exec, exec, s[0:1]
.LBB558_144:
	v_cmp_eq_u32_e32 vcc, 0, v0
                                        ; implicit-def: $vgpr4_vgpr5
	s_and_saveexec_b64 s[0:1], vcc
	s_xor_b64 s[0:1], exec, s[0:1]
	s_cbranch_execz .LBB558_148
; %bb.145:
	s_cmp_eq_u64 s[38:39], 0
	s_waitcnt lgkmcnt(0)
	v_mov_b64_e32 v[4:5], s[42:43]
	s_cbranch_scc1 .LBB558_147
; %bb.146:
	s_mov_b32 s4, 0xcccccccd
	v_mul_hi_u32 v4, v2, s4
	v_mov_b32_e32 v5, 0
	v_mad_u64_u32 v[6:7], s[4:5], v3, s4, v[4:5]
	v_mov_b32_e32 v4, v7
	v_mov_b32_e32 v7, v5
	s_mov_b32 s6, 0xcccccccc
	v_mad_u64_u32 v[6:7], s[4:5], v2, s6, v[6:7]
	v_mov_b32_e32 v6, v7
	v_mov_b32_e32 v7, v5
	v_lshl_add_u64 v[6:7], v[4:5], 0, v[6:7]
	s_mul_i32 s7, s43, 0xcccccccd
	s_mul_hi_u32 s8, s42, 0xcccccccd
	v_mad_u64_u32 v[6:7], s[4:5], v3, s6, v[6:7]
	s_mul_hi_u32 s6, s43, 0xcccccccd
	s_add_u32 s7, s7, s8
	s_mul_i32 s5, s42, 0xcccccccc
	s_addc_u32 s6, s6, 0
	s_mul_hi_u32 s4, s42, 0xcccccccc
	s_add_u32 s5, s5, s7
	s_addc_u32 s4, s4, 0
	s_add_u32 s4, s6, s4
	s_addc_u32 s5, 0, 0
	s_mul_i32 s7, s43, 0xcccccccc
	s_mul_hi_u32 s6, s43, 0xcccccccc
	s_add_u32 s4, s7, s4
	s_addc_u32 s5, s6, s5
	v_alignbit_b32 v1, v7, v6, 3
	s_lshr_b64 s[4:5], s[4:5], 3
	v_mul_lo_u32 v1, v1, 10
	s_mul_i32 s4, s4, 10
	v_sub_u32_e32 v1, v2, v1
	s_sub_i32 s4, s42, s4
	v_add_u32_e32 v4, s4, v1
	v_lshl_add_u64 v[2:3], v[4:5], 0, -10
	v_cmp_gt_u32_e32 vcc, 10, v4
	s_nop 1
	v_cndmask_b32_e64 v5, v3, 0, vcc
	v_cndmask_b32_e32 v4, v2, v4, vcc
.LBB558_147:
	s_or_b64 s[14:15], s[14:15], exec
.LBB558_148:
	s_or_b64 exec, exec, s[0:1]
	v_mov_b64_e32 v[2:3], s[2:3]
	s_branch .LBB558_157
.LBB558_149:
	s_cmp_eq_u32 s33, 4
	s_cbranch_scc0 .LBB558_156
; %bb.150:
	s_mov_b32 s3, 0
	s_lshl_b32 s0, s2, 10
	s_mov_b32 s1, s3
	s_lshr_b64 s[4:5], s[38:39], 10
	s_lshl_b64 s[6:7], s[0:1], 3
	s_add_u32 s6, s36, s6
	s_addc_u32 s7, s37, s7
	s_cmp_lg_u64 s[4:5], s[2:3]
	s_cbranch_scc0 .LBB558_158
; %bb.151:
	v_lshlrev_b32_e32 v2, 3, v0
	s_waitcnt lgkmcnt(0)
	global_load_dwordx2 v[4:5], v2, s[6:7] offset:2048
	global_load_dwordx2 v[6:7], v2, s[6:7]
	v_mov_b32_e32 v3, 0
	v_lshl_add_u64 v[8:9], s[6:7], 0, v[2:3]
	v_add_co_u32_e32 v8, vcc, 0x1000, v8
	s_mov_b32 s4, 0xcccccccd
	s_nop 0
	v_addc_co_u32_e32 v9, vcc, 0, v9, vcc
	global_load_dwordx2 v[10:11], v[8:9], off
	global_load_dwordx2 v[12:13], v[8:9], off offset:2048
	s_mov_b32 s1, 0xcccccccc
	v_mov_b32_e32 v9, v3
	v_mov_b32_e32 v15, v3
	;; [unrolled: 1-line block ×7, first 2 shown]
	v_mbcnt_lo_u32_b32 v1, -1, 0
	v_mbcnt_hi_u32_b32 v1, -1, v1
	s_waitcnt vmcnt(3)
	v_mul_hi_u32 v2, v4, s4
	v_mad_u64_u32 v[26:27], s[8:9], v5, s4, v[2:3]
	v_mov_b32_e32 v2, v27
	v_mov_b32_e32 v27, v3
	v_mad_u64_u32 v[26:27], s[8:9], v4, s1, v[26:27]
	v_mov_b32_e32 v8, v27
	v_lshl_add_u64 v[8:9], v[2:3], 0, v[8:9]
	s_waitcnt vmcnt(2)
	v_mul_hi_u32 v2, v6, s4
	v_mad_u64_u32 v[26:27], s[8:9], v7, s4, v[2:3]
	v_mad_u64_u32 v[8:9], s[8:9], v5, s1, v[8:9]
	v_mov_b32_e32 v2, v27
	v_mov_b32_e32 v27, v3
	v_alignbit_b32 v5, v9, v8, 3
	v_mad_u64_u32 v[8:9], s[8:9], v6, s1, v[26:27]
	v_mul_lo_u32 v5, v5, 10
	v_mov_b32_e32 v14, v9
	v_sub_u32_e32 v8, v4, v5
	v_lshl_add_u64 v[4:5], v[2:3], 0, v[14:15]
	v_mad_u64_u32 v[4:5], s[8:9], v7, s1, v[4:5]
	v_alignbit_b32 v2, v5, v4, 3
	v_mul_lo_u32 v2, v2, 10
	v_sub_u32_e32 v2, v6, v2
	v_add_u32_e32 v2, v8, v2
	v_lshl_add_u64 v[4:5], v[2:3], 0, -10
	v_cmp_gt_u32_e32 vcc, 10, v2
	s_nop 1
	v_cndmask_b32_e32 v9, v4, v2, vcc
	s_waitcnt vmcnt(1)
	v_mul_hi_u32 v2, v10, s4
	v_cndmask_b32_e64 v8, v5, 0, vcc
	v_mad_u64_u32 v[4:5], s[8:9], v11, s4, v[2:3]
	v_mov_b32_e32 v2, v5
	v_mov_b32_e32 v5, v3
	v_mad_u64_u32 v[4:5], s[8:9], v10, s1, v[4:5]
	v_mov_b32_e32 v16, v5
	v_lshl_add_u64 v[4:5], v[2:3], 0, v[16:17]
	v_mul_hi_u32 v2, v9, s4
	v_mad_u64_u32 v[4:5], s[8:9], v11, s1, v[4:5]
	v_mad_u64_u32 v[6:7], s[8:9], v8, s4, v[2:3]
	v_alignbit_b32 v4, v5, v4, 3
	v_mov_b32_e32 v2, v7
	v_mov_b32_e32 v7, v3
	v_mul_lo_u32 v11, v4, 10
	v_mad_u64_u32 v[4:5], s[8:9], v9, s1, v[6:7]
	v_mov_b32_e32 v18, v5
	v_lshl_add_u64 v[4:5], v[2:3], 0, v[18:19]
	v_mad_u64_u32 v[4:5], s[8:9], v8, s1, v[4:5]
	v_alignbit_b32 v2, v5, v4, 3
	v_mul_lo_u32 v2, v2, 10
	v_sub_u32_e32 v6, v10, v11
	v_sub_u32_e32 v2, v9, v2
	v_add_u32_e32 v2, v2, v6
	v_lshl_add_u64 v[4:5], v[2:3], 0, -10
	v_cmp_gt_u32_e32 vcc, 10, v2
	s_nop 1
	v_cndmask_b32_e32 v9, v4, v2, vcc
	s_waitcnt vmcnt(0)
	v_mul_hi_u32 v2, v12, s4
	v_cndmask_b32_e64 v8, v5, 0, vcc
	v_mad_u64_u32 v[4:5], s[8:9], v13, s4, v[2:3]
	v_mov_b32_e32 v2, v5
	v_mov_b32_e32 v5, v3
	v_mad_u64_u32 v[4:5], s[8:9], v12, s1, v[4:5]
	v_mov_b32_e32 v20, v5
	v_lshl_add_u64 v[4:5], v[2:3], 0, v[20:21]
	v_mul_hi_u32 v2, v9, s4
	v_mad_u64_u32 v[4:5], s[8:9], v13, s1, v[4:5]
	v_mad_u64_u32 v[6:7], s[8:9], v8, s4, v[2:3]
	v_alignbit_b32 v4, v5, v4, 3
	v_mov_b32_e32 v2, v7
	v_mov_b32_e32 v7, v3
	v_mul_lo_u32 v10, v4, 10
	v_mad_u64_u32 v[4:5], s[8:9], v9, s1, v[6:7]
	v_mov_b32_e32 v22, v5
	v_lshl_add_u64 v[4:5], v[2:3], 0, v[22:23]
	v_mad_u64_u32 v[4:5], s[8:9], v8, s1, v[4:5]
	v_alignbit_b32 v2, v5, v4, 3
	v_mul_lo_u32 v2, v2, 10
	v_sub_u32_e32 v6, v12, v10
	v_sub_u32_e32 v2, v9, v2
	v_add_u32_e32 v2, v2, v6
	v_lshl_add_u64 v[4:5], v[2:3], 0, -10
	v_cmp_gt_u32_e32 vcc, 10, v2
	s_nop 1
	v_cndmask_b32_e32 v8, v4, v2, vcc
	v_cndmask_b32_e64 v6, v5, 0, vcc
	v_mul_hi_u32 v2, v8, s4
	v_mad_u64_u32 v[4:5], s[8:9], v6, s4, v[2:3]
	v_mov_b32_e32 v2, v5
	v_mov_b32_e32 v5, v3
	v_mad_u64_u32 v[4:5], s[8:9], v8, s1, v[4:5]
	v_mov_b32_e32 v24, v5
	v_mov_b32_dpp v9, v8 quad_perm:[1,0,3,2] row_mask:0xf bank_mask:0xf bound_ctrl:1
	v_lshl_add_u64 v[4:5], v[2:3], 0, v[24:25]
	v_mov_b32_dpp v10, v6 quad_perm:[1,0,3,2] row_mask:0xf bank_mask:0xf bound_ctrl:1
	v_mul_hi_u32 v2, v9, s4
	v_mad_u64_u32 v[4:5], s[8:9], v6, s1, v[4:5]
	v_mad_u64_u32 v[6:7], s[8:9], v10, s4, v[2:3]
	v_alignbit_b32 v4, v5, v4, 3
	v_mov_b32_e32 v2, v7
	v_mov_b32_e32 v7, v3
	v_mul_lo_u32 v4, v4, 10
	v_sub_u32_e32 v8, v8, v4
	v_mad_u64_u32 v[4:5], s[8:9], v9, s1, v[6:7]
	v_mov_b32_e32 v4, v5
	v_mov_b32_e32 v5, v3
	v_lshl_add_u64 v[4:5], v[2:3], 0, v[4:5]
	v_mad_u64_u32 v[4:5], s[8:9], v10, s1, v[4:5]
	v_alignbit_b32 v2, v5, v4, 3
	v_mul_lo_u32 v2, v2, 10
	v_sub_u32_e32 v2, v9, v2
	v_add_u32_e32 v2, v8, v2
	v_lshl_add_u64 v[4:5], v[2:3], 0, -10
	v_cmp_gt_u32_e32 vcc, 10, v2
	s_nop 1
	v_cndmask_b32_e32 v7, v4, v2, vcc
	v_cndmask_b32_e64 v6, v5, 0, vcc
	v_mul_hi_u32 v2, v7, s4
	v_mad_u64_u32 v[4:5], s[8:9], v6, s4, v[2:3]
	v_mov_b32_e32 v2, v5
	v_mov_b32_e32 v5, v3
	v_mad_u64_u32 v[4:5], s[8:9], v7, s1, v[4:5]
	v_mov_b32_e32 v4, v5
	v_mov_b32_e32 v5, v3
	v_lshl_add_u64 v[4:5], v[2:3], 0, v[4:5]
	v_mad_u64_u32 v[4:5], s[8:9], v6, s1, v[4:5]
	v_alignbit_b32 v2, v5, v4, 3
	v_mov_b32_dpp v8, v7 quad_perm:[2,3,0,1] row_mask:0xf bank_mask:0xf bound_ctrl:1
	v_mul_lo_u32 v2, v2, 10
	v_mov_b32_dpp v9, v6 quad_perm:[2,3,0,1] row_mask:0xf bank_mask:0xf bound_ctrl:1
	v_sub_u32_e32 v6, v7, v2
	v_mul_hi_u32 v2, v8, s4
	v_mad_u64_u32 v[4:5], s[8:9], v9, s4, v[2:3]
	v_mov_b32_e32 v2, v5
	v_mov_b32_e32 v5, v3
	v_mad_u64_u32 v[4:5], s[8:9], v8, s1, v[4:5]
	v_mov_b32_e32 v4, v5
	v_mov_b32_e32 v5, v3
	v_lshl_add_u64 v[4:5], v[2:3], 0, v[4:5]
	v_mad_u64_u32 v[4:5], s[8:9], v9, s1, v[4:5]
	v_alignbit_b32 v2, v5, v4, 3
	v_mul_lo_u32 v2, v2, 10
	v_sub_u32_e32 v2, v8, v2
	v_add_u32_e32 v2, v6, v2
	v_lshl_add_u64 v[4:5], v[2:3], 0, -10
	v_cmp_gt_u32_e32 vcc, 10, v2
	s_nop 1
	v_cndmask_b32_e32 v7, v4, v2, vcc
	v_cndmask_b32_e64 v6, v5, 0, vcc
	v_mul_hi_u32 v2, v7, s4
	v_mad_u64_u32 v[4:5], s[8:9], v6, s4, v[2:3]
	v_mov_b32_e32 v2, v5
	v_mov_b32_e32 v5, v3
	v_mad_u64_u32 v[4:5], s[8:9], v7, s1, v[4:5]
	v_mov_b32_e32 v4, v5
	v_mov_b32_e32 v5, v3
	v_lshl_add_u64 v[4:5], v[2:3], 0, v[4:5]
	v_mad_u64_u32 v[4:5], s[8:9], v6, s1, v[4:5]
	v_alignbit_b32 v2, v5, v4, 3
	v_mov_b32_dpp v8, v7 row_ror:4 row_mask:0xf bank_mask:0xf bound_ctrl:1
	v_mul_lo_u32 v2, v2, 10
	v_mov_b32_dpp v9, v6 row_ror:4 row_mask:0xf bank_mask:0xf bound_ctrl:1
	v_sub_u32_e32 v6, v7, v2
	v_mul_hi_u32 v2, v8, s4
	v_mad_u64_u32 v[4:5], s[8:9], v9, s4, v[2:3]
	v_mov_b32_e32 v2, v5
	v_mov_b32_e32 v5, v3
	v_mad_u64_u32 v[4:5], s[8:9], v8, s1, v[4:5]
	v_mov_b32_e32 v4, v5
	v_mov_b32_e32 v5, v3
	v_lshl_add_u64 v[4:5], v[2:3], 0, v[4:5]
	v_mad_u64_u32 v[4:5], s[8:9], v9, s1, v[4:5]
	v_alignbit_b32 v2, v5, v4, 3
	v_mul_lo_u32 v2, v2, 10
	v_sub_u32_e32 v2, v8, v2
	v_add_u32_e32 v2, v6, v2
	v_lshl_add_u64 v[4:5], v[2:3], 0, -10
	v_cmp_gt_u32_e32 vcc, 10, v2
	s_nop 1
	v_cndmask_b32_e32 v7, v4, v2, vcc
	v_cndmask_b32_e64 v6, v5, 0, vcc
	v_mul_hi_u32 v2, v7, s4
	v_mad_u64_u32 v[4:5], s[8:9], v6, s4, v[2:3]
	v_mov_b32_e32 v2, v5
	v_mov_b32_e32 v5, v3
	v_mad_u64_u32 v[4:5], s[8:9], v7, s1, v[4:5]
	v_mov_b32_e32 v4, v5
	v_mov_b32_e32 v5, v3
	v_lshl_add_u64 v[4:5], v[2:3], 0, v[4:5]
	v_mad_u64_u32 v[4:5], s[8:9], v6, s1, v[4:5]
	v_alignbit_b32 v2, v5, v4, 3
	v_mov_b32_dpp v8, v7 row_ror:8 row_mask:0xf bank_mask:0xf bound_ctrl:1
	v_mul_lo_u32 v2, v2, 10
	v_mov_b32_dpp v9, v6 row_ror:8 row_mask:0xf bank_mask:0xf bound_ctrl:1
	v_sub_u32_e32 v6, v7, v2
	v_mul_hi_u32 v2, v8, s4
	v_mad_u64_u32 v[4:5], s[8:9], v9, s4, v[2:3]
	v_mov_b32_e32 v2, v5
	v_mov_b32_e32 v5, v3
	v_mad_u64_u32 v[4:5], s[8:9], v8, s1, v[4:5]
	v_mov_b32_e32 v4, v5
	v_mov_b32_e32 v5, v3
	v_lshl_add_u64 v[4:5], v[2:3], 0, v[4:5]
	v_mad_u64_u32 v[4:5], s[8:9], v9, s1, v[4:5]
	v_alignbit_b32 v2, v5, v4, 3
	v_mul_lo_u32 v2, v2, 10
	v_sub_u32_e32 v2, v8, v2
	v_add_u32_e32 v2, v6, v2
	v_lshl_add_u64 v[4:5], v[2:3], 0, -10
	v_cmp_gt_u32_e32 vcc, 10, v2
	s_nop 1
	v_cndmask_b32_e32 v7, v4, v2, vcc
	v_cndmask_b32_e64 v6, v5, 0, vcc
	v_mul_hi_u32 v2, v7, s4
	v_mad_u64_u32 v[4:5], s[8:9], v6, s4, v[2:3]
	v_mov_b32_e32 v2, v5
	v_mov_b32_e32 v5, v3
	v_mad_u64_u32 v[4:5], s[8:9], v7, s1, v[4:5]
	v_mov_b32_e32 v4, v5
	v_mov_b32_e32 v5, v3
	v_lshl_add_u64 v[4:5], v[2:3], 0, v[4:5]
	v_mad_u64_u32 v[4:5], s[8:9], v6, s1, v[4:5]
	v_alignbit_b32 v2, v5, v4, 3
	v_mov_b32_dpp v8, v7 row_bcast:15 row_mask:0xf bank_mask:0xf bound_ctrl:1
	v_mul_lo_u32 v2, v2, 10
	v_mov_b32_dpp v9, v6 row_bcast:15 row_mask:0xf bank_mask:0xf bound_ctrl:1
	v_sub_u32_e32 v6, v7, v2
	v_mul_hi_u32 v2, v8, s4
	v_mad_u64_u32 v[4:5], s[8:9], v9, s4, v[2:3]
	v_mov_b32_e32 v2, v5
	v_mov_b32_e32 v5, v3
	v_mad_u64_u32 v[4:5], s[8:9], v8, s1, v[4:5]
	v_mov_b32_e32 v4, v5
	v_mov_b32_e32 v5, v3
	v_lshl_add_u64 v[4:5], v[2:3], 0, v[4:5]
	v_mad_u64_u32 v[4:5], s[8:9], v9, s1, v[4:5]
	v_alignbit_b32 v2, v5, v4, 3
	v_mul_lo_u32 v2, v2, 10
	v_sub_u32_e32 v2, v8, v2
	v_add_u32_e32 v2, v6, v2
	v_lshl_add_u64 v[4:5], v[2:3], 0, -10
	v_cmp_gt_u32_e32 vcc, 10, v2
	s_nop 1
	v_cndmask_b32_e32 v7, v4, v2, vcc
	v_cndmask_b32_e64 v6, v5, 0, vcc
	v_mul_hi_u32 v2, v7, s4
	v_mad_u64_u32 v[4:5], s[8:9], v6, s4, v[2:3]
	v_mov_b32_e32 v2, v5
	v_mov_b32_e32 v5, v3
	v_mad_u64_u32 v[4:5], s[8:9], v7, s1, v[4:5]
	v_mov_b32_e32 v4, v5
	v_mov_b32_e32 v5, v3
	v_lshl_add_u64 v[4:5], v[2:3], 0, v[4:5]
	v_mad_u64_u32 v[4:5], s[8:9], v6, s1, v[4:5]
	v_alignbit_b32 v2, v5, v4, 3
	v_mov_b32_dpp v8, v7 row_bcast:31 row_mask:0xf bank_mask:0xf bound_ctrl:1
	v_mul_lo_u32 v2, v2, 10
	v_mov_b32_dpp v9, v6 row_bcast:31 row_mask:0xf bank_mask:0xf bound_ctrl:1
	v_sub_u32_e32 v6, v7, v2
	v_mul_hi_u32 v2, v8, s4
	v_mad_u64_u32 v[4:5], s[4:5], v9, s4, v[2:3]
	v_mov_b32_e32 v2, v5
	v_mov_b32_e32 v5, v3
	v_mad_u64_u32 v[4:5], s[4:5], v8, s1, v[4:5]
	v_mov_b32_e32 v4, v5
	v_mov_b32_e32 v5, v3
	v_lshl_add_u64 v[4:5], v[2:3], 0, v[4:5]
	v_mad_u64_u32 v[4:5], s[4:5], v9, s1, v[4:5]
	v_alignbit_b32 v2, v5, v4, 3
	v_mul_lo_u32 v2, v2, 10
	v_sub_u32_e32 v2, v8, v2
	v_add_u32_e32 v2, v6, v2
	v_lshl_add_u64 v[4:5], v[2:3], 0, -10
	v_cmp_gt_u32_e32 vcc, 10, v2
	s_nop 1
	v_cndmask_b32_e32 v2, v4, v2, vcc
	v_lshlrev_b32_e32 v4, 2, v1
	v_cndmask_b32_e64 v3, v5, 0, vcc
	v_or_b32_e32 v5, 0xfc, v4
	ds_bpermute_b32 v2, v5, v2
	ds_bpermute_b32 v3, v5, v3
	v_cmp_eq_u32_e32 vcc, 0, v1
	s_and_saveexec_b64 s[4:5], vcc
	s_cbranch_execz .LBB558_153
; %bb.152:
	v_lshrrev_b32_e32 v5, 3, v0
	v_and_b32_e32 v5, 24, v5
	s_waitcnt lgkmcnt(0)
	ds_write_b64 v5, v[2:3] offset:128
.LBB558_153:
	s_or_b64 exec, exec, s[4:5]
	v_cmp_gt_u32_e32 vcc, 64, v0
	s_waitcnt lgkmcnt(0)
	s_barrier
	s_and_saveexec_b64 s[4:5], vcc
	s_cbranch_execz .LBB558_155
; %bb.154:
	v_and_b32_e32 v5, 3, v1
	v_lshlrev_b32_e32 v2, 3, v5
	ds_read_b64 v[2:3], v2 offset:128
	v_cmp_ne_u32_e32 vcc, 3, v5
	s_mov_b32 s1, 0xcccccccd
	v_mov_b32_e32 v7, 0
	v_addc_co_u32_e32 v1, vcc, 0, v1, vcc
	v_lshlrev_b32_e32 v1, 2, v1
	s_waitcnt lgkmcnt(0)
	ds_bpermute_b32 v5, v1, v2
	ds_bpermute_b32 v1, v1, v3
	s_mov_b32 s10, 0xcccccccc
	s_waitcnt lgkmcnt(1)
	v_mul_hi_u32 v6, v5, s1
	s_waitcnt lgkmcnt(0)
	v_mad_u64_u32 v[8:9], s[8:9], v1, s1, v[6:7]
	v_mov_b32_e32 v6, v9
	v_mov_b32_e32 v9, v7
	v_mad_u64_u32 v[8:9], s[8:9], v5, s10, v[8:9]
	v_mov_b32_e32 v8, v9
	v_mov_b32_e32 v9, v7
	v_lshl_add_u64 v[8:9], v[6:7], 0, v[8:9]
	v_mad_u64_u32 v[8:9], s[8:9], v1, s10, v[8:9]
	v_mul_hi_u32 v6, v2, s1
	v_alignbit_b32 v1, v9, v8, 3
	v_mad_u64_u32 v[8:9], s[8:9], v3, s1, v[6:7]
	v_mov_b32_e32 v6, v9
	v_mov_b32_e32 v9, v7
	v_mad_u64_u32 v[8:9], s[8:9], v2, s10, v[8:9]
	v_mov_b32_e32 v8, v9
	v_mov_b32_e32 v9, v7
	v_lshl_add_u64 v[8:9], v[6:7], 0, v[8:9]
	v_mad_u64_u32 v[8:9], s[8:9], v3, s10, v[8:9]
	v_alignbit_b32 v3, v9, v8, 3
	v_mul_lo_u32 v1, v1, 10
	v_mul_lo_u32 v3, v3, 10
	v_sub_u32_e32 v1, v5, v1
	v_sub_u32_e32 v2, v2, v3
	v_add_u32_e32 v6, v1, v2
	v_lshl_add_u64 v[2:3], v[6:7], 0, -10
	v_cmp_gt_u32_e32 vcc, 10, v6
	s_nop 1
	v_cndmask_b32_e32 v5, v2, v6, vcc
	v_or_b32_e32 v2, 8, v4
	v_cndmask_b32_e64 v1, v3, 0, vcc
	ds_bpermute_b32 v4, v2, v5
	ds_bpermute_b32 v8, v2, v1
	s_waitcnt lgkmcnt(1)
	v_mul_hi_u32 v6, v4, s1
	s_waitcnt lgkmcnt(0)
	v_mad_u64_u32 v[2:3], s[8:9], v8, s1, v[6:7]
	v_mov_b32_e32 v6, v3
	v_mov_b32_e32 v3, v7
	v_mad_u64_u32 v[2:3], s[8:9], v4, s10, v[2:3]
	v_mov_b32_e32 v2, v3
	v_mov_b32_e32 v3, v7
	v_lshl_add_u64 v[2:3], v[6:7], 0, v[2:3]
	v_mad_u64_u32 v[2:3], s[8:9], v8, s10, v[2:3]
	v_alignbit_b32 v2, v3, v2, 3
	v_mul_lo_u32 v2, v2, 10
	v_mul_hi_u32 v6, v5, s1
	v_sub_u32_e32 v4, v4, v2
	v_mad_u64_u32 v[2:3], s[8:9], v1, s1, v[6:7]
	v_mov_b32_e32 v6, v3
	v_mov_b32_e32 v3, v7
	v_mad_u64_u32 v[2:3], s[8:9], v5, s10, v[2:3]
	v_mov_b32_e32 v2, v3
	v_mov_b32_e32 v3, v7
	v_lshl_add_u64 v[2:3], v[6:7], 0, v[2:3]
	v_mad_u64_u32 v[2:3], s[8:9], v1, s10, v[2:3]
	v_alignbit_b32 v1, v3, v2, 3
	v_mul_lo_u32 v1, v1, 10
	v_sub_u32_e32 v1, v5, v1
	v_add_u32_e32 v6, v1, v4
	v_lshl_add_u64 v[2:3], v[6:7], 0, -10
	v_cmp_gt_u32_e32 vcc, 10, v6
	s_nop 1
	v_cndmask_b32_e64 v3, v3, 0, vcc
	v_cndmask_b32_e32 v2, v2, v6, vcc
.LBB558_155:
	s_or_b64 exec, exec, s[4:5]
	s_branch .LBB558_191
.LBB558_156:
                                        ; implicit-def: $vgpr4_vgpr5
                                        ; implicit-def: $vgpr2_vgpr3
.LBB558_157:
	s_branch .LBB558_247
.LBB558_158:
                                        ; implicit-def: $vgpr2_vgpr3
	s_cbranch_execz .LBB558_191
; %bb.159:
	s_sub_i32 s10, s38, s0
	v_mov_b32_e32 v2, 0
	v_cmp_gt_u32_e32 vcc, s10, v0
	v_mov_b32_e32 v3, v2
	v_mov_b32_e32 v4, v2
	s_waitcnt lgkmcnt(0)
	v_mov_b32_e32 v5, v2
	v_mov_b32_e32 v6, v2
	;; [unrolled: 1-line block ×5, first 2 shown]
	s_and_saveexec_b64 s[0:1], vcc
	s_cbranch_execz .LBB558_161
; %bb.160:
	v_lshlrev_b32_e32 v1, 3, v0
	global_load_dwordx2 v[4:5], v1, s[6:7]
	v_mov_b32_e32 v6, v2
	v_mov_b32_e32 v7, v2
	;; [unrolled: 1-line block ×6, first 2 shown]
	s_waitcnt vmcnt(0)
	v_mov_b64_e32 v[2:3], v[4:5]
	v_mov_b64_e32 v[4:5], v[6:7]
	;; [unrolled: 1-line block ×4, first 2 shown]
.LBB558_161:
	s_or_b64 exec, exec, s[0:1]
	v_or_b32_e32 v1, 0x100, v0
	v_cmp_gt_u32_e64 s[4:5], s10, v1
	s_and_saveexec_b64 s[0:1], s[4:5]
	s_cbranch_execz .LBB558_163
; %bb.162:
	v_lshlrev_b32_e32 v1, 3, v0
	global_load_dwordx2 v[4:5], v1, s[6:7] offset:2048
.LBB558_163:
	s_or_b64 exec, exec, s[0:1]
	v_or_b32_e32 v1, 0x200, v0
	v_cmp_gt_u32_e64 s[0:1], s10, v1
	s_and_saveexec_b64 s[8:9], s[0:1]
	s_cbranch_execz .LBB558_165
; %bb.164:
	v_lshlrev_b32_e32 v1, 3, v1
	global_load_dwordx2 v[6:7], v1, s[6:7]
.LBB558_165:
	s_or_b64 exec, exec, s[8:9]
	v_or_b32_e32 v1, 0x300, v0
	v_cmp_gt_u32_e32 vcc, s10, v1
	s_and_saveexec_b64 s[8:9], vcc
	s_cbranch_execnz .LBB558_279
; %bb.166:
	s_or_b64 exec, exec, s[8:9]
	s_and_saveexec_b64 s[6:7], s[4:5]
	s_cbranch_execnz .LBB558_280
.LBB558_167:
	s_or_b64 exec, exec, s[6:7]
	s_and_saveexec_b64 s[4:5], s[0:1]
	s_cbranch_execnz .LBB558_281
.LBB558_168:
	s_or_b64 exec, exec, s[4:5]
	s_and_saveexec_b64 s[0:1], vcc
	s_cbranch_execz .LBB558_170
.LBB558_169:
	s_mov_b32 s6, 0xcccccccd
	s_waitcnt vmcnt(0)
	v_mul_hi_u32 v4, v8, s6
	v_mov_b32_e32 v5, 0
	v_mad_u64_u32 v[6:7], s[4:5], v9, s6, v[4:5]
	v_mov_b32_e32 v4, v7
	v_mov_b32_e32 v7, v5
	s_mov_b32 s7, 0xcccccccc
	v_mad_u64_u32 v[6:7], s[4:5], v8, s7, v[6:7]
	v_mov_b32_e32 v6, v7
	v_mov_b32_e32 v7, v5
	v_lshl_add_u64 v[6:7], v[4:5], 0, v[6:7]
	v_mad_u64_u32 v[6:7], s[4:5], v9, s7, v[6:7]
	v_mul_hi_u32 v4, v2, s6
	v_alignbit_b32 v1, v7, v6, 3
	v_mad_u64_u32 v[6:7], s[4:5], v3, s6, v[4:5]
	v_mov_b32_e32 v4, v7
	v_mov_b32_e32 v7, v5
	v_mad_u64_u32 v[6:7], s[4:5], v2, s7, v[6:7]
	v_mov_b32_e32 v6, v7
	v_mov_b32_e32 v7, v5
	v_lshl_add_u64 v[6:7], v[4:5], 0, v[6:7]
	v_mad_u64_u32 v[6:7], s[4:5], v3, s7, v[6:7]
	v_alignbit_b32 v3, v7, v6, 3
	v_mul_lo_u32 v1, v1, 10
	v_mul_lo_u32 v3, v3, 10
	v_sub_u32_e32 v1, v8, v1
	v_sub_u32_e32 v2, v2, v3
	v_add_u32_e32 v4, v2, v1
	v_lshl_add_u64 v[2:3], v[4:5], 0, -10
	v_cmp_gt_u32_e32 vcc, 10, v4
	s_nop 1
	v_cndmask_b32_e64 v3, v3, 0, vcc
	v_cndmask_b32_e32 v2, v2, v4, vcc
.LBB558_170:
	s_or_b64 exec, exec, s[0:1]
	v_mbcnt_lo_u32_b32 v1, -1, 0
	v_mbcnt_hi_u32_b32 v1, -1, v1
	s_waitcnt vmcnt(0)
	v_and_b32_e32 v4, 63, v1
	v_cmp_ne_u32_e32 vcc, 63, v4
	s_min_u32 s4, s10, 0x100
	v_add_u32_e32 v8, 1, v4
	v_addc_co_u32_e32 v5, vcc, 0, v1, vcc
	v_lshlrev_b32_e32 v5, 2, v5
	ds_bpermute_b32 v6, v5, v2
	ds_bpermute_b32 v7, v5, v3
	v_and_b32_e32 v5, 0xc0, v0
	v_sub_u32_e64 v5, s4, v5 clamp
	v_cmp_lt_u32_e32 vcc, v8, v5
	s_and_saveexec_b64 s[0:1], vcc
	s_xor_b64 s[0:1], exec, s[0:1]
	s_cbranch_execz .LBB558_172
; %bb.171:
	s_mov_b32 s5, 0xcccccccd
	s_waitcnt lgkmcnt(1)
	v_mul_hi_u32 v8, v6, s5
	v_mov_b32_e32 v9, 0
	s_waitcnt lgkmcnt(0)
	v_mad_u64_u32 v[10:11], s[6:7], v7, s5, v[8:9]
	v_mov_b32_e32 v8, v11
	v_mov_b32_e32 v11, v9
	s_mov_b32 s8, 0xcccccccc
	v_mad_u64_u32 v[10:11], s[6:7], v6, s8, v[10:11]
	v_mov_b32_e32 v10, v11
	v_mov_b32_e32 v11, v9
	v_lshl_add_u64 v[10:11], v[8:9], 0, v[10:11]
	v_mad_u64_u32 v[10:11], s[6:7], v7, s8, v[10:11]
	v_alignbit_b32 v7, v11, v10, 3
	v_mul_lo_u32 v7, v7, 10
	v_mul_hi_u32 v8, v2, s5
	v_sub_u32_e32 v10, v6, v7
	v_mad_u64_u32 v[6:7], s[6:7], v3, s5, v[8:9]
	v_mov_b32_e32 v8, v7
	v_mov_b32_e32 v7, v9
	v_mad_u64_u32 v[6:7], s[6:7], v2, s8, v[6:7]
	v_mov_b32_e32 v6, v7
	v_mov_b32_e32 v7, v9
	v_lshl_add_u64 v[6:7], v[8:9], 0, v[6:7]
	v_mad_u64_u32 v[6:7], s[6:7], v3, s8, v[6:7]
	v_alignbit_b32 v3, v7, v6, 3
	v_mul_lo_u32 v3, v3, 10
	v_sub_u32_e32 v2, v2, v3
	v_add_u32_e32 v8, v10, v2
	v_lshl_add_u64 v[2:3], v[8:9], 0, -10
	v_cmp_gt_u32_e32 vcc, 10, v8
	s_nop 1
	v_cndmask_b32_e64 v3, v3, 0, vcc
	v_cndmask_b32_e32 v2, v2, v8, vcc
.LBB558_172:
	s_or_b64 exec, exec, s[0:1]
	v_cmp_gt_u32_e32 vcc, 62, v4
	v_add_u32_e32 v8, 2, v4
	s_waitcnt lgkmcnt(1)
	v_cndmask_b32_e64 v6, 0, 2, vcc
	s_waitcnt lgkmcnt(0)
	v_add_lshl_u32 v7, v6, v1, 2
	ds_bpermute_b32 v6, v7, v2
	ds_bpermute_b32 v7, v7, v3
	v_cmp_lt_u32_e32 vcc, v8, v5
	s_and_saveexec_b64 s[0:1], vcc
	s_cbranch_execz .LBB558_174
; %bb.173:
	s_mov_b32 s5, 0xcccccccd
	s_waitcnt lgkmcnt(1)
	v_mul_hi_u32 v8, v6, s5
	v_mov_b32_e32 v9, 0
	s_waitcnt lgkmcnt(0)
	v_mad_u64_u32 v[10:11], s[6:7], v7, s5, v[8:9]
	v_mov_b32_e32 v8, v11
	v_mov_b32_e32 v11, v9
	s_mov_b32 s8, 0xcccccccc
	v_mad_u64_u32 v[10:11], s[6:7], v6, s8, v[10:11]
	v_mov_b32_e32 v10, v11
	v_mov_b32_e32 v11, v9
	v_lshl_add_u64 v[10:11], v[8:9], 0, v[10:11]
	v_mad_u64_u32 v[10:11], s[6:7], v7, s8, v[10:11]
	v_alignbit_b32 v7, v11, v10, 3
	v_mul_lo_u32 v7, v7, 10
	v_mul_hi_u32 v8, v2, s5
	v_sub_u32_e32 v10, v6, v7
	v_mad_u64_u32 v[6:7], s[6:7], v3, s5, v[8:9]
	v_mov_b32_e32 v8, v7
	v_mov_b32_e32 v7, v9
	v_mad_u64_u32 v[6:7], s[6:7], v2, s8, v[6:7]
	v_mov_b32_e32 v6, v7
	v_mov_b32_e32 v7, v9
	v_lshl_add_u64 v[6:7], v[8:9], 0, v[6:7]
	v_mad_u64_u32 v[6:7], s[6:7], v3, s8, v[6:7]
	v_alignbit_b32 v3, v7, v6, 3
	v_mul_lo_u32 v3, v3, 10
	v_sub_u32_e32 v2, v2, v3
	v_add_u32_e32 v8, v10, v2
	v_lshl_add_u64 v[2:3], v[8:9], 0, -10
	v_cmp_gt_u32_e32 vcc, 10, v8
	s_nop 1
	v_cndmask_b32_e64 v3, v3, 0, vcc
	v_cndmask_b32_e32 v2, v2, v8, vcc
.LBB558_174:
	s_or_b64 exec, exec, s[0:1]
	v_cmp_gt_u32_e32 vcc, 60, v4
	v_add_u32_e32 v8, 4, v4
	s_waitcnt lgkmcnt(1)
	v_cndmask_b32_e64 v6, 0, 4, vcc
	s_waitcnt lgkmcnt(0)
	v_add_lshl_u32 v7, v6, v1, 2
	ds_bpermute_b32 v6, v7, v2
	ds_bpermute_b32 v7, v7, v3
	v_cmp_lt_u32_e32 vcc, v8, v5
	s_and_saveexec_b64 s[0:1], vcc
	;; [unrolled: 49-line block ×4, first 2 shown]
	s_cbranch_execz .LBB558_180
; %bb.179:
	s_mov_b32 s5, 0xcccccccd
	s_waitcnt lgkmcnt(1)
	v_mul_hi_u32 v8, v6, s5
	v_mov_b32_e32 v9, 0
	s_waitcnt lgkmcnt(0)
	v_mad_u64_u32 v[10:11], s[6:7], v7, s5, v[8:9]
	v_mov_b32_e32 v8, v11
	v_mov_b32_e32 v11, v9
	s_mov_b32 s8, 0xcccccccc
	v_mad_u64_u32 v[10:11], s[6:7], v6, s8, v[10:11]
	v_mov_b32_e32 v10, v11
	v_mov_b32_e32 v11, v9
	v_lshl_add_u64 v[10:11], v[8:9], 0, v[10:11]
	v_mad_u64_u32 v[10:11], s[6:7], v7, s8, v[10:11]
	v_alignbit_b32 v7, v11, v10, 3
	v_mul_lo_u32 v7, v7, 10
	v_mul_hi_u32 v8, v2, s5
	v_sub_u32_e32 v10, v6, v7
	v_mad_u64_u32 v[6:7], s[6:7], v3, s5, v[8:9]
	v_mov_b32_e32 v8, v7
	v_mov_b32_e32 v7, v9
	v_mad_u64_u32 v[6:7], s[6:7], v2, s8, v[6:7]
	v_mov_b32_e32 v6, v7
	v_mov_b32_e32 v7, v9
	v_lshl_add_u64 v[6:7], v[8:9], 0, v[6:7]
	v_mad_u64_u32 v[6:7], s[6:7], v3, s8, v[6:7]
	v_alignbit_b32 v3, v7, v6, 3
	v_mul_lo_u32 v3, v3, 10
	v_sub_u32_e32 v2, v2, v3
	v_add_u32_e32 v8, v10, v2
	v_lshl_add_u64 v[2:3], v[8:9], 0, -10
	v_cmp_gt_u32_e32 vcc, 10, v8
	s_nop 1
	v_cndmask_b32_e64 v3, v3, 0, vcc
	v_cndmask_b32_e32 v2, v2, v8, vcc
.LBB558_180:
	s_or_b64 exec, exec, s[0:1]
	s_waitcnt lgkmcnt(1)
	v_lshlrev_b32_e32 v6, 2, v1
	v_or_b32_e32 v8, 0x80, v6
	s_waitcnt lgkmcnt(0)
	ds_bpermute_b32 v7, v8, v2
	ds_bpermute_b32 v8, v8, v3
	v_add_u32_e32 v4, 32, v4
	v_cmp_lt_u32_e32 vcc, v4, v5
	s_and_saveexec_b64 s[0:1], vcc
	s_cbranch_execz .LBB558_182
; %bb.181:
	s_mov_b32 s5, 0xcccccccd
	s_waitcnt lgkmcnt(1)
	v_mul_hi_u32 v4, v7, s5
	v_mov_b32_e32 v5, 0
	s_waitcnt lgkmcnt(0)
	v_mad_u64_u32 v[10:11], s[6:7], v8, s5, v[4:5]
	v_mov_b32_e32 v4, v11
	v_mov_b32_e32 v11, v5
	s_mov_b32 s8, 0xcccccccc
	v_mad_u64_u32 v[10:11], s[6:7], v7, s8, v[10:11]
	v_mov_b32_e32 v10, v11
	v_mov_b32_e32 v11, v5
	v_lshl_add_u64 v[10:11], v[4:5], 0, v[10:11]
	v_mad_u64_u32 v[8:9], s[6:7], v8, s8, v[10:11]
	v_alignbit_b32 v4, v9, v8, 3
	v_mul_lo_u32 v4, v4, 10
	v_sub_u32_e32 v7, v7, v4
	v_mul_hi_u32 v4, v2, s5
	v_mad_u64_u32 v[8:9], s[6:7], v3, s5, v[4:5]
	v_mov_b32_e32 v4, v9
	v_mov_b32_e32 v9, v5
	v_mad_u64_u32 v[8:9], s[6:7], v2, s8, v[8:9]
	v_mov_b32_e32 v8, v9
	v_mov_b32_e32 v9, v5
	v_lshl_add_u64 v[8:9], v[4:5], 0, v[8:9]
	v_mad_u64_u32 v[8:9], s[6:7], v3, s8, v[8:9]
	v_alignbit_b32 v3, v9, v8, 3
	v_mul_lo_u32 v3, v3, 10
	v_sub_u32_e32 v2, v2, v3
	v_add_u32_e32 v4, v7, v2
	v_lshl_add_u64 v[2:3], v[4:5], 0, -10
	v_cmp_gt_u32_e32 vcc, 10, v4
	s_nop 1
	v_cndmask_b32_e64 v3, v3, 0, vcc
	v_cndmask_b32_e32 v2, v2, v4, vcc
.LBB558_182:
	s_or_b64 exec, exec, s[0:1]
	v_cmp_eq_u32_e32 vcc, 0, v1
	s_and_saveexec_b64 s[0:1], vcc
; %bb.183:
	v_lshrrev_b32_e32 v4, 3, v0
	v_and_b32_e32 v4, 24, v4
	ds_write_b64 v4, v[2:3]
; %bb.184:
	s_or_b64 exec, exec, s[0:1]
	v_cmp_gt_u32_e32 vcc, 4, v0
	s_waitcnt lgkmcnt(0)
	s_barrier
	s_and_saveexec_b64 s[0:1], vcc
	s_cbranch_execz .LBB558_190
; %bb.185:
	v_lshlrev_b32_e32 v2, 3, v1
	ds_read_b64 v[2:3], v2
	v_and_b32_e32 v4, 3, v1
	v_cmp_ne_u32_e32 vcc, 3, v4
	s_add_i32 s4, s4, 63
	s_lshr_b32 s6, s4, 6
	v_addc_co_u32_e32 v1, vcc, 0, v1, vcc
	v_lshlrev_b32_e32 v5, 2, v1
	s_waitcnt lgkmcnt(0)
	ds_bpermute_b32 v1, v5, v2
	ds_bpermute_b32 v5, v5, v3
	v_add_u32_e32 v7, 1, v4
	v_cmp_gt_u32_e32 vcc, s6, v7
	s_and_saveexec_b64 s[4:5], vcc
	s_cbranch_execz .LBB558_187
; %bb.186:
	s_mov_b32 s7, 0xcccccccd
	s_waitcnt lgkmcnt(1)
	v_mul_hi_u32 v8, v1, s7
	v_mov_b32_e32 v9, 0
	s_waitcnt lgkmcnt(0)
	v_mad_u64_u32 v[10:11], s[8:9], v5, s7, v[8:9]
	v_mov_b32_e32 v8, v11
	v_mov_b32_e32 v11, v9
	s_mov_b32 s10, 0xcccccccc
	v_mad_u64_u32 v[10:11], s[8:9], v1, s10, v[10:11]
	v_mov_b32_e32 v10, v11
	v_mov_b32_e32 v11, v9
	v_lshl_add_u64 v[10:11], v[8:9], 0, v[10:11]
	v_mad_u64_u32 v[10:11], s[8:9], v5, s10, v[10:11]
	v_mul_hi_u32 v8, v2, s7
	v_alignbit_b32 v5, v11, v10, 3
	v_mad_u64_u32 v[10:11], s[8:9], v3, s7, v[8:9]
	v_mov_b32_e32 v8, v11
	v_mov_b32_e32 v11, v9
	v_mad_u64_u32 v[10:11], s[8:9], v2, s10, v[10:11]
	v_mov_b32_e32 v10, v11
	v_mov_b32_e32 v11, v9
	v_lshl_add_u64 v[10:11], v[8:9], 0, v[10:11]
	v_mad_u64_u32 v[10:11], s[8:9], v3, s10, v[10:11]
	v_alignbit_b32 v3, v11, v10, 3
	v_mul_lo_u32 v5, v5, 10
	v_mul_lo_u32 v3, v3, 10
	v_sub_u32_e32 v1, v1, v5
	v_sub_u32_e32 v2, v2, v3
	v_add_u32_e32 v8, v1, v2
	v_lshl_add_u64 v[2:3], v[8:9], 0, -10
	v_cmp_gt_u32_e32 vcc, 10, v8
	s_nop 1
	v_cndmask_b32_e64 v3, v3, 0, vcc
	v_cndmask_b32_e32 v2, v2, v8, vcc
.LBB558_187:
	s_or_b64 exec, exec, s[4:5]
	s_waitcnt lgkmcnt(0)
	v_or_b32_e32 v5, 8, v6
	ds_bpermute_b32 v1, v5, v2
	ds_bpermute_b32 v5, v5, v3
	v_add_u32_e32 v4, 2, v4
	v_cmp_gt_u32_e32 vcc, s6, v4
	s_and_saveexec_b64 s[4:5], vcc
	s_cbranch_execz .LBB558_189
; %bb.188:
	s_mov_b32 s8, 0xcccccccd
	s_waitcnt lgkmcnt(1)
	v_mul_hi_u32 v6, v1, s8
	v_mov_b32_e32 v7, 0
	s_waitcnt lgkmcnt(0)
	v_mad_u64_u32 v[8:9], s[6:7], v5, s8, v[6:7]
	v_mov_b32_e32 v6, v9
	v_mov_b32_e32 v9, v7
	s_mov_b32 s9, 0xcccccccc
	v_mad_u64_u32 v[8:9], s[6:7], v1, s9, v[8:9]
	v_mov_b32_e32 v8, v9
	v_mov_b32_e32 v9, v7
	v_lshl_add_u64 v[8:9], v[6:7], 0, v[8:9]
	v_mad_u64_u32 v[4:5], s[6:7], v5, s9, v[8:9]
	v_alignbit_b32 v4, v5, v4, 3
	v_mul_lo_u32 v4, v4, 10
	v_mul_hi_u32 v6, v2, s8
	v_sub_u32_e32 v1, v1, v4
	v_mad_u64_u32 v[4:5], s[6:7], v3, s8, v[6:7]
	v_mov_b32_e32 v6, v5
	v_mov_b32_e32 v5, v7
	v_mad_u64_u32 v[4:5], s[6:7], v2, s9, v[4:5]
	v_mov_b32_e32 v4, v5
	v_mov_b32_e32 v5, v7
	v_lshl_add_u64 v[4:5], v[6:7], 0, v[4:5]
	v_mad_u64_u32 v[4:5], s[6:7], v3, s9, v[4:5]
	v_alignbit_b32 v3, v5, v4, 3
	v_mul_lo_u32 v3, v3, 10
	v_sub_u32_e32 v2, v2, v3
	v_add_u32_e32 v6, v1, v2
	v_lshl_add_u64 v[2:3], v[6:7], 0, -10
	v_cmp_gt_u32_e32 vcc, 10, v6
	s_nop 1
	v_cndmask_b32_e64 v3, v3, 0, vcc
	v_cndmask_b32_e32 v2, v2, v6, vcc
.LBB558_189:
	s_or_b64 exec, exec, s[4:5]
.LBB558_190:
	s_or_b64 exec, exec, s[0:1]
.LBB558_191:
	v_cmp_eq_u32_e32 vcc, 0, v0
                                        ; implicit-def: $vgpr4_vgpr5
	s_and_saveexec_b64 s[0:1], vcc
	s_xor_b64 s[0:1], exec, s[0:1]
	s_cbranch_execz .LBB558_195
; %bb.192:
	s_cmp_eq_u64 s[38:39], 0
	s_waitcnt lgkmcnt(0)
	v_mov_b64_e32 v[4:5], s[42:43]
	s_cbranch_scc1 .LBB558_194
; %bb.193:
	s_mov_b32 s4, 0xcccccccd
	v_mul_hi_u32 v4, v2, s4
	v_mov_b32_e32 v5, 0
	v_mad_u64_u32 v[6:7], s[4:5], v3, s4, v[4:5]
	v_mov_b32_e32 v4, v7
	v_mov_b32_e32 v7, v5
	s_mov_b32 s6, 0xcccccccc
	v_mad_u64_u32 v[6:7], s[4:5], v2, s6, v[6:7]
	v_mov_b32_e32 v6, v7
	v_mov_b32_e32 v7, v5
	v_lshl_add_u64 v[6:7], v[4:5], 0, v[6:7]
	s_mul_i32 s7, s43, 0xcccccccd
	s_mul_hi_u32 s8, s42, 0xcccccccd
	v_mad_u64_u32 v[6:7], s[4:5], v3, s6, v[6:7]
	s_mul_hi_u32 s6, s43, 0xcccccccd
	s_add_u32 s7, s7, s8
	s_mul_i32 s5, s42, 0xcccccccc
	s_addc_u32 s6, s6, 0
	s_mul_hi_u32 s4, s42, 0xcccccccc
	s_add_u32 s5, s5, s7
	s_addc_u32 s4, s4, 0
	s_add_u32 s4, s6, s4
	s_addc_u32 s5, 0, 0
	s_mul_i32 s7, s43, 0xcccccccc
	s_mul_hi_u32 s6, s43, 0xcccccccc
	s_add_u32 s4, s7, s4
	s_addc_u32 s5, s6, s5
	v_alignbit_b32 v1, v7, v6, 3
	s_lshr_b64 s[4:5], s[4:5], 3
	v_mul_lo_u32 v1, v1, 10
	s_mul_i32 s4, s4, 10
	v_sub_u32_e32 v1, v2, v1
	s_sub_i32 s4, s42, s4
	v_add_u32_e32 v4, s4, v1
	v_lshl_add_u64 v[2:3], v[4:5], 0, -10
	v_cmp_gt_u32_e32 vcc, 10, v4
	s_nop 1
	v_cndmask_b32_e64 v5, v3, 0, vcc
	v_cndmask_b32_e32 v4, v2, v4, vcc
.LBB558_194:
	s_or_b64 s[14:15], s[14:15], exec
.LBB558_195:
	s_or_b64 exec, exec, s[0:1]
	v_mov_b64_e32 v[2:3], s[2:3]
	s_branch .LBB558_247
.LBB558_196:
	s_cmp_gt_i32 s33, 1
	s_cbranch_scc0 .LBB558_204
; %bb.197:
	s_cmp_eq_u32 s33, 2
	s_cbranch_scc0 .LBB558_205
; %bb.198:
	s_mov_b32 s3, 0
	s_lshl_b32 s4, s2, 9
	s_mov_b32 s5, s3
	s_lshr_b64 s[6:7], s[38:39], 9
	s_lshl_b64 s[0:1], s[4:5], 3
	s_add_u32 s0, s36, s0
	s_addc_u32 s1, s37, s1
	s_cmp_lg_u64 s[6:7], s[2:3]
	s_cbranch_scc0 .LBB558_206
; %bb.199:
	s_waitcnt lgkmcnt(1)
	v_lshlrev_b32_e32 v1, 3, v0
	s_waitcnt lgkmcnt(0)
	global_load_dwordx2 v[4:5], v1, s[0:1] offset:2048
	global_load_dwordx2 v[6:7], v1, s[0:1]
	s_mov_b32 s5, 0xcccccccd
	v_mov_b32_e32 v3, 0
	s_mov_b32 s6, 0xcccccccc
	v_mov_b32_e32 v9, v3
	v_mov_b32_e32 v11, v3
	;; [unrolled: 1-line block ×8, first 2 shown]
	v_mbcnt_lo_u32_b32 v1, -1, 0
	v_mbcnt_hi_u32_b32 v1, -1, v1
	s_waitcnt vmcnt(1)
	v_mul_hi_u32 v2, v4, s5
	v_mad_u64_u32 v[24:25], s[8:9], v5, s5, v[2:3]
	v_mov_b32_e32 v2, v25
	v_mov_b32_e32 v25, v3
	v_mad_u64_u32 v[24:25], s[8:9], v4, s6, v[24:25]
	v_mov_b32_e32 v8, v25
	v_lshl_add_u64 v[8:9], v[2:3], 0, v[8:9]
	s_waitcnt vmcnt(0)
	v_mul_hi_u32 v2, v6, s5
	v_mad_u64_u32 v[24:25], s[8:9], v7, s5, v[2:3]
	v_mad_u64_u32 v[8:9], s[8:9], v5, s6, v[8:9]
	v_mov_b32_e32 v2, v25
	v_mov_b32_e32 v25, v3
	v_alignbit_b32 v5, v9, v8, 3
	v_mad_u64_u32 v[8:9], s[8:9], v6, s6, v[24:25]
	v_mul_lo_u32 v5, v5, 10
	v_mov_b32_e32 v10, v9
	v_sub_u32_e32 v8, v4, v5
	v_lshl_add_u64 v[4:5], v[2:3], 0, v[10:11]
	v_mad_u64_u32 v[4:5], s[8:9], v7, s6, v[4:5]
	v_alignbit_b32 v2, v5, v4, 3
	v_mul_lo_u32 v2, v2, 10
	v_sub_u32_e32 v2, v6, v2
	v_add_u32_e32 v2, v8, v2
	v_lshl_add_u64 v[4:5], v[2:3], 0, -10
	v_cmp_gt_u32_e32 vcc, 10, v2
	s_nop 1
	v_cndmask_b32_e32 v8, v4, v2, vcc
	v_cndmask_b32_e64 v6, v5, 0, vcc
	v_mul_hi_u32 v2, v8, s5
	v_mad_u64_u32 v[4:5], s[8:9], v6, s5, v[2:3]
	v_mov_b32_e32 v2, v5
	v_mov_b32_e32 v5, v3
	v_mad_u64_u32 v[4:5], s[8:9], v8, s6, v[4:5]
	v_mov_b32_dpp v9, v8 quad_perm:[1,0,3,2] row_mask:0xf bank_mask:0xf bound_ctrl:1
	v_mov_b32_e32 v12, v5
	v_mov_b32_dpp v10, v6 quad_perm:[1,0,3,2] row_mask:0xf bank_mask:0xf bound_ctrl:1
	v_lshl_add_u64 v[4:5], v[2:3], 0, v[12:13]
	v_mul_hi_u32 v2, v9, s5
	v_mad_u64_u32 v[4:5], s[8:9], v6, s6, v[4:5]
	v_mad_u64_u32 v[6:7], s[8:9], v10, s5, v[2:3]
	v_alignbit_b32 v4, v5, v4, 3
	v_mov_b32_e32 v2, v7
	v_mov_b32_e32 v7, v3
	v_mul_lo_u32 v11, v4, 10
	v_mad_u64_u32 v[4:5], s[8:9], v9, s6, v[6:7]
	v_mov_b32_e32 v14, v5
	v_lshl_add_u64 v[4:5], v[2:3], 0, v[14:15]
	v_mad_u64_u32 v[4:5], s[8:9], v10, s6, v[4:5]
	v_alignbit_b32 v2, v5, v4, 3
	v_mul_lo_u32 v2, v2, 10
	v_sub_u32_e32 v6, v8, v11
	v_sub_u32_e32 v2, v9, v2
	v_add_u32_e32 v2, v2, v6
	v_lshl_add_u64 v[4:5], v[2:3], 0, -10
	v_cmp_gt_u32_e32 vcc, 10, v2
	s_nop 1
	v_cndmask_b32_e32 v8, v4, v2, vcc
	v_cndmask_b32_e64 v6, v5, 0, vcc
	v_mul_hi_u32 v2, v8, s5
	v_mad_u64_u32 v[4:5], s[8:9], v6, s5, v[2:3]
	v_mov_b32_e32 v2, v5
	v_mov_b32_e32 v5, v3
	v_mad_u64_u32 v[4:5], s[8:9], v8, s6, v[4:5]
	v_mov_b32_dpp v9, v8 quad_perm:[2,3,0,1] row_mask:0xf bank_mask:0xf bound_ctrl:1
	v_mov_b32_e32 v16, v5
	v_mov_b32_dpp v10, v6 quad_perm:[2,3,0,1] row_mask:0xf bank_mask:0xf bound_ctrl:1
	v_lshl_add_u64 v[4:5], v[2:3], 0, v[16:17]
	v_mul_hi_u32 v2, v9, s5
	v_mad_u64_u32 v[4:5], s[8:9], v6, s6, v[4:5]
	v_mad_u64_u32 v[6:7], s[8:9], v10, s5, v[2:3]
	v_alignbit_b32 v4, v5, v4, 3
	v_mov_b32_e32 v2, v7
	v_mov_b32_e32 v7, v3
	v_mul_lo_u32 v11, v4, 10
	v_mad_u64_u32 v[4:5], s[8:9], v9, s6, v[6:7]
	v_mov_b32_e32 v18, v5
	v_lshl_add_u64 v[4:5], v[2:3], 0, v[18:19]
	v_mad_u64_u32 v[4:5], s[8:9], v10, s6, v[4:5]
	v_alignbit_b32 v2, v5, v4, 3
	v_mul_lo_u32 v2, v2, 10
	v_sub_u32_e32 v6, v8, v11
	v_sub_u32_e32 v2, v9, v2
	v_add_u32_e32 v2, v6, v2
	v_lshl_add_u64 v[4:5], v[2:3], 0, -10
	v_cmp_gt_u32_e32 vcc, 10, v2
	s_nop 1
	v_cndmask_b32_e32 v8, v4, v2, vcc
	v_cndmask_b32_e64 v6, v5, 0, vcc
	v_mul_hi_u32 v2, v8, s5
	v_mad_u64_u32 v[4:5], s[8:9], v6, s5, v[2:3]
	v_mov_b32_e32 v2, v5
	v_mov_b32_e32 v5, v3
	v_mad_u64_u32 v[4:5], s[8:9], v8, s6, v[4:5]
	v_mov_b32_dpp v9, v8 row_ror:4 row_mask:0xf bank_mask:0xf bound_ctrl:1
	v_mov_b32_e32 v20, v5
	v_mov_b32_dpp v10, v6 row_ror:4 row_mask:0xf bank_mask:0xf bound_ctrl:1
	v_lshl_add_u64 v[4:5], v[2:3], 0, v[20:21]
	v_mul_hi_u32 v2, v9, s5
	v_mad_u64_u32 v[4:5], s[8:9], v6, s6, v[4:5]
	v_mad_u64_u32 v[6:7], s[8:9], v10, s5, v[2:3]
	v_alignbit_b32 v4, v5, v4, 3
	v_mov_b32_e32 v2, v7
	v_mov_b32_e32 v7, v3
	v_mul_lo_u32 v11, v4, 10
	v_mad_u64_u32 v[4:5], s[8:9], v9, s6, v[6:7]
	v_mov_b32_e32 v22, v5
	v_lshl_add_u64 v[4:5], v[2:3], 0, v[22:23]
	v_mad_u64_u32 v[4:5], s[8:9], v10, s6, v[4:5]
	v_alignbit_b32 v2, v5, v4, 3
	v_mul_lo_u32 v2, v2, 10
	v_sub_u32_e32 v6, v8, v11
	v_sub_u32_e32 v2, v9, v2
	v_add_u32_e32 v2, v6, v2
	v_lshl_add_u64 v[4:5], v[2:3], 0, -10
	v_cmp_gt_u32_e32 vcc, 10, v2
	s_nop 1
	v_cndmask_b32_e32 v7, v4, v2, vcc
	v_cndmask_b32_e64 v6, v5, 0, vcc
	v_mul_hi_u32 v2, v7, s5
	v_mad_u64_u32 v[4:5], s[8:9], v6, s5, v[2:3]
	v_mov_b32_e32 v2, v5
	v_mov_b32_e32 v5, v3
	v_mad_u64_u32 v[4:5], s[8:9], v7, s6, v[4:5]
	v_mov_b32_e32 v4, v5
	v_mov_b32_e32 v5, v3
	v_lshl_add_u64 v[4:5], v[2:3], 0, v[4:5]
	v_mad_u64_u32 v[4:5], s[8:9], v6, s6, v[4:5]
	v_alignbit_b32 v2, v5, v4, 3
	v_mov_b32_dpp v8, v7 row_ror:8 row_mask:0xf bank_mask:0xf bound_ctrl:1
	v_mul_lo_u32 v2, v2, 10
	v_mov_b32_dpp v9, v6 row_ror:8 row_mask:0xf bank_mask:0xf bound_ctrl:1
	v_sub_u32_e32 v6, v7, v2
	v_mul_hi_u32 v2, v8, s5
	v_mad_u64_u32 v[4:5], s[8:9], v9, s5, v[2:3]
	v_mov_b32_e32 v2, v5
	v_mov_b32_e32 v5, v3
	v_mad_u64_u32 v[4:5], s[8:9], v8, s6, v[4:5]
	v_mov_b32_e32 v4, v5
	v_mov_b32_e32 v5, v3
	v_lshl_add_u64 v[4:5], v[2:3], 0, v[4:5]
	v_mad_u64_u32 v[4:5], s[8:9], v9, s6, v[4:5]
	v_alignbit_b32 v2, v5, v4, 3
	v_mul_lo_u32 v2, v2, 10
	v_sub_u32_e32 v2, v8, v2
	v_add_u32_e32 v2, v6, v2
	v_lshl_add_u64 v[4:5], v[2:3], 0, -10
	v_cmp_gt_u32_e32 vcc, 10, v2
	s_nop 1
	v_cndmask_b32_e32 v7, v4, v2, vcc
	v_cndmask_b32_e64 v6, v5, 0, vcc
	v_mul_hi_u32 v2, v7, s5
	v_mad_u64_u32 v[4:5], s[8:9], v6, s5, v[2:3]
	v_mov_b32_e32 v2, v5
	v_mov_b32_e32 v5, v3
	v_mad_u64_u32 v[4:5], s[8:9], v7, s6, v[4:5]
	v_mov_b32_e32 v4, v5
	v_mov_b32_e32 v5, v3
	v_lshl_add_u64 v[4:5], v[2:3], 0, v[4:5]
	v_mad_u64_u32 v[4:5], s[8:9], v6, s6, v[4:5]
	v_alignbit_b32 v2, v5, v4, 3
	v_mov_b32_dpp v8, v7 row_bcast:15 row_mask:0xf bank_mask:0xf bound_ctrl:1
	v_mul_lo_u32 v2, v2, 10
	v_mov_b32_dpp v9, v6 row_bcast:15 row_mask:0xf bank_mask:0xf bound_ctrl:1
	v_sub_u32_e32 v6, v7, v2
	v_mul_hi_u32 v2, v8, s5
	v_mad_u64_u32 v[4:5], s[8:9], v9, s5, v[2:3]
	v_mov_b32_e32 v2, v5
	v_mov_b32_e32 v5, v3
	v_mad_u64_u32 v[4:5], s[8:9], v8, s6, v[4:5]
	v_mov_b32_e32 v4, v5
	v_mov_b32_e32 v5, v3
	v_lshl_add_u64 v[4:5], v[2:3], 0, v[4:5]
	v_mad_u64_u32 v[4:5], s[8:9], v9, s6, v[4:5]
	v_alignbit_b32 v2, v5, v4, 3
	v_mul_lo_u32 v2, v2, 10
	v_sub_u32_e32 v2, v8, v2
	v_add_u32_e32 v2, v6, v2
	v_lshl_add_u64 v[4:5], v[2:3], 0, -10
	v_cmp_gt_u32_e32 vcc, 10, v2
	s_nop 1
	v_cndmask_b32_e32 v7, v4, v2, vcc
	v_cndmask_b32_e64 v6, v5, 0, vcc
	v_mul_hi_u32 v2, v7, s5
	v_mad_u64_u32 v[4:5], s[8:9], v6, s5, v[2:3]
	v_mov_b32_e32 v2, v5
	v_mov_b32_e32 v5, v3
	v_mad_u64_u32 v[4:5], s[8:9], v7, s6, v[4:5]
	v_mov_b32_e32 v4, v5
	v_mov_b32_e32 v5, v3
	v_lshl_add_u64 v[4:5], v[2:3], 0, v[4:5]
	v_mad_u64_u32 v[4:5], s[8:9], v6, s6, v[4:5]
	v_alignbit_b32 v2, v5, v4, 3
	v_mov_b32_dpp v8, v7 row_bcast:31 row_mask:0xf bank_mask:0xf bound_ctrl:1
	v_mul_lo_u32 v2, v2, 10
	v_mov_b32_dpp v9, v6 row_bcast:31 row_mask:0xf bank_mask:0xf bound_ctrl:1
	v_sub_u32_e32 v6, v7, v2
	v_mul_hi_u32 v2, v8, s5
	v_mad_u64_u32 v[4:5], s[8:9], v9, s5, v[2:3]
	v_mov_b32_e32 v2, v5
	v_mov_b32_e32 v5, v3
	v_mad_u64_u32 v[4:5], s[8:9], v8, s6, v[4:5]
	v_mov_b32_e32 v4, v5
	v_mov_b32_e32 v5, v3
	v_lshl_add_u64 v[4:5], v[2:3], 0, v[4:5]
	v_mad_u64_u32 v[4:5], s[6:7], v9, s6, v[4:5]
	v_alignbit_b32 v2, v5, v4, 3
	v_mul_lo_u32 v2, v2, 10
	v_sub_u32_e32 v2, v8, v2
	v_add_u32_e32 v2, v6, v2
	v_lshl_add_u64 v[4:5], v[2:3], 0, -10
	v_cmp_gt_u32_e32 vcc, 10, v2
	s_nop 1
	v_cndmask_b32_e32 v2, v4, v2, vcc
	v_lshlrev_b32_e32 v4, 2, v1
	v_cndmask_b32_e64 v3, v5, 0, vcc
	v_or_b32_e32 v5, 0xfc, v4
	ds_bpermute_b32 v2, v5, v2
	ds_bpermute_b32 v3, v5, v3
	v_cmp_eq_u32_e32 vcc, 0, v1
	s_and_saveexec_b64 s[6:7], vcc
	s_cbranch_execz .LBB558_201
; %bb.200:
	v_lshrrev_b32_e32 v5, 3, v0
	v_and_b32_e32 v5, 24, v5
	s_waitcnt lgkmcnt(0)
	ds_write_b64 v5, v[2:3] offset:96
.LBB558_201:
	s_or_b64 exec, exec, s[6:7]
	v_cmp_gt_u32_e32 vcc, 64, v0
	s_waitcnt lgkmcnt(0)
	s_barrier
	s_and_saveexec_b64 s[6:7], vcc
	s_cbranch_execz .LBB558_203
; %bb.202:
	v_and_b32_e32 v5, 3, v1
	v_lshlrev_b32_e32 v2, 3, v5
	ds_read_b64 v[2:3], v2 offset:96
	v_cmp_ne_u32_e32 vcc, 3, v5
	v_mov_b32_e32 v7, 0
	s_mov_b32 s10, 0xcccccccc
	v_addc_co_u32_e32 v1, vcc, 0, v1, vcc
	v_lshlrev_b32_e32 v1, 2, v1
	s_waitcnt lgkmcnt(0)
	ds_bpermute_b32 v5, v1, v2
	ds_bpermute_b32 v1, v1, v3
	s_waitcnt lgkmcnt(1)
	v_mul_hi_u32 v6, v5, s5
	s_waitcnt lgkmcnt(0)
	v_mad_u64_u32 v[8:9], s[8:9], v1, s5, v[6:7]
	v_mov_b32_e32 v6, v9
	v_mov_b32_e32 v9, v7
	v_mad_u64_u32 v[8:9], s[8:9], v5, s10, v[8:9]
	v_mov_b32_e32 v8, v9
	v_mov_b32_e32 v9, v7
	v_lshl_add_u64 v[8:9], v[6:7], 0, v[8:9]
	v_mad_u64_u32 v[8:9], s[8:9], v1, s10, v[8:9]
	v_mul_hi_u32 v6, v2, s5
	v_alignbit_b32 v1, v9, v8, 3
	v_mad_u64_u32 v[8:9], s[8:9], v3, s5, v[6:7]
	v_mov_b32_e32 v6, v9
	v_mov_b32_e32 v9, v7
	v_mad_u64_u32 v[8:9], s[8:9], v2, s10, v[8:9]
	v_mov_b32_e32 v8, v9
	v_mov_b32_e32 v9, v7
	v_lshl_add_u64 v[8:9], v[6:7], 0, v[8:9]
	v_mad_u64_u32 v[8:9], s[8:9], v3, s10, v[8:9]
	v_alignbit_b32 v3, v9, v8, 3
	v_mul_lo_u32 v1, v1, 10
	v_mul_lo_u32 v3, v3, 10
	v_sub_u32_e32 v1, v5, v1
	v_sub_u32_e32 v2, v2, v3
	v_add_u32_e32 v6, v1, v2
	v_lshl_add_u64 v[2:3], v[6:7], 0, -10
	v_cmp_gt_u32_e32 vcc, 10, v6
	s_nop 1
	v_cndmask_b32_e32 v5, v2, v6, vcc
	v_or_b32_e32 v2, 8, v4
	v_cndmask_b32_e64 v1, v3, 0, vcc
	ds_bpermute_b32 v4, v2, v5
	ds_bpermute_b32 v8, v2, v1
	s_waitcnt lgkmcnt(1)
	v_mul_hi_u32 v6, v4, s5
	s_waitcnt lgkmcnt(0)
	v_mad_u64_u32 v[2:3], s[8:9], v8, s5, v[6:7]
	v_mov_b32_e32 v6, v3
	v_mov_b32_e32 v3, v7
	v_mad_u64_u32 v[2:3], s[8:9], v4, s10, v[2:3]
	v_mov_b32_e32 v2, v3
	v_mov_b32_e32 v3, v7
	v_lshl_add_u64 v[2:3], v[6:7], 0, v[2:3]
	v_mad_u64_u32 v[2:3], s[8:9], v8, s10, v[2:3]
	v_alignbit_b32 v2, v3, v2, 3
	v_mul_lo_u32 v2, v2, 10
	v_mul_hi_u32 v6, v5, s5
	v_sub_u32_e32 v4, v4, v2
	v_mad_u64_u32 v[2:3], s[8:9], v1, s5, v[6:7]
	v_mov_b32_e32 v6, v3
	v_mov_b32_e32 v3, v7
	v_mad_u64_u32 v[2:3], s[8:9], v5, s10, v[2:3]
	v_mov_b32_e32 v2, v3
	v_mov_b32_e32 v3, v7
	v_lshl_add_u64 v[2:3], v[6:7], 0, v[2:3]
	v_mad_u64_u32 v[2:3], s[8:9], v1, s10, v[2:3]
	v_alignbit_b32 v1, v3, v2, 3
	v_mul_lo_u32 v1, v1, 10
	v_sub_u32_e32 v1, v5, v1
	v_add_u32_e32 v6, v1, v4
	v_lshl_add_u64 v[2:3], v[6:7], 0, -10
	v_cmp_gt_u32_e32 vcc, 10, v6
	s_nop 1
	v_cndmask_b32_e64 v3, v3, 0, vcc
	v_cndmask_b32_e32 v2, v2, v6, vcc
.LBB558_203:
	s_or_b64 exec, exec, s[6:7]
	s_branch .LBB558_234
.LBB558_204:
                                        ; implicit-def: $vgpr4_vgpr5
                                        ; implicit-def: $vgpr2_vgpr3
	s_cbranch_execnz .LBB558_239
	s_branch .LBB558_247
.LBB558_205:
                                        ; implicit-def: $vgpr4_vgpr5
                                        ; implicit-def: $vgpr2_vgpr3
	s_branch .LBB558_247
.LBB558_206:
                                        ; implicit-def: $vgpr2_vgpr3
	s_cbranch_execz .LBB558_234
; %bb.207:
	s_sub_i32 s6, s38, s4
	v_mov_b32_e32 v2, 0
	v_cmp_gt_u32_e32 vcc, s6, v0
	v_mov_b32_e32 v3, v2
	v_mov_b32_e32 v4, v2
	s_waitcnt lgkmcnt(0)
	v_mov_b32_e32 v5, v2
	s_and_saveexec_b64 s[4:5], vcc
	s_cbranch_execz .LBB558_209
; %bb.208:
	v_lshlrev_b32_e32 v1, 3, v0
	global_load_dwordx2 v[4:5], v1, s[0:1]
	v_mov_b32_e32 v6, v2
	v_mov_b32_e32 v7, v2
	s_waitcnt vmcnt(0)
	v_mov_b64_e32 v[2:3], v[4:5]
	v_mov_b64_e32 v[4:5], v[6:7]
.LBB558_209:
	s_or_b64 exec, exec, s[4:5]
	v_or_b32_e32 v1, 0x100, v0
	v_cmp_gt_u32_e32 vcc, s6, v1
	s_and_saveexec_b64 s[4:5], vcc
	s_cbranch_execz .LBB558_211
; %bb.210:
	v_lshlrev_b32_e32 v1, 3, v0
	global_load_dwordx2 v[4:5], v1, s[0:1] offset:2048
.LBB558_211:
	s_or_b64 exec, exec, s[4:5]
	s_and_saveexec_b64 s[0:1], vcc
	s_cbranch_execz .LBB558_213
; %bb.212:
	s_mov_b32 s7, 0xcccccccd
	s_waitcnt vmcnt(0)
	v_mul_hi_u32 v6, v4, s7
	v_mov_b32_e32 v7, 0
	v_mad_u64_u32 v[8:9], s[4:5], v5, s7, v[6:7]
	v_mov_b32_e32 v6, v9
	v_mov_b32_e32 v9, v7
	s_mov_b32 s8, 0xcccccccc
	v_mad_u64_u32 v[8:9], s[4:5], v4, s8, v[8:9]
	v_mov_b32_e32 v8, v9
	v_mov_b32_e32 v9, v7
	v_lshl_add_u64 v[8:9], v[6:7], 0, v[8:9]
	v_mad_u64_u32 v[8:9], s[4:5], v5, s8, v[8:9]
	v_alignbit_b32 v1, v9, v8, 3
	v_mul_lo_u32 v1, v1, 10
	v_mul_hi_u32 v6, v2, s7
	v_sub_u32_e32 v1, v4, v1
	v_mad_u64_u32 v[4:5], s[4:5], v3, s7, v[6:7]
	v_mov_b32_e32 v6, v5
	v_mov_b32_e32 v5, v7
	v_mad_u64_u32 v[4:5], s[4:5], v2, s8, v[4:5]
	v_mov_b32_e32 v4, v5
	v_mov_b32_e32 v5, v7
	v_lshl_add_u64 v[4:5], v[6:7], 0, v[4:5]
	v_mad_u64_u32 v[4:5], s[4:5], v3, s8, v[4:5]
	v_alignbit_b32 v3, v5, v4, 3
	v_mul_lo_u32 v3, v3, 10
	v_sub_u32_e32 v2, v2, v3
	v_add_u32_e32 v6, v2, v1
	v_lshl_add_u64 v[2:3], v[6:7], 0, -10
	v_cmp_gt_u32_e32 vcc, 10, v6
	s_nop 1
	v_cndmask_b32_e64 v3, v3, 0, vcc
	v_cndmask_b32_e32 v2, v2, v6, vcc
.LBB558_213:
	s_or_b64 exec, exec, s[0:1]
	v_mbcnt_lo_u32_b32 v1, -1, 0
	v_mbcnt_hi_u32_b32 v1, -1, v1
	s_waitcnt vmcnt(0)
	v_and_b32_e32 v4, 63, v1
	v_cmp_ne_u32_e32 vcc, 63, v4
	s_min_u32 s4, s6, 0x100
	v_add_u32_e32 v8, 1, v4
	v_addc_co_u32_e32 v5, vcc, 0, v1, vcc
	v_lshlrev_b32_e32 v5, 2, v5
	ds_bpermute_b32 v6, v5, v2
	ds_bpermute_b32 v7, v5, v3
	v_and_b32_e32 v5, 0xc0, v0
	v_sub_u32_e64 v5, s4, v5 clamp
	v_cmp_lt_u32_e32 vcc, v8, v5
	s_and_saveexec_b64 s[0:1], vcc
	s_xor_b64 s[0:1], exec, s[0:1]
	s_cbranch_execz .LBB558_215
; %bb.214:
	s_mov_b32 s5, 0xcccccccd
	s_waitcnt lgkmcnt(1)
	v_mul_hi_u32 v8, v6, s5
	v_mov_b32_e32 v9, 0
	s_waitcnt lgkmcnt(0)
	v_mad_u64_u32 v[10:11], s[6:7], v7, s5, v[8:9]
	v_mov_b32_e32 v8, v11
	v_mov_b32_e32 v11, v9
	s_mov_b32 s8, 0xcccccccc
	v_mad_u64_u32 v[10:11], s[6:7], v6, s8, v[10:11]
	v_mov_b32_e32 v10, v11
	v_mov_b32_e32 v11, v9
	v_lshl_add_u64 v[10:11], v[8:9], 0, v[10:11]
	v_mad_u64_u32 v[10:11], s[6:7], v7, s8, v[10:11]
	v_alignbit_b32 v7, v11, v10, 3
	v_mul_lo_u32 v7, v7, 10
	v_mul_hi_u32 v8, v2, s5
	v_sub_u32_e32 v10, v6, v7
	v_mad_u64_u32 v[6:7], s[6:7], v3, s5, v[8:9]
	v_mov_b32_e32 v8, v7
	v_mov_b32_e32 v7, v9
	v_mad_u64_u32 v[6:7], s[6:7], v2, s8, v[6:7]
	v_mov_b32_e32 v6, v7
	v_mov_b32_e32 v7, v9
	v_lshl_add_u64 v[6:7], v[8:9], 0, v[6:7]
	v_mad_u64_u32 v[6:7], s[6:7], v3, s8, v[6:7]
	v_alignbit_b32 v3, v7, v6, 3
	v_mul_lo_u32 v3, v3, 10
	v_sub_u32_e32 v2, v2, v3
	v_add_u32_e32 v8, v10, v2
	v_lshl_add_u64 v[2:3], v[8:9], 0, -10
	v_cmp_gt_u32_e32 vcc, 10, v8
	s_nop 1
	v_cndmask_b32_e64 v3, v3, 0, vcc
	v_cndmask_b32_e32 v2, v2, v8, vcc
.LBB558_215:
	s_or_b64 exec, exec, s[0:1]
	v_cmp_gt_u32_e32 vcc, 62, v4
	v_add_u32_e32 v8, 2, v4
	s_waitcnt lgkmcnt(1)
	v_cndmask_b32_e64 v6, 0, 2, vcc
	s_waitcnt lgkmcnt(0)
	v_add_lshl_u32 v7, v6, v1, 2
	ds_bpermute_b32 v6, v7, v2
	ds_bpermute_b32 v7, v7, v3
	v_cmp_lt_u32_e32 vcc, v8, v5
	s_and_saveexec_b64 s[0:1], vcc
	s_cbranch_execz .LBB558_217
; %bb.216:
	s_mov_b32 s5, 0xcccccccd
	s_waitcnt lgkmcnt(1)
	v_mul_hi_u32 v8, v6, s5
	v_mov_b32_e32 v9, 0
	s_waitcnt lgkmcnt(0)
	v_mad_u64_u32 v[10:11], s[6:7], v7, s5, v[8:9]
	v_mov_b32_e32 v8, v11
	v_mov_b32_e32 v11, v9
	s_mov_b32 s8, 0xcccccccc
	v_mad_u64_u32 v[10:11], s[6:7], v6, s8, v[10:11]
	v_mov_b32_e32 v10, v11
	v_mov_b32_e32 v11, v9
	v_lshl_add_u64 v[10:11], v[8:9], 0, v[10:11]
	v_mad_u64_u32 v[10:11], s[6:7], v7, s8, v[10:11]
	v_alignbit_b32 v7, v11, v10, 3
	v_mul_lo_u32 v7, v7, 10
	v_mul_hi_u32 v8, v2, s5
	v_sub_u32_e32 v10, v6, v7
	v_mad_u64_u32 v[6:7], s[6:7], v3, s5, v[8:9]
	v_mov_b32_e32 v8, v7
	v_mov_b32_e32 v7, v9
	v_mad_u64_u32 v[6:7], s[6:7], v2, s8, v[6:7]
	v_mov_b32_e32 v6, v7
	v_mov_b32_e32 v7, v9
	v_lshl_add_u64 v[6:7], v[8:9], 0, v[6:7]
	v_mad_u64_u32 v[6:7], s[6:7], v3, s8, v[6:7]
	v_alignbit_b32 v3, v7, v6, 3
	v_mul_lo_u32 v3, v3, 10
	v_sub_u32_e32 v2, v2, v3
	v_add_u32_e32 v8, v10, v2
	v_lshl_add_u64 v[2:3], v[8:9], 0, -10
	v_cmp_gt_u32_e32 vcc, 10, v8
	s_nop 1
	v_cndmask_b32_e64 v3, v3, 0, vcc
	v_cndmask_b32_e32 v2, v2, v8, vcc
.LBB558_217:
	s_or_b64 exec, exec, s[0:1]
	v_cmp_gt_u32_e32 vcc, 60, v4
	v_add_u32_e32 v8, 4, v4
	s_waitcnt lgkmcnt(1)
	v_cndmask_b32_e64 v6, 0, 4, vcc
	s_waitcnt lgkmcnt(0)
	v_add_lshl_u32 v7, v6, v1, 2
	ds_bpermute_b32 v6, v7, v2
	ds_bpermute_b32 v7, v7, v3
	v_cmp_lt_u32_e32 vcc, v8, v5
	s_and_saveexec_b64 s[0:1], vcc
	;; [unrolled: 49-line block ×4, first 2 shown]
	s_cbranch_execz .LBB558_223
; %bb.222:
	s_mov_b32 s5, 0xcccccccd
	s_waitcnt lgkmcnt(1)
	v_mul_hi_u32 v8, v6, s5
	v_mov_b32_e32 v9, 0
	s_waitcnt lgkmcnt(0)
	v_mad_u64_u32 v[10:11], s[6:7], v7, s5, v[8:9]
	v_mov_b32_e32 v8, v11
	v_mov_b32_e32 v11, v9
	s_mov_b32 s8, 0xcccccccc
	v_mad_u64_u32 v[10:11], s[6:7], v6, s8, v[10:11]
	v_mov_b32_e32 v10, v11
	v_mov_b32_e32 v11, v9
	v_lshl_add_u64 v[10:11], v[8:9], 0, v[10:11]
	v_mad_u64_u32 v[10:11], s[6:7], v7, s8, v[10:11]
	v_alignbit_b32 v7, v11, v10, 3
	v_mul_lo_u32 v7, v7, 10
	v_mul_hi_u32 v8, v2, s5
	v_sub_u32_e32 v10, v6, v7
	v_mad_u64_u32 v[6:7], s[6:7], v3, s5, v[8:9]
	v_mov_b32_e32 v8, v7
	v_mov_b32_e32 v7, v9
	v_mad_u64_u32 v[6:7], s[6:7], v2, s8, v[6:7]
	v_mov_b32_e32 v6, v7
	v_mov_b32_e32 v7, v9
	v_lshl_add_u64 v[6:7], v[8:9], 0, v[6:7]
	v_mad_u64_u32 v[6:7], s[6:7], v3, s8, v[6:7]
	v_alignbit_b32 v3, v7, v6, 3
	v_mul_lo_u32 v3, v3, 10
	v_sub_u32_e32 v2, v2, v3
	v_add_u32_e32 v8, v10, v2
	v_lshl_add_u64 v[2:3], v[8:9], 0, -10
	v_cmp_gt_u32_e32 vcc, 10, v8
	s_nop 1
	v_cndmask_b32_e64 v3, v3, 0, vcc
	v_cndmask_b32_e32 v2, v2, v8, vcc
.LBB558_223:
	s_or_b64 exec, exec, s[0:1]
	s_waitcnt lgkmcnt(1)
	v_lshlrev_b32_e32 v6, 2, v1
	v_or_b32_e32 v8, 0x80, v6
	s_waitcnt lgkmcnt(0)
	ds_bpermute_b32 v7, v8, v2
	ds_bpermute_b32 v8, v8, v3
	v_add_u32_e32 v4, 32, v4
	v_cmp_lt_u32_e32 vcc, v4, v5
	s_and_saveexec_b64 s[0:1], vcc
	s_cbranch_execz .LBB558_225
; %bb.224:
	s_mov_b32 s5, 0xcccccccd
	s_waitcnt lgkmcnt(1)
	v_mul_hi_u32 v4, v7, s5
	v_mov_b32_e32 v5, 0
	s_waitcnt lgkmcnt(0)
	v_mad_u64_u32 v[10:11], s[6:7], v8, s5, v[4:5]
	v_mov_b32_e32 v4, v11
	v_mov_b32_e32 v11, v5
	s_mov_b32 s8, 0xcccccccc
	v_mad_u64_u32 v[10:11], s[6:7], v7, s8, v[10:11]
	v_mov_b32_e32 v10, v11
	v_mov_b32_e32 v11, v5
	v_lshl_add_u64 v[10:11], v[4:5], 0, v[10:11]
	v_mad_u64_u32 v[8:9], s[6:7], v8, s8, v[10:11]
	v_alignbit_b32 v4, v9, v8, 3
	v_mul_lo_u32 v4, v4, 10
	v_sub_u32_e32 v7, v7, v4
	v_mul_hi_u32 v4, v2, s5
	v_mad_u64_u32 v[8:9], s[6:7], v3, s5, v[4:5]
	v_mov_b32_e32 v4, v9
	v_mov_b32_e32 v9, v5
	v_mad_u64_u32 v[8:9], s[6:7], v2, s8, v[8:9]
	v_mov_b32_e32 v8, v9
	v_mov_b32_e32 v9, v5
	v_lshl_add_u64 v[8:9], v[4:5], 0, v[8:9]
	v_mad_u64_u32 v[8:9], s[6:7], v3, s8, v[8:9]
	v_alignbit_b32 v3, v9, v8, 3
	v_mul_lo_u32 v3, v3, 10
	v_sub_u32_e32 v2, v2, v3
	v_add_u32_e32 v4, v7, v2
	v_lshl_add_u64 v[2:3], v[4:5], 0, -10
	v_cmp_gt_u32_e32 vcc, 10, v4
	s_nop 1
	v_cndmask_b32_e64 v3, v3, 0, vcc
	v_cndmask_b32_e32 v2, v2, v4, vcc
.LBB558_225:
	s_or_b64 exec, exec, s[0:1]
	v_cmp_eq_u32_e32 vcc, 0, v1
	s_and_saveexec_b64 s[0:1], vcc
; %bb.226:
	v_lshrrev_b32_e32 v4, 3, v0
	v_and_b32_e32 v4, 24, v4
	ds_write_b64 v4, v[2:3]
; %bb.227:
	s_or_b64 exec, exec, s[0:1]
	v_cmp_gt_u32_e32 vcc, 4, v0
	s_waitcnt lgkmcnt(0)
	s_barrier
	s_and_saveexec_b64 s[0:1], vcc
	s_cbranch_execz .LBB558_233
; %bb.228:
	v_lshlrev_b32_e32 v2, 3, v1
	ds_read_b64 v[2:3], v2
	v_and_b32_e32 v4, 3, v1
	v_cmp_ne_u32_e32 vcc, 3, v4
	s_add_i32 s4, s4, 63
	s_lshr_b32 s6, s4, 6
	v_addc_co_u32_e32 v1, vcc, 0, v1, vcc
	v_lshlrev_b32_e32 v5, 2, v1
	s_waitcnt lgkmcnt(0)
	ds_bpermute_b32 v1, v5, v2
	ds_bpermute_b32 v5, v5, v3
	v_add_u32_e32 v7, 1, v4
	v_cmp_gt_u32_e32 vcc, s6, v7
	s_and_saveexec_b64 s[4:5], vcc
	s_cbranch_execz .LBB558_230
; %bb.229:
	s_mov_b32 s7, 0xcccccccd
	s_waitcnt lgkmcnt(1)
	v_mul_hi_u32 v8, v1, s7
	v_mov_b32_e32 v9, 0
	s_waitcnt lgkmcnt(0)
	v_mad_u64_u32 v[10:11], s[8:9], v5, s7, v[8:9]
	v_mov_b32_e32 v8, v11
	v_mov_b32_e32 v11, v9
	s_mov_b32 s10, 0xcccccccc
	v_mad_u64_u32 v[10:11], s[8:9], v1, s10, v[10:11]
	v_mov_b32_e32 v10, v11
	v_mov_b32_e32 v11, v9
	v_lshl_add_u64 v[10:11], v[8:9], 0, v[10:11]
	v_mad_u64_u32 v[10:11], s[8:9], v5, s10, v[10:11]
	v_mul_hi_u32 v8, v2, s7
	v_alignbit_b32 v5, v11, v10, 3
	v_mad_u64_u32 v[10:11], s[8:9], v3, s7, v[8:9]
	v_mov_b32_e32 v8, v11
	v_mov_b32_e32 v11, v9
	v_mad_u64_u32 v[10:11], s[8:9], v2, s10, v[10:11]
	v_mov_b32_e32 v10, v11
	v_mov_b32_e32 v11, v9
	v_lshl_add_u64 v[10:11], v[8:9], 0, v[10:11]
	v_mad_u64_u32 v[10:11], s[8:9], v3, s10, v[10:11]
	v_alignbit_b32 v3, v11, v10, 3
	v_mul_lo_u32 v5, v5, 10
	v_mul_lo_u32 v3, v3, 10
	v_sub_u32_e32 v1, v1, v5
	v_sub_u32_e32 v2, v2, v3
	v_add_u32_e32 v8, v1, v2
	v_lshl_add_u64 v[2:3], v[8:9], 0, -10
	v_cmp_gt_u32_e32 vcc, 10, v8
	s_nop 1
	v_cndmask_b32_e64 v3, v3, 0, vcc
	v_cndmask_b32_e32 v2, v2, v8, vcc
.LBB558_230:
	s_or_b64 exec, exec, s[4:5]
	s_waitcnt lgkmcnt(0)
	v_or_b32_e32 v5, 8, v6
	ds_bpermute_b32 v1, v5, v2
	ds_bpermute_b32 v5, v5, v3
	v_add_u32_e32 v4, 2, v4
	v_cmp_gt_u32_e32 vcc, s6, v4
	s_and_saveexec_b64 s[4:5], vcc
	s_cbranch_execz .LBB558_232
; %bb.231:
	s_mov_b32 s8, 0xcccccccd
	s_waitcnt lgkmcnt(1)
	v_mul_hi_u32 v6, v1, s8
	v_mov_b32_e32 v7, 0
	s_waitcnt lgkmcnt(0)
	v_mad_u64_u32 v[8:9], s[6:7], v5, s8, v[6:7]
	v_mov_b32_e32 v6, v9
	v_mov_b32_e32 v9, v7
	s_mov_b32 s9, 0xcccccccc
	v_mad_u64_u32 v[8:9], s[6:7], v1, s9, v[8:9]
	v_mov_b32_e32 v8, v9
	v_mov_b32_e32 v9, v7
	v_lshl_add_u64 v[8:9], v[6:7], 0, v[8:9]
	v_mad_u64_u32 v[4:5], s[6:7], v5, s9, v[8:9]
	v_alignbit_b32 v4, v5, v4, 3
	v_mul_lo_u32 v4, v4, 10
	v_mul_hi_u32 v6, v2, s8
	v_sub_u32_e32 v1, v1, v4
	v_mad_u64_u32 v[4:5], s[6:7], v3, s8, v[6:7]
	v_mov_b32_e32 v6, v5
	v_mov_b32_e32 v5, v7
	v_mad_u64_u32 v[4:5], s[6:7], v2, s9, v[4:5]
	v_mov_b32_e32 v4, v5
	v_mov_b32_e32 v5, v7
	v_lshl_add_u64 v[4:5], v[6:7], 0, v[4:5]
	v_mad_u64_u32 v[4:5], s[6:7], v3, s9, v[4:5]
	v_alignbit_b32 v3, v5, v4, 3
	v_mul_lo_u32 v3, v3, 10
	v_sub_u32_e32 v2, v2, v3
	v_add_u32_e32 v6, v1, v2
	v_lshl_add_u64 v[2:3], v[6:7], 0, -10
	v_cmp_gt_u32_e32 vcc, 10, v6
	s_nop 1
	v_cndmask_b32_e64 v3, v3, 0, vcc
	v_cndmask_b32_e32 v2, v2, v6, vcc
.LBB558_232:
	s_or_b64 exec, exec, s[4:5]
.LBB558_233:
	s_or_b64 exec, exec, s[0:1]
.LBB558_234:
	v_cmp_eq_u32_e32 vcc, 0, v0
                                        ; implicit-def: $vgpr4_vgpr5
	s_and_saveexec_b64 s[0:1], vcc
	s_xor_b64 s[0:1], exec, s[0:1]
	s_cbranch_execz .LBB558_238
; %bb.235:
	s_cmp_eq_u64 s[38:39], 0
	s_waitcnt lgkmcnt(0)
	v_mov_b64_e32 v[4:5], s[42:43]
	s_cbranch_scc1 .LBB558_237
; %bb.236:
	s_mov_b32 s4, 0xcccccccd
	v_mul_hi_u32 v4, v2, s4
	v_mov_b32_e32 v5, 0
	v_mad_u64_u32 v[6:7], s[4:5], v3, s4, v[4:5]
	v_mov_b32_e32 v4, v7
	v_mov_b32_e32 v7, v5
	s_mov_b32 s6, 0xcccccccc
	v_mad_u64_u32 v[6:7], s[4:5], v2, s6, v[6:7]
	v_mov_b32_e32 v6, v7
	v_mov_b32_e32 v7, v5
	v_lshl_add_u64 v[6:7], v[4:5], 0, v[6:7]
	s_mul_i32 s7, s43, 0xcccccccd
	s_mul_hi_u32 s8, s42, 0xcccccccd
	v_mad_u64_u32 v[6:7], s[4:5], v3, s6, v[6:7]
	s_mul_hi_u32 s6, s43, 0xcccccccd
	s_add_u32 s7, s7, s8
	s_mul_i32 s5, s42, 0xcccccccc
	s_addc_u32 s6, s6, 0
	s_mul_hi_u32 s4, s42, 0xcccccccc
	s_add_u32 s5, s5, s7
	s_addc_u32 s4, s4, 0
	s_add_u32 s4, s6, s4
	s_addc_u32 s5, 0, 0
	s_mul_i32 s7, s43, 0xcccccccc
	s_mul_hi_u32 s6, s43, 0xcccccccc
	s_add_u32 s4, s7, s4
	s_addc_u32 s5, s6, s5
	v_alignbit_b32 v1, v7, v6, 3
	s_lshr_b64 s[4:5], s[4:5], 3
	v_mul_lo_u32 v1, v1, 10
	s_mul_i32 s4, s4, 10
	v_sub_u32_e32 v1, v2, v1
	s_sub_i32 s4, s42, s4
	v_add_u32_e32 v4, s4, v1
	v_lshl_add_u64 v[2:3], v[4:5], 0, -10
	v_cmp_gt_u32_e32 vcc, 10, v4
	s_nop 1
	v_cndmask_b32_e64 v5, v3, 0, vcc
	v_cndmask_b32_e32 v4, v2, v4, vcc
.LBB558_237:
	s_or_b64 s[14:15], s[14:15], exec
.LBB558_238:
	s_or_b64 exec, exec, s[0:1]
	v_mov_b64_e32 v[2:3], s[2:3]
	s_branch .LBB558_247
.LBB558_239:
	s_cmp_eq_u32 s33, 1
	s_cbranch_scc0 .LBB558_246
; %bb.240:
	s_mov_b32 s1, 0
	s_lshl_b32 s0, s2, 8
	s_mov_b32 s3, s1
	s_lshr_b64 s[4:5], s[38:39], 8
	s_cmp_lg_u64 s[4:5], s[2:3]
	s_waitcnt lgkmcnt(1)
	v_mbcnt_lo_u32_b32 v1, -1, 0
	s_cbranch_scc0 .LBB558_250
; %bb.241:
	s_lshl_b64 s[4:5], s[0:1], 3
	s_add_u32 s4, s36, s4
	s_addc_u32 s5, s37, s5
	v_lshlrev_b32_e32 v2, 3, v0
	global_load_dwordx2 v[6:7], v2, s[4:5]
	s_mov_b32 s4, 0xcccccccd
	v_mov_b32_e32 v3, 0
	s_mov_b32 s5, 0xcccccccc
	v_mov_b32_e32 v9, v3
	v_mov_b32_e32 v11, v3
	;; [unrolled: 1-line block ×8, first 2 shown]
	v_mbcnt_hi_u32_b32 v4, -1, v1
	s_waitcnt vmcnt(0)
	v_mul_hi_u32 v2, v6, s4
	v_mad_u64_u32 v[24:25], s[6:7], v7, s4, v[2:3]
	v_mov_b32_e32 v2, v25
	v_mov_b32_e32 v25, v3
	v_mad_u64_u32 v[24:25], s[6:7], v6, s5, v[24:25]
	s_waitcnt lgkmcnt(0)
	v_mov_b32_dpp v5, v6 quad_perm:[1,0,3,2] row_mask:0xf bank_mask:0xf bound_ctrl:1
	v_mov_b32_e32 v8, v25
	v_mov_b32_dpp v12, v7 quad_perm:[1,0,3,2] row_mask:0xf bank_mask:0xf bound_ctrl:1
	v_lshl_add_u64 v[8:9], v[2:3], 0, v[8:9]
	v_mul_hi_u32 v2, v5, s4
	v_mad_u64_u32 v[24:25], s[6:7], v12, s4, v[2:3]
	v_mad_u64_u32 v[8:9], s[6:7], v7, s5, v[8:9]
	v_mov_b32_e32 v2, v25
	v_mov_b32_e32 v25, v3
	v_alignbit_b32 v7, v9, v8, 3
	v_mad_u64_u32 v[8:9], s[6:7], v5, s5, v[24:25]
	v_mul_lo_u32 v7, v7, 10
	v_mov_b32_e32 v10, v9
	v_sub_u32_e32 v8, v6, v7
	v_lshl_add_u64 v[6:7], v[2:3], 0, v[10:11]
	v_mad_u64_u32 v[6:7], s[6:7], v12, s5, v[6:7]
	v_alignbit_b32 v2, v7, v6, 3
	v_mul_lo_u32 v2, v2, 10
	v_sub_u32_e32 v2, v5, v2
	v_add_u32_e32 v2, v2, v8
	v_lshl_add_u64 v[6:7], v[2:3], 0, -10
	v_cmp_gt_u32_e32 vcc, 10, v2
	s_nop 1
	v_cndmask_b32_e32 v10, v6, v2, vcc
	v_cndmask_b32_e64 v5, v7, 0, vcc
	v_mul_hi_u32 v2, v10, s4
	v_mad_u64_u32 v[6:7], s[6:7], v5, s4, v[2:3]
	v_mov_b32_e32 v2, v7
	v_mov_b32_e32 v7, v3
	v_mad_u64_u32 v[6:7], s[6:7], v10, s5, v[6:7]
	v_mov_b32_dpp v11, v10 quad_perm:[2,3,0,1] row_mask:0xf bank_mask:0xf bound_ctrl:1
	v_mov_b32_e32 v12, v7
	v_mov_b32_dpp v16, v5 quad_perm:[2,3,0,1] row_mask:0xf bank_mask:0xf bound_ctrl:1
	v_lshl_add_u64 v[6:7], v[2:3], 0, v[12:13]
	v_mul_hi_u32 v2, v11, s4
	v_mad_u64_u32 v[8:9], s[6:7], v16, s4, v[2:3]
	v_mad_u64_u32 v[6:7], s[6:7], v5, s5, v[6:7]
	v_mov_b32_e32 v2, v9
	v_mov_b32_e32 v9, v3
	v_alignbit_b32 v5, v7, v6, 3
	v_mad_u64_u32 v[6:7], s[6:7], v11, s5, v[8:9]
	v_mov_b32_e32 v14, v7
	v_lshl_add_u64 v[6:7], v[2:3], 0, v[14:15]
	v_mad_u64_u32 v[6:7], s[6:7], v16, s5, v[6:7]
	v_alignbit_b32 v2, v7, v6, 3
	v_mul_lo_u32 v5, v5, 10
	v_mul_lo_u32 v2, v2, 10
	v_sub_u32_e32 v5, v10, v5
	v_sub_u32_e32 v2, v11, v2
	v_add_u32_e32 v2, v5, v2
	v_lshl_add_u64 v[6:7], v[2:3], 0, -10
	v_cmp_gt_u32_e32 vcc, 10, v2
	s_nop 1
	v_cndmask_b32_e32 v10, v6, v2, vcc
	v_cndmask_b32_e64 v5, v7, 0, vcc
	v_mul_hi_u32 v2, v10, s4
	v_mad_u64_u32 v[6:7], s[6:7], v5, s4, v[2:3]
	v_mov_b32_e32 v2, v7
	v_mov_b32_e32 v7, v3
	v_mad_u64_u32 v[6:7], s[6:7], v10, s5, v[6:7]
	v_mov_b32_dpp v11, v10 row_ror:4 row_mask:0xf bank_mask:0xf bound_ctrl:1
	v_mov_b32_e32 v16, v7
	v_mov_b32_dpp v12, v5 row_ror:4 row_mask:0xf bank_mask:0xf bound_ctrl:1
	v_lshl_add_u64 v[6:7], v[2:3], 0, v[16:17]
	v_mul_hi_u32 v2, v11, s4
	v_mad_u64_u32 v[8:9], s[6:7], v12, s4, v[2:3]
	v_mad_u64_u32 v[6:7], s[6:7], v5, s5, v[6:7]
	v_mov_b32_e32 v2, v9
	v_mov_b32_e32 v9, v3
	v_alignbit_b32 v5, v7, v6, 3
	v_mad_u64_u32 v[6:7], s[6:7], v11, s5, v[8:9]
	v_mov_b32_e32 v18, v7
	v_lshl_add_u64 v[6:7], v[2:3], 0, v[18:19]
	v_mad_u64_u32 v[6:7], s[6:7], v12, s5, v[6:7]
	v_alignbit_b32 v2, v7, v6, 3
	v_mul_lo_u32 v5, v5, 10
	v_mul_lo_u32 v2, v2, 10
	v_sub_u32_e32 v5, v10, v5
	v_sub_u32_e32 v2, v11, v2
	v_add_u32_e32 v2, v5, v2
	v_lshl_add_u64 v[6:7], v[2:3], 0, -10
	v_cmp_gt_u32_e32 vcc, 10, v2
	s_nop 1
	v_cndmask_b32_e32 v10, v6, v2, vcc
	v_cndmask_b32_e64 v5, v7, 0, vcc
	v_mul_hi_u32 v2, v10, s4
	v_mad_u64_u32 v[6:7], s[6:7], v5, s4, v[2:3]
	v_mov_b32_e32 v2, v7
	v_mov_b32_e32 v7, v3
	v_mad_u64_u32 v[6:7], s[6:7], v10, s5, v[6:7]
	v_mov_b32_dpp v11, v10 row_ror:8 row_mask:0xf bank_mask:0xf bound_ctrl:1
	v_mov_b32_e32 v20, v7
	v_mov_b32_dpp v12, v5 row_ror:8 row_mask:0xf bank_mask:0xf bound_ctrl:1
	v_lshl_add_u64 v[6:7], v[2:3], 0, v[20:21]
	v_mul_hi_u32 v2, v11, s4
	v_mad_u64_u32 v[8:9], s[6:7], v12, s4, v[2:3]
	v_mad_u64_u32 v[6:7], s[6:7], v5, s5, v[6:7]
	v_mov_b32_e32 v2, v9
	v_mov_b32_e32 v9, v3
	v_alignbit_b32 v5, v7, v6, 3
	v_mad_u64_u32 v[6:7], s[6:7], v11, s5, v[8:9]
	v_mov_b32_e32 v22, v7
	v_lshl_add_u64 v[6:7], v[2:3], 0, v[22:23]
	v_mad_u64_u32 v[6:7], s[6:7], v12, s5, v[6:7]
	v_alignbit_b32 v2, v7, v6, 3
	v_mul_lo_u32 v5, v5, 10
	v_mul_lo_u32 v2, v2, 10
	v_sub_u32_e32 v5, v10, v5
	v_sub_u32_e32 v2, v11, v2
	v_add_u32_e32 v2, v5, v2
	v_lshl_add_u64 v[6:7], v[2:3], 0, -10
	v_cmp_gt_u32_e32 vcc, 10, v2
	s_nop 1
	v_cndmask_b32_e32 v8, v6, v2, vcc
	v_cndmask_b32_e64 v5, v7, 0, vcc
	v_mul_hi_u32 v2, v8, s4
	v_mad_u64_u32 v[6:7], s[6:7], v5, s4, v[2:3]
	v_mov_b32_e32 v2, v7
	v_mov_b32_e32 v7, v3
	v_mad_u64_u32 v[6:7], s[6:7], v8, s5, v[6:7]
	v_mov_b32_e32 v6, v7
	v_mov_b32_e32 v7, v3
	v_lshl_add_u64 v[6:7], v[2:3], 0, v[6:7]
	v_mad_u64_u32 v[6:7], s[6:7], v5, s5, v[6:7]
	v_alignbit_b32 v2, v7, v6, 3
	v_mov_b32_dpp v9, v8 row_bcast:15 row_mask:0xf bank_mask:0xf bound_ctrl:1
	v_mul_lo_u32 v2, v2, 10
	v_mov_b32_dpp v10, v5 row_bcast:15 row_mask:0xf bank_mask:0xf bound_ctrl:1
	v_sub_u32_e32 v5, v8, v2
	v_mul_hi_u32 v2, v9, s4
	v_mad_u64_u32 v[6:7], s[6:7], v10, s4, v[2:3]
	v_mov_b32_e32 v2, v7
	v_mov_b32_e32 v7, v3
	v_mad_u64_u32 v[6:7], s[6:7], v9, s5, v[6:7]
	v_mov_b32_e32 v6, v7
	v_mov_b32_e32 v7, v3
	v_lshl_add_u64 v[6:7], v[2:3], 0, v[6:7]
	v_mad_u64_u32 v[6:7], s[6:7], v10, s5, v[6:7]
	v_alignbit_b32 v2, v7, v6, 3
	v_mul_lo_u32 v2, v2, 10
	v_sub_u32_e32 v2, v9, v2
	v_add_u32_e32 v2, v5, v2
	v_lshl_add_u64 v[6:7], v[2:3], 0, -10
	v_cmp_gt_u32_e32 vcc, 10, v2
	s_nop 1
	v_cndmask_b32_e32 v8, v6, v2, vcc
	v_cndmask_b32_e64 v5, v7, 0, vcc
	v_mul_hi_u32 v2, v8, s4
	v_mad_u64_u32 v[6:7], s[6:7], v5, s4, v[2:3]
	v_mov_b32_e32 v2, v7
	v_mov_b32_e32 v7, v3
	v_mad_u64_u32 v[6:7], s[6:7], v8, s5, v[6:7]
	v_mov_b32_e32 v6, v7
	v_mov_b32_e32 v7, v3
	v_lshl_add_u64 v[6:7], v[2:3], 0, v[6:7]
	v_mad_u64_u32 v[6:7], s[6:7], v5, s5, v[6:7]
	v_alignbit_b32 v2, v7, v6, 3
	v_mov_b32_dpp v9, v8 row_bcast:31 row_mask:0xf bank_mask:0xf bound_ctrl:1
	v_mul_lo_u32 v2, v2, 10
	v_mov_b32_dpp v10, v5 row_bcast:31 row_mask:0xf bank_mask:0xf bound_ctrl:1
	v_sub_u32_e32 v5, v8, v2
	v_mul_hi_u32 v2, v9, s4
	v_mad_u64_u32 v[6:7], s[6:7], v10, s4, v[2:3]
	v_mov_b32_e32 v2, v7
	v_mov_b32_e32 v7, v3
	v_mad_u64_u32 v[6:7], s[6:7], v9, s5, v[6:7]
	v_mov_b32_e32 v6, v7
	v_mov_b32_e32 v7, v3
	v_lshl_add_u64 v[6:7], v[2:3], 0, v[6:7]
	v_mad_u64_u32 v[6:7], s[4:5], v10, s5, v[6:7]
	v_alignbit_b32 v2, v7, v6, 3
	v_mul_lo_u32 v2, v2, 10
	v_sub_u32_e32 v2, v9, v2
	v_add_u32_e32 v2, v5, v2
	v_lshl_add_u64 v[6:7], v[2:3], 0, -10
	v_cmp_gt_u32_e32 vcc, 10, v2
	v_lshlrev_b32_e32 v5, 2, v4
	s_nop 0
	v_cndmask_b32_e64 v3, v7, 0, vcc
	v_cndmask_b32_e32 v2, v6, v2, vcc
	v_or_b32_e32 v6, 0xfc, v5
	ds_bpermute_b32 v2, v6, v2
	ds_bpermute_b32 v3, v6, v3
	v_cmp_eq_u32_e32 vcc, 0, v4
	s_and_saveexec_b64 s[4:5], vcc
	s_cbranch_execz .LBB558_243
; %bb.242:
	v_lshrrev_b32_e32 v6, 3, v0
	v_and_b32_e32 v6, 24, v6
	s_waitcnt lgkmcnt(0)
	ds_write_b64 v6, v[2:3] offset:64
.LBB558_243:
	s_or_b64 exec, exec, s[4:5]
	v_cmp_gt_u32_e32 vcc, 64, v0
	s_waitcnt lgkmcnt(0)
	s_barrier
	s_and_saveexec_b64 s[4:5], vcc
	s_cbranch_execz .LBB558_245
; %bb.244:
	v_and_b32_e32 v6, 3, v4
	v_lshlrev_b32_e32 v2, 3, v6
	ds_read_b64 v[2:3], v2 offset:64
	v_cmp_ne_u32_e32 vcc, 3, v6
	s_mov_b32 s8, 0xcccccccd
	v_mov_b32_e32 v7, 0
	v_addc_co_u32_e32 v4, vcc, 0, v4, vcc
	v_lshlrev_b32_e32 v4, 2, v4
	s_waitcnt lgkmcnt(0)
	ds_bpermute_b32 v10, v4, v2
	ds_bpermute_b32 v4, v4, v3
	s_mov_b32 s9, 0xcccccccc
	s_waitcnt lgkmcnt(1)
	v_mul_hi_u32 v6, v10, s8
	s_waitcnt lgkmcnt(0)
	v_mad_u64_u32 v[8:9], s[6:7], v4, s8, v[6:7]
	v_mov_b32_e32 v6, v9
	v_mov_b32_e32 v9, v7
	v_mad_u64_u32 v[8:9], s[6:7], v10, s9, v[8:9]
	v_mov_b32_e32 v8, v9
	v_mov_b32_e32 v9, v7
	v_lshl_add_u64 v[8:9], v[6:7], 0, v[8:9]
	v_mad_u64_u32 v[8:9], s[6:7], v4, s9, v[8:9]
	v_mul_hi_u32 v6, v2, s8
	v_alignbit_b32 v4, v9, v8, 3
	v_mad_u64_u32 v[8:9], s[6:7], v3, s8, v[6:7]
	v_mov_b32_e32 v6, v9
	v_mov_b32_e32 v9, v7
	v_mad_u64_u32 v[8:9], s[6:7], v2, s9, v[8:9]
	v_mov_b32_e32 v8, v9
	v_mov_b32_e32 v9, v7
	v_lshl_add_u64 v[8:9], v[6:7], 0, v[8:9]
	v_mad_u64_u32 v[8:9], s[6:7], v3, s9, v[8:9]
	v_alignbit_b32 v3, v9, v8, 3
	v_mul_lo_u32 v4, v4, 10
	v_mul_lo_u32 v3, v3, 10
	v_sub_u32_e32 v4, v10, v4
	v_sub_u32_e32 v2, v2, v3
	v_add_u32_e32 v6, v4, v2
	v_lshl_add_u64 v[2:3], v[6:7], 0, -10
	v_cmp_gt_u32_e32 vcc, 10, v6
	s_nop 1
	v_cndmask_b32_e32 v8, v2, v6, vcc
	v_or_b32_e32 v2, 8, v5
	v_cndmask_b32_e64 v4, v3, 0, vcc
	ds_bpermute_b32 v5, v2, v8
	ds_bpermute_b32 v9, v2, v4
	s_waitcnt lgkmcnt(1)
	v_mul_hi_u32 v6, v5, s8
	s_waitcnt lgkmcnt(0)
	v_mad_u64_u32 v[2:3], s[6:7], v9, s8, v[6:7]
	v_mov_b32_e32 v6, v3
	v_mov_b32_e32 v3, v7
	v_mad_u64_u32 v[2:3], s[6:7], v5, s9, v[2:3]
	v_mov_b32_e32 v2, v3
	v_mov_b32_e32 v3, v7
	v_lshl_add_u64 v[2:3], v[6:7], 0, v[2:3]
	v_mad_u64_u32 v[2:3], s[6:7], v9, s9, v[2:3]
	v_alignbit_b32 v2, v3, v2, 3
	v_mul_lo_u32 v2, v2, 10
	v_mul_hi_u32 v6, v8, s8
	v_sub_u32_e32 v5, v5, v2
	v_mad_u64_u32 v[2:3], s[6:7], v4, s8, v[6:7]
	v_mov_b32_e32 v6, v3
	v_mov_b32_e32 v3, v7
	v_mad_u64_u32 v[2:3], s[6:7], v8, s9, v[2:3]
	v_mov_b32_e32 v2, v3
	v_mov_b32_e32 v3, v7
	v_lshl_add_u64 v[2:3], v[6:7], 0, v[2:3]
	v_mad_u64_u32 v[2:3], s[6:7], v4, s9, v[2:3]
	v_alignbit_b32 v2, v3, v2, 3
	v_mul_lo_u32 v2, v2, 10
	v_sub_u32_e32 v2, v8, v2
	v_add_u32_e32 v6, v2, v5
	v_lshl_add_u64 v[2:3], v[6:7], 0, -10
	v_cmp_gt_u32_e32 vcc, 10, v6
	s_nop 1
	v_cndmask_b32_e64 v3, v3, 0, vcc
	v_cndmask_b32_e32 v2, v2, v6, vcc
.LBB558_245:
	s_or_b64 exec, exec, s[4:5]
	s_branch .LBB558_274
.LBB558_246:
                                        ; implicit-def: $vgpr4_vgpr5
                                        ; implicit-def: $vgpr2_vgpr3
.LBB558_247:
	s_and_saveexec_b64 s[0:1], s[14:15]
	s_cbranch_execz .LBB558_249
.LBB558_248:
	s_waitcnt lgkmcnt(1)
	v_lshlrev_b64 v[0:1], 3, v[2:3]
	v_lshl_add_u64 v[0:1], s[40:41], 0, v[0:1]
	s_waitcnt lgkmcnt(0)
	global_store_dwordx2 v[0:1], v[4:5], off
.LBB558_249:
	s_endpgm
.LBB558_250:
                                        ; implicit-def: $vgpr2_vgpr3
	s_cbranch_execz .LBB558_274
; %bb.251:
	s_sub_i32 s6, s38, s0
	v_cmp_gt_u32_e32 vcc, s6, v0
                                        ; implicit-def: $vgpr2_vgpr3
	s_and_saveexec_b64 s[4:5], vcc
	s_cbranch_execz .LBB558_253
; %bb.252:
	s_lshl_b64 s[0:1], s[0:1], 3
	s_add_u32 s0, s36, s0
	s_addc_u32 s1, s37, s1
	v_lshlrev_b32_e32 v2, 3, v0
	global_load_dwordx2 v[2:3], v2, s[0:1]
.LBB558_253:
	s_or_b64 exec, exec, s[4:5]
	v_mbcnt_hi_u32_b32 v1, -1, v1
	v_and_b32_e32 v4, 63, v1
	v_cmp_ne_u32_e32 vcc, 63, v4
	s_min_u32 s4, s6, 0x100
	v_add_u32_e32 v8, 1, v4
	s_waitcnt lgkmcnt(0)
	v_addc_co_u32_e32 v5, vcc, 0, v1, vcc
	v_lshlrev_b32_e32 v5, 2, v5
	s_waitcnt vmcnt(0)
	ds_bpermute_b32 v6, v5, v2
	ds_bpermute_b32 v7, v5, v3
	v_and_b32_e32 v5, 0xc0, v0
	v_sub_u32_e64 v5, s4, v5 clamp
	v_cmp_lt_u32_e32 vcc, v8, v5
	s_and_saveexec_b64 s[0:1], vcc
	s_cbranch_execz .LBB558_255
; %bb.254:
	s_mov_b32 s5, 0xcccccccd
	s_waitcnt lgkmcnt(1)
	v_mul_hi_u32 v8, v6, s5
	v_mov_b32_e32 v9, 0
	s_waitcnt lgkmcnt(0)
	v_mad_u64_u32 v[10:11], s[6:7], v7, s5, v[8:9]
	v_mov_b32_e32 v8, v11
	v_mov_b32_e32 v11, v9
	s_mov_b32 s8, 0xcccccccc
	v_mad_u64_u32 v[10:11], s[6:7], v6, s8, v[10:11]
	v_mov_b32_e32 v10, v11
	v_mov_b32_e32 v11, v9
	v_lshl_add_u64 v[10:11], v[8:9], 0, v[10:11]
	v_mad_u64_u32 v[10:11], s[6:7], v7, s8, v[10:11]
	v_alignbit_b32 v7, v11, v10, 3
	v_mul_lo_u32 v7, v7, 10
	v_mul_hi_u32 v8, v2, s5
	v_sub_u32_e32 v10, v6, v7
	v_mad_u64_u32 v[6:7], s[6:7], v3, s5, v[8:9]
	v_mov_b32_e32 v8, v7
	v_mov_b32_e32 v7, v9
	v_mad_u64_u32 v[6:7], s[6:7], v2, s8, v[6:7]
	v_mov_b32_e32 v6, v7
	v_mov_b32_e32 v7, v9
	v_lshl_add_u64 v[6:7], v[8:9], 0, v[6:7]
	v_mad_u64_u32 v[6:7], s[6:7], v3, s8, v[6:7]
	v_alignbit_b32 v3, v7, v6, 3
	v_mul_lo_u32 v3, v3, 10
	v_sub_u32_e32 v2, v2, v3
	v_add_u32_e32 v8, v10, v2
	v_lshl_add_u64 v[2:3], v[8:9], 0, -10
	v_cmp_gt_u32_e32 vcc, 10, v8
	s_nop 1
	v_cndmask_b32_e64 v3, v3, 0, vcc
	v_cndmask_b32_e32 v2, v2, v8, vcc
.LBB558_255:
	s_or_b64 exec, exec, s[0:1]
	v_cmp_gt_u32_e32 vcc, 62, v4
	v_add_u32_e32 v8, 2, v4
	s_waitcnt lgkmcnt(1)
	v_cndmask_b32_e64 v6, 0, 2, vcc
	s_waitcnt lgkmcnt(0)
	v_add_lshl_u32 v7, v6, v1, 2
	ds_bpermute_b32 v6, v7, v2
	ds_bpermute_b32 v7, v7, v3
	v_cmp_lt_u32_e32 vcc, v8, v5
	s_and_saveexec_b64 s[0:1], vcc
	s_cbranch_execz .LBB558_257
; %bb.256:
	s_mov_b32 s5, 0xcccccccd
	s_waitcnt lgkmcnt(1)
	v_mul_hi_u32 v8, v6, s5
	v_mov_b32_e32 v9, 0
	s_waitcnt lgkmcnt(0)
	v_mad_u64_u32 v[10:11], s[6:7], v7, s5, v[8:9]
	v_mov_b32_e32 v8, v11
	v_mov_b32_e32 v11, v9
	s_mov_b32 s8, 0xcccccccc
	v_mad_u64_u32 v[10:11], s[6:7], v6, s8, v[10:11]
	v_mov_b32_e32 v10, v11
	v_mov_b32_e32 v11, v9
	v_lshl_add_u64 v[10:11], v[8:9], 0, v[10:11]
	v_mad_u64_u32 v[10:11], s[6:7], v7, s8, v[10:11]
	v_alignbit_b32 v7, v11, v10, 3
	v_mul_lo_u32 v7, v7, 10
	v_mul_hi_u32 v8, v2, s5
	v_sub_u32_e32 v10, v6, v7
	v_mad_u64_u32 v[6:7], s[6:7], v3, s5, v[8:9]
	v_mov_b32_e32 v8, v7
	v_mov_b32_e32 v7, v9
	v_mad_u64_u32 v[6:7], s[6:7], v2, s8, v[6:7]
	v_mov_b32_e32 v6, v7
	v_mov_b32_e32 v7, v9
	v_lshl_add_u64 v[6:7], v[8:9], 0, v[6:7]
	v_mad_u64_u32 v[6:7], s[6:7], v3, s8, v[6:7]
	v_alignbit_b32 v3, v7, v6, 3
	v_mul_lo_u32 v3, v3, 10
	v_sub_u32_e32 v2, v2, v3
	v_add_u32_e32 v8, v10, v2
	v_lshl_add_u64 v[2:3], v[8:9], 0, -10
	v_cmp_gt_u32_e32 vcc, 10, v8
	s_nop 1
	v_cndmask_b32_e64 v3, v3, 0, vcc
	v_cndmask_b32_e32 v2, v2, v8, vcc
.LBB558_257:
	s_or_b64 exec, exec, s[0:1]
	v_cmp_gt_u32_e32 vcc, 60, v4
	v_add_u32_e32 v8, 4, v4
	s_waitcnt lgkmcnt(1)
	v_cndmask_b32_e64 v6, 0, 4, vcc
	s_waitcnt lgkmcnt(0)
	v_add_lshl_u32 v7, v6, v1, 2
	ds_bpermute_b32 v6, v7, v2
	ds_bpermute_b32 v7, v7, v3
	v_cmp_lt_u32_e32 vcc, v8, v5
	s_and_saveexec_b64 s[0:1], vcc
	s_cbranch_execz .LBB558_259
; %bb.258:
	s_mov_b32 s5, 0xcccccccd
	s_waitcnt lgkmcnt(1)
	v_mul_hi_u32 v8, v6, s5
	v_mov_b32_e32 v9, 0
	s_waitcnt lgkmcnt(0)
	v_mad_u64_u32 v[10:11], s[6:7], v7, s5, v[8:9]
	v_mov_b32_e32 v8, v11
	v_mov_b32_e32 v11, v9
	s_mov_b32 s8, 0xcccccccc
	v_mad_u64_u32 v[10:11], s[6:7], v6, s8, v[10:11]
	v_mov_b32_e32 v10, v11
	v_mov_b32_e32 v11, v9
	v_lshl_add_u64 v[10:11], v[8:9], 0, v[10:11]
	v_mad_u64_u32 v[10:11], s[6:7], v7, s8, v[10:11]
	v_alignbit_b32 v7, v11, v10, 3
	v_mul_lo_u32 v7, v7, 10
	v_mul_hi_u32 v8, v2, s5
	v_sub_u32_e32 v10, v6, v7
	v_mad_u64_u32 v[6:7], s[6:7], v3, s5, v[8:9]
	v_mov_b32_e32 v8, v7
	v_mov_b32_e32 v7, v9
	v_mad_u64_u32 v[6:7], s[6:7], v2, s8, v[6:7]
	v_mov_b32_e32 v6, v7
	v_mov_b32_e32 v7, v9
	v_lshl_add_u64 v[6:7], v[8:9], 0, v[6:7]
	v_mad_u64_u32 v[6:7], s[6:7], v3, s8, v[6:7]
	v_alignbit_b32 v3, v7, v6, 3
	v_mul_lo_u32 v3, v3, 10
	v_sub_u32_e32 v2, v2, v3
	v_add_u32_e32 v8, v10, v2
	v_lshl_add_u64 v[2:3], v[8:9], 0, -10
	v_cmp_gt_u32_e32 vcc, 10, v8
	s_nop 1
	v_cndmask_b32_e64 v3, v3, 0, vcc
	v_cndmask_b32_e32 v2, v2, v8, vcc
.LBB558_259:
	s_or_b64 exec, exec, s[0:1]
	v_cmp_gt_u32_e32 vcc, 56, v4
	v_add_u32_e32 v8, 8, v4
	s_waitcnt lgkmcnt(1)
	v_cndmask_b32_e64 v6, 0, 8, vcc
	s_waitcnt lgkmcnt(0)
	v_add_lshl_u32 v7, v6, v1, 2
	ds_bpermute_b32 v6, v7, v2
	ds_bpermute_b32 v7, v7, v3
	v_cmp_lt_u32_e32 vcc, v8, v5
	s_and_saveexec_b64 s[0:1], vcc
	s_cbranch_execz .LBB558_261
; %bb.260:
	s_mov_b32 s5, 0xcccccccd
	s_waitcnt lgkmcnt(1)
	v_mul_hi_u32 v8, v6, s5
	v_mov_b32_e32 v9, 0
	s_waitcnt lgkmcnt(0)
	v_mad_u64_u32 v[10:11], s[6:7], v7, s5, v[8:9]
	v_mov_b32_e32 v8, v11
	v_mov_b32_e32 v11, v9
	s_mov_b32 s8, 0xcccccccc
	v_mad_u64_u32 v[10:11], s[6:7], v6, s8, v[10:11]
	v_mov_b32_e32 v10, v11
	v_mov_b32_e32 v11, v9
	v_lshl_add_u64 v[10:11], v[8:9], 0, v[10:11]
	v_mad_u64_u32 v[10:11], s[6:7], v7, s8, v[10:11]
	v_alignbit_b32 v7, v11, v10, 3
	v_mul_lo_u32 v7, v7, 10
	v_mul_hi_u32 v8, v2, s5
	v_sub_u32_e32 v10, v6, v7
	v_mad_u64_u32 v[6:7], s[6:7], v3, s5, v[8:9]
	v_mov_b32_e32 v8, v7
	v_mov_b32_e32 v7, v9
	v_mad_u64_u32 v[6:7], s[6:7], v2, s8, v[6:7]
	v_mov_b32_e32 v6, v7
	v_mov_b32_e32 v7, v9
	v_lshl_add_u64 v[6:7], v[8:9], 0, v[6:7]
	v_mad_u64_u32 v[6:7], s[6:7], v3, s8, v[6:7]
	v_alignbit_b32 v3, v7, v6, 3
	v_mul_lo_u32 v3, v3, 10
	v_sub_u32_e32 v2, v2, v3
	v_add_u32_e32 v8, v10, v2
	v_lshl_add_u64 v[2:3], v[8:9], 0, -10
	v_cmp_gt_u32_e32 vcc, 10, v8
	s_nop 1
	v_cndmask_b32_e64 v3, v3, 0, vcc
	v_cndmask_b32_e32 v2, v2, v8, vcc
.LBB558_261:
	s_or_b64 exec, exec, s[0:1]
	v_cmp_gt_u32_e32 vcc, 48, v4
	v_add_u32_e32 v8, 16, v4
	s_waitcnt lgkmcnt(1)
	v_cndmask_b32_e64 v6, 0, 16, vcc
	s_waitcnt lgkmcnt(0)
	v_add_lshl_u32 v7, v6, v1, 2
	ds_bpermute_b32 v6, v7, v2
	ds_bpermute_b32 v7, v7, v3
	v_cmp_lt_u32_e32 vcc, v8, v5
	s_and_saveexec_b64 s[0:1], vcc
	s_cbranch_execz .LBB558_263
; %bb.262:
	s_mov_b32 s5, 0xcccccccd
	s_waitcnt lgkmcnt(1)
	v_mul_hi_u32 v8, v6, s5
	v_mov_b32_e32 v9, 0
	s_waitcnt lgkmcnt(0)
	v_mad_u64_u32 v[10:11], s[6:7], v7, s5, v[8:9]
	v_mov_b32_e32 v8, v11
	v_mov_b32_e32 v11, v9
	s_mov_b32 s8, 0xcccccccc
	v_mad_u64_u32 v[10:11], s[6:7], v6, s8, v[10:11]
	v_mov_b32_e32 v10, v11
	v_mov_b32_e32 v11, v9
	v_lshl_add_u64 v[10:11], v[8:9], 0, v[10:11]
	v_mad_u64_u32 v[10:11], s[6:7], v7, s8, v[10:11]
	v_alignbit_b32 v7, v11, v10, 3
	v_mul_lo_u32 v7, v7, 10
	v_mul_hi_u32 v8, v2, s5
	v_sub_u32_e32 v10, v6, v7
	v_mad_u64_u32 v[6:7], s[6:7], v3, s5, v[8:9]
	v_mov_b32_e32 v8, v7
	v_mov_b32_e32 v7, v9
	v_mad_u64_u32 v[6:7], s[6:7], v2, s8, v[6:7]
	v_mov_b32_e32 v6, v7
	v_mov_b32_e32 v7, v9
	v_lshl_add_u64 v[6:7], v[8:9], 0, v[6:7]
	v_mad_u64_u32 v[6:7], s[6:7], v3, s8, v[6:7]
	v_alignbit_b32 v3, v7, v6, 3
	v_mul_lo_u32 v3, v3, 10
	v_sub_u32_e32 v2, v2, v3
	v_add_u32_e32 v8, v10, v2
	v_lshl_add_u64 v[2:3], v[8:9], 0, -10
	v_cmp_gt_u32_e32 vcc, 10, v8
	s_nop 1
	v_cndmask_b32_e64 v3, v3, 0, vcc
	v_cndmask_b32_e32 v2, v2, v8, vcc
.LBB558_263:
	s_or_b64 exec, exec, s[0:1]
	s_waitcnt lgkmcnt(1)
	v_lshlrev_b32_e32 v6, 2, v1
	v_or_b32_e32 v8, 0x80, v6
	s_waitcnt lgkmcnt(0)
	ds_bpermute_b32 v7, v8, v2
	ds_bpermute_b32 v8, v8, v3
	v_add_u32_e32 v4, 32, v4
	v_cmp_lt_u32_e32 vcc, v4, v5
	s_and_saveexec_b64 s[0:1], vcc
	s_cbranch_execz .LBB558_265
; %bb.264:
	s_mov_b32 s5, 0xcccccccd
	s_waitcnt lgkmcnt(1)
	v_mul_hi_u32 v4, v7, s5
	v_mov_b32_e32 v5, 0
	s_waitcnt lgkmcnt(0)
	v_mad_u64_u32 v[10:11], s[6:7], v8, s5, v[4:5]
	v_mov_b32_e32 v4, v11
	v_mov_b32_e32 v11, v5
	s_mov_b32 s8, 0xcccccccc
	v_mad_u64_u32 v[10:11], s[6:7], v7, s8, v[10:11]
	v_mov_b32_e32 v10, v11
	v_mov_b32_e32 v11, v5
	v_lshl_add_u64 v[10:11], v[4:5], 0, v[10:11]
	v_mad_u64_u32 v[8:9], s[6:7], v8, s8, v[10:11]
	v_alignbit_b32 v4, v9, v8, 3
	v_mul_lo_u32 v4, v4, 10
	v_sub_u32_e32 v7, v7, v4
	v_mul_hi_u32 v4, v2, s5
	v_mad_u64_u32 v[8:9], s[6:7], v3, s5, v[4:5]
	v_mov_b32_e32 v4, v9
	v_mov_b32_e32 v9, v5
	v_mad_u64_u32 v[8:9], s[6:7], v2, s8, v[8:9]
	v_mov_b32_e32 v8, v9
	v_mov_b32_e32 v9, v5
	v_lshl_add_u64 v[8:9], v[4:5], 0, v[8:9]
	v_mad_u64_u32 v[8:9], s[6:7], v3, s8, v[8:9]
	v_alignbit_b32 v3, v9, v8, 3
	v_mul_lo_u32 v3, v3, 10
	v_sub_u32_e32 v2, v2, v3
	v_add_u32_e32 v4, v7, v2
	v_lshl_add_u64 v[2:3], v[4:5], 0, -10
	v_cmp_gt_u32_e32 vcc, 10, v4
	s_nop 1
	v_cndmask_b32_e64 v3, v3, 0, vcc
	v_cndmask_b32_e32 v2, v2, v4, vcc
.LBB558_265:
	s_or_b64 exec, exec, s[0:1]
	v_cmp_eq_u32_e32 vcc, 0, v1
	s_and_saveexec_b64 s[0:1], vcc
; %bb.266:
	v_lshrrev_b32_e32 v4, 3, v0
	v_and_b32_e32 v4, 24, v4
	ds_write_b64 v4, v[2:3]
; %bb.267:
	s_or_b64 exec, exec, s[0:1]
	v_cmp_gt_u32_e32 vcc, 4, v0
	s_waitcnt lgkmcnt(0)
	s_barrier
	s_and_saveexec_b64 s[0:1], vcc
	s_cbranch_execz .LBB558_273
; %bb.268:
	v_lshlrev_b32_e32 v2, 3, v1
	ds_read_b64 v[2:3], v2
	v_and_b32_e32 v4, 3, v1
	v_cmp_ne_u32_e32 vcc, 3, v4
	s_add_i32 s4, s4, 63
	s_lshr_b32 s6, s4, 6
	v_addc_co_u32_e32 v1, vcc, 0, v1, vcc
	v_lshlrev_b32_e32 v5, 2, v1
	s_waitcnt lgkmcnt(0)
	ds_bpermute_b32 v1, v5, v2
	ds_bpermute_b32 v5, v5, v3
	v_add_u32_e32 v7, 1, v4
	v_cmp_gt_u32_e32 vcc, s6, v7
	s_and_saveexec_b64 s[4:5], vcc
	s_cbranch_execz .LBB558_270
; %bb.269:
	s_mov_b32 s7, 0xcccccccd
	s_waitcnt lgkmcnt(1)
	v_mul_hi_u32 v8, v1, s7
	v_mov_b32_e32 v9, 0
	s_waitcnt lgkmcnt(0)
	v_mad_u64_u32 v[10:11], s[8:9], v5, s7, v[8:9]
	v_mov_b32_e32 v8, v11
	v_mov_b32_e32 v11, v9
	s_mov_b32 s10, 0xcccccccc
	v_mad_u64_u32 v[10:11], s[8:9], v1, s10, v[10:11]
	v_mov_b32_e32 v10, v11
	v_mov_b32_e32 v11, v9
	v_lshl_add_u64 v[10:11], v[8:9], 0, v[10:11]
	v_mad_u64_u32 v[10:11], s[8:9], v5, s10, v[10:11]
	v_mul_hi_u32 v8, v2, s7
	v_alignbit_b32 v5, v11, v10, 3
	v_mad_u64_u32 v[10:11], s[8:9], v3, s7, v[8:9]
	v_mov_b32_e32 v8, v11
	v_mov_b32_e32 v11, v9
	v_mad_u64_u32 v[10:11], s[8:9], v2, s10, v[10:11]
	v_mov_b32_e32 v10, v11
	v_mov_b32_e32 v11, v9
	v_lshl_add_u64 v[10:11], v[8:9], 0, v[10:11]
	v_mad_u64_u32 v[10:11], s[8:9], v3, s10, v[10:11]
	v_alignbit_b32 v3, v11, v10, 3
	v_mul_lo_u32 v5, v5, 10
	v_mul_lo_u32 v3, v3, 10
	v_sub_u32_e32 v1, v1, v5
	v_sub_u32_e32 v2, v2, v3
	v_add_u32_e32 v8, v1, v2
	v_lshl_add_u64 v[2:3], v[8:9], 0, -10
	v_cmp_gt_u32_e32 vcc, 10, v8
	s_nop 1
	v_cndmask_b32_e64 v3, v3, 0, vcc
	v_cndmask_b32_e32 v2, v2, v8, vcc
.LBB558_270:
	s_or_b64 exec, exec, s[4:5]
	s_waitcnt lgkmcnt(0)
	v_or_b32_e32 v5, 8, v6
	ds_bpermute_b32 v1, v5, v2
	ds_bpermute_b32 v5, v5, v3
	v_add_u32_e32 v4, 2, v4
	v_cmp_gt_u32_e32 vcc, s6, v4
	s_and_saveexec_b64 s[4:5], vcc
	s_cbranch_execz .LBB558_272
; %bb.271:
	s_mov_b32 s8, 0xcccccccd
	s_waitcnt lgkmcnt(1)
	v_mul_hi_u32 v6, v1, s8
	v_mov_b32_e32 v7, 0
	s_waitcnt lgkmcnt(0)
	v_mad_u64_u32 v[8:9], s[6:7], v5, s8, v[6:7]
	v_mov_b32_e32 v6, v9
	v_mov_b32_e32 v9, v7
	s_mov_b32 s9, 0xcccccccc
	v_mad_u64_u32 v[8:9], s[6:7], v1, s9, v[8:9]
	v_mov_b32_e32 v8, v9
	v_mov_b32_e32 v9, v7
	v_lshl_add_u64 v[8:9], v[6:7], 0, v[8:9]
	v_mad_u64_u32 v[4:5], s[6:7], v5, s9, v[8:9]
	v_alignbit_b32 v4, v5, v4, 3
	v_mul_lo_u32 v4, v4, 10
	v_mul_hi_u32 v6, v2, s8
	v_sub_u32_e32 v1, v1, v4
	v_mad_u64_u32 v[4:5], s[6:7], v3, s8, v[6:7]
	v_mov_b32_e32 v6, v5
	v_mov_b32_e32 v5, v7
	v_mad_u64_u32 v[4:5], s[6:7], v2, s9, v[4:5]
	v_mov_b32_e32 v4, v5
	v_mov_b32_e32 v5, v7
	v_lshl_add_u64 v[4:5], v[6:7], 0, v[4:5]
	v_mad_u64_u32 v[4:5], s[6:7], v3, s9, v[4:5]
	v_alignbit_b32 v3, v5, v4, 3
	v_mul_lo_u32 v3, v3, 10
	v_sub_u32_e32 v2, v2, v3
	v_add_u32_e32 v6, v1, v2
	v_lshl_add_u64 v[2:3], v[6:7], 0, -10
	v_cmp_gt_u32_e32 vcc, 10, v6
	s_nop 1
	v_cndmask_b32_e64 v3, v3, 0, vcc
	v_cndmask_b32_e32 v2, v2, v6, vcc
.LBB558_272:
	s_or_b64 exec, exec, s[4:5]
.LBB558_273:
	s_or_b64 exec, exec, s[0:1]
.LBB558_274:
	v_cmp_eq_u32_e32 vcc, 0, v0
                                        ; implicit-def: $vgpr4_vgpr5
	s_and_saveexec_b64 s[0:1], vcc
	s_cbranch_execz .LBB558_278
; %bb.275:
	s_cmp_eq_u64 s[38:39], 0
	s_waitcnt lgkmcnt(0)
	v_mov_b64_e32 v[4:5], s[42:43]
	s_cbranch_scc1 .LBB558_277
; %bb.276:
	s_mov_b32 s4, 0xcccccccd
	v_mul_hi_u32 v0, v2, s4
	v_mov_b32_e32 v1, 0
	v_mad_u64_u32 v[4:5], s[4:5], v3, s4, v[0:1]
	v_mov_b32_e32 v0, v5
	v_mov_b32_e32 v5, v1
	s_mov_b32 s6, 0xcccccccc
	v_mad_u64_u32 v[4:5], s[4:5], v2, s6, v[4:5]
	v_mov_b32_e32 v4, v5
	v_mov_b32_e32 v5, v1
	v_lshl_add_u64 v[4:5], v[0:1], 0, v[4:5]
	s_mul_i32 s7, s43, 0xcccccccd
	s_mul_hi_u32 s8, s42, 0xcccccccd
	v_mad_u64_u32 v[4:5], s[4:5], v3, s6, v[4:5]
	s_mul_hi_u32 s6, s43, 0xcccccccd
	s_add_u32 s7, s7, s8
	s_mul_i32 s5, s42, 0xcccccccc
	s_addc_u32 s6, s6, 0
	s_mul_hi_u32 s4, s42, 0xcccccccc
	s_add_u32 s5, s5, s7
	s_addc_u32 s4, s4, 0
	s_add_u32 s4, s6, s4
	s_addc_u32 s5, 0, 0
	s_mul_i32 s7, s43, 0xcccccccc
	s_mul_hi_u32 s6, s43, 0xcccccccc
	s_add_u32 s4, s7, s4
	s_addc_u32 s5, s6, s5
	v_alignbit_b32 v0, v5, v4, 3
	s_lshr_b64 s[4:5], s[4:5], 3
	v_mul_lo_u32 v0, v0, 10
	s_mul_i32 s4, s4, 10
	v_sub_u32_e32 v0, v2, v0
	s_sub_i32 s4, s42, s4
	v_add_u32_e32 v0, s4, v0
	v_lshl_add_u64 v[2:3], v[0:1], 0, -10
	v_cmp_gt_u32_e32 vcc, 10, v0
	s_nop 1
	v_cndmask_b32_e64 v5, v3, 0, vcc
	v_cndmask_b32_e32 v4, v2, v0, vcc
.LBB558_277:
	s_or_b64 s[14:15], s[14:15], exec
.LBB558_278:
	s_or_b64 exec, exec, s[0:1]
	v_mov_b64_e32 v[2:3], s[2:3]
	s_and_saveexec_b64 s[0:1], s[14:15]
	s_cbranch_execnz .LBB558_248
	s_branch .LBB558_249
.LBB558_279:
	v_lshlrev_b32_e32 v1, 3, v1
	global_load_dwordx2 v[8:9], v1, s[6:7]
	s_or_b64 exec, exec, s[8:9]
	s_and_saveexec_b64 s[6:7], s[4:5]
	s_cbranch_execz .LBB558_167
.LBB558_280:
	s_mov_b32 s8, 0xcccccccd
	s_waitcnt vmcnt(0)
	v_mul_hi_u32 v10, v4, s8
	v_mov_b32_e32 v11, 0
	v_mad_u64_u32 v[12:13], s[4:5], v5, s8, v[10:11]
	v_mov_b32_e32 v10, v13
	v_mov_b32_e32 v13, v11
	s_mov_b32 s9, 0xcccccccc
	v_mad_u64_u32 v[12:13], s[4:5], v4, s9, v[12:13]
	v_mov_b32_e32 v12, v13
	v_mov_b32_e32 v13, v11
	v_lshl_add_u64 v[12:13], v[10:11], 0, v[12:13]
	v_mad_u64_u32 v[12:13], s[4:5], v5, s9, v[12:13]
	v_alignbit_b32 v1, v13, v12, 3
	v_mul_lo_u32 v1, v1, 10
	v_mul_hi_u32 v10, v2, s8
	v_sub_u32_e32 v1, v4, v1
	v_mad_u64_u32 v[4:5], s[4:5], v3, s8, v[10:11]
	v_mov_b32_e32 v10, v5
	v_mov_b32_e32 v5, v11
	v_mad_u64_u32 v[4:5], s[4:5], v2, s9, v[4:5]
	v_mov_b32_e32 v4, v5
	v_mov_b32_e32 v5, v11
	v_lshl_add_u64 v[4:5], v[10:11], 0, v[4:5]
	v_mad_u64_u32 v[4:5], s[4:5], v3, s9, v[4:5]
	v_alignbit_b32 v3, v5, v4, 3
	v_mul_lo_u32 v3, v3, 10
	v_sub_u32_e32 v2, v2, v3
	v_add_u32_e32 v10, v1, v2
	v_lshl_add_u64 v[2:3], v[10:11], 0, -10
	v_cmp_gt_u32_e64 s[4:5], 10, v10
	s_nop 1
	v_cndmask_b32_e64 v3, v3, 0, s[4:5]
	v_cndmask_b32_e64 v2, v2, v10, s[4:5]
	s_or_b64 exec, exec, s[6:7]
	s_and_saveexec_b64 s[4:5], s[0:1]
	s_cbranch_execz .LBB558_168
.LBB558_281:
	s_mov_b32 s6, 0xcccccccd
	s_waitcnt vmcnt(0)
	v_mul_hi_u32 v4, v6, s6
	v_mov_b32_e32 v5, 0
	v_mad_u64_u32 v[10:11], s[0:1], v7, s6, v[4:5]
	v_mov_b32_e32 v4, v11
	v_mov_b32_e32 v11, v5
	s_mov_b32 s7, 0xcccccccc
	v_mad_u64_u32 v[10:11], s[0:1], v6, s7, v[10:11]
	v_mov_b32_e32 v10, v11
	v_mov_b32_e32 v11, v5
	v_lshl_add_u64 v[10:11], v[4:5], 0, v[10:11]
	v_mad_u64_u32 v[10:11], s[0:1], v7, s7, v[10:11]
	v_alignbit_b32 v1, v11, v10, 3
	v_mul_lo_u32 v1, v1, 10
	v_mul_hi_u32 v4, v2, s6
	v_sub_u32_e32 v1, v6, v1
	v_mad_u64_u32 v[6:7], s[0:1], v3, s6, v[4:5]
	v_mov_b32_e32 v4, v7
	v_mov_b32_e32 v7, v5
	v_mad_u64_u32 v[6:7], s[0:1], v2, s7, v[6:7]
	v_mov_b32_e32 v6, v7
	v_mov_b32_e32 v7, v5
	v_lshl_add_u64 v[6:7], v[4:5], 0, v[6:7]
	v_mad_u64_u32 v[6:7], s[0:1], v3, s7, v[6:7]
	v_alignbit_b32 v3, v7, v6, 3
	v_mul_lo_u32 v3, v3, 10
	v_sub_u32_e32 v2, v2, v3
	v_add_u32_e32 v4, v2, v1
	v_lshl_add_u64 v[2:3], v[4:5], 0, -10
	v_cmp_gt_u32_e64 s[0:1], 10, v4
	s_nop 1
	v_cndmask_b32_e64 v3, v3, 0, s[0:1]
	v_cndmask_b32_e64 v2, v2, v4, s[0:1]
	s_or_b64 exec, exec, s[4:5]
	s_and_saveexec_b64 s[0:1], vcc
	s_cbranch_execnz .LBB558_169
	s_branch .LBB558_170
.LBB558_282:
	v_lshlrev_b32_e32 v1, 3, v1
	global_load_dwordx2 v[32:33], v1, s[34:35]
	s_or_b64 exec, exec, s[44:45]
	s_and_saveexec_b64 s[34:35], s[28:29]
	s_cbranch_execz .LBB558_56
.LBB558_283:
	s_mov_b32 s44, 0xcccccccd
	s_waitcnt vmcnt(0)
	v_mul_hi_u32 v34, v4, s44
	v_mov_b32_e32 v35, 0
	v_mad_u64_u32 v[36:37], s[28:29], v5, s44, v[34:35]
	v_mov_b32_e32 v34, v37
	v_mov_b32_e32 v37, v35
	s_mov_b32 s45, 0xcccccccc
	v_mad_u64_u32 v[36:37], s[28:29], v4, s45, v[36:37]
	v_mov_b32_e32 v36, v37
	v_mov_b32_e32 v37, v35
	v_lshl_add_u64 v[36:37], v[34:35], 0, v[36:37]
	v_mad_u64_u32 v[36:37], s[28:29], v5, s45, v[36:37]
	v_alignbit_b32 v1, v37, v36, 3
	v_mul_lo_u32 v1, v1, 10
	v_mul_hi_u32 v34, v2, s44
	v_sub_u32_e32 v1, v4, v1
	v_mad_u64_u32 v[4:5], s[28:29], v3, s44, v[34:35]
	v_mov_b32_e32 v34, v5
	v_mov_b32_e32 v5, v35
	v_mad_u64_u32 v[4:5], s[28:29], v2, s45, v[4:5]
	v_mov_b32_e32 v4, v5
	v_mov_b32_e32 v5, v35
	v_lshl_add_u64 v[4:5], v[34:35], 0, v[4:5]
	v_mad_u64_u32 v[4:5], s[28:29], v3, s45, v[4:5]
	v_alignbit_b32 v3, v5, v4, 3
	v_mul_lo_u32 v3, v3, 10
	v_sub_u32_e32 v2, v2, v3
	v_add_u32_e32 v34, v1, v2
	v_lshl_add_u64 v[2:3], v[34:35], 0, -10
	v_cmp_gt_u32_e64 s[28:29], 10, v34
	s_nop 1
	v_cndmask_b32_e64 v3, v3, 0, s[28:29]
	v_cndmask_b32_e64 v2, v2, v34, s[28:29]
	s_or_b64 exec, exec, s[34:35]
	s_and_saveexec_b64 s[28:29], s[26:27]
	s_cbranch_execz .LBB558_57
.LBB558_284:
	s_mov_b32 s34, 0xcccccccd
	s_waitcnt vmcnt(0)
	v_mul_hi_u32 v4, v6, s34
	v_mov_b32_e32 v5, 0
	v_mad_u64_u32 v[34:35], s[26:27], v7, s34, v[4:5]
	v_mov_b32_e32 v4, v35
	v_mov_b32_e32 v35, v5
	s_mov_b32 s35, 0xcccccccc
	v_mad_u64_u32 v[34:35], s[26:27], v6, s35, v[34:35]
	v_mov_b32_e32 v34, v35
	v_mov_b32_e32 v35, v5
	v_lshl_add_u64 v[34:35], v[4:5], 0, v[34:35]
	v_mad_u64_u32 v[34:35], s[26:27], v7, s35, v[34:35]
	v_alignbit_b32 v1, v35, v34, 3
	v_mul_lo_u32 v1, v1, 10
	v_mul_hi_u32 v4, v2, s34
	v_sub_u32_e32 v1, v6, v1
	v_mad_u64_u32 v[6:7], s[26:27], v3, s34, v[4:5]
	v_mov_b32_e32 v4, v7
	v_mov_b32_e32 v7, v5
	v_mad_u64_u32 v[6:7], s[26:27], v2, s35, v[6:7]
	v_mov_b32_e32 v6, v7
	v_mov_b32_e32 v7, v5
	v_lshl_add_u64 v[6:7], v[4:5], 0, v[6:7]
	v_mad_u64_u32 v[6:7], s[26:27], v3, s35, v[6:7]
	v_alignbit_b32 v3, v7, v6, 3
	v_mul_lo_u32 v3, v3, 10
	v_sub_u32_e32 v2, v2, v3
	v_add_u32_e32 v4, v2, v1
	v_lshl_add_u64 v[2:3], v[4:5], 0, -10
	v_cmp_gt_u32_e64 s[26:27], 10, v4
	s_nop 1
	v_cndmask_b32_e64 v3, v3, 0, s[26:27]
	v_cndmask_b32_e64 v2, v2, v4, s[26:27]
	s_or_b64 exec, exec, s[28:29]
	s_and_saveexec_b64 s[26:27], s[24:25]
	s_cbranch_execz .LBB558_58
.LBB558_285:
	s_mov_b32 s28, 0xcccccccd
	s_waitcnt vmcnt(0)
	v_mul_hi_u32 v4, v8, s28
	v_mov_b32_e32 v5, 0
	v_mad_u64_u32 v[6:7], s[24:25], v9, s28, v[4:5]
	v_mov_b32_e32 v4, v7
	v_mov_b32_e32 v7, v5
	s_mov_b32 s29, 0xcccccccc
	v_mad_u64_u32 v[6:7], s[24:25], v8, s29, v[6:7]
	v_mov_b32_e32 v6, v7
	v_mov_b32_e32 v7, v5
	v_lshl_add_u64 v[6:7], v[4:5], 0, v[6:7]
	v_mad_u64_u32 v[6:7], s[24:25], v9, s29, v[6:7]
	v_mul_hi_u32 v4, v2, s28
	v_alignbit_b32 v1, v7, v6, 3
	v_mad_u64_u32 v[6:7], s[24:25], v3, s28, v[4:5]
	v_mov_b32_e32 v4, v7
	v_mov_b32_e32 v7, v5
	v_mad_u64_u32 v[6:7], s[24:25], v2, s29, v[6:7]
	v_mov_b32_e32 v6, v7
	v_mov_b32_e32 v7, v5
	v_lshl_add_u64 v[6:7], v[4:5], 0, v[6:7]
	v_mad_u64_u32 v[6:7], s[24:25], v3, s29, v[6:7]
	v_alignbit_b32 v3, v7, v6, 3
	v_mul_lo_u32 v1, v1, 10
	v_mul_lo_u32 v3, v3, 10
	v_sub_u32_e32 v1, v8, v1
	v_sub_u32_e32 v2, v2, v3
	v_add_u32_e32 v4, v2, v1
	v_lshl_add_u64 v[2:3], v[4:5], 0, -10
	v_cmp_gt_u32_e64 s[24:25], 10, v4
	s_nop 1
	v_cndmask_b32_e64 v3, v3, 0, s[24:25]
	v_cndmask_b32_e64 v2, v2, v4, s[24:25]
	s_or_b64 exec, exec, s[26:27]
	s_and_saveexec_b64 s[24:25], s[22:23]
	s_cbranch_execz .LBB558_59
.LBB558_286:
	s_mov_b32 s26, 0xcccccccd
	s_waitcnt vmcnt(0)
	v_mul_hi_u32 v4, v10, s26
	v_mov_b32_e32 v5, 0
	v_mad_u64_u32 v[6:7], s[22:23], v11, s26, v[4:5]
	v_mov_b32_e32 v4, v7
	v_mov_b32_e32 v7, v5
	s_mov_b32 s27, 0xcccccccc
	v_mad_u64_u32 v[6:7], s[22:23], v10, s27, v[6:7]
	v_mov_b32_e32 v6, v7
	v_mov_b32_e32 v7, v5
	v_lshl_add_u64 v[6:7], v[4:5], 0, v[6:7]
	v_mad_u64_u32 v[6:7], s[22:23], v11, s27, v[6:7]
	v_mul_hi_u32 v4, v2, s26
	v_alignbit_b32 v1, v7, v6, 3
	v_mad_u64_u32 v[6:7], s[22:23], v3, s26, v[4:5]
	v_mov_b32_e32 v4, v7
	v_mov_b32_e32 v7, v5
	v_mad_u64_u32 v[6:7], s[22:23], v2, s27, v[6:7]
	v_mov_b32_e32 v6, v7
	v_mov_b32_e32 v7, v5
	v_lshl_add_u64 v[6:7], v[4:5], 0, v[6:7]
	v_mad_u64_u32 v[6:7], s[22:23], v3, s27, v[6:7]
	v_alignbit_b32 v3, v7, v6, 3
	v_mul_lo_u32 v1, v1, 10
	v_mul_lo_u32 v3, v3, 10
	v_sub_u32_e32 v1, v10, v1
	v_sub_u32_e32 v2, v2, v3
	v_add_u32_e32 v4, v2, v1
	v_lshl_add_u64 v[2:3], v[4:5], 0, -10
	v_cmp_gt_u32_e64 s[22:23], 10, v4
	s_nop 1
	v_cndmask_b32_e64 v3, v3, 0, s[22:23]
	v_cndmask_b32_e64 v2, v2, v4, s[22:23]
	s_or_b64 exec, exec, s[24:25]
	s_and_saveexec_b64 s[22:23], s[20:21]
	s_cbranch_execz .LBB558_60
.LBB558_287:
	s_mov_b32 s24, 0xcccccccd
	s_waitcnt vmcnt(0)
	v_mul_hi_u32 v4, v12, s24
	v_mov_b32_e32 v5, 0
	v_mad_u64_u32 v[6:7], s[20:21], v13, s24, v[4:5]
	v_mov_b32_e32 v4, v7
	v_mov_b32_e32 v7, v5
	s_mov_b32 s25, 0xcccccccc
	v_mad_u64_u32 v[6:7], s[20:21], v12, s25, v[6:7]
	v_mov_b32_e32 v6, v7
	v_mov_b32_e32 v7, v5
	v_lshl_add_u64 v[6:7], v[4:5], 0, v[6:7]
	v_mad_u64_u32 v[6:7], s[20:21], v13, s25, v[6:7]
	v_mul_hi_u32 v4, v2, s24
	v_alignbit_b32 v1, v7, v6, 3
	v_mad_u64_u32 v[6:7], s[20:21], v3, s24, v[4:5]
	v_mov_b32_e32 v4, v7
	v_mov_b32_e32 v7, v5
	v_mad_u64_u32 v[6:7], s[20:21], v2, s25, v[6:7]
	v_mov_b32_e32 v6, v7
	v_mov_b32_e32 v7, v5
	v_lshl_add_u64 v[6:7], v[4:5], 0, v[6:7]
	v_mad_u64_u32 v[6:7], s[20:21], v3, s25, v[6:7]
	v_alignbit_b32 v3, v7, v6, 3
	v_mul_lo_u32 v1, v1, 10
	v_mul_lo_u32 v3, v3, 10
	v_sub_u32_e32 v1, v12, v1
	v_sub_u32_e32 v2, v2, v3
	v_add_u32_e32 v4, v2, v1
	v_lshl_add_u64 v[2:3], v[4:5], 0, -10
	v_cmp_gt_u32_e64 s[20:21], 10, v4
	s_nop 1
	v_cndmask_b32_e64 v3, v3, 0, s[20:21]
	v_cndmask_b32_e64 v2, v2, v4, s[20:21]
	s_or_b64 exec, exec, s[22:23]
	s_and_saveexec_b64 s[20:21], s[18:19]
	s_cbranch_execz .LBB558_61
.LBB558_288:
	s_mov_b32 s22, 0xcccccccd
	s_waitcnt vmcnt(0)
	v_mul_hi_u32 v4, v14, s22
	v_mov_b32_e32 v5, 0
	v_mad_u64_u32 v[6:7], s[18:19], v15, s22, v[4:5]
	v_mov_b32_e32 v4, v7
	v_mov_b32_e32 v7, v5
	s_mov_b32 s23, 0xcccccccc
	v_mad_u64_u32 v[6:7], s[18:19], v14, s23, v[6:7]
	v_mov_b32_e32 v6, v7
	v_mov_b32_e32 v7, v5
	v_lshl_add_u64 v[6:7], v[4:5], 0, v[6:7]
	v_mad_u64_u32 v[6:7], s[18:19], v15, s23, v[6:7]
	v_mul_hi_u32 v4, v2, s22
	v_alignbit_b32 v1, v7, v6, 3
	v_mad_u64_u32 v[6:7], s[18:19], v3, s22, v[4:5]
	v_mov_b32_e32 v4, v7
	v_mov_b32_e32 v7, v5
	v_mad_u64_u32 v[6:7], s[18:19], v2, s23, v[6:7]
	v_mov_b32_e32 v6, v7
	v_mov_b32_e32 v7, v5
	v_lshl_add_u64 v[6:7], v[4:5], 0, v[6:7]
	v_mad_u64_u32 v[6:7], s[18:19], v3, s23, v[6:7]
	v_alignbit_b32 v3, v7, v6, 3
	v_mul_lo_u32 v1, v1, 10
	v_mul_lo_u32 v3, v3, 10
	v_sub_u32_e32 v1, v14, v1
	v_sub_u32_e32 v2, v2, v3
	v_add_u32_e32 v4, v2, v1
	v_lshl_add_u64 v[2:3], v[4:5], 0, -10
	v_cmp_gt_u32_e64 s[18:19], 10, v4
	s_nop 1
	v_cndmask_b32_e64 v3, v3, 0, s[18:19]
	v_cndmask_b32_e64 v2, v2, v4, s[18:19]
	s_or_b64 exec, exec, s[20:21]
	s_and_saveexec_b64 s[18:19], s[16:17]
	s_cbranch_execz .LBB558_62
.LBB558_289:
	s_mov_b32 s20, 0xcccccccd
	s_waitcnt vmcnt(0)
	v_mul_hi_u32 v4, v16, s20
	v_mov_b32_e32 v5, 0
	v_mad_u64_u32 v[6:7], s[16:17], v17, s20, v[4:5]
	v_mov_b32_e32 v4, v7
	v_mov_b32_e32 v7, v5
	s_mov_b32 s21, 0xcccccccc
	v_mad_u64_u32 v[6:7], s[16:17], v16, s21, v[6:7]
	v_mov_b32_e32 v6, v7
	v_mov_b32_e32 v7, v5
	v_lshl_add_u64 v[6:7], v[4:5], 0, v[6:7]
	v_mad_u64_u32 v[6:7], s[16:17], v17, s21, v[6:7]
	v_mul_hi_u32 v4, v2, s20
	v_alignbit_b32 v1, v7, v6, 3
	v_mad_u64_u32 v[6:7], s[16:17], v3, s20, v[4:5]
	v_mov_b32_e32 v4, v7
	v_mov_b32_e32 v7, v5
	v_mad_u64_u32 v[6:7], s[16:17], v2, s21, v[6:7]
	v_mov_b32_e32 v6, v7
	v_mov_b32_e32 v7, v5
	v_lshl_add_u64 v[6:7], v[4:5], 0, v[6:7]
	v_mad_u64_u32 v[6:7], s[16:17], v3, s21, v[6:7]
	v_alignbit_b32 v3, v7, v6, 3
	v_mul_lo_u32 v1, v1, 10
	v_mul_lo_u32 v3, v3, 10
	v_sub_u32_e32 v1, v16, v1
	v_sub_u32_e32 v2, v2, v3
	v_add_u32_e32 v4, v2, v1
	v_lshl_add_u64 v[2:3], v[4:5], 0, -10
	v_cmp_gt_u32_e64 s[16:17], 10, v4
	s_nop 1
	v_cndmask_b32_e64 v3, v3, 0, s[16:17]
	v_cndmask_b32_e64 v2, v2, v4, s[16:17]
	s_or_b64 exec, exec, s[18:19]
	s_and_saveexec_b64 s[16:17], s[14:15]
	s_cbranch_execz .LBB558_63
.LBB558_290:
	s_mov_b32 s18, 0xcccccccd
	s_waitcnt vmcnt(0)
	v_mul_hi_u32 v4, v18, s18
	v_mov_b32_e32 v5, 0
	v_mad_u64_u32 v[6:7], s[14:15], v19, s18, v[4:5]
	v_mov_b32_e32 v4, v7
	v_mov_b32_e32 v7, v5
	s_mov_b32 s19, 0xcccccccc
	v_mad_u64_u32 v[6:7], s[14:15], v18, s19, v[6:7]
	v_mov_b32_e32 v6, v7
	v_mov_b32_e32 v7, v5
	v_lshl_add_u64 v[6:7], v[4:5], 0, v[6:7]
	v_mad_u64_u32 v[6:7], s[14:15], v19, s19, v[6:7]
	v_mul_hi_u32 v4, v2, s18
	v_alignbit_b32 v1, v7, v6, 3
	v_mad_u64_u32 v[6:7], s[14:15], v3, s18, v[4:5]
	v_mov_b32_e32 v4, v7
	v_mov_b32_e32 v7, v5
	v_mad_u64_u32 v[6:7], s[14:15], v2, s19, v[6:7]
	v_mov_b32_e32 v6, v7
	v_mov_b32_e32 v7, v5
	v_lshl_add_u64 v[6:7], v[4:5], 0, v[6:7]
	v_mad_u64_u32 v[6:7], s[14:15], v3, s19, v[6:7]
	v_alignbit_b32 v3, v7, v6, 3
	v_mul_lo_u32 v1, v1, 10
	v_mul_lo_u32 v3, v3, 10
	v_sub_u32_e32 v1, v18, v1
	v_sub_u32_e32 v2, v2, v3
	v_add_u32_e32 v4, v2, v1
	v_lshl_add_u64 v[2:3], v[4:5], 0, -10
	v_cmp_gt_u32_e64 s[14:15], 10, v4
	s_nop 1
	v_cndmask_b32_e64 v3, v3, 0, s[14:15]
	v_cndmask_b32_e64 v2, v2, v4, s[14:15]
	s_or_b64 exec, exec, s[16:17]
	s_and_saveexec_b64 s[14:15], s[12:13]
	s_cbranch_execz .LBB558_64
.LBB558_291:
	s_mov_b32 s16, 0xcccccccd
	s_waitcnt vmcnt(0)
	v_mul_hi_u32 v4, v20, s16
	v_mov_b32_e32 v5, 0
	v_mad_u64_u32 v[6:7], s[12:13], v21, s16, v[4:5]
	v_mov_b32_e32 v4, v7
	v_mov_b32_e32 v7, v5
	s_mov_b32 s17, 0xcccccccc
	v_mad_u64_u32 v[6:7], s[12:13], v20, s17, v[6:7]
	v_mov_b32_e32 v6, v7
	v_mov_b32_e32 v7, v5
	v_lshl_add_u64 v[6:7], v[4:5], 0, v[6:7]
	v_mad_u64_u32 v[6:7], s[12:13], v21, s17, v[6:7]
	v_mul_hi_u32 v4, v2, s16
	v_alignbit_b32 v1, v7, v6, 3
	v_mad_u64_u32 v[6:7], s[12:13], v3, s16, v[4:5]
	v_mov_b32_e32 v4, v7
	v_mov_b32_e32 v7, v5
	v_mad_u64_u32 v[6:7], s[12:13], v2, s17, v[6:7]
	v_mov_b32_e32 v6, v7
	v_mov_b32_e32 v7, v5
	v_lshl_add_u64 v[6:7], v[4:5], 0, v[6:7]
	v_mad_u64_u32 v[6:7], s[12:13], v3, s17, v[6:7]
	v_alignbit_b32 v3, v7, v6, 3
	v_mul_lo_u32 v1, v1, 10
	v_mul_lo_u32 v3, v3, 10
	v_sub_u32_e32 v1, v20, v1
	v_sub_u32_e32 v2, v2, v3
	v_add_u32_e32 v4, v2, v1
	v_lshl_add_u64 v[2:3], v[4:5], 0, -10
	v_cmp_gt_u32_e64 s[12:13], 10, v4
	s_nop 1
	v_cndmask_b32_e64 v3, v3, 0, s[12:13]
	v_cndmask_b32_e64 v2, v2, v4, s[12:13]
	s_or_b64 exec, exec, s[14:15]
	s_and_saveexec_b64 s[12:13], s[10:11]
	s_cbranch_execz .LBB558_65
.LBB558_292:
	s_mov_b32 s14, 0xcccccccd
	s_waitcnt vmcnt(0)
	v_mul_hi_u32 v4, v22, s14
	v_mov_b32_e32 v5, 0
	v_mad_u64_u32 v[6:7], s[10:11], v23, s14, v[4:5]
	v_mov_b32_e32 v4, v7
	v_mov_b32_e32 v7, v5
	s_mov_b32 s15, 0xcccccccc
	v_mad_u64_u32 v[6:7], s[10:11], v22, s15, v[6:7]
	v_mov_b32_e32 v6, v7
	v_mov_b32_e32 v7, v5
	v_lshl_add_u64 v[6:7], v[4:5], 0, v[6:7]
	v_mad_u64_u32 v[6:7], s[10:11], v23, s15, v[6:7]
	v_mul_hi_u32 v4, v2, s14
	v_alignbit_b32 v1, v7, v6, 3
	v_mad_u64_u32 v[6:7], s[10:11], v3, s14, v[4:5]
	v_mov_b32_e32 v4, v7
	v_mov_b32_e32 v7, v5
	v_mad_u64_u32 v[6:7], s[10:11], v2, s15, v[6:7]
	v_mov_b32_e32 v6, v7
	v_mov_b32_e32 v7, v5
	v_lshl_add_u64 v[6:7], v[4:5], 0, v[6:7]
	v_mad_u64_u32 v[6:7], s[10:11], v3, s15, v[6:7]
	v_alignbit_b32 v3, v7, v6, 3
	v_mul_lo_u32 v1, v1, 10
	v_mul_lo_u32 v3, v3, 10
	v_sub_u32_e32 v1, v22, v1
	v_sub_u32_e32 v2, v2, v3
	v_add_u32_e32 v4, v2, v1
	v_lshl_add_u64 v[2:3], v[4:5], 0, -10
	v_cmp_gt_u32_e64 s[10:11], 10, v4
	s_nop 1
	v_cndmask_b32_e64 v3, v3, 0, s[10:11]
	v_cndmask_b32_e64 v2, v2, v4, s[10:11]
	s_or_b64 exec, exec, s[12:13]
	s_and_saveexec_b64 s[10:11], s[8:9]
	s_cbranch_execz .LBB558_66
.LBB558_293:
	s_mov_b32 s12, 0xcccccccd
	s_waitcnt vmcnt(0)
	v_mul_hi_u32 v4, v24, s12
	v_mov_b32_e32 v5, 0
	v_mad_u64_u32 v[6:7], s[8:9], v25, s12, v[4:5]
	v_mov_b32_e32 v4, v7
	v_mov_b32_e32 v7, v5
	s_mov_b32 s13, 0xcccccccc
	v_mad_u64_u32 v[6:7], s[8:9], v24, s13, v[6:7]
	v_mov_b32_e32 v6, v7
	v_mov_b32_e32 v7, v5
	v_lshl_add_u64 v[6:7], v[4:5], 0, v[6:7]
	v_mad_u64_u32 v[6:7], s[8:9], v25, s13, v[6:7]
	v_mul_hi_u32 v4, v2, s12
	v_alignbit_b32 v1, v7, v6, 3
	v_mad_u64_u32 v[6:7], s[8:9], v3, s12, v[4:5]
	v_mov_b32_e32 v4, v7
	v_mov_b32_e32 v7, v5
	v_mad_u64_u32 v[6:7], s[8:9], v2, s13, v[6:7]
	v_mov_b32_e32 v6, v7
	v_mov_b32_e32 v7, v5
	v_lshl_add_u64 v[6:7], v[4:5], 0, v[6:7]
	v_mad_u64_u32 v[6:7], s[8:9], v3, s13, v[6:7]
	v_alignbit_b32 v3, v7, v6, 3
	v_mul_lo_u32 v1, v1, 10
	v_mul_lo_u32 v3, v3, 10
	v_sub_u32_e32 v1, v24, v1
	v_sub_u32_e32 v2, v2, v3
	v_add_u32_e32 v4, v2, v1
	v_lshl_add_u64 v[2:3], v[4:5], 0, -10
	v_cmp_gt_u32_e64 s[8:9], 10, v4
	s_nop 1
	v_cndmask_b32_e64 v3, v3, 0, s[8:9]
	v_cndmask_b32_e64 v2, v2, v4, s[8:9]
	s_or_b64 exec, exec, s[10:11]
	s_and_saveexec_b64 s[8:9], s[6:7]
	s_cbranch_execz .LBB558_67
.LBB558_294:
	s_mov_b32 s10, 0xcccccccd
	s_waitcnt vmcnt(0)
	v_mul_hi_u32 v4, v26, s10
	v_mov_b32_e32 v5, 0
	v_mad_u64_u32 v[6:7], s[6:7], v27, s10, v[4:5]
	v_mov_b32_e32 v4, v7
	v_mov_b32_e32 v7, v5
	s_mov_b32 s11, 0xcccccccc
	v_mad_u64_u32 v[6:7], s[6:7], v26, s11, v[6:7]
	v_mov_b32_e32 v6, v7
	v_mov_b32_e32 v7, v5
	v_lshl_add_u64 v[6:7], v[4:5], 0, v[6:7]
	v_mad_u64_u32 v[6:7], s[6:7], v27, s11, v[6:7]
	v_mul_hi_u32 v4, v2, s10
	v_alignbit_b32 v1, v7, v6, 3
	v_mad_u64_u32 v[6:7], s[6:7], v3, s10, v[4:5]
	v_mov_b32_e32 v4, v7
	v_mov_b32_e32 v7, v5
	v_mad_u64_u32 v[6:7], s[6:7], v2, s11, v[6:7]
	v_mov_b32_e32 v6, v7
	v_mov_b32_e32 v7, v5
	v_lshl_add_u64 v[6:7], v[4:5], 0, v[6:7]
	v_mad_u64_u32 v[6:7], s[6:7], v3, s11, v[6:7]
	v_alignbit_b32 v3, v7, v6, 3
	v_mul_lo_u32 v1, v1, 10
	v_mul_lo_u32 v3, v3, 10
	v_sub_u32_e32 v1, v26, v1
	v_sub_u32_e32 v2, v2, v3
	v_add_u32_e32 v4, v2, v1
	v_lshl_add_u64 v[2:3], v[4:5], 0, -10
	v_cmp_gt_u32_e64 s[6:7], 10, v4
	s_nop 1
	v_cndmask_b32_e64 v3, v3, 0, s[6:7]
	v_cndmask_b32_e64 v2, v2, v4, s[6:7]
	s_or_b64 exec, exec, s[8:9]
	s_and_saveexec_b64 s[6:7], s[4:5]
	s_cbranch_execz .LBB558_68
.LBB558_295:
	s_mov_b32 s8, 0xcccccccd
	s_waitcnt vmcnt(0)
	v_mul_hi_u32 v4, v28, s8
	v_mov_b32_e32 v5, 0
	v_mad_u64_u32 v[6:7], s[4:5], v29, s8, v[4:5]
	v_mov_b32_e32 v4, v7
	v_mov_b32_e32 v7, v5
	s_mov_b32 s9, 0xcccccccc
	v_mad_u64_u32 v[6:7], s[4:5], v28, s9, v[6:7]
	v_mov_b32_e32 v6, v7
	v_mov_b32_e32 v7, v5
	v_lshl_add_u64 v[6:7], v[4:5], 0, v[6:7]
	v_mad_u64_u32 v[6:7], s[4:5], v29, s9, v[6:7]
	v_mul_hi_u32 v4, v2, s8
	v_alignbit_b32 v1, v7, v6, 3
	v_mad_u64_u32 v[6:7], s[4:5], v3, s8, v[4:5]
	v_mov_b32_e32 v4, v7
	v_mov_b32_e32 v7, v5
	v_mad_u64_u32 v[6:7], s[4:5], v2, s9, v[6:7]
	v_mov_b32_e32 v6, v7
	v_mov_b32_e32 v7, v5
	v_lshl_add_u64 v[6:7], v[4:5], 0, v[6:7]
	v_mad_u64_u32 v[6:7], s[4:5], v3, s9, v[6:7]
	v_alignbit_b32 v3, v7, v6, 3
	v_mul_lo_u32 v1, v1, 10
	v_mul_lo_u32 v3, v3, 10
	v_sub_u32_e32 v1, v28, v1
	v_sub_u32_e32 v2, v2, v3
	v_add_u32_e32 v4, v2, v1
	v_lshl_add_u64 v[2:3], v[4:5], 0, -10
	v_cmp_gt_u32_e64 s[4:5], 10, v4
	s_nop 1
	v_cndmask_b32_e64 v3, v3, 0, s[4:5]
	v_cndmask_b32_e64 v2, v2, v4, s[4:5]
	s_or_b64 exec, exec, s[6:7]
	s_and_saveexec_b64 s[4:5], s[0:1]
	s_cbranch_execz .LBB558_69
.LBB558_296:
	s_mov_b32 s6, 0xcccccccd
	s_waitcnt vmcnt(0)
	v_mul_hi_u32 v4, v30, s6
	v_mov_b32_e32 v5, 0
	v_mad_u64_u32 v[6:7], s[0:1], v31, s6, v[4:5]
	v_mov_b32_e32 v4, v7
	v_mov_b32_e32 v7, v5
	s_mov_b32 s7, 0xcccccccc
	v_mad_u64_u32 v[6:7], s[0:1], v30, s7, v[6:7]
	v_mov_b32_e32 v6, v7
	v_mov_b32_e32 v7, v5
	v_lshl_add_u64 v[6:7], v[4:5], 0, v[6:7]
	v_mad_u64_u32 v[6:7], s[0:1], v31, s7, v[6:7]
	v_mul_hi_u32 v4, v2, s6
	v_alignbit_b32 v1, v7, v6, 3
	v_mad_u64_u32 v[6:7], s[0:1], v3, s6, v[4:5]
	v_mov_b32_e32 v4, v7
	v_mov_b32_e32 v7, v5
	v_mad_u64_u32 v[6:7], s[0:1], v2, s7, v[6:7]
	v_mov_b32_e32 v6, v7
	v_mov_b32_e32 v7, v5
	v_lshl_add_u64 v[6:7], v[4:5], 0, v[6:7]
	v_mad_u64_u32 v[6:7], s[0:1], v3, s7, v[6:7]
	v_alignbit_b32 v3, v7, v6, 3
	v_mul_lo_u32 v1, v1, 10
	v_mul_lo_u32 v3, v3, 10
	v_sub_u32_e32 v1, v30, v1
	v_sub_u32_e32 v2, v2, v3
	v_add_u32_e32 v4, v2, v1
	v_lshl_add_u64 v[2:3], v[4:5], 0, -10
	v_cmp_gt_u32_e64 s[0:1], 10, v4
	s_nop 1
	v_cndmask_b32_e64 v3, v3, 0, s[0:1]
	v_cndmask_b32_e64 v2, v2, v4, s[0:1]
	s_or_b64 exec, exec, s[4:5]
	s_and_saveexec_b64 s[0:1], vcc
	s_cbranch_execnz .LBB558_70
	s_branch .LBB558_71
.LBB558_297:
	v_lshlrev_b32_e32 v1, 3, v1
	global_load_dwordx2 v[16:17], v1, s[16:17]
	s_or_b64 exec, exec, s[18:19]
	s_and_saveexec_b64 s[16:17], s[12:13]
	s_cbranch_execz .LBB558_116
.LBB558_298:
	s_mov_b32 s18, 0xcccccccd
	s_waitcnt vmcnt(0)
	v_mul_hi_u32 v18, v4, s18
	v_mov_b32_e32 v19, 0
	v_mad_u64_u32 v[20:21], s[12:13], v5, s18, v[18:19]
	v_mov_b32_e32 v18, v21
	v_mov_b32_e32 v21, v19
	s_mov_b32 s19, 0xcccccccc
	v_mad_u64_u32 v[20:21], s[12:13], v4, s19, v[20:21]
	v_mov_b32_e32 v20, v21
	v_mov_b32_e32 v21, v19
	v_lshl_add_u64 v[20:21], v[18:19], 0, v[20:21]
	v_mad_u64_u32 v[20:21], s[12:13], v5, s19, v[20:21]
	v_alignbit_b32 v1, v21, v20, 3
	v_mul_lo_u32 v1, v1, 10
	v_mul_hi_u32 v18, v2, s18
	v_sub_u32_e32 v1, v4, v1
	v_mad_u64_u32 v[4:5], s[12:13], v3, s18, v[18:19]
	v_mov_b32_e32 v18, v5
	v_mov_b32_e32 v5, v19
	v_mad_u64_u32 v[4:5], s[12:13], v2, s19, v[4:5]
	v_mov_b32_e32 v4, v5
	v_mov_b32_e32 v5, v19
	v_lshl_add_u64 v[4:5], v[18:19], 0, v[4:5]
	v_mad_u64_u32 v[4:5], s[12:13], v3, s19, v[4:5]
	v_alignbit_b32 v3, v5, v4, 3
	v_mul_lo_u32 v3, v3, 10
	v_sub_u32_e32 v2, v2, v3
	v_add_u32_e32 v18, v1, v2
	v_lshl_add_u64 v[2:3], v[18:19], 0, -10
	v_cmp_gt_u32_e64 s[12:13], 10, v18
	s_nop 1
	v_cndmask_b32_e64 v3, v3, 0, s[12:13]
	v_cndmask_b32_e64 v2, v2, v18, s[12:13]
	s_or_b64 exec, exec, s[16:17]
	s_and_saveexec_b64 s[12:13], s[10:11]
	s_cbranch_execz .LBB558_117
.LBB558_299:
	s_mov_b32 s16, 0xcccccccd
	s_waitcnt vmcnt(0)
	v_mul_hi_u32 v4, v6, s16
	v_mov_b32_e32 v5, 0
	v_mad_u64_u32 v[18:19], s[10:11], v7, s16, v[4:5]
	v_mov_b32_e32 v4, v19
	v_mov_b32_e32 v19, v5
	s_mov_b32 s17, 0xcccccccc
	v_mad_u64_u32 v[18:19], s[10:11], v6, s17, v[18:19]
	v_mov_b32_e32 v18, v19
	v_mov_b32_e32 v19, v5
	v_lshl_add_u64 v[18:19], v[4:5], 0, v[18:19]
	v_mad_u64_u32 v[18:19], s[10:11], v7, s17, v[18:19]
	v_alignbit_b32 v1, v19, v18, 3
	v_mul_lo_u32 v1, v1, 10
	v_mul_hi_u32 v4, v2, s16
	v_sub_u32_e32 v1, v6, v1
	v_mad_u64_u32 v[6:7], s[10:11], v3, s16, v[4:5]
	v_mov_b32_e32 v4, v7
	v_mov_b32_e32 v7, v5
	v_mad_u64_u32 v[6:7], s[10:11], v2, s17, v[6:7]
	v_mov_b32_e32 v6, v7
	v_mov_b32_e32 v7, v5
	v_lshl_add_u64 v[6:7], v[4:5], 0, v[6:7]
	v_mad_u64_u32 v[6:7], s[10:11], v3, s17, v[6:7]
	v_alignbit_b32 v3, v7, v6, 3
	v_mul_lo_u32 v3, v3, 10
	v_sub_u32_e32 v2, v2, v3
	v_add_u32_e32 v4, v2, v1
	v_lshl_add_u64 v[2:3], v[4:5], 0, -10
	v_cmp_gt_u32_e64 s[10:11], 10, v4
	s_nop 1
	v_cndmask_b32_e64 v3, v3, 0, s[10:11]
	v_cndmask_b32_e64 v2, v2, v4, s[10:11]
	s_or_b64 exec, exec, s[12:13]
	s_and_saveexec_b64 s[10:11], s[8:9]
	s_cbranch_execz .LBB558_118
.LBB558_300:
	s_mov_b32 s12, 0xcccccccd
	s_waitcnt vmcnt(0)
	v_mul_hi_u32 v4, v8, s12
	v_mov_b32_e32 v5, 0
	v_mad_u64_u32 v[6:7], s[8:9], v9, s12, v[4:5]
	v_mov_b32_e32 v4, v7
	v_mov_b32_e32 v7, v5
	s_mov_b32 s13, 0xcccccccc
	v_mad_u64_u32 v[6:7], s[8:9], v8, s13, v[6:7]
	v_mov_b32_e32 v6, v7
	v_mov_b32_e32 v7, v5
	v_lshl_add_u64 v[6:7], v[4:5], 0, v[6:7]
	v_mad_u64_u32 v[6:7], s[8:9], v9, s13, v[6:7]
	v_mul_hi_u32 v4, v2, s12
	v_alignbit_b32 v1, v7, v6, 3
	v_mad_u64_u32 v[6:7], s[8:9], v3, s12, v[4:5]
	v_mov_b32_e32 v4, v7
	v_mov_b32_e32 v7, v5
	v_mad_u64_u32 v[6:7], s[8:9], v2, s13, v[6:7]
	v_mov_b32_e32 v6, v7
	v_mov_b32_e32 v7, v5
	v_lshl_add_u64 v[6:7], v[4:5], 0, v[6:7]
	v_mad_u64_u32 v[6:7], s[8:9], v3, s13, v[6:7]
	v_alignbit_b32 v3, v7, v6, 3
	v_mul_lo_u32 v1, v1, 10
	v_mul_lo_u32 v3, v3, 10
	v_sub_u32_e32 v1, v8, v1
	v_sub_u32_e32 v2, v2, v3
	v_add_u32_e32 v4, v2, v1
	v_lshl_add_u64 v[2:3], v[4:5], 0, -10
	v_cmp_gt_u32_e64 s[8:9], 10, v4
	s_nop 1
	v_cndmask_b32_e64 v3, v3, 0, s[8:9]
	v_cndmask_b32_e64 v2, v2, v4, s[8:9]
	s_or_b64 exec, exec, s[10:11]
	s_and_saveexec_b64 s[8:9], s[6:7]
	s_cbranch_execz .LBB558_119
.LBB558_301:
	s_mov_b32 s10, 0xcccccccd
	s_waitcnt vmcnt(0)
	v_mul_hi_u32 v4, v10, s10
	v_mov_b32_e32 v5, 0
	v_mad_u64_u32 v[6:7], s[6:7], v11, s10, v[4:5]
	v_mov_b32_e32 v4, v7
	v_mov_b32_e32 v7, v5
	s_mov_b32 s11, 0xcccccccc
	v_mad_u64_u32 v[6:7], s[6:7], v10, s11, v[6:7]
	v_mov_b32_e32 v6, v7
	v_mov_b32_e32 v7, v5
	v_lshl_add_u64 v[6:7], v[4:5], 0, v[6:7]
	v_mad_u64_u32 v[6:7], s[6:7], v11, s11, v[6:7]
	v_mul_hi_u32 v4, v2, s10
	v_alignbit_b32 v1, v7, v6, 3
	v_mad_u64_u32 v[6:7], s[6:7], v3, s10, v[4:5]
	v_mov_b32_e32 v4, v7
	v_mov_b32_e32 v7, v5
	v_mad_u64_u32 v[6:7], s[6:7], v2, s11, v[6:7]
	v_mov_b32_e32 v6, v7
	v_mov_b32_e32 v7, v5
	v_lshl_add_u64 v[6:7], v[4:5], 0, v[6:7]
	v_mad_u64_u32 v[6:7], s[6:7], v3, s11, v[6:7]
	v_alignbit_b32 v3, v7, v6, 3
	v_mul_lo_u32 v1, v1, 10
	v_mul_lo_u32 v3, v3, 10
	v_sub_u32_e32 v1, v10, v1
	v_sub_u32_e32 v2, v2, v3
	v_add_u32_e32 v4, v2, v1
	v_lshl_add_u64 v[2:3], v[4:5], 0, -10
	v_cmp_gt_u32_e64 s[6:7], 10, v4
	s_nop 1
	v_cndmask_b32_e64 v3, v3, 0, s[6:7]
	v_cndmask_b32_e64 v2, v2, v4, s[6:7]
	s_or_b64 exec, exec, s[8:9]
	s_and_saveexec_b64 s[6:7], s[4:5]
	s_cbranch_execz .LBB558_120
.LBB558_302:
	s_mov_b32 s8, 0xcccccccd
	s_waitcnt vmcnt(0)
	v_mul_hi_u32 v4, v12, s8
	v_mov_b32_e32 v5, 0
	v_mad_u64_u32 v[6:7], s[4:5], v13, s8, v[4:5]
	v_mov_b32_e32 v4, v7
	v_mov_b32_e32 v7, v5
	s_mov_b32 s9, 0xcccccccc
	v_mad_u64_u32 v[6:7], s[4:5], v12, s9, v[6:7]
	v_mov_b32_e32 v6, v7
	v_mov_b32_e32 v7, v5
	v_lshl_add_u64 v[6:7], v[4:5], 0, v[6:7]
	v_mad_u64_u32 v[6:7], s[4:5], v13, s9, v[6:7]
	v_mul_hi_u32 v4, v2, s8
	v_alignbit_b32 v1, v7, v6, 3
	v_mad_u64_u32 v[6:7], s[4:5], v3, s8, v[4:5]
	v_mov_b32_e32 v4, v7
	v_mov_b32_e32 v7, v5
	v_mad_u64_u32 v[6:7], s[4:5], v2, s9, v[6:7]
	v_mov_b32_e32 v6, v7
	v_mov_b32_e32 v7, v5
	v_lshl_add_u64 v[6:7], v[4:5], 0, v[6:7]
	v_mad_u64_u32 v[6:7], s[4:5], v3, s9, v[6:7]
	v_alignbit_b32 v3, v7, v6, 3
	v_mul_lo_u32 v1, v1, 10
	v_mul_lo_u32 v3, v3, 10
	v_sub_u32_e32 v1, v12, v1
	v_sub_u32_e32 v2, v2, v3
	v_add_u32_e32 v4, v2, v1
	v_lshl_add_u64 v[2:3], v[4:5], 0, -10
	v_cmp_gt_u32_e64 s[4:5], 10, v4
	s_nop 1
	v_cndmask_b32_e64 v3, v3, 0, s[4:5]
	v_cndmask_b32_e64 v2, v2, v4, s[4:5]
	s_or_b64 exec, exec, s[6:7]
	s_and_saveexec_b64 s[4:5], s[0:1]
	s_cbranch_execz .LBB558_121
.LBB558_303:
	s_mov_b32 s6, 0xcccccccd
	s_waitcnt vmcnt(0)
	v_mul_hi_u32 v4, v14, s6
	v_mov_b32_e32 v5, 0
	v_mad_u64_u32 v[6:7], s[0:1], v15, s6, v[4:5]
	v_mov_b32_e32 v4, v7
	v_mov_b32_e32 v7, v5
	s_mov_b32 s7, 0xcccccccc
	v_mad_u64_u32 v[6:7], s[0:1], v14, s7, v[6:7]
	v_mov_b32_e32 v6, v7
	v_mov_b32_e32 v7, v5
	v_lshl_add_u64 v[6:7], v[4:5], 0, v[6:7]
	v_mad_u64_u32 v[6:7], s[0:1], v15, s7, v[6:7]
	v_mul_hi_u32 v4, v2, s6
	v_alignbit_b32 v1, v7, v6, 3
	v_mad_u64_u32 v[6:7], s[0:1], v3, s6, v[4:5]
	v_mov_b32_e32 v4, v7
	v_mov_b32_e32 v7, v5
	v_mad_u64_u32 v[6:7], s[0:1], v2, s7, v[6:7]
	v_mov_b32_e32 v6, v7
	v_mov_b32_e32 v7, v5
	v_lshl_add_u64 v[6:7], v[4:5], 0, v[6:7]
	v_mad_u64_u32 v[6:7], s[0:1], v3, s7, v[6:7]
	v_alignbit_b32 v3, v7, v6, 3
	v_mul_lo_u32 v1, v1, 10
	v_mul_lo_u32 v3, v3, 10
	v_sub_u32_e32 v1, v14, v1
	v_sub_u32_e32 v2, v2, v3
	v_add_u32_e32 v4, v2, v1
	v_lshl_add_u64 v[2:3], v[4:5], 0, -10
	v_cmp_gt_u32_e64 s[0:1], 10, v4
	s_nop 1
	v_cndmask_b32_e64 v3, v3, 0, s[0:1]
	v_cndmask_b32_e64 v2, v2, v4, s[0:1]
	s_or_b64 exec, exec, s[4:5]
	s_and_saveexec_b64 s[0:1], vcc
	s_cbranch_execnz .LBB558_122
	s_branch .LBB558_123
	.section	.rodata,"a",@progbits
	.p2align	6, 0x0
	.amdhsa_kernel _ZN7rocprim17ROCPRIM_400000_NS6detail17trampoline_kernelINS0_14default_configENS1_22reduce_config_selectorImEEZNS1_11reduce_implILb1ES3_PmS7_m11plus_mod_10ImEEE10hipError_tPvRmT1_T2_T3_mT4_P12ihipStream_tbEUlT_E1_NS1_11comp_targetILNS1_3genE0ELNS1_11target_archE4294967295ELNS1_3gpuE0ELNS1_3repE0EEENS1_30default_config_static_selectorELNS0_4arch9wavefront6targetE1EEEvSD_
		.amdhsa_group_segment_fixed_size 192
		.amdhsa_private_segment_fixed_size 0
		.amdhsa_kernarg_size 48
		.amdhsa_user_sgpr_count 2
		.amdhsa_user_sgpr_dispatch_ptr 0
		.amdhsa_user_sgpr_queue_ptr 0
		.amdhsa_user_sgpr_kernarg_segment_ptr 1
		.amdhsa_user_sgpr_dispatch_id 0
		.amdhsa_user_sgpr_kernarg_preload_length 0
		.amdhsa_user_sgpr_kernarg_preload_offset 0
		.amdhsa_user_sgpr_private_segment_size 0
		.amdhsa_uses_dynamic_stack 0
		.amdhsa_enable_private_segment 0
		.amdhsa_system_sgpr_workgroup_id_x 1
		.amdhsa_system_sgpr_workgroup_id_y 0
		.amdhsa_system_sgpr_workgroup_id_z 0
		.amdhsa_system_sgpr_workgroup_info 0
		.amdhsa_system_vgpr_workitem_id 0
		.amdhsa_next_free_vgpr 46
		.amdhsa_next_free_sgpr 47
		.amdhsa_accum_offset 48
		.amdhsa_reserve_vcc 1
		.amdhsa_float_round_mode_32 0
		.amdhsa_float_round_mode_16_64 0
		.amdhsa_float_denorm_mode_32 3
		.amdhsa_float_denorm_mode_16_64 3
		.amdhsa_dx10_clamp 1
		.amdhsa_ieee_mode 1
		.amdhsa_fp16_overflow 0
		.amdhsa_tg_split 0
		.amdhsa_exception_fp_ieee_invalid_op 0
		.amdhsa_exception_fp_denorm_src 0
		.amdhsa_exception_fp_ieee_div_zero 0
		.amdhsa_exception_fp_ieee_overflow 0
		.amdhsa_exception_fp_ieee_underflow 0
		.amdhsa_exception_fp_ieee_inexact 0
		.amdhsa_exception_int_div_zero 0
	.end_amdhsa_kernel
	.section	.text._ZN7rocprim17ROCPRIM_400000_NS6detail17trampoline_kernelINS0_14default_configENS1_22reduce_config_selectorImEEZNS1_11reduce_implILb1ES3_PmS7_m11plus_mod_10ImEEE10hipError_tPvRmT1_T2_T3_mT4_P12ihipStream_tbEUlT_E1_NS1_11comp_targetILNS1_3genE0ELNS1_11target_archE4294967295ELNS1_3gpuE0ELNS1_3repE0EEENS1_30default_config_static_selectorELNS0_4arch9wavefront6targetE1EEEvSD_,"axG",@progbits,_ZN7rocprim17ROCPRIM_400000_NS6detail17trampoline_kernelINS0_14default_configENS1_22reduce_config_selectorImEEZNS1_11reduce_implILb1ES3_PmS7_m11plus_mod_10ImEEE10hipError_tPvRmT1_T2_T3_mT4_P12ihipStream_tbEUlT_E1_NS1_11comp_targetILNS1_3genE0ELNS1_11target_archE4294967295ELNS1_3gpuE0ELNS1_3repE0EEENS1_30default_config_static_selectorELNS0_4arch9wavefront6targetE1EEEvSD_,comdat
.Lfunc_end558:
	.size	_ZN7rocprim17ROCPRIM_400000_NS6detail17trampoline_kernelINS0_14default_configENS1_22reduce_config_selectorImEEZNS1_11reduce_implILb1ES3_PmS7_m11plus_mod_10ImEEE10hipError_tPvRmT1_T2_T3_mT4_P12ihipStream_tbEUlT_E1_NS1_11comp_targetILNS1_3genE0ELNS1_11target_archE4294967295ELNS1_3gpuE0ELNS1_3repE0EEENS1_30default_config_static_selectorELNS0_4arch9wavefront6targetE1EEEvSD_, .Lfunc_end558-_ZN7rocprim17ROCPRIM_400000_NS6detail17trampoline_kernelINS0_14default_configENS1_22reduce_config_selectorImEEZNS1_11reduce_implILb1ES3_PmS7_m11plus_mod_10ImEEE10hipError_tPvRmT1_T2_T3_mT4_P12ihipStream_tbEUlT_E1_NS1_11comp_targetILNS1_3genE0ELNS1_11target_archE4294967295ELNS1_3gpuE0ELNS1_3repE0EEENS1_30default_config_static_selectorELNS0_4arch9wavefront6targetE1EEEvSD_
                                        ; -- End function
	.set _ZN7rocprim17ROCPRIM_400000_NS6detail17trampoline_kernelINS0_14default_configENS1_22reduce_config_selectorImEEZNS1_11reduce_implILb1ES3_PmS7_m11plus_mod_10ImEEE10hipError_tPvRmT1_T2_T3_mT4_P12ihipStream_tbEUlT_E1_NS1_11comp_targetILNS1_3genE0ELNS1_11target_archE4294967295ELNS1_3gpuE0ELNS1_3repE0EEENS1_30default_config_static_selectorELNS0_4arch9wavefront6targetE1EEEvSD_.num_vgpr, 46
	.set _ZN7rocprim17ROCPRIM_400000_NS6detail17trampoline_kernelINS0_14default_configENS1_22reduce_config_selectorImEEZNS1_11reduce_implILb1ES3_PmS7_m11plus_mod_10ImEEE10hipError_tPvRmT1_T2_T3_mT4_P12ihipStream_tbEUlT_E1_NS1_11comp_targetILNS1_3genE0ELNS1_11target_archE4294967295ELNS1_3gpuE0ELNS1_3repE0EEENS1_30default_config_static_selectorELNS0_4arch9wavefront6targetE1EEEvSD_.num_agpr, 0
	.set _ZN7rocprim17ROCPRIM_400000_NS6detail17trampoline_kernelINS0_14default_configENS1_22reduce_config_selectorImEEZNS1_11reduce_implILb1ES3_PmS7_m11plus_mod_10ImEEE10hipError_tPvRmT1_T2_T3_mT4_P12ihipStream_tbEUlT_E1_NS1_11comp_targetILNS1_3genE0ELNS1_11target_archE4294967295ELNS1_3gpuE0ELNS1_3repE0EEENS1_30default_config_static_selectorELNS0_4arch9wavefront6targetE1EEEvSD_.numbered_sgpr, 47
	.set _ZN7rocprim17ROCPRIM_400000_NS6detail17trampoline_kernelINS0_14default_configENS1_22reduce_config_selectorImEEZNS1_11reduce_implILb1ES3_PmS7_m11plus_mod_10ImEEE10hipError_tPvRmT1_T2_T3_mT4_P12ihipStream_tbEUlT_E1_NS1_11comp_targetILNS1_3genE0ELNS1_11target_archE4294967295ELNS1_3gpuE0ELNS1_3repE0EEENS1_30default_config_static_selectorELNS0_4arch9wavefront6targetE1EEEvSD_.num_named_barrier, 0
	.set _ZN7rocprim17ROCPRIM_400000_NS6detail17trampoline_kernelINS0_14default_configENS1_22reduce_config_selectorImEEZNS1_11reduce_implILb1ES3_PmS7_m11plus_mod_10ImEEE10hipError_tPvRmT1_T2_T3_mT4_P12ihipStream_tbEUlT_E1_NS1_11comp_targetILNS1_3genE0ELNS1_11target_archE4294967295ELNS1_3gpuE0ELNS1_3repE0EEENS1_30default_config_static_selectorELNS0_4arch9wavefront6targetE1EEEvSD_.private_seg_size, 0
	.set _ZN7rocprim17ROCPRIM_400000_NS6detail17trampoline_kernelINS0_14default_configENS1_22reduce_config_selectorImEEZNS1_11reduce_implILb1ES3_PmS7_m11plus_mod_10ImEEE10hipError_tPvRmT1_T2_T3_mT4_P12ihipStream_tbEUlT_E1_NS1_11comp_targetILNS1_3genE0ELNS1_11target_archE4294967295ELNS1_3gpuE0ELNS1_3repE0EEENS1_30default_config_static_selectorELNS0_4arch9wavefront6targetE1EEEvSD_.uses_vcc, 1
	.set _ZN7rocprim17ROCPRIM_400000_NS6detail17trampoline_kernelINS0_14default_configENS1_22reduce_config_selectorImEEZNS1_11reduce_implILb1ES3_PmS7_m11plus_mod_10ImEEE10hipError_tPvRmT1_T2_T3_mT4_P12ihipStream_tbEUlT_E1_NS1_11comp_targetILNS1_3genE0ELNS1_11target_archE4294967295ELNS1_3gpuE0ELNS1_3repE0EEENS1_30default_config_static_selectorELNS0_4arch9wavefront6targetE1EEEvSD_.uses_flat_scratch, 0
	.set _ZN7rocprim17ROCPRIM_400000_NS6detail17trampoline_kernelINS0_14default_configENS1_22reduce_config_selectorImEEZNS1_11reduce_implILb1ES3_PmS7_m11plus_mod_10ImEEE10hipError_tPvRmT1_T2_T3_mT4_P12ihipStream_tbEUlT_E1_NS1_11comp_targetILNS1_3genE0ELNS1_11target_archE4294967295ELNS1_3gpuE0ELNS1_3repE0EEENS1_30default_config_static_selectorELNS0_4arch9wavefront6targetE1EEEvSD_.has_dyn_sized_stack, 0
	.set _ZN7rocprim17ROCPRIM_400000_NS6detail17trampoline_kernelINS0_14default_configENS1_22reduce_config_selectorImEEZNS1_11reduce_implILb1ES3_PmS7_m11plus_mod_10ImEEE10hipError_tPvRmT1_T2_T3_mT4_P12ihipStream_tbEUlT_E1_NS1_11comp_targetILNS1_3genE0ELNS1_11target_archE4294967295ELNS1_3gpuE0ELNS1_3repE0EEENS1_30default_config_static_selectorELNS0_4arch9wavefront6targetE1EEEvSD_.has_recursion, 0
	.set _ZN7rocprim17ROCPRIM_400000_NS6detail17trampoline_kernelINS0_14default_configENS1_22reduce_config_selectorImEEZNS1_11reduce_implILb1ES3_PmS7_m11plus_mod_10ImEEE10hipError_tPvRmT1_T2_T3_mT4_P12ihipStream_tbEUlT_E1_NS1_11comp_targetILNS1_3genE0ELNS1_11target_archE4294967295ELNS1_3gpuE0ELNS1_3repE0EEENS1_30default_config_static_selectorELNS0_4arch9wavefront6targetE1EEEvSD_.has_indirect_call, 0
	.section	.AMDGPU.csdata,"",@progbits
; Kernel info:
; codeLenInByte = 35588
; TotalNumSgprs: 53
; NumVgprs: 46
; NumAgprs: 0
; TotalNumVgprs: 46
; ScratchSize: 0
; MemoryBound: 0
; FloatMode: 240
; IeeeMode: 1
; LDSByteSize: 192 bytes/workgroup (compile time only)
; SGPRBlocks: 6
; VGPRBlocks: 5
; NumSGPRsForWavesPerEU: 53
; NumVGPRsForWavesPerEU: 46
; AccumOffset: 48
; Occupancy: 8
; WaveLimiterHint : 1
; COMPUTE_PGM_RSRC2:SCRATCH_EN: 0
; COMPUTE_PGM_RSRC2:USER_SGPR: 2
; COMPUTE_PGM_RSRC2:TRAP_HANDLER: 0
; COMPUTE_PGM_RSRC2:TGID_X_EN: 1
; COMPUTE_PGM_RSRC2:TGID_Y_EN: 0
; COMPUTE_PGM_RSRC2:TGID_Z_EN: 0
; COMPUTE_PGM_RSRC2:TIDIG_COMP_CNT: 0
; COMPUTE_PGM_RSRC3_GFX90A:ACCUM_OFFSET: 11
; COMPUTE_PGM_RSRC3_GFX90A:TG_SPLIT: 0
	.section	.text._ZN7rocprim17ROCPRIM_400000_NS6detail17trampoline_kernelINS0_14default_configENS1_22reduce_config_selectorImEEZNS1_11reduce_implILb1ES3_PmS7_m11plus_mod_10ImEEE10hipError_tPvRmT1_T2_T3_mT4_P12ihipStream_tbEUlT_E1_NS1_11comp_targetILNS1_3genE5ELNS1_11target_archE942ELNS1_3gpuE9ELNS1_3repE0EEENS1_30default_config_static_selectorELNS0_4arch9wavefront6targetE1EEEvSD_,"axG",@progbits,_ZN7rocprim17ROCPRIM_400000_NS6detail17trampoline_kernelINS0_14default_configENS1_22reduce_config_selectorImEEZNS1_11reduce_implILb1ES3_PmS7_m11plus_mod_10ImEEE10hipError_tPvRmT1_T2_T3_mT4_P12ihipStream_tbEUlT_E1_NS1_11comp_targetILNS1_3genE5ELNS1_11target_archE942ELNS1_3gpuE9ELNS1_3repE0EEENS1_30default_config_static_selectorELNS0_4arch9wavefront6targetE1EEEvSD_,comdat
	.protected	_ZN7rocprim17ROCPRIM_400000_NS6detail17trampoline_kernelINS0_14default_configENS1_22reduce_config_selectorImEEZNS1_11reduce_implILb1ES3_PmS7_m11plus_mod_10ImEEE10hipError_tPvRmT1_T2_T3_mT4_P12ihipStream_tbEUlT_E1_NS1_11comp_targetILNS1_3genE5ELNS1_11target_archE942ELNS1_3gpuE9ELNS1_3repE0EEENS1_30default_config_static_selectorELNS0_4arch9wavefront6targetE1EEEvSD_ ; -- Begin function _ZN7rocprim17ROCPRIM_400000_NS6detail17trampoline_kernelINS0_14default_configENS1_22reduce_config_selectorImEEZNS1_11reduce_implILb1ES3_PmS7_m11plus_mod_10ImEEE10hipError_tPvRmT1_T2_T3_mT4_P12ihipStream_tbEUlT_E1_NS1_11comp_targetILNS1_3genE5ELNS1_11target_archE942ELNS1_3gpuE9ELNS1_3repE0EEENS1_30default_config_static_selectorELNS0_4arch9wavefront6targetE1EEEvSD_
	.globl	_ZN7rocprim17ROCPRIM_400000_NS6detail17trampoline_kernelINS0_14default_configENS1_22reduce_config_selectorImEEZNS1_11reduce_implILb1ES3_PmS7_m11plus_mod_10ImEEE10hipError_tPvRmT1_T2_T3_mT4_P12ihipStream_tbEUlT_E1_NS1_11comp_targetILNS1_3genE5ELNS1_11target_archE942ELNS1_3gpuE9ELNS1_3repE0EEENS1_30default_config_static_selectorELNS0_4arch9wavefront6targetE1EEEvSD_
	.p2align	8
	.type	_ZN7rocprim17ROCPRIM_400000_NS6detail17trampoline_kernelINS0_14default_configENS1_22reduce_config_selectorImEEZNS1_11reduce_implILb1ES3_PmS7_m11plus_mod_10ImEEE10hipError_tPvRmT1_T2_T3_mT4_P12ihipStream_tbEUlT_E1_NS1_11comp_targetILNS1_3genE5ELNS1_11target_archE942ELNS1_3gpuE9ELNS1_3repE0EEENS1_30default_config_static_selectorELNS0_4arch9wavefront6targetE1EEEvSD_,@function
_ZN7rocprim17ROCPRIM_400000_NS6detail17trampoline_kernelINS0_14default_configENS1_22reduce_config_selectorImEEZNS1_11reduce_implILb1ES3_PmS7_m11plus_mod_10ImEEE10hipError_tPvRmT1_T2_T3_mT4_P12ihipStream_tbEUlT_E1_NS1_11comp_targetILNS1_3genE5ELNS1_11target_archE942ELNS1_3gpuE9ELNS1_3repE0EEENS1_30default_config_static_selectorELNS0_4arch9wavefront6targetE1EEEvSD_: ; @_ZN7rocprim17ROCPRIM_400000_NS6detail17trampoline_kernelINS0_14default_configENS1_22reduce_config_selectorImEEZNS1_11reduce_implILb1ES3_PmS7_m11plus_mod_10ImEEE10hipError_tPvRmT1_T2_T3_mT4_P12ihipStream_tbEUlT_E1_NS1_11comp_targetILNS1_3genE5ELNS1_11target_archE942ELNS1_3gpuE9ELNS1_3repE0EEENS1_30default_config_static_selectorELNS0_4arch9wavefront6targetE1EEEvSD_
; %bb.0:
	.section	.rodata,"a",@progbits
	.p2align	6, 0x0
	.amdhsa_kernel _ZN7rocprim17ROCPRIM_400000_NS6detail17trampoline_kernelINS0_14default_configENS1_22reduce_config_selectorImEEZNS1_11reduce_implILb1ES3_PmS7_m11plus_mod_10ImEEE10hipError_tPvRmT1_T2_T3_mT4_P12ihipStream_tbEUlT_E1_NS1_11comp_targetILNS1_3genE5ELNS1_11target_archE942ELNS1_3gpuE9ELNS1_3repE0EEENS1_30default_config_static_selectorELNS0_4arch9wavefront6targetE1EEEvSD_
		.amdhsa_group_segment_fixed_size 0
		.amdhsa_private_segment_fixed_size 0
		.amdhsa_kernarg_size 48
		.amdhsa_user_sgpr_count 2
		.amdhsa_user_sgpr_dispatch_ptr 0
		.amdhsa_user_sgpr_queue_ptr 0
		.amdhsa_user_sgpr_kernarg_segment_ptr 1
		.amdhsa_user_sgpr_dispatch_id 0
		.amdhsa_user_sgpr_kernarg_preload_length 0
		.amdhsa_user_sgpr_kernarg_preload_offset 0
		.amdhsa_user_sgpr_private_segment_size 0
		.amdhsa_uses_dynamic_stack 0
		.amdhsa_enable_private_segment 0
		.amdhsa_system_sgpr_workgroup_id_x 1
		.amdhsa_system_sgpr_workgroup_id_y 0
		.amdhsa_system_sgpr_workgroup_id_z 0
		.amdhsa_system_sgpr_workgroup_info 0
		.amdhsa_system_vgpr_workitem_id 0
		.amdhsa_next_free_vgpr 1
		.amdhsa_next_free_sgpr 0
		.amdhsa_accum_offset 4
		.amdhsa_reserve_vcc 0
		.amdhsa_float_round_mode_32 0
		.amdhsa_float_round_mode_16_64 0
		.amdhsa_float_denorm_mode_32 3
		.amdhsa_float_denorm_mode_16_64 3
		.amdhsa_dx10_clamp 1
		.amdhsa_ieee_mode 1
		.amdhsa_fp16_overflow 0
		.amdhsa_tg_split 0
		.amdhsa_exception_fp_ieee_invalid_op 0
		.amdhsa_exception_fp_denorm_src 0
		.amdhsa_exception_fp_ieee_div_zero 0
		.amdhsa_exception_fp_ieee_overflow 0
		.amdhsa_exception_fp_ieee_underflow 0
		.amdhsa_exception_fp_ieee_inexact 0
		.amdhsa_exception_int_div_zero 0
	.end_amdhsa_kernel
	.section	.text._ZN7rocprim17ROCPRIM_400000_NS6detail17trampoline_kernelINS0_14default_configENS1_22reduce_config_selectorImEEZNS1_11reduce_implILb1ES3_PmS7_m11plus_mod_10ImEEE10hipError_tPvRmT1_T2_T3_mT4_P12ihipStream_tbEUlT_E1_NS1_11comp_targetILNS1_3genE5ELNS1_11target_archE942ELNS1_3gpuE9ELNS1_3repE0EEENS1_30default_config_static_selectorELNS0_4arch9wavefront6targetE1EEEvSD_,"axG",@progbits,_ZN7rocprim17ROCPRIM_400000_NS6detail17trampoline_kernelINS0_14default_configENS1_22reduce_config_selectorImEEZNS1_11reduce_implILb1ES3_PmS7_m11plus_mod_10ImEEE10hipError_tPvRmT1_T2_T3_mT4_P12ihipStream_tbEUlT_E1_NS1_11comp_targetILNS1_3genE5ELNS1_11target_archE942ELNS1_3gpuE9ELNS1_3repE0EEENS1_30default_config_static_selectorELNS0_4arch9wavefront6targetE1EEEvSD_,comdat
.Lfunc_end559:
	.size	_ZN7rocprim17ROCPRIM_400000_NS6detail17trampoline_kernelINS0_14default_configENS1_22reduce_config_selectorImEEZNS1_11reduce_implILb1ES3_PmS7_m11plus_mod_10ImEEE10hipError_tPvRmT1_T2_T3_mT4_P12ihipStream_tbEUlT_E1_NS1_11comp_targetILNS1_3genE5ELNS1_11target_archE942ELNS1_3gpuE9ELNS1_3repE0EEENS1_30default_config_static_selectorELNS0_4arch9wavefront6targetE1EEEvSD_, .Lfunc_end559-_ZN7rocprim17ROCPRIM_400000_NS6detail17trampoline_kernelINS0_14default_configENS1_22reduce_config_selectorImEEZNS1_11reduce_implILb1ES3_PmS7_m11plus_mod_10ImEEE10hipError_tPvRmT1_T2_T3_mT4_P12ihipStream_tbEUlT_E1_NS1_11comp_targetILNS1_3genE5ELNS1_11target_archE942ELNS1_3gpuE9ELNS1_3repE0EEENS1_30default_config_static_selectorELNS0_4arch9wavefront6targetE1EEEvSD_
                                        ; -- End function
	.set _ZN7rocprim17ROCPRIM_400000_NS6detail17trampoline_kernelINS0_14default_configENS1_22reduce_config_selectorImEEZNS1_11reduce_implILb1ES3_PmS7_m11plus_mod_10ImEEE10hipError_tPvRmT1_T2_T3_mT4_P12ihipStream_tbEUlT_E1_NS1_11comp_targetILNS1_3genE5ELNS1_11target_archE942ELNS1_3gpuE9ELNS1_3repE0EEENS1_30default_config_static_selectorELNS0_4arch9wavefront6targetE1EEEvSD_.num_vgpr, 0
	.set _ZN7rocprim17ROCPRIM_400000_NS6detail17trampoline_kernelINS0_14default_configENS1_22reduce_config_selectorImEEZNS1_11reduce_implILb1ES3_PmS7_m11plus_mod_10ImEEE10hipError_tPvRmT1_T2_T3_mT4_P12ihipStream_tbEUlT_E1_NS1_11comp_targetILNS1_3genE5ELNS1_11target_archE942ELNS1_3gpuE9ELNS1_3repE0EEENS1_30default_config_static_selectorELNS0_4arch9wavefront6targetE1EEEvSD_.num_agpr, 0
	.set _ZN7rocprim17ROCPRIM_400000_NS6detail17trampoline_kernelINS0_14default_configENS1_22reduce_config_selectorImEEZNS1_11reduce_implILb1ES3_PmS7_m11plus_mod_10ImEEE10hipError_tPvRmT1_T2_T3_mT4_P12ihipStream_tbEUlT_E1_NS1_11comp_targetILNS1_3genE5ELNS1_11target_archE942ELNS1_3gpuE9ELNS1_3repE0EEENS1_30default_config_static_selectorELNS0_4arch9wavefront6targetE1EEEvSD_.numbered_sgpr, 0
	.set _ZN7rocprim17ROCPRIM_400000_NS6detail17trampoline_kernelINS0_14default_configENS1_22reduce_config_selectorImEEZNS1_11reduce_implILb1ES3_PmS7_m11plus_mod_10ImEEE10hipError_tPvRmT1_T2_T3_mT4_P12ihipStream_tbEUlT_E1_NS1_11comp_targetILNS1_3genE5ELNS1_11target_archE942ELNS1_3gpuE9ELNS1_3repE0EEENS1_30default_config_static_selectorELNS0_4arch9wavefront6targetE1EEEvSD_.num_named_barrier, 0
	.set _ZN7rocprim17ROCPRIM_400000_NS6detail17trampoline_kernelINS0_14default_configENS1_22reduce_config_selectorImEEZNS1_11reduce_implILb1ES3_PmS7_m11plus_mod_10ImEEE10hipError_tPvRmT1_T2_T3_mT4_P12ihipStream_tbEUlT_E1_NS1_11comp_targetILNS1_3genE5ELNS1_11target_archE942ELNS1_3gpuE9ELNS1_3repE0EEENS1_30default_config_static_selectorELNS0_4arch9wavefront6targetE1EEEvSD_.private_seg_size, 0
	.set _ZN7rocprim17ROCPRIM_400000_NS6detail17trampoline_kernelINS0_14default_configENS1_22reduce_config_selectorImEEZNS1_11reduce_implILb1ES3_PmS7_m11plus_mod_10ImEEE10hipError_tPvRmT1_T2_T3_mT4_P12ihipStream_tbEUlT_E1_NS1_11comp_targetILNS1_3genE5ELNS1_11target_archE942ELNS1_3gpuE9ELNS1_3repE0EEENS1_30default_config_static_selectorELNS0_4arch9wavefront6targetE1EEEvSD_.uses_vcc, 0
	.set _ZN7rocprim17ROCPRIM_400000_NS6detail17trampoline_kernelINS0_14default_configENS1_22reduce_config_selectorImEEZNS1_11reduce_implILb1ES3_PmS7_m11plus_mod_10ImEEE10hipError_tPvRmT1_T2_T3_mT4_P12ihipStream_tbEUlT_E1_NS1_11comp_targetILNS1_3genE5ELNS1_11target_archE942ELNS1_3gpuE9ELNS1_3repE0EEENS1_30default_config_static_selectorELNS0_4arch9wavefront6targetE1EEEvSD_.uses_flat_scratch, 0
	.set _ZN7rocprim17ROCPRIM_400000_NS6detail17trampoline_kernelINS0_14default_configENS1_22reduce_config_selectorImEEZNS1_11reduce_implILb1ES3_PmS7_m11plus_mod_10ImEEE10hipError_tPvRmT1_T2_T3_mT4_P12ihipStream_tbEUlT_E1_NS1_11comp_targetILNS1_3genE5ELNS1_11target_archE942ELNS1_3gpuE9ELNS1_3repE0EEENS1_30default_config_static_selectorELNS0_4arch9wavefront6targetE1EEEvSD_.has_dyn_sized_stack, 0
	.set _ZN7rocprim17ROCPRIM_400000_NS6detail17trampoline_kernelINS0_14default_configENS1_22reduce_config_selectorImEEZNS1_11reduce_implILb1ES3_PmS7_m11plus_mod_10ImEEE10hipError_tPvRmT1_T2_T3_mT4_P12ihipStream_tbEUlT_E1_NS1_11comp_targetILNS1_3genE5ELNS1_11target_archE942ELNS1_3gpuE9ELNS1_3repE0EEENS1_30default_config_static_selectorELNS0_4arch9wavefront6targetE1EEEvSD_.has_recursion, 0
	.set _ZN7rocprim17ROCPRIM_400000_NS6detail17trampoline_kernelINS0_14default_configENS1_22reduce_config_selectorImEEZNS1_11reduce_implILb1ES3_PmS7_m11plus_mod_10ImEEE10hipError_tPvRmT1_T2_T3_mT4_P12ihipStream_tbEUlT_E1_NS1_11comp_targetILNS1_3genE5ELNS1_11target_archE942ELNS1_3gpuE9ELNS1_3repE0EEENS1_30default_config_static_selectorELNS0_4arch9wavefront6targetE1EEEvSD_.has_indirect_call, 0
	.section	.AMDGPU.csdata,"",@progbits
; Kernel info:
; codeLenInByte = 0
; TotalNumSgprs: 6
; NumVgprs: 0
; NumAgprs: 0
; TotalNumVgprs: 0
; ScratchSize: 0
; MemoryBound: 0
; FloatMode: 240
; IeeeMode: 1
; LDSByteSize: 0 bytes/workgroup (compile time only)
; SGPRBlocks: 0
; VGPRBlocks: 0
; NumSGPRsForWavesPerEU: 6
; NumVGPRsForWavesPerEU: 1
; AccumOffset: 4
; Occupancy: 8
; WaveLimiterHint : 0
; COMPUTE_PGM_RSRC2:SCRATCH_EN: 0
; COMPUTE_PGM_RSRC2:USER_SGPR: 2
; COMPUTE_PGM_RSRC2:TRAP_HANDLER: 0
; COMPUTE_PGM_RSRC2:TGID_X_EN: 1
; COMPUTE_PGM_RSRC2:TGID_Y_EN: 0
; COMPUTE_PGM_RSRC2:TGID_Z_EN: 0
; COMPUTE_PGM_RSRC2:TIDIG_COMP_CNT: 0
; COMPUTE_PGM_RSRC3_GFX90A:ACCUM_OFFSET: 0
; COMPUTE_PGM_RSRC3_GFX90A:TG_SPLIT: 0
	.section	.text._ZN7rocprim17ROCPRIM_400000_NS6detail17trampoline_kernelINS0_14default_configENS1_22reduce_config_selectorImEEZNS1_11reduce_implILb1ES3_PmS7_m11plus_mod_10ImEEE10hipError_tPvRmT1_T2_T3_mT4_P12ihipStream_tbEUlT_E1_NS1_11comp_targetILNS1_3genE4ELNS1_11target_archE910ELNS1_3gpuE8ELNS1_3repE0EEENS1_30default_config_static_selectorELNS0_4arch9wavefront6targetE1EEEvSD_,"axG",@progbits,_ZN7rocprim17ROCPRIM_400000_NS6detail17trampoline_kernelINS0_14default_configENS1_22reduce_config_selectorImEEZNS1_11reduce_implILb1ES3_PmS7_m11plus_mod_10ImEEE10hipError_tPvRmT1_T2_T3_mT4_P12ihipStream_tbEUlT_E1_NS1_11comp_targetILNS1_3genE4ELNS1_11target_archE910ELNS1_3gpuE8ELNS1_3repE0EEENS1_30default_config_static_selectorELNS0_4arch9wavefront6targetE1EEEvSD_,comdat
	.protected	_ZN7rocprim17ROCPRIM_400000_NS6detail17trampoline_kernelINS0_14default_configENS1_22reduce_config_selectorImEEZNS1_11reduce_implILb1ES3_PmS7_m11plus_mod_10ImEEE10hipError_tPvRmT1_T2_T3_mT4_P12ihipStream_tbEUlT_E1_NS1_11comp_targetILNS1_3genE4ELNS1_11target_archE910ELNS1_3gpuE8ELNS1_3repE0EEENS1_30default_config_static_selectorELNS0_4arch9wavefront6targetE1EEEvSD_ ; -- Begin function _ZN7rocprim17ROCPRIM_400000_NS6detail17trampoline_kernelINS0_14default_configENS1_22reduce_config_selectorImEEZNS1_11reduce_implILb1ES3_PmS7_m11plus_mod_10ImEEE10hipError_tPvRmT1_T2_T3_mT4_P12ihipStream_tbEUlT_E1_NS1_11comp_targetILNS1_3genE4ELNS1_11target_archE910ELNS1_3gpuE8ELNS1_3repE0EEENS1_30default_config_static_selectorELNS0_4arch9wavefront6targetE1EEEvSD_
	.globl	_ZN7rocprim17ROCPRIM_400000_NS6detail17trampoline_kernelINS0_14default_configENS1_22reduce_config_selectorImEEZNS1_11reduce_implILb1ES3_PmS7_m11plus_mod_10ImEEE10hipError_tPvRmT1_T2_T3_mT4_P12ihipStream_tbEUlT_E1_NS1_11comp_targetILNS1_3genE4ELNS1_11target_archE910ELNS1_3gpuE8ELNS1_3repE0EEENS1_30default_config_static_selectorELNS0_4arch9wavefront6targetE1EEEvSD_
	.p2align	8
	.type	_ZN7rocprim17ROCPRIM_400000_NS6detail17trampoline_kernelINS0_14default_configENS1_22reduce_config_selectorImEEZNS1_11reduce_implILb1ES3_PmS7_m11plus_mod_10ImEEE10hipError_tPvRmT1_T2_T3_mT4_P12ihipStream_tbEUlT_E1_NS1_11comp_targetILNS1_3genE4ELNS1_11target_archE910ELNS1_3gpuE8ELNS1_3repE0EEENS1_30default_config_static_selectorELNS0_4arch9wavefront6targetE1EEEvSD_,@function
_ZN7rocprim17ROCPRIM_400000_NS6detail17trampoline_kernelINS0_14default_configENS1_22reduce_config_selectorImEEZNS1_11reduce_implILb1ES3_PmS7_m11plus_mod_10ImEEE10hipError_tPvRmT1_T2_T3_mT4_P12ihipStream_tbEUlT_E1_NS1_11comp_targetILNS1_3genE4ELNS1_11target_archE910ELNS1_3gpuE8ELNS1_3repE0EEENS1_30default_config_static_selectorELNS0_4arch9wavefront6targetE1EEEvSD_: ; @_ZN7rocprim17ROCPRIM_400000_NS6detail17trampoline_kernelINS0_14default_configENS1_22reduce_config_selectorImEEZNS1_11reduce_implILb1ES3_PmS7_m11plus_mod_10ImEEE10hipError_tPvRmT1_T2_T3_mT4_P12ihipStream_tbEUlT_E1_NS1_11comp_targetILNS1_3genE4ELNS1_11target_archE910ELNS1_3gpuE8ELNS1_3repE0EEENS1_30default_config_static_selectorELNS0_4arch9wavefront6targetE1EEEvSD_
; %bb.0:
	.section	.rodata,"a",@progbits
	.p2align	6, 0x0
	.amdhsa_kernel _ZN7rocprim17ROCPRIM_400000_NS6detail17trampoline_kernelINS0_14default_configENS1_22reduce_config_selectorImEEZNS1_11reduce_implILb1ES3_PmS7_m11plus_mod_10ImEEE10hipError_tPvRmT1_T2_T3_mT4_P12ihipStream_tbEUlT_E1_NS1_11comp_targetILNS1_3genE4ELNS1_11target_archE910ELNS1_3gpuE8ELNS1_3repE0EEENS1_30default_config_static_selectorELNS0_4arch9wavefront6targetE1EEEvSD_
		.amdhsa_group_segment_fixed_size 0
		.amdhsa_private_segment_fixed_size 0
		.amdhsa_kernarg_size 48
		.amdhsa_user_sgpr_count 2
		.amdhsa_user_sgpr_dispatch_ptr 0
		.amdhsa_user_sgpr_queue_ptr 0
		.amdhsa_user_sgpr_kernarg_segment_ptr 1
		.amdhsa_user_sgpr_dispatch_id 0
		.amdhsa_user_sgpr_kernarg_preload_length 0
		.amdhsa_user_sgpr_kernarg_preload_offset 0
		.amdhsa_user_sgpr_private_segment_size 0
		.amdhsa_uses_dynamic_stack 0
		.amdhsa_enable_private_segment 0
		.amdhsa_system_sgpr_workgroup_id_x 1
		.amdhsa_system_sgpr_workgroup_id_y 0
		.amdhsa_system_sgpr_workgroup_id_z 0
		.amdhsa_system_sgpr_workgroup_info 0
		.amdhsa_system_vgpr_workitem_id 0
		.amdhsa_next_free_vgpr 1
		.amdhsa_next_free_sgpr 0
		.amdhsa_accum_offset 4
		.amdhsa_reserve_vcc 0
		.amdhsa_float_round_mode_32 0
		.amdhsa_float_round_mode_16_64 0
		.amdhsa_float_denorm_mode_32 3
		.amdhsa_float_denorm_mode_16_64 3
		.amdhsa_dx10_clamp 1
		.amdhsa_ieee_mode 1
		.amdhsa_fp16_overflow 0
		.amdhsa_tg_split 0
		.amdhsa_exception_fp_ieee_invalid_op 0
		.amdhsa_exception_fp_denorm_src 0
		.amdhsa_exception_fp_ieee_div_zero 0
		.amdhsa_exception_fp_ieee_overflow 0
		.amdhsa_exception_fp_ieee_underflow 0
		.amdhsa_exception_fp_ieee_inexact 0
		.amdhsa_exception_int_div_zero 0
	.end_amdhsa_kernel
	.section	.text._ZN7rocprim17ROCPRIM_400000_NS6detail17trampoline_kernelINS0_14default_configENS1_22reduce_config_selectorImEEZNS1_11reduce_implILb1ES3_PmS7_m11plus_mod_10ImEEE10hipError_tPvRmT1_T2_T3_mT4_P12ihipStream_tbEUlT_E1_NS1_11comp_targetILNS1_3genE4ELNS1_11target_archE910ELNS1_3gpuE8ELNS1_3repE0EEENS1_30default_config_static_selectorELNS0_4arch9wavefront6targetE1EEEvSD_,"axG",@progbits,_ZN7rocprim17ROCPRIM_400000_NS6detail17trampoline_kernelINS0_14default_configENS1_22reduce_config_selectorImEEZNS1_11reduce_implILb1ES3_PmS7_m11plus_mod_10ImEEE10hipError_tPvRmT1_T2_T3_mT4_P12ihipStream_tbEUlT_E1_NS1_11comp_targetILNS1_3genE4ELNS1_11target_archE910ELNS1_3gpuE8ELNS1_3repE0EEENS1_30default_config_static_selectorELNS0_4arch9wavefront6targetE1EEEvSD_,comdat
.Lfunc_end560:
	.size	_ZN7rocprim17ROCPRIM_400000_NS6detail17trampoline_kernelINS0_14default_configENS1_22reduce_config_selectorImEEZNS1_11reduce_implILb1ES3_PmS7_m11plus_mod_10ImEEE10hipError_tPvRmT1_T2_T3_mT4_P12ihipStream_tbEUlT_E1_NS1_11comp_targetILNS1_3genE4ELNS1_11target_archE910ELNS1_3gpuE8ELNS1_3repE0EEENS1_30default_config_static_selectorELNS0_4arch9wavefront6targetE1EEEvSD_, .Lfunc_end560-_ZN7rocprim17ROCPRIM_400000_NS6detail17trampoline_kernelINS0_14default_configENS1_22reduce_config_selectorImEEZNS1_11reduce_implILb1ES3_PmS7_m11plus_mod_10ImEEE10hipError_tPvRmT1_T2_T3_mT4_P12ihipStream_tbEUlT_E1_NS1_11comp_targetILNS1_3genE4ELNS1_11target_archE910ELNS1_3gpuE8ELNS1_3repE0EEENS1_30default_config_static_selectorELNS0_4arch9wavefront6targetE1EEEvSD_
                                        ; -- End function
	.set _ZN7rocprim17ROCPRIM_400000_NS6detail17trampoline_kernelINS0_14default_configENS1_22reduce_config_selectorImEEZNS1_11reduce_implILb1ES3_PmS7_m11plus_mod_10ImEEE10hipError_tPvRmT1_T2_T3_mT4_P12ihipStream_tbEUlT_E1_NS1_11comp_targetILNS1_3genE4ELNS1_11target_archE910ELNS1_3gpuE8ELNS1_3repE0EEENS1_30default_config_static_selectorELNS0_4arch9wavefront6targetE1EEEvSD_.num_vgpr, 0
	.set _ZN7rocprim17ROCPRIM_400000_NS6detail17trampoline_kernelINS0_14default_configENS1_22reduce_config_selectorImEEZNS1_11reduce_implILb1ES3_PmS7_m11plus_mod_10ImEEE10hipError_tPvRmT1_T2_T3_mT4_P12ihipStream_tbEUlT_E1_NS1_11comp_targetILNS1_3genE4ELNS1_11target_archE910ELNS1_3gpuE8ELNS1_3repE0EEENS1_30default_config_static_selectorELNS0_4arch9wavefront6targetE1EEEvSD_.num_agpr, 0
	.set _ZN7rocprim17ROCPRIM_400000_NS6detail17trampoline_kernelINS0_14default_configENS1_22reduce_config_selectorImEEZNS1_11reduce_implILb1ES3_PmS7_m11plus_mod_10ImEEE10hipError_tPvRmT1_T2_T3_mT4_P12ihipStream_tbEUlT_E1_NS1_11comp_targetILNS1_3genE4ELNS1_11target_archE910ELNS1_3gpuE8ELNS1_3repE0EEENS1_30default_config_static_selectorELNS0_4arch9wavefront6targetE1EEEvSD_.numbered_sgpr, 0
	.set _ZN7rocprim17ROCPRIM_400000_NS6detail17trampoline_kernelINS0_14default_configENS1_22reduce_config_selectorImEEZNS1_11reduce_implILb1ES3_PmS7_m11plus_mod_10ImEEE10hipError_tPvRmT1_T2_T3_mT4_P12ihipStream_tbEUlT_E1_NS1_11comp_targetILNS1_3genE4ELNS1_11target_archE910ELNS1_3gpuE8ELNS1_3repE0EEENS1_30default_config_static_selectorELNS0_4arch9wavefront6targetE1EEEvSD_.num_named_barrier, 0
	.set _ZN7rocprim17ROCPRIM_400000_NS6detail17trampoline_kernelINS0_14default_configENS1_22reduce_config_selectorImEEZNS1_11reduce_implILb1ES3_PmS7_m11plus_mod_10ImEEE10hipError_tPvRmT1_T2_T3_mT4_P12ihipStream_tbEUlT_E1_NS1_11comp_targetILNS1_3genE4ELNS1_11target_archE910ELNS1_3gpuE8ELNS1_3repE0EEENS1_30default_config_static_selectorELNS0_4arch9wavefront6targetE1EEEvSD_.private_seg_size, 0
	.set _ZN7rocprim17ROCPRIM_400000_NS6detail17trampoline_kernelINS0_14default_configENS1_22reduce_config_selectorImEEZNS1_11reduce_implILb1ES3_PmS7_m11plus_mod_10ImEEE10hipError_tPvRmT1_T2_T3_mT4_P12ihipStream_tbEUlT_E1_NS1_11comp_targetILNS1_3genE4ELNS1_11target_archE910ELNS1_3gpuE8ELNS1_3repE0EEENS1_30default_config_static_selectorELNS0_4arch9wavefront6targetE1EEEvSD_.uses_vcc, 0
	.set _ZN7rocprim17ROCPRIM_400000_NS6detail17trampoline_kernelINS0_14default_configENS1_22reduce_config_selectorImEEZNS1_11reduce_implILb1ES3_PmS7_m11plus_mod_10ImEEE10hipError_tPvRmT1_T2_T3_mT4_P12ihipStream_tbEUlT_E1_NS1_11comp_targetILNS1_3genE4ELNS1_11target_archE910ELNS1_3gpuE8ELNS1_3repE0EEENS1_30default_config_static_selectorELNS0_4arch9wavefront6targetE1EEEvSD_.uses_flat_scratch, 0
	.set _ZN7rocprim17ROCPRIM_400000_NS6detail17trampoline_kernelINS0_14default_configENS1_22reduce_config_selectorImEEZNS1_11reduce_implILb1ES3_PmS7_m11plus_mod_10ImEEE10hipError_tPvRmT1_T2_T3_mT4_P12ihipStream_tbEUlT_E1_NS1_11comp_targetILNS1_3genE4ELNS1_11target_archE910ELNS1_3gpuE8ELNS1_3repE0EEENS1_30default_config_static_selectorELNS0_4arch9wavefront6targetE1EEEvSD_.has_dyn_sized_stack, 0
	.set _ZN7rocprim17ROCPRIM_400000_NS6detail17trampoline_kernelINS0_14default_configENS1_22reduce_config_selectorImEEZNS1_11reduce_implILb1ES3_PmS7_m11plus_mod_10ImEEE10hipError_tPvRmT1_T2_T3_mT4_P12ihipStream_tbEUlT_E1_NS1_11comp_targetILNS1_3genE4ELNS1_11target_archE910ELNS1_3gpuE8ELNS1_3repE0EEENS1_30default_config_static_selectorELNS0_4arch9wavefront6targetE1EEEvSD_.has_recursion, 0
	.set _ZN7rocprim17ROCPRIM_400000_NS6detail17trampoline_kernelINS0_14default_configENS1_22reduce_config_selectorImEEZNS1_11reduce_implILb1ES3_PmS7_m11plus_mod_10ImEEE10hipError_tPvRmT1_T2_T3_mT4_P12ihipStream_tbEUlT_E1_NS1_11comp_targetILNS1_3genE4ELNS1_11target_archE910ELNS1_3gpuE8ELNS1_3repE0EEENS1_30default_config_static_selectorELNS0_4arch9wavefront6targetE1EEEvSD_.has_indirect_call, 0
	.section	.AMDGPU.csdata,"",@progbits
; Kernel info:
; codeLenInByte = 0
; TotalNumSgprs: 6
; NumVgprs: 0
; NumAgprs: 0
; TotalNumVgprs: 0
; ScratchSize: 0
; MemoryBound: 0
; FloatMode: 240
; IeeeMode: 1
; LDSByteSize: 0 bytes/workgroup (compile time only)
; SGPRBlocks: 0
; VGPRBlocks: 0
; NumSGPRsForWavesPerEU: 6
; NumVGPRsForWavesPerEU: 1
; AccumOffset: 4
; Occupancy: 8
; WaveLimiterHint : 0
; COMPUTE_PGM_RSRC2:SCRATCH_EN: 0
; COMPUTE_PGM_RSRC2:USER_SGPR: 2
; COMPUTE_PGM_RSRC2:TRAP_HANDLER: 0
; COMPUTE_PGM_RSRC2:TGID_X_EN: 1
; COMPUTE_PGM_RSRC2:TGID_Y_EN: 0
; COMPUTE_PGM_RSRC2:TGID_Z_EN: 0
; COMPUTE_PGM_RSRC2:TIDIG_COMP_CNT: 0
; COMPUTE_PGM_RSRC3_GFX90A:ACCUM_OFFSET: 0
; COMPUTE_PGM_RSRC3_GFX90A:TG_SPLIT: 0
	.section	.text._ZN7rocprim17ROCPRIM_400000_NS6detail17trampoline_kernelINS0_14default_configENS1_22reduce_config_selectorImEEZNS1_11reduce_implILb1ES3_PmS7_m11plus_mod_10ImEEE10hipError_tPvRmT1_T2_T3_mT4_P12ihipStream_tbEUlT_E1_NS1_11comp_targetILNS1_3genE3ELNS1_11target_archE908ELNS1_3gpuE7ELNS1_3repE0EEENS1_30default_config_static_selectorELNS0_4arch9wavefront6targetE1EEEvSD_,"axG",@progbits,_ZN7rocprim17ROCPRIM_400000_NS6detail17trampoline_kernelINS0_14default_configENS1_22reduce_config_selectorImEEZNS1_11reduce_implILb1ES3_PmS7_m11plus_mod_10ImEEE10hipError_tPvRmT1_T2_T3_mT4_P12ihipStream_tbEUlT_E1_NS1_11comp_targetILNS1_3genE3ELNS1_11target_archE908ELNS1_3gpuE7ELNS1_3repE0EEENS1_30default_config_static_selectorELNS0_4arch9wavefront6targetE1EEEvSD_,comdat
	.protected	_ZN7rocprim17ROCPRIM_400000_NS6detail17trampoline_kernelINS0_14default_configENS1_22reduce_config_selectorImEEZNS1_11reduce_implILb1ES3_PmS7_m11plus_mod_10ImEEE10hipError_tPvRmT1_T2_T3_mT4_P12ihipStream_tbEUlT_E1_NS1_11comp_targetILNS1_3genE3ELNS1_11target_archE908ELNS1_3gpuE7ELNS1_3repE0EEENS1_30default_config_static_selectorELNS0_4arch9wavefront6targetE1EEEvSD_ ; -- Begin function _ZN7rocprim17ROCPRIM_400000_NS6detail17trampoline_kernelINS0_14default_configENS1_22reduce_config_selectorImEEZNS1_11reduce_implILb1ES3_PmS7_m11plus_mod_10ImEEE10hipError_tPvRmT1_T2_T3_mT4_P12ihipStream_tbEUlT_E1_NS1_11comp_targetILNS1_3genE3ELNS1_11target_archE908ELNS1_3gpuE7ELNS1_3repE0EEENS1_30default_config_static_selectorELNS0_4arch9wavefront6targetE1EEEvSD_
	.globl	_ZN7rocprim17ROCPRIM_400000_NS6detail17trampoline_kernelINS0_14default_configENS1_22reduce_config_selectorImEEZNS1_11reduce_implILb1ES3_PmS7_m11plus_mod_10ImEEE10hipError_tPvRmT1_T2_T3_mT4_P12ihipStream_tbEUlT_E1_NS1_11comp_targetILNS1_3genE3ELNS1_11target_archE908ELNS1_3gpuE7ELNS1_3repE0EEENS1_30default_config_static_selectorELNS0_4arch9wavefront6targetE1EEEvSD_
	.p2align	8
	.type	_ZN7rocprim17ROCPRIM_400000_NS6detail17trampoline_kernelINS0_14default_configENS1_22reduce_config_selectorImEEZNS1_11reduce_implILb1ES3_PmS7_m11plus_mod_10ImEEE10hipError_tPvRmT1_T2_T3_mT4_P12ihipStream_tbEUlT_E1_NS1_11comp_targetILNS1_3genE3ELNS1_11target_archE908ELNS1_3gpuE7ELNS1_3repE0EEENS1_30default_config_static_selectorELNS0_4arch9wavefront6targetE1EEEvSD_,@function
_ZN7rocprim17ROCPRIM_400000_NS6detail17trampoline_kernelINS0_14default_configENS1_22reduce_config_selectorImEEZNS1_11reduce_implILb1ES3_PmS7_m11plus_mod_10ImEEE10hipError_tPvRmT1_T2_T3_mT4_P12ihipStream_tbEUlT_E1_NS1_11comp_targetILNS1_3genE3ELNS1_11target_archE908ELNS1_3gpuE7ELNS1_3repE0EEENS1_30default_config_static_selectorELNS0_4arch9wavefront6targetE1EEEvSD_: ; @_ZN7rocprim17ROCPRIM_400000_NS6detail17trampoline_kernelINS0_14default_configENS1_22reduce_config_selectorImEEZNS1_11reduce_implILb1ES3_PmS7_m11plus_mod_10ImEEE10hipError_tPvRmT1_T2_T3_mT4_P12ihipStream_tbEUlT_E1_NS1_11comp_targetILNS1_3genE3ELNS1_11target_archE908ELNS1_3gpuE7ELNS1_3repE0EEENS1_30default_config_static_selectorELNS0_4arch9wavefront6targetE1EEEvSD_
; %bb.0:
	.section	.rodata,"a",@progbits
	.p2align	6, 0x0
	.amdhsa_kernel _ZN7rocprim17ROCPRIM_400000_NS6detail17trampoline_kernelINS0_14default_configENS1_22reduce_config_selectorImEEZNS1_11reduce_implILb1ES3_PmS7_m11plus_mod_10ImEEE10hipError_tPvRmT1_T2_T3_mT4_P12ihipStream_tbEUlT_E1_NS1_11comp_targetILNS1_3genE3ELNS1_11target_archE908ELNS1_3gpuE7ELNS1_3repE0EEENS1_30default_config_static_selectorELNS0_4arch9wavefront6targetE1EEEvSD_
		.amdhsa_group_segment_fixed_size 0
		.amdhsa_private_segment_fixed_size 0
		.amdhsa_kernarg_size 48
		.amdhsa_user_sgpr_count 2
		.amdhsa_user_sgpr_dispatch_ptr 0
		.amdhsa_user_sgpr_queue_ptr 0
		.amdhsa_user_sgpr_kernarg_segment_ptr 1
		.amdhsa_user_sgpr_dispatch_id 0
		.amdhsa_user_sgpr_kernarg_preload_length 0
		.amdhsa_user_sgpr_kernarg_preload_offset 0
		.amdhsa_user_sgpr_private_segment_size 0
		.amdhsa_uses_dynamic_stack 0
		.amdhsa_enable_private_segment 0
		.amdhsa_system_sgpr_workgroup_id_x 1
		.amdhsa_system_sgpr_workgroup_id_y 0
		.amdhsa_system_sgpr_workgroup_id_z 0
		.amdhsa_system_sgpr_workgroup_info 0
		.amdhsa_system_vgpr_workitem_id 0
		.amdhsa_next_free_vgpr 1
		.amdhsa_next_free_sgpr 0
		.amdhsa_accum_offset 4
		.amdhsa_reserve_vcc 0
		.amdhsa_float_round_mode_32 0
		.amdhsa_float_round_mode_16_64 0
		.amdhsa_float_denorm_mode_32 3
		.amdhsa_float_denorm_mode_16_64 3
		.amdhsa_dx10_clamp 1
		.amdhsa_ieee_mode 1
		.amdhsa_fp16_overflow 0
		.amdhsa_tg_split 0
		.amdhsa_exception_fp_ieee_invalid_op 0
		.amdhsa_exception_fp_denorm_src 0
		.amdhsa_exception_fp_ieee_div_zero 0
		.amdhsa_exception_fp_ieee_overflow 0
		.amdhsa_exception_fp_ieee_underflow 0
		.amdhsa_exception_fp_ieee_inexact 0
		.amdhsa_exception_int_div_zero 0
	.end_amdhsa_kernel
	.section	.text._ZN7rocprim17ROCPRIM_400000_NS6detail17trampoline_kernelINS0_14default_configENS1_22reduce_config_selectorImEEZNS1_11reduce_implILb1ES3_PmS7_m11plus_mod_10ImEEE10hipError_tPvRmT1_T2_T3_mT4_P12ihipStream_tbEUlT_E1_NS1_11comp_targetILNS1_3genE3ELNS1_11target_archE908ELNS1_3gpuE7ELNS1_3repE0EEENS1_30default_config_static_selectorELNS0_4arch9wavefront6targetE1EEEvSD_,"axG",@progbits,_ZN7rocprim17ROCPRIM_400000_NS6detail17trampoline_kernelINS0_14default_configENS1_22reduce_config_selectorImEEZNS1_11reduce_implILb1ES3_PmS7_m11plus_mod_10ImEEE10hipError_tPvRmT1_T2_T3_mT4_P12ihipStream_tbEUlT_E1_NS1_11comp_targetILNS1_3genE3ELNS1_11target_archE908ELNS1_3gpuE7ELNS1_3repE0EEENS1_30default_config_static_selectorELNS0_4arch9wavefront6targetE1EEEvSD_,comdat
.Lfunc_end561:
	.size	_ZN7rocprim17ROCPRIM_400000_NS6detail17trampoline_kernelINS0_14default_configENS1_22reduce_config_selectorImEEZNS1_11reduce_implILb1ES3_PmS7_m11plus_mod_10ImEEE10hipError_tPvRmT1_T2_T3_mT4_P12ihipStream_tbEUlT_E1_NS1_11comp_targetILNS1_3genE3ELNS1_11target_archE908ELNS1_3gpuE7ELNS1_3repE0EEENS1_30default_config_static_selectorELNS0_4arch9wavefront6targetE1EEEvSD_, .Lfunc_end561-_ZN7rocprim17ROCPRIM_400000_NS6detail17trampoline_kernelINS0_14default_configENS1_22reduce_config_selectorImEEZNS1_11reduce_implILb1ES3_PmS7_m11plus_mod_10ImEEE10hipError_tPvRmT1_T2_T3_mT4_P12ihipStream_tbEUlT_E1_NS1_11comp_targetILNS1_3genE3ELNS1_11target_archE908ELNS1_3gpuE7ELNS1_3repE0EEENS1_30default_config_static_selectorELNS0_4arch9wavefront6targetE1EEEvSD_
                                        ; -- End function
	.set _ZN7rocprim17ROCPRIM_400000_NS6detail17trampoline_kernelINS0_14default_configENS1_22reduce_config_selectorImEEZNS1_11reduce_implILb1ES3_PmS7_m11plus_mod_10ImEEE10hipError_tPvRmT1_T2_T3_mT4_P12ihipStream_tbEUlT_E1_NS1_11comp_targetILNS1_3genE3ELNS1_11target_archE908ELNS1_3gpuE7ELNS1_3repE0EEENS1_30default_config_static_selectorELNS0_4arch9wavefront6targetE1EEEvSD_.num_vgpr, 0
	.set _ZN7rocprim17ROCPRIM_400000_NS6detail17trampoline_kernelINS0_14default_configENS1_22reduce_config_selectorImEEZNS1_11reduce_implILb1ES3_PmS7_m11plus_mod_10ImEEE10hipError_tPvRmT1_T2_T3_mT4_P12ihipStream_tbEUlT_E1_NS1_11comp_targetILNS1_3genE3ELNS1_11target_archE908ELNS1_3gpuE7ELNS1_3repE0EEENS1_30default_config_static_selectorELNS0_4arch9wavefront6targetE1EEEvSD_.num_agpr, 0
	.set _ZN7rocprim17ROCPRIM_400000_NS6detail17trampoline_kernelINS0_14default_configENS1_22reduce_config_selectorImEEZNS1_11reduce_implILb1ES3_PmS7_m11plus_mod_10ImEEE10hipError_tPvRmT1_T2_T3_mT4_P12ihipStream_tbEUlT_E1_NS1_11comp_targetILNS1_3genE3ELNS1_11target_archE908ELNS1_3gpuE7ELNS1_3repE0EEENS1_30default_config_static_selectorELNS0_4arch9wavefront6targetE1EEEvSD_.numbered_sgpr, 0
	.set _ZN7rocprim17ROCPRIM_400000_NS6detail17trampoline_kernelINS0_14default_configENS1_22reduce_config_selectorImEEZNS1_11reduce_implILb1ES3_PmS7_m11plus_mod_10ImEEE10hipError_tPvRmT1_T2_T3_mT4_P12ihipStream_tbEUlT_E1_NS1_11comp_targetILNS1_3genE3ELNS1_11target_archE908ELNS1_3gpuE7ELNS1_3repE0EEENS1_30default_config_static_selectorELNS0_4arch9wavefront6targetE1EEEvSD_.num_named_barrier, 0
	.set _ZN7rocprim17ROCPRIM_400000_NS6detail17trampoline_kernelINS0_14default_configENS1_22reduce_config_selectorImEEZNS1_11reduce_implILb1ES3_PmS7_m11plus_mod_10ImEEE10hipError_tPvRmT1_T2_T3_mT4_P12ihipStream_tbEUlT_E1_NS1_11comp_targetILNS1_3genE3ELNS1_11target_archE908ELNS1_3gpuE7ELNS1_3repE0EEENS1_30default_config_static_selectorELNS0_4arch9wavefront6targetE1EEEvSD_.private_seg_size, 0
	.set _ZN7rocprim17ROCPRIM_400000_NS6detail17trampoline_kernelINS0_14default_configENS1_22reduce_config_selectorImEEZNS1_11reduce_implILb1ES3_PmS7_m11plus_mod_10ImEEE10hipError_tPvRmT1_T2_T3_mT4_P12ihipStream_tbEUlT_E1_NS1_11comp_targetILNS1_3genE3ELNS1_11target_archE908ELNS1_3gpuE7ELNS1_3repE0EEENS1_30default_config_static_selectorELNS0_4arch9wavefront6targetE1EEEvSD_.uses_vcc, 0
	.set _ZN7rocprim17ROCPRIM_400000_NS6detail17trampoline_kernelINS0_14default_configENS1_22reduce_config_selectorImEEZNS1_11reduce_implILb1ES3_PmS7_m11plus_mod_10ImEEE10hipError_tPvRmT1_T2_T3_mT4_P12ihipStream_tbEUlT_E1_NS1_11comp_targetILNS1_3genE3ELNS1_11target_archE908ELNS1_3gpuE7ELNS1_3repE0EEENS1_30default_config_static_selectorELNS0_4arch9wavefront6targetE1EEEvSD_.uses_flat_scratch, 0
	.set _ZN7rocprim17ROCPRIM_400000_NS6detail17trampoline_kernelINS0_14default_configENS1_22reduce_config_selectorImEEZNS1_11reduce_implILb1ES3_PmS7_m11plus_mod_10ImEEE10hipError_tPvRmT1_T2_T3_mT4_P12ihipStream_tbEUlT_E1_NS1_11comp_targetILNS1_3genE3ELNS1_11target_archE908ELNS1_3gpuE7ELNS1_3repE0EEENS1_30default_config_static_selectorELNS0_4arch9wavefront6targetE1EEEvSD_.has_dyn_sized_stack, 0
	.set _ZN7rocprim17ROCPRIM_400000_NS6detail17trampoline_kernelINS0_14default_configENS1_22reduce_config_selectorImEEZNS1_11reduce_implILb1ES3_PmS7_m11plus_mod_10ImEEE10hipError_tPvRmT1_T2_T3_mT4_P12ihipStream_tbEUlT_E1_NS1_11comp_targetILNS1_3genE3ELNS1_11target_archE908ELNS1_3gpuE7ELNS1_3repE0EEENS1_30default_config_static_selectorELNS0_4arch9wavefront6targetE1EEEvSD_.has_recursion, 0
	.set _ZN7rocprim17ROCPRIM_400000_NS6detail17trampoline_kernelINS0_14default_configENS1_22reduce_config_selectorImEEZNS1_11reduce_implILb1ES3_PmS7_m11plus_mod_10ImEEE10hipError_tPvRmT1_T2_T3_mT4_P12ihipStream_tbEUlT_E1_NS1_11comp_targetILNS1_3genE3ELNS1_11target_archE908ELNS1_3gpuE7ELNS1_3repE0EEENS1_30default_config_static_selectorELNS0_4arch9wavefront6targetE1EEEvSD_.has_indirect_call, 0
	.section	.AMDGPU.csdata,"",@progbits
; Kernel info:
; codeLenInByte = 0
; TotalNumSgprs: 6
; NumVgprs: 0
; NumAgprs: 0
; TotalNumVgprs: 0
; ScratchSize: 0
; MemoryBound: 0
; FloatMode: 240
; IeeeMode: 1
; LDSByteSize: 0 bytes/workgroup (compile time only)
; SGPRBlocks: 0
; VGPRBlocks: 0
; NumSGPRsForWavesPerEU: 6
; NumVGPRsForWavesPerEU: 1
; AccumOffset: 4
; Occupancy: 8
; WaveLimiterHint : 0
; COMPUTE_PGM_RSRC2:SCRATCH_EN: 0
; COMPUTE_PGM_RSRC2:USER_SGPR: 2
; COMPUTE_PGM_RSRC2:TRAP_HANDLER: 0
; COMPUTE_PGM_RSRC2:TGID_X_EN: 1
; COMPUTE_PGM_RSRC2:TGID_Y_EN: 0
; COMPUTE_PGM_RSRC2:TGID_Z_EN: 0
; COMPUTE_PGM_RSRC2:TIDIG_COMP_CNT: 0
; COMPUTE_PGM_RSRC3_GFX90A:ACCUM_OFFSET: 0
; COMPUTE_PGM_RSRC3_GFX90A:TG_SPLIT: 0
	.section	.text._ZN7rocprim17ROCPRIM_400000_NS6detail17trampoline_kernelINS0_14default_configENS1_22reduce_config_selectorImEEZNS1_11reduce_implILb1ES3_PmS7_m11plus_mod_10ImEEE10hipError_tPvRmT1_T2_T3_mT4_P12ihipStream_tbEUlT_E1_NS1_11comp_targetILNS1_3genE2ELNS1_11target_archE906ELNS1_3gpuE6ELNS1_3repE0EEENS1_30default_config_static_selectorELNS0_4arch9wavefront6targetE1EEEvSD_,"axG",@progbits,_ZN7rocprim17ROCPRIM_400000_NS6detail17trampoline_kernelINS0_14default_configENS1_22reduce_config_selectorImEEZNS1_11reduce_implILb1ES3_PmS7_m11plus_mod_10ImEEE10hipError_tPvRmT1_T2_T3_mT4_P12ihipStream_tbEUlT_E1_NS1_11comp_targetILNS1_3genE2ELNS1_11target_archE906ELNS1_3gpuE6ELNS1_3repE0EEENS1_30default_config_static_selectorELNS0_4arch9wavefront6targetE1EEEvSD_,comdat
	.protected	_ZN7rocprim17ROCPRIM_400000_NS6detail17trampoline_kernelINS0_14default_configENS1_22reduce_config_selectorImEEZNS1_11reduce_implILb1ES3_PmS7_m11plus_mod_10ImEEE10hipError_tPvRmT1_T2_T3_mT4_P12ihipStream_tbEUlT_E1_NS1_11comp_targetILNS1_3genE2ELNS1_11target_archE906ELNS1_3gpuE6ELNS1_3repE0EEENS1_30default_config_static_selectorELNS0_4arch9wavefront6targetE1EEEvSD_ ; -- Begin function _ZN7rocprim17ROCPRIM_400000_NS6detail17trampoline_kernelINS0_14default_configENS1_22reduce_config_selectorImEEZNS1_11reduce_implILb1ES3_PmS7_m11plus_mod_10ImEEE10hipError_tPvRmT1_T2_T3_mT4_P12ihipStream_tbEUlT_E1_NS1_11comp_targetILNS1_3genE2ELNS1_11target_archE906ELNS1_3gpuE6ELNS1_3repE0EEENS1_30default_config_static_selectorELNS0_4arch9wavefront6targetE1EEEvSD_
	.globl	_ZN7rocprim17ROCPRIM_400000_NS6detail17trampoline_kernelINS0_14default_configENS1_22reduce_config_selectorImEEZNS1_11reduce_implILb1ES3_PmS7_m11plus_mod_10ImEEE10hipError_tPvRmT1_T2_T3_mT4_P12ihipStream_tbEUlT_E1_NS1_11comp_targetILNS1_3genE2ELNS1_11target_archE906ELNS1_3gpuE6ELNS1_3repE0EEENS1_30default_config_static_selectorELNS0_4arch9wavefront6targetE1EEEvSD_
	.p2align	8
	.type	_ZN7rocprim17ROCPRIM_400000_NS6detail17trampoline_kernelINS0_14default_configENS1_22reduce_config_selectorImEEZNS1_11reduce_implILb1ES3_PmS7_m11plus_mod_10ImEEE10hipError_tPvRmT1_T2_T3_mT4_P12ihipStream_tbEUlT_E1_NS1_11comp_targetILNS1_3genE2ELNS1_11target_archE906ELNS1_3gpuE6ELNS1_3repE0EEENS1_30default_config_static_selectorELNS0_4arch9wavefront6targetE1EEEvSD_,@function
_ZN7rocprim17ROCPRIM_400000_NS6detail17trampoline_kernelINS0_14default_configENS1_22reduce_config_selectorImEEZNS1_11reduce_implILb1ES3_PmS7_m11plus_mod_10ImEEE10hipError_tPvRmT1_T2_T3_mT4_P12ihipStream_tbEUlT_E1_NS1_11comp_targetILNS1_3genE2ELNS1_11target_archE906ELNS1_3gpuE6ELNS1_3repE0EEENS1_30default_config_static_selectorELNS0_4arch9wavefront6targetE1EEEvSD_: ; @_ZN7rocprim17ROCPRIM_400000_NS6detail17trampoline_kernelINS0_14default_configENS1_22reduce_config_selectorImEEZNS1_11reduce_implILb1ES3_PmS7_m11plus_mod_10ImEEE10hipError_tPvRmT1_T2_T3_mT4_P12ihipStream_tbEUlT_E1_NS1_11comp_targetILNS1_3genE2ELNS1_11target_archE906ELNS1_3gpuE6ELNS1_3repE0EEENS1_30default_config_static_selectorELNS0_4arch9wavefront6targetE1EEEvSD_
; %bb.0:
	.section	.rodata,"a",@progbits
	.p2align	6, 0x0
	.amdhsa_kernel _ZN7rocprim17ROCPRIM_400000_NS6detail17trampoline_kernelINS0_14default_configENS1_22reduce_config_selectorImEEZNS1_11reduce_implILb1ES3_PmS7_m11plus_mod_10ImEEE10hipError_tPvRmT1_T2_T3_mT4_P12ihipStream_tbEUlT_E1_NS1_11comp_targetILNS1_3genE2ELNS1_11target_archE906ELNS1_3gpuE6ELNS1_3repE0EEENS1_30default_config_static_selectorELNS0_4arch9wavefront6targetE1EEEvSD_
		.amdhsa_group_segment_fixed_size 0
		.amdhsa_private_segment_fixed_size 0
		.amdhsa_kernarg_size 48
		.amdhsa_user_sgpr_count 2
		.amdhsa_user_sgpr_dispatch_ptr 0
		.amdhsa_user_sgpr_queue_ptr 0
		.amdhsa_user_sgpr_kernarg_segment_ptr 1
		.amdhsa_user_sgpr_dispatch_id 0
		.amdhsa_user_sgpr_kernarg_preload_length 0
		.amdhsa_user_sgpr_kernarg_preload_offset 0
		.amdhsa_user_sgpr_private_segment_size 0
		.amdhsa_uses_dynamic_stack 0
		.amdhsa_enable_private_segment 0
		.amdhsa_system_sgpr_workgroup_id_x 1
		.amdhsa_system_sgpr_workgroup_id_y 0
		.amdhsa_system_sgpr_workgroup_id_z 0
		.amdhsa_system_sgpr_workgroup_info 0
		.amdhsa_system_vgpr_workitem_id 0
		.amdhsa_next_free_vgpr 1
		.amdhsa_next_free_sgpr 0
		.amdhsa_accum_offset 4
		.amdhsa_reserve_vcc 0
		.amdhsa_float_round_mode_32 0
		.amdhsa_float_round_mode_16_64 0
		.amdhsa_float_denorm_mode_32 3
		.amdhsa_float_denorm_mode_16_64 3
		.amdhsa_dx10_clamp 1
		.amdhsa_ieee_mode 1
		.amdhsa_fp16_overflow 0
		.amdhsa_tg_split 0
		.amdhsa_exception_fp_ieee_invalid_op 0
		.amdhsa_exception_fp_denorm_src 0
		.amdhsa_exception_fp_ieee_div_zero 0
		.amdhsa_exception_fp_ieee_overflow 0
		.amdhsa_exception_fp_ieee_underflow 0
		.amdhsa_exception_fp_ieee_inexact 0
		.amdhsa_exception_int_div_zero 0
	.end_amdhsa_kernel
	.section	.text._ZN7rocprim17ROCPRIM_400000_NS6detail17trampoline_kernelINS0_14default_configENS1_22reduce_config_selectorImEEZNS1_11reduce_implILb1ES3_PmS7_m11plus_mod_10ImEEE10hipError_tPvRmT1_T2_T3_mT4_P12ihipStream_tbEUlT_E1_NS1_11comp_targetILNS1_3genE2ELNS1_11target_archE906ELNS1_3gpuE6ELNS1_3repE0EEENS1_30default_config_static_selectorELNS0_4arch9wavefront6targetE1EEEvSD_,"axG",@progbits,_ZN7rocprim17ROCPRIM_400000_NS6detail17trampoline_kernelINS0_14default_configENS1_22reduce_config_selectorImEEZNS1_11reduce_implILb1ES3_PmS7_m11plus_mod_10ImEEE10hipError_tPvRmT1_T2_T3_mT4_P12ihipStream_tbEUlT_E1_NS1_11comp_targetILNS1_3genE2ELNS1_11target_archE906ELNS1_3gpuE6ELNS1_3repE0EEENS1_30default_config_static_selectorELNS0_4arch9wavefront6targetE1EEEvSD_,comdat
.Lfunc_end562:
	.size	_ZN7rocprim17ROCPRIM_400000_NS6detail17trampoline_kernelINS0_14default_configENS1_22reduce_config_selectorImEEZNS1_11reduce_implILb1ES3_PmS7_m11plus_mod_10ImEEE10hipError_tPvRmT1_T2_T3_mT4_P12ihipStream_tbEUlT_E1_NS1_11comp_targetILNS1_3genE2ELNS1_11target_archE906ELNS1_3gpuE6ELNS1_3repE0EEENS1_30default_config_static_selectorELNS0_4arch9wavefront6targetE1EEEvSD_, .Lfunc_end562-_ZN7rocprim17ROCPRIM_400000_NS6detail17trampoline_kernelINS0_14default_configENS1_22reduce_config_selectorImEEZNS1_11reduce_implILb1ES3_PmS7_m11plus_mod_10ImEEE10hipError_tPvRmT1_T2_T3_mT4_P12ihipStream_tbEUlT_E1_NS1_11comp_targetILNS1_3genE2ELNS1_11target_archE906ELNS1_3gpuE6ELNS1_3repE0EEENS1_30default_config_static_selectorELNS0_4arch9wavefront6targetE1EEEvSD_
                                        ; -- End function
	.set _ZN7rocprim17ROCPRIM_400000_NS6detail17trampoline_kernelINS0_14default_configENS1_22reduce_config_selectorImEEZNS1_11reduce_implILb1ES3_PmS7_m11plus_mod_10ImEEE10hipError_tPvRmT1_T2_T3_mT4_P12ihipStream_tbEUlT_E1_NS1_11comp_targetILNS1_3genE2ELNS1_11target_archE906ELNS1_3gpuE6ELNS1_3repE0EEENS1_30default_config_static_selectorELNS0_4arch9wavefront6targetE1EEEvSD_.num_vgpr, 0
	.set _ZN7rocprim17ROCPRIM_400000_NS6detail17trampoline_kernelINS0_14default_configENS1_22reduce_config_selectorImEEZNS1_11reduce_implILb1ES3_PmS7_m11plus_mod_10ImEEE10hipError_tPvRmT1_T2_T3_mT4_P12ihipStream_tbEUlT_E1_NS1_11comp_targetILNS1_3genE2ELNS1_11target_archE906ELNS1_3gpuE6ELNS1_3repE0EEENS1_30default_config_static_selectorELNS0_4arch9wavefront6targetE1EEEvSD_.num_agpr, 0
	.set _ZN7rocprim17ROCPRIM_400000_NS6detail17trampoline_kernelINS0_14default_configENS1_22reduce_config_selectorImEEZNS1_11reduce_implILb1ES3_PmS7_m11plus_mod_10ImEEE10hipError_tPvRmT1_T2_T3_mT4_P12ihipStream_tbEUlT_E1_NS1_11comp_targetILNS1_3genE2ELNS1_11target_archE906ELNS1_3gpuE6ELNS1_3repE0EEENS1_30default_config_static_selectorELNS0_4arch9wavefront6targetE1EEEvSD_.numbered_sgpr, 0
	.set _ZN7rocprim17ROCPRIM_400000_NS6detail17trampoline_kernelINS0_14default_configENS1_22reduce_config_selectorImEEZNS1_11reduce_implILb1ES3_PmS7_m11plus_mod_10ImEEE10hipError_tPvRmT1_T2_T3_mT4_P12ihipStream_tbEUlT_E1_NS1_11comp_targetILNS1_3genE2ELNS1_11target_archE906ELNS1_3gpuE6ELNS1_3repE0EEENS1_30default_config_static_selectorELNS0_4arch9wavefront6targetE1EEEvSD_.num_named_barrier, 0
	.set _ZN7rocprim17ROCPRIM_400000_NS6detail17trampoline_kernelINS0_14default_configENS1_22reduce_config_selectorImEEZNS1_11reduce_implILb1ES3_PmS7_m11plus_mod_10ImEEE10hipError_tPvRmT1_T2_T3_mT4_P12ihipStream_tbEUlT_E1_NS1_11comp_targetILNS1_3genE2ELNS1_11target_archE906ELNS1_3gpuE6ELNS1_3repE0EEENS1_30default_config_static_selectorELNS0_4arch9wavefront6targetE1EEEvSD_.private_seg_size, 0
	.set _ZN7rocprim17ROCPRIM_400000_NS6detail17trampoline_kernelINS0_14default_configENS1_22reduce_config_selectorImEEZNS1_11reduce_implILb1ES3_PmS7_m11plus_mod_10ImEEE10hipError_tPvRmT1_T2_T3_mT4_P12ihipStream_tbEUlT_E1_NS1_11comp_targetILNS1_3genE2ELNS1_11target_archE906ELNS1_3gpuE6ELNS1_3repE0EEENS1_30default_config_static_selectorELNS0_4arch9wavefront6targetE1EEEvSD_.uses_vcc, 0
	.set _ZN7rocprim17ROCPRIM_400000_NS6detail17trampoline_kernelINS0_14default_configENS1_22reduce_config_selectorImEEZNS1_11reduce_implILb1ES3_PmS7_m11plus_mod_10ImEEE10hipError_tPvRmT1_T2_T3_mT4_P12ihipStream_tbEUlT_E1_NS1_11comp_targetILNS1_3genE2ELNS1_11target_archE906ELNS1_3gpuE6ELNS1_3repE0EEENS1_30default_config_static_selectorELNS0_4arch9wavefront6targetE1EEEvSD_.uses_flat_scratch, 0
	.set _ZN7rocprim17ROCPRIM_400000_NS6detail17trampoline_kernelINS0_14default_configENS1_22reduce_config_selectorImEEZNS1_11reduce_implILb1ES3_PmS7_m11plus_mod_10ImEEE10hipError_tPvRmT1_T2_T3_mT4_P12ihipStream_tbEUlT_E1_NS1_11comp_targetILNS1_3genE2ELNS1_11target_archE906ELNS1_3gpuE6ELNS1_3repE0EEENS1_30default_config_static_selectorELNS0_4arch9wavefront6targetE1EEEvSD_.has_dyn_sized_stack, 0
	.set _ZN7rocprim17ROCPRIM_400000_NS6detail17trampoline_kernelINS0_14default_configENS1_22reduce_config_selectorImEEZNS1_11reduce_implILb1ES3_PmS7_m11plus_mod_10ImEEE10hipError_tPvRmT1_T2_T3_mT4_P12ihipStream_tbEUlT_E1_NS1_11comp_targetILNS1_3genE2ELNS1_11target_archE906ELNS1_3gpuE6ELNS1_3repE0EEENS1_30default_config_static_selectorELNS0_4arch9wavefront6targetE1EEEvSD_.has_recursion, 0
	.set _ZN7rocprim17ROCPRIM_400000_NS6detail17trampoline_kernelINS0_14default_configENS1_22reduce_config_selectorImEEZNS1_11reduce_implILb1ES3_PmS7_m11plus_mod_10ImEEE10hipError_tPvRmT1_T2_T3_mT4_P12ihipStream_tbEUlT_E1_NS1_11comp_targetILNS1_3genE2ELNS1_11target_archE906ELNS1_3gpuE6ELNS1_3repE0EEENS1_30default_config_static_selectorELNS0_4arch9wavefront6targetE1EEEvSD_.has_indirect_call, 0
	.section	.AMDGPU.csdata,"",@progbits
; Kernel info:
; codeLenInByte = 0
; TotalNumSgprs: 6
; NumVgprs: 0
; NumAgprs: 0
; TotalNumVgprs: 0
; ScratchSize: 0
; MemoryBound: 0
; FloatMode: 240
; IeeeMode: 1
; LDSByteSize: 0 bytes/workgroup (compile time only)
; SGPRBlocks: 0
; VGPRBlocks: 0
; NumSGPRsForWavesPerEU: 6
; NumVGPRsForWavesPerEU: 1
; AccumOffset: 4
; Occupancy: 8
; WaveLimiterHint : 0
; COMPUTE_PGM_RSRC2:SCRATCH_EN: 0
; COMPUTE_PGM_RSRC2:USER_SGPR: 2
; COMPUTE_PGM_RSRC2:TRAP_HANDLER: 0
; COMPUTE_PGM_RSRC2:TGID_X_EN: 1
; COMPUTE_PGM_RSRC2:TGID_Y_EN: 0
; COMPUTE_PGM_RSRC2:TGID_Z_EN: 0
; COMPUTE_PGM_RSRC2:TIDIG_COMP_CNT: 0
; COMPUTE_PGM_RSRC3_GFX90A:ACCUM_OFFSET: 0
; COMPUTE_PGM_RSRC3_GFX90A:TG_SPLIT: 0
	.section	.text._ZN7rocprim17ROCPRIM_400000_NS6detail17trampoline_kernelINS0_14default_configENS1_22reduce_config_selectorImEEZNS1_11reduce_implILb1ES3_PmS7_m11plus_mod_10ImEEE10hipError_tPvRmT1_T2_T3_mT4_P12ihipStream_tbEUlT_E1_NS1_11comp_targetILNS1_3genE10ELNS1_11target_archE1201ELNS1_3gpuE5ELNS1_3repE0EEENS1_30default_config_static_selectorELNS0_4arch9wavefront6targetE1EEEvSD_,"axG",@progbits,_ZN7rocprim17ROCPRIM_400000_NS6detail17trampoline_kernelINS0_14default_configENS1_22reduce_config_selectorImEEZNS1_11reduce_implILb1ES3_PmS7_m11plus_mod_10ImEEE10hipError_tPvRmT1_T2_T3_mT4_P12ihipStream_tbEUlT_E1_NS1_11comp_targetILNS1_3genE10ELNS1_11target_archE1201ELNS1_3gpuE5ELNS1_3repE0EEENS1_30default_config_static_selectorELNS0_4arch9wavefront6targetE1EEEvSD_,comdat
	.protected	_ZN7rocprim17ROCPRIM_400000_NS6detail17trampoline_kernelINS0_14default_configENS1_22reduce_config_selectorImEEZNS1_11reduce_implILb1ES3_PmS7_m11plus_mod_10ImEEE10hipError_tPvRmT1_T2_T3_mT4_P12ihipStream_tbEUlT_E1_NS1_11comp_targetILNS1_3genE10ELNS1_11target_archE1201ELNS1_3gpuE5ELNS1_3repE0EEENS1_30default_config_static_selectorELNS0_4arch9wavefront6targetE1EEEvSD_ ; -- Begin function _ZN7rocprim17ROCPRIM_400000_NS6detail17trampoline_kernelINS0_14default_configENS1_22reduce_config_selectorImEEZNS1_11reduce_implILb1ES3_PmS7_m11plus_mod_10ImEEE10hipError_tPvRmT1_T2_T3_mT4_P12ihipStream_tbEUlT_E1_NS1_11comp_targetILNS1_3genE10ELNS1_11target_archE1201ELNS1_3gpuE5ELNS1_3repE0EEENS1_30default_config_static_selectorELNS0_4arch9wavefront6targetE1EEEvSD_
	.globl	_ZN7rocprim17ROCPRIM_400000_NS6detail17trampoline_kernelINS0_14default_configENS1_22reduce_config_selectorImEEZNS1_11reduce_implILb1ES3_PmS7_m11plus_mod_10ImEEE10hipError_tPvRmT1_T2_T3_mT4_P12ihipStream_tbEUlT_E1_NS1_11comp_targetILNS1_3genE10ELNS1_11target_archE1201ELNS1_3gpuE5ELNS1_3repE0EEENS1_30default_config_static_selectorELNS0_4arch9wavefront6targetE1EEEvSD_
	.p2align	8
	.type	_ZN7rocprim17ROCPRIM_400000_NS6detail17trampoline_kernelINS0_14default_configENS1_22reduce_config_selectorImEEZNS1_11reduce_implILb1ES3_PmS7_m11plus_mod_10ImEEE10hipError_tPvRmT1_T2_T3_mT4_P12ihipStream_tbEUlT_E1_NS1_11comp_targetILNS1_3genE10ELNS1_11target_archE1201ELNS1_3gpuE5ELNS1_3repE0EEENS1_30default_config_static_selectorELNS0_4arch9wavefront6targetE1EEEvSD_,@function
_ZN7rocprim17ROCPRIM_400000_NS6detail17trampoline_kernelINS0_14default_configENS1_22reduce_config_selectorImEEZNS1_11reduce_implILb1ES3_PmS7_m11plus_mod_10ImEEE10hipError_tPvRmT1_T2_T3_mT4_P12ihipStream_tbEUlT_E1_NS1_11comp_targetILNS1_3genE10ELNS1_11target_archE1201ELNS1_3gpuE5ELNS1_3repE0EEENS1_30default_config_static_selectorELNS0_4arch9wavefront6targetE1EEEvSD_: ; @_ZN7rocprim17ROCPRIM_400000_NS6detail17trampoline_kernelINS0_14default_configENS1_22reduce_config_selectorImEEZNS1_11reduce_implILb1ES3_PmS7_m11plus_mod_10ImEEE10hipError_tPvRmT1_T2_T3_mT4_P12ihipStream_tbEUlT_E1_NS1_11comp_targetILNS1_3genE10ELNS1_11target_archE1201ELNS1_3gpuE5ELNS1_3repE0EEENS1_30default_config_static_selectorELNS0_4arch9wavefront6targetE1EEEvSD_
; %bb.0:
	.section	.rodata,"a",@progbits
	.p2align	6, 0x0
	.amdhsa_kernel _ZN7rocprim17ROCPRIM_400000_NS6detail17trampoline_kernelINS0_14default_configENS1_22reduce_config_selectorImEEZNS1_11reduce_implILb1ES3_PmS7_m11plus_mod_10ImEEE10hipError_tPvRmT1_T2_T3_mT4_P12ihipStream_tbEUlT_E1_NS1_11comp_targetILNS1_3genE10ELNS1_11target_archE1201ELNS1_3gpuE5ELNS1_3repE0EEENS1_30default_config_static_selectorELNS0_4arch9wavefront6targetE1EEEvSD_
		.amdhsa_group_segment_fixed_size 0
		.amdhsa_private_segment_fixed_size 0
		.amdhsa_kernarg_size 48
		.amdhsa_user_sgpr_count 2
		.amdhsa_user_sgpr_dispatch_ptr 0
		.amdhsa_user_sgpr_queue_ptr 0
		.amdhsa_user_sgpr_kernarg_segment_ptr 1
		.amdhsa_user_sgpr_dispatch_id 0
		.amdhsa_user_sgpr_kernarg_preload_length 0
		.amdhsa_user_sgpr_kernarg_preload_offset 0
		.amdhsa_user_sgpr_private_segment_size 0
		.amdhsa_uses_dynamic_stack 0
		.amdhsa_enable_private_segment 0
		.amdhsa_system_sgpr_workgroup_id_x 1
		.amdhsa_system_sgpr_workgroup_id_y 0
		.amdhsa_system_sgpr_workgroup_id_z 0
		.amdhsa_system_sgpr_workgroup_info 0
		.amdhsa_system_vgpr_workitem_id 0
		.amdhsa_next_free_vgpr 1
		.amdhsa_next_free_sgpr 0
		.amdhsa_accum_offset 4
		.amdhsa_reserve_vcc 0
		.amdhsa_float_round_mode_32 0
		.amdhsa_float_round_mode_16_64 0
		.amdhsa_float_denorm_mode_32 3
		.amdhsa_float_denorm_mode_16_64 3
		.amdhsa_dx10_clamp 1
		.amdhsa_ieee_mode 1
		.amdhsa_fp16_overflow 0
		.amdhsa_tg_split 0
		.amdhsa_exception_fp_ieee_invalid_op 0
		.amdhsa_exception_fp_denorm_src 0
		.amdhsa_exception_fp_ieee_div_zero 0
		.amdhsa_exception_fp_ieee_overflow 0
		.amdhsa_exception_fp_ieee_underflow 0
		.amdhsa_exception_fp_ieee_inexact 0
		.amdhsa_exception_int_div_zero 0
	.end_amdhsa_kernel
	.section	.text._ZN7rocprim17ROCPRIM_400000_NS6detail17trampoline_kernelINS0_14default_configENS1_22reduce_config_selectorImEEZNS1_11reduce_implILb1ES3_PmS7_m11plus_mod_10ImEEE10hipError_tPvRmT1_T2_T3_mT4_P12ihipStream_tbEUlT_E1_NS1_11comp_targetILNS1_3genE10ELNS1_11target_archE1201ELNS1_3gpuE5ELNS1_3repE0EEENS1_30default_config_static_selectorELNS0_4arch9wavefront6targetE1EEEvSD_,"axG",@progbits,_ZN7rocprim17ROCPRIM_400000_NS6detail17trampoline_kernelINS0_14default_configENS1_22reduce_config_selectorImEEZNS1_11reduce_implILb1ES3_PmS7_m11plus_mod_10ImEEE10hipError_tPvRmT1_T2_T3_mT4_P12ihipStream_tbEUlT_E1_NS1_11comp_targetILNS1_3genE10ELNS1_11target_archE1201ELNS1_3gpuE5ELNS1_3repE0EEENS1_30default_config_static_selectorELNS0_4arch9wavefront6targetE1EEEvSD_,comdat
.Lfunc_end563:
	.size	_ZN7rocprim17ROCPRIM_400000_NS6detail17trampoline_kernelINS0_14default_configENS1_22reduce_config_selectorImEEZNS1_11reduce_implILb1ES3_PmS7_m11plus_mod_10ImEEE10hipError_tPvRmT1_T2_T3_mT4_P12ihipStream_tbEUlT_E1_NS1_11comp_targetILNS1_3genE10ELNS1_11target_archE1201ELNS1_3gpuE5ELNS1_3repE0EEENS1_30default_config_static_selectorELNS0_4arch9wavefront6targetE1EEEvSD_, .Lfunc_end563-_ZN7rocprim17ROCPRIM_400000_NS6detail17trampoline_kernelINS0_14default_configENS1_22reduce_config_selectorImEEZNS1_11reduce_implILb1ES3_PmS7_m11plus_mod_10ImEEE10hipError_tPvRmT1_T2_T3_mT4_P12ihipStream_tbEUlT_E1_NS1_11comp_targetILNS1_3genE10ELNS1_11target_archE1201ELNS1_3gpuE5ELNS1_3repE0EEENS1_30default_config_static_selectorELNS0_4arch9wavefront6targetE1EEEvSD_
                                        ; -- End function
	.set _ZN7rocprim17ROCPRIM_400000_NS6detail17trampoline_kernelINS0_14default_configENS1_22reduce_config_selectorImEEZNS1_11reduce_implILb1ES3_PmS7_m11plus_mod_10ImEEE10hipError_tPvRmT1_T2_T3_mT4_P12ihipStream_tbEUlT_E1_NS1_11comp_targetILNS1_3genE10ELNS1_11target_archE1201ELNS1_3gpuE5ELNS1_3repE0EEENS1_30default_config_static_selectorELNS0_4arch9wavefront6targetE1EEEvSD_.num_vgpr, 0
	.set _ZN7rocprim17ROCPRIM_400000_NS6detail17trampoline_kernelINS0_14default_configENS1_22reduce_config_selectorImEEZNS1_11reduce_implILb1ES3_PmS7_m11plus_mod_10ImEEE10hipError_tPvRmT1_T2_T3_mT4_P12ihipStream_tbEUlT_E1_NS1_11comp_targetILNS1_3genE10ELNS1_11target_archE1201ELNS1_3gpuE5ELNS1_3repE0EEENS1_30default_config_static_selectorELNS0_4arch9wavefront6targetE1EEEvSD_.num_agpr, 0
	.set _ZN7rocprim17ROCPRIM_400000_NS6detail17trampoline_kernelINS0_14default_configENS1_22reduce_config_selectorImEEZNS1_11reduce_implILb1ES3_PmS7_m11plus_mod_10ImEEE10hipError_tPvRmT1_T2_T3_mT4_P12ihipStream_tbEUlT_E1_NS1_11comp_targetILNS1_3genE10ELNS1_11target_archE1201ELNS1_3gpuE5ELNS1_3repE0EEENS1_30default_config_static_selectorELNS0_4arch9wavefront6targetE1EEEvSD_.numbered_sgpr, 0
	.set _ZN7rocprim17ROCPRIM_400000_NS6detail17trampoline_kernelINS0_14default_configENS1_22reduce_config_selectorImEEZNS1_11reduce_implILb1ES3_PmS7_m11plus_mod_10ImEEE10hipError_tPvRmT1_T2_T3_mT4_P12ihipStream_tbEUlT_E1_NS1_11comp_targetILNS1_3genE10ELNS1_11target_archE1201ELNS1_3gpuE5ELNS1_3repE0EEENS1_30default_config_static_selectorELNS0_4arch9wavefront6targetE1EEEvSD_.num_named_barrier, 0
	.set _ZN7rocprim17ROCPRIM_400000_NS6detail17trampoline_kernelINS0_14default_configENS1_22reduce_config_selectorImEEZNS1_11reduce_implILb1ES3_PmS7_m11plus_mod_10ImEEE10hipError_tPvRmT1_T2_T3_mT4_P12ihipStream_tbEUlT_E1_NS1_11comp_targetILNS1_3genE10ELNS1_11target_archE1201ELNS1_3gpuE5ELNS1_3repE0EEENS1_30default_config_static_selectorELNS0_4arch9wavefront6targetE1EEEvSD_.private_seg_size, 0
	.set _ZN7rocprim17ROCPRIM_400000_NS6detail17trampoline_kernelINS0_14default_configENS1_22reduce_config_selectorImEEZNS1_11reduce_implILb1ES3_PmS7_m11plus_mod_10ImEEE10hipError_tPvRmT1_T2_T3_mT4_P12ihipStream_tbEUlT_E1_NS1_11comp_targetILNS1_3genE10ELNS1_11target_archE1201ELNS1_3gpuE5ELNS1_3repE0EEENS1_30default_config_static_selectorELNS0_4arch9wavefront6targetE1EEEvSD_.uses_vcc, 0
	.set _ZN7rocprim17ROCPRIM_400000_NS6detail17trampoline_kernelINS0_14default_configENS1_22reduce_config_selectorImEEZNS1_11reduce_implILb1ES3_PmS7_m11plus_mod_10ImEEE10hipError_tPvRmT1_T2_T3_mT4_P12ihipStream_tbEUlT_E1_NS1_11comp_targetILNS1_3genE10ELNS1_11target_archE1201ELNS1_3gpuE5ELNS1_3repE0EEENS1_30default_config_static_selectorELNS0_4arch9wavefront6targetE1EEEvSD_.uses_flat_scratch, 0
	.set _ZN7rocprim17ROCPRIM_400000_NS6detail17trampoline_kernelINS0_14default_configENS1_22reduce_config_selectorImEEZNS1_11reduce_implILb1ES3_PmS7_m11plus_mod_10ImEEE10hipError_tPvRmT1_T2_T3_mT4_P12ihipStream_tbEUlT_E1_NS1_11comp_targetILNS1_3genE10ELNS1_11target_archE1201ELNS1_3gpuE5ELNS1_3repE0EEENS1_30default_config_static_selectorELNS0_4arch9wavefront6targetE1EEEvSD_.has_dyn_sized_stack, 0
	.set _ZN7rocprim17ROCPRIM_400000_NS6detail17trampoline_kernelINS0_14default_configENS1_22reduce_config_selectorImEEZNS1_11reduce_implILb1ES3_PmS7_m11plus_mod_10ImEEE10hipError_tPvRmT1_T2_T3_mT4_P12ihipStream_tbEUlT_E1_NS1_11comp_targetILNS1_3genE10ELNS1_11target_archE1201ELNS1_3gpuE5ELNS1_3repE0EEENS1_30default_config_static_selectorELNS0_4arch9wavefront6targetE1EEEvSD_.has_recursion, 0
	.set _ZN7rocprim17ROCPRIM_400000_NS6detail17trampoline_kernelINS0_14default_configENS1_22reduce_config_selectorImEEZNS1_11reduce_implILb1ES3_PmS7_m11plus_mod_10ImEEE10hipError_tPvRmT1_T2_T3_mT4_P12ihipStream_tbEUlT_E1_NS1_11comp_targetILNS1_3genE10ELNS1_11target_archE1201ELNS1_3gpuE5ELNS1_3repE0EEENS1_30default_config_static_selectorELNS0_4arch9wavefront6targetE1EEEvSD_.has_indirect_call, 0
	.section	.AMDGPU.csdata,"",@progbits
; Kernel info:
; codeLenInByte = 0
; TotalNumSgprs: 6
; NumVgprs: 0
; NumAgprs: 0
; TotalNumVgprs: 0
; ScratchSize: 0
; MemoryBound: 0
; FloatMode: 240
; IeeeMode: 1
; LDSByteSize: 0 bytes/workgroup (compile time only)
; SGPRBlocks: 0
; VGPRBlocks: 0
; NumSGPRsForWavesPerEU: 6
; NumVGPRsForWavesPerEU: 1
; AccumOffset: 4
; Occupancy: 8
; WaveLimiterHint : 0
; COMPUTE_PGM_RSRC2:SCRATCH_EN: 0
; COMPUTE_PGM_RSRC2:USER_SGPR: 2
; COMPUTE_PGM_RSRC2:TRAP_HANDLER: 0
; COMPUTE_PGM_RSRC2:TGID_X_EN: 1
; COMPUTE_PGM_RSRC2:TGID_Y_EN: 0
; COMPUTE_PGM_RSRC2:TGID_Z_EN: 0
; COMPUTE_PGM_RSRC2:TIDIG_COMP_CNT: 0
; COMPUTE_PGM_RSRC3_GFX90A:ACCUM_OFFSET: 0
; COMPUTE_PGM_RSRC3_GFX90A:TG_SPLIT: 0
	.section	.text._ZN7rocprim17ROCPRIM_400000_NS6detail17trampoline_kernelINS0_14default_configENS1_22reduce_config_selectorImEEZNS1_11reduce_implILb1ES3_PmS7_m11plus_mod_10ImEEE10hipError_tPvRmT1_T2_T3_mT4_P12ihipStream_tbEUlT_E1_NS1_11comp_targetILNS1_3genE10ELNS1_11target_archE1200ELNS1_3gpuE4ELNS1_3repE0EEENS1_30default_config_static_selectorELNS0_4arch9wavefront6targetE1EEEvSD_,"axG",@progbits,_ZN7rocprim17ROCPRIM_400000_NS6detail17trampoline_kernelINS0_14default_configENS1_22reduce_config_selectorImEEZNS1_11reduce_implILb1ES3_PmS7_m11plus_mod_10ImEEE10hipError_tPvRmT1_T2_T3_mT4_P12ihipStream_tbEUlT_E1_NS1_11comp_targetILNS1_3genE10ELNS1_11target_archE1200ELNS1_3gpuE4ELNS1_3repE0EEENS1_30default_config_static_selectorELNS0_4arch9wavefront6targetE1EEEvSD_,comdat
	.protected	_ZN7rocprim17ROCPRIM_400000_NS6detail17trampoline_kernelINS0_14default_configENS1_22reduce_config_selectorImEEZNS1_11reduce_implILb1ES3_PmS7_m11plus_mod_10ImEEE10hipError_tPvRmT1_T2_T3_mT4_P12ihipStream_tbEUlT_E1_NS1_11comp_targetILNS1_3genE10ELNS1_11target_archE1200ELNS1_3gpuE4ELNS1_3repE0EEENS1_30default_config_static_selectorELNS0_4arch9wavefront6targetE1EEEvSD_ ; -- Begin function _ZN7rocprim17ROCPRIM_400000_NS6detail17trampoline_kernelINS0_14default_configENS1_22reduce_config_selectorImEEZNS1_11reduce_implILb1ES3_PmS7_m11plus_mod_10ImEEE10hipError_tPvRmT1_T2_T3_mT4_P12ihipStream_tbEUlT_E1_NS1_11comp_targetILNS1_3genE10ELNS1_11target_archE1200ELNS1_3gpuE4ELNS1_3repE0EEENS1_30default_config_static_selectorELNS0_4arch9wavefront6targetE1EEEvSD_
	.globl	_ZN7rocprim17ROCPRIM_400000_NS6detail17trampoline_kernelINS0_14default_configENS1_22reduce_config_selectorImEEZNS1_11reduce_implILb1ES3_PmS7_m11plus_mod_10ImEEE10hipError_tPvRmT1_T2_T3_mT4_P12ihipStream_tbEUlT_E1_NS1_11comp_targetILNS1_3genE10ELNS1_11target_archE1200ELNS1_3gpuE4ELNS1_3repE0EEENS1_30default_config_static_selectorELNS0_4arch9wavefront6targetE1EEEvSD_
	.p2align	8
	.type	_ZN7rocprim17ROCPRIM_400000_NS6detail17trampoline_kernelINS0_14default_configENS1_22reduce_config_selectorImEEZNS1_11reduce_implILb1ES3_PmS7_m11plus_mod_10ImEEE10hipError_tPvRmT1_T2_T3_mT4_P12ihipStream_tbEUlT_E1_NS1_11comp_targetILNS1_3genE10ELNS1_11target_archE1200ELNS1_3gpuE4ELNS1_3repE0EEENS1_30default_config_static_selectorELNS0_4arch9wavefront6targetE1EEEvSD_,@function
_ZN7rocprim17ROCPRIM_400000_NS6detail17trampoline_kernelINS0_14default_configENS1_22reduce_config_selectorImEEZNS1_11reduce_implILb1ES3_PmS7_m11plus_mod_10ImEEE10hipError_tPvRmT1_T2_T3_mT4_P12ihipStream_tbEUlT_E1_NS1_11comp_targetILNS1_3genE10ELNS1_11target_archE1200ELNS1_3gpuE4ELNS1_3repE0EEENS1_30default_config_static_selectorELNS0_4arch9wavefront6targetE1EEEvSD_: ; @_ZN7rocprim17ROCPRIM_400000_NS6detail17trampoline_kernelINS0_14default_configENS1_22reduce_config_selectorImEEZNS1_11reduce_implILb1ES3_PmS7_m11plus_mod_10ImEEE10hipError_tPvRmT1_T2_T3_mT4_P12ihipStream_tbEUlT_E1_NS1_11comp_targetILNS1_3genE10ELNS1_11target_archE1200ELNS1_3gpuE4ELNS1_3repE0EEENS1_30default_config_static_selectorELNS0_4arch9wavefront6targetE1EEEvSD_
; %bb.0:
	.section	.rodata,"a",@progbits
	.p2align	6, 0x0
	.amdhsa_kernel _ZN7rocprim17ROCPRIM_400000_NS6detail17trampoline_kernelINS0_14default_configENS1_22reduce_config_selectorImEEZNS1_11reduce_implILb1ES3_PmS7_m11plus_mod_10ImEEE10hipError_tPvRmT1_T2_T3_mT4_P12ihipStream_tbEUlT_E1_NS1_11comp_targetILNS1_3genE10ELNS1_11target_archE1200ELNS1_3gpuE4ELNS1_3repE0EEENS1_30default_config_static_selectorELNS0_4arch9wavefront6targetE1EEEvSD_
		.amdhsa_group_segment_fixed_size 0
		.amdhsa_private_segment_fixed_size 0
		.amdhsa_kernarg_size 48
		.amdhsa_user_sgpr_count 2
		.amdhsa_user_sgpr_dispatch_ptr 0
		.amdhsa_user_sgpr_queue_ptr 0
		.amdhsa_user_sgpr_kernarg_segment_ptr 1
		.amdhsa_user_sgpr_dispatch_id 0
		.amdhsa_user_sgpr_kernarg_preload_length 0
		.amdhsa_user_sgpr_kernarg_preload_offset 0
		.amdhsa_user_sgpr_private_segment_size 0
		.amdhsa_uses_dynamic_stack 0
		.amdhsa_enable_private_segment 0
		.amdhsa_system_sgpr_workgroup_id_x 1
		.amdhsa_system_sgpr_workgroup_id_y 0
		.amdhsa_system_sgpr_workgroup_id_z 0
		.amdhsa_system_sgpr_workgroup_info 0
		.amdhsa_system_vgpr_workitem_id 0
		.amdhsa_next_free_vgpr 1
		.amdhsa_next_free_sgpr 0
		.amdhsa_accum_offset 4
		.amdhsa_reserve_vcc 0
		.amdhsa_float_round_mode_32 0
		.amdhsa_float_round_mode_16_64 0
		.amdhsa_float_denorm_mode_32 3
		.amdhsa_float_denorm_mode_16_64 3
		.amdhsa_dx10_clamp 1
		.amdhsa_ieee_mode 1
		.amdhsa_fp16_overflow 0
		.amdhsa_tg_split 0
		.amdhsa_exception_fp_ieee_invalid_op 0
		.amdhsa_exception_fp_denorm_src 0
		.amdhsa_exception_fp_ieee_div_zero 0
		.amdhsa_exception_fp_ieee_overflow 0
		.amdhsa_exception_fp_ieee_underflow 0
		.amdhsa_exception_fp_ieee_inexact 0
		.amdhsa_exception_int_div_zero 0
	.end_amdhsa_kernel
	.section	.text._ZN7rocprim17ROCPRIM_400000_NS6detail17trampoline_kernelINS0_14default_configENS1_22reduce_config_selectorImEEZNS1_11reduce_implILb1ES3_PmS7_m11plus_mod_10ImEEE10hipError_tPvRmT1_T2_T3_mT4_P12ihipStream_tbEUlT_E1_NS1_11comp_targetILNS1_3genE10ELNS1_11target_archE1200ELNS1_3gpuE4ELNS1_3repE0EEENS1_30default_config_static_selectorELNS0_4arch9wavefront6targetE1EEEvSD_,"axG",@progbits,_ZN7rocprim17ROCPRIM_400000_NS6detail17trampoline_kernelINS0_14default_configENS1_22reduce_config_selectorImEEZNS1_11reduce_implILb1ES3_PmS7_m11plus_mod_10ImEEE10hipError_tPvRmT1_T2_T3_mT4_P12ihipStream_tbEUlT_E1_NS1_11comp_targetILNS1_3genE10ELNS1_11target_archE1200ELNS1_3gpuE4ELNS1_3repE0EEENS1_30default_config_static_selectorELNS0_4arch9wavefront6targetE1EEEvSD_,comdat
.Lfunc_end564:
	.size	_ZN7rocprim17ROCPRIM_400000_NS6detail17trampoline_kernelINS0_14default_configENS1_22reduce_config_selectorImEEZNS1_11reduce_implILb1ES3_PmS7_m11plus_mod_10ImEEE10hipError_tPvRmT1_T2_T3_mT4_P12ihipStream_tbEUlT_E1_NS1_11comp_targetILNS1_3genE10ELNS1_11target_archE1200ELNS1_3gpuE4ELNS1_3repE0EEENS1_30default_config_static_selectorELNS0_4arch9wavefront6targetE1EEEvSD_, .Lfunc_end564-_ZN7rocprim17ROCPRIM_400000_NS6detail17trampoline_kernelINS0_14default_configENS1_22reduce_config_selectorImEEZNS1_11reduce_implILb1ES3_PmS7_m11plus_mod_10ImEEE10hipError_tPvRmT1_T2_T3_mT4_P12ihipStream_tbEUlT_E1_NS1_11comp_targetILNS1_3genE10ELNS1_11target_archE1200ELNS1_3gpuE4ELNS1_3repE0EEENS1_30default_config_static_selectorELNS0_4arch9wavefront6targetE1EEEvSD_
                                        ; -- End function
	.set _ZN7rocprim17ROCPRIM_400000_NS6detail17trampoline_kernelINS0_14default_configENS1_22reduce_config_selectorImEEZNS1_11reduce_implILb1ES3_PmS7_m11plus_mod_10ImEEE10hipError_tPvRmT1_T2_T3_mT4_P12ihipStream_tbEUlT_E1_NS1_11comp_targetILNS1_3genE10ELNS1_11target_archE1200ELNS1_3gpuE4ELNS1_3repE0EEENS1_30default_config_static_selectorELNS0_4arch9wavefront6targetE1EEEvSD_.num_vgpr, 0
	.set _ZN7rocprim17ROCPRIM_400000_NS6detail17trampoline_kernelINS0_14default_configENS1_22reduce_config_selectorImEEZNS1_11reduce_implILb1ES3_PmS7_m11plus_mod_10ImEEE10hipError_tPvRmT1_T2_T3_mT4_P12ihipStream_tbEUlT_E1_NS1_11comp_targetILNS1_3genE10ELNS1_11target_archE1200ELNS1_3gpuE4ELNS1_3repE0EEENS1_30default_config_static_selectorELNS0_4arch9wavefront6targetE1EEEvSD_.num_agpr, 0
	.set _ZN7rocprim17ROCPRIM_400000_NS6detail17trampoline_kernelINS0_14default_configENS1_22reduce_config_selectorImEEZNS1_11reduce_implILb1ES3_PmS7_m11plus_mod_10ImEEE10hipError_tPvRmT1_T2_T3_mT4_P12ihipStream_tbEUlT_E1_NS1_11comp_targetILNS1_3genE10ELNS1_11target_archE1200ELNS1_3gpuE4ELNS1_3repE0EEENS1_30default_config_static_selectorELNS0_4arch9wavefront6targetE1EEEvSD_.numbered_sgpr, 0
	.set _ZN7rocprim17ROCPRIM_400000_NS6detail17trampoline_kernelINS0_14default_configENS1_22reduce_config_selectorImEEZNS1_11reduce_implILb1ES3_PmS7_m11plus_mod_10ImEEE10hipError_tPvRmT1_T2_T3_mT4_P12ihipStream_tbEUlT_E1_NS1_11comp_targetILNS1_3genE10ELNS1_11target_archE1200ELNS1_3gpuE4ELNS1_3repE0EEENS1_30default_config_static_selectorELNS0_4arch9wavefront6targetE1EEEvSD_.num_named_barrier, 0
	.set _ZN7rocprim17ROCPRIM_400000_NS6detail17trampoline_kernelINS0_14default_configENS1_22reduce_config_selectorImEEZNS1_11reduce_implILb1ES3_PmS7_m11plus_mod_10ImEEE10hipError_tPvRmT1_T2_T3_mT4_P12ihipStream_tbEUlT_E1_NS1_11comp_targetILNS1_3genE10ELNS1_11target_archE1200ELNS1_3gpuE4ELNS1_3repE0EEENS1_30default_config_static_selectorELNS0_4arch9wavefront6targetE1EEEvSD_.private_seg_size, 0
	.set _ZN7rocprim17ROCPRIM_400000_NS6detail17trampoline_kernelINS0_14default_configENS1_22reduce_config_selectorImEEZNS1_11reduce_implILb1ES3_PmS7_m11plus_mod_10ImEEE10hipError_tPvRmT1_T2_T3_mT4_P12ihipStream_tbEUlT_E1_NS1_11comp_targetILNS1_3genE10ELNS1_11target_archE1200ELNS1_3gpuE4ELNS1_3repE0EEENS1_30default_config_static_selectorELNS0_4arch9wavefront6targetE1EEEvSD_.uses_vcc, 0
	.set _ZN7rocprim17ROCPRIM_400000_NS6detail17trampoline_kernelINS0_14default_configENS1_22reduce_config_selectorImEEZNS1_11reduce_implILb1ES3_PmS7_m11plus_mod_10ImEEE10hipError_tPvRmT1_T2_T3_mT4_P12ihipStream_tbEUlT_E1_NS1_11comp_targetILNS1_3genE10ELNS1_11target_archE1200ELNS1_3gpuE4ELNS1_3repE0EEENS1_30default_config_static_selectorELNS0_4arch9wavefront6targetE1EEEvSD_.uses_flat_scratch, 0
	.set _ZN7rocprim17ROCPRIM_400000_NS6detail17trampoline_kernelINS0_14default_configENS1_22reduce_config_selectorImEEZNS1_11reduce_implILb1ES3_PmS7_m11plus_mod_10ImEEE10hipError_tPvRmT1_T2_T3_mT4_P12ihipStream_tbEUlT_E1_NS1_11comp_targetILNS1_3genE10ELNS1_11target_archE1200ELNS1_3gpuE4ELNS1_3repE0EEENS1_30default_config_static_selectorELNS0_4arch9wavefront6targetE1EEEvSD_.has_dyn_sized_stack, 0
	.set _ZN7rocprim17ROCPRIM_400000_NS6detail17trampoline_kernelINS0_14default_configENS1_22reduce_config_selectorImEEZNS1_11reduce_implILb1ES3_PmS7_m11plus_mod_10ImEEE10hipError_tPvRmT1_T2_T3_mT4_P12ihipStream_tbEUlT_E1_NS1_11comp_targetILNS1_3genE10ELNS1_11target_archE1200ELNS1_3gpuE4ELNS1_3repE0EEENS1_30default_config_static_selectorELNS0_4arch9wavefront6targetE1EEEvSD_.has_recursion, 0
	.set _ZN7rocprim17ROCPRIM_400000_NS6detail17trampoline_kernelINS0_14default_configENS1_22reduce_config_selectorImEEZNS1_11reduce_implILb1ES3_PmS7_m11plus_mod_10ImEEE10hipError_tPvRmT1_T2_T3_mT4_P12ihipStream_tbEUlT_E1_NS1_11comp_targetILNS1_3genE10ELNS1_11target_archE1200ELNS1_3gpuE4ELNS1_3repE0EEENS1_30default_config_static_selectorELNS0_4arch9wavefront6targetE1EEEvSD_.has_indirect_call, 0
	.section	.AMDGPU.csdata,"",@progbits
; Kernel info:
; codeLenInByte = 0
; TotalNumSgprs: 6
; NumVgprs: 0
; NumAgprs: 0
; TotalNumVgprs: 0
; ScratchSize: 0
; MemoryBound: 0
; FloatMode: 240
; IeeeMode: 1
; LDSByteSize: 0 bytes/workgroup (compile time only)
; SGPRBlocks: 0
; VGPRBlocks: 0
; NumSGPRsForWavesPerEU: 6
; NumVGPRsForWavesPerEU: 1
; AccumOffset: 4
; Occupancy: 8
; WaveLimiterHint : 0
; COMPUTE_PGM_RSRC2:SCRATCH_EN: 0
; COMPUTE_PGM_RSRC2:USER_SGPR: 2
; COMPUTE_PGM_RSRC2:TRAP_HANDLER: 0
; COMPUTE_PGM_RSRC2:TGID_X_EN: 1
; COMPUTE_PGM_RSRC2:TGID_Y_EN: 0
; COMPUTE_PGM_RSRC2:TGID_Z_EN: 0
; COMPUTE_PGM_RSRC2:TIDIG_COMP_CNT: 0
; COMPUTE_PGM_RSRC3_GFX90A:ACCUM_OFFSET: 0
; COMPUTE_PGM_RSRC3_GFX90A:TG_SPLIT: 0
	.section	.text._ZN7rocprim17ROCPRIM_400000_NS6detail17trampoline_kernelINS0_14default_configENS1_22reduce_config_selectorImEEZNS1_11reduce_implILb1ES3_PmS7_m11plus_mod_10ImEEE10hipError_tPvRmT1_T2_T3_mT4_P12ihipStream_tbEUlT_E1_NS1_11comp_targetILNS1_3genE9ELNS1_11target_archE1100ELNS1_3gpuE3ELNS1_3repE0EEENS1_30default_config_static_selectorELNS0_4arch9wavefront6targetE1EEEvSD_,"axG",@progbits,_ZN7rocprim17ROCPRIM_400000_NS6detail17trampoline_kernelINS0_14default_configENS1_22reduce_config_selectorImEEZNS1_11reduce_implILb1ES3_PmS7_m11plus_mod_10ImEEE10hipError_tPvRmT1_T2_T3_mT4_P12ihipStream_tbEUlT_E1_NS1_11comp_targetILNS1_3genE9ELNS1_11target_archE1100ELNS1_3gpuE3ELNS1_3repE0EEENS1_30default_config_static_selectorELNS0_4arch9wavefront6targetE1EEEvSD_,comdat
	.protected	_ZN7rocprim17ROCPRIM_400000_NS6detail17trampoline_kernelINS0_14default_configENS1_22reduce_config_selectorImEEZNS1_11reduce_implILb1ES3_PmS7_m11plus_mod_10ImEEE10hipError_tPvRmT1_T2_T3_mT4_P12ihipStream_tbEUlT_E1_NS1_11comp_targetILNS1_3genE9ELNS1_11target_archE1100ELNS1_3gpuE3ELNS1_3repE0EEENS1_30default_config_static_selectorELNS0_4arch9wavefront6targetE1EEEvSD_ ; -- Begin function _ZN7rocprim17ROCPRIM_400000_NS6detail17trampoline_kernelINS0_14default_configENS1_22reduce_config_selectorImEEZNS1_11reduce_implILb1ES3_PmS7_m11plus_mod_10ImEEE10hipError_tPvRmT1_T2_T3_mT4_P12ihipStream_tbEUlT_E1_NS1_11comp_targetILNS1_3genE9ELNS1_11target_archE1100ELNS1_3gpuE3ELNS1_3repE0EEENS1_30default_config_static_selectorELNS0_4arch9wavefront6targetE1EEEvSD_
	.globl	_ZN7rocprim17ROCPRIM_400000_NS6detail17trampoline_kernelINS0_14default_configENS1_22reduce_config_selectorImEEZNS1_11reduce_implILb1ES3_PmS7_m11plus_mod_10ImEEE10hipError_tPvRmT1_T2_T3_mT4_P12ihipStream_tbEUlT_E1_NS1_11comp_targetILNS1_3genE9ELNS1_11target_archE1100ELNS1_3gpuE3ELNS1_3repE0EEENS1_30default_config_static_selectorELNS0_4arch9wavefront6targetE1EEEvSD_
	.p2align	8
	.type	_ZN7rocprim17ROCPRIM_400000_NS6detail17trampoline_kernelINS0_14default_configENS1_22reduce_config_selectorImEEZNS1_11reduce_implILb1ES3_PmS7_m11plus_mod_10ImEEE10hipError_tPvRmT1_T2_T3_mT4_P12ihipStream_tbEUlT_E1_NS1_11comp_targetILNS1_3genE9ELNS1_11target_archE1100ELNS1_3gpuE3ELNS1_3repE0EEENS1_30default_config_static_selectorELNS0_4arch9wavefront6targetE1EEEvSD_,@function
_ZN7rocprim17ROCPRIM_400000_NS6detail17trampoline_kernelINS0_14default_configENS1_22reduce_config_selectorImEEZNS1_11reduce_implILb1ES3_PmS7_m11plus_mod_10ImEEE10hipError_tPvRmT1_T2_T3_mT4_P12ihipStream_tbEUlT_E1_NS1_11comp_targetILNS1_3genE9ELNS1_11target_archE1100ELNS1_3gpuE3ELNS1_3repE0EEENS1_30default_config_static_selectorELNS0_4arch9wavefront6targetE1EEEvSD_: ; @_ZN7rocprim17ROCPRIM_400000_NS6detail17trampoline_kernelINS0_14default_configENS1_22reduce_config_selectorImEEZNS1_11reduce_implILb1ES3_PmS7_m11plus_mod_10ImEEE10hipError_tPvRmT1_T2_T3_mT4_P12ihipStream_tbEUlT_E1_NS1_11comp_targetILNS1_3genE9ELNS1_11target_archE1100ELNS1_3gpuE3ELNS1_3repE0EEENS1_30default_config_static_selectorELNS0_4arch9wavefront6targetE1EEEvSD_
; %bb.0:
	.section	.rodata,"a",@progbits
	.p2align	6, 0x0
	.amdhsa_kernel _ZN7rocprim17ROCPRIM_400000_NS6detail17trampoline_kernelINS0_14default_configENS1_22reduce_config_selectorImEEZNS1_11reduce_implILb1ES3_PmS7_m11plus_mod_10ImEEE10hipError_tPvRmT1_T2_T3_mT4_P12ihipStream_tbEUlT_E1_NS1_11comp_targetILNS1_3genE9ELNS1_11target_archE1100ELNS1_3gpuE3ELNS1_3repE0EEENS1_30default_config_static_selectorELNS0_4arch9wavefront6targetE1EEEvSD_
		.amdhsa_group_segment_fixed_size 0
		.amdhsa_private_segment_fixed_size 0
		.amdhsa_kernarg_size 48
		.amdhsa_user_sgpr_count 2
		.amdhsa_user_sgpr_dispatch_ptr 0
		.amdhsa_user_sgpr_queue_ptr 0
		.amdhsa_user_sgpr_kernarg_segment_ptr 1
		.amdhsa_user_sgpr_dispatch_id 0
		.amdhsa_user_sgpr_kernarg_preload_length 0
		.amdhsa_user_sgpr_kernarg_preload_offset 0
		.amdhsa_user_sgpr_private_segment_size 0
		.amdhsa_uses_dynamic_stack 0
		.amdhsa_enable_private_segment 0
		.amdhsa_system_sgpr_workgroup_id_x 1
		.amdhsa_system_sgpr_workgroup_id_y 0
		.amdhsa_system_sgpr_workgroup_id_z 0
		.amdhsa_system_sgpr_workgroup_info 0
		.amdhsa_system_vgpr_workitem_id 0
		.amdhsa_next_free_vgpr 1
		.amdhsa_next_free_sgpr 0
		.amdhsa_accum_offset 4
		.amdhsa_reserve_vcc 0
		.amdhsa_float_round_mode_32 0
		.amdhsa_float_round_mode_16_64 0
		.amdhsa_float_denorm_mode_32 3
		.amdhsa_float_denorm_mode_16_64 3
		.amdhsa_dx10_clamp 1
		.amdhsa_ieee_mode 1
		.amdhsa_fp16_overflow 0
		.amdhsa_tg_split 0
		.amdhsa_exception_fp_ieee_invalid_op 0
		.amdhsa_exception_fp_denorm_src 0
		.amdhsa_exception_fp_ieee_div_zero 0
		.amdhsa_exception_fp_ieee_overflow 0
		.amdhsa_exception_fp_ieee_underflow 0
		.amdhsa_exception_fp_ieee_inexact 0
		.amdhsa_exception_int_div_zero 0
	.end_amdhsa_kernel
	.section	.text._ZN7rocprim17ROCPRIM_400000_NS6detail17trampoline_kernelINS0_14default_configENS1_22reduce_config_selectorImEEZNS1_11reduce_implILb1ES3_PmS7_m11plus_mod_10ImEEE10hipError_tPvRmT1_T2_T3_mT4_P12ihipStream_tbEUlT_E1_NS1_11comp_targetILNS1_3genE9ELNS1_11target_archE1100ELNS1_3gpuE3ELNS1_3repE0EEENS1_30default_config_static_selectorELNS0_4arch9wavefront6targetE1EEEvSD_,"axG",@progbits,_ZN7rocprim17ROCPRIM_400000_NS6detail17trampoline_kernelINS0_14default_configENS1_22reduce_config_selectorImEEZNS1_11reduce_implILb1ES3_PmS7_m11plus_mod_10ImEEE10hipError_tPvRmT1_T2_T3_mT4_P12ihipStream_tbEUlT_E1_NS1_11comp_targetILNS1_3genE9ELNS1_11target_archE1100ELNS1_3gpuE3ELNS1_3repE0EEENS1_30default_config_static_selectorELNS0_4arch9wavefront6targetE1EEEvSD_,comdat
.Lfunc_end565:
	.size	_ZN7rocprim17ROCPRIM_400000_NS6detail17trampoline_kernelINS0_14default_configENS1_22reduce_config_selectorImEEZNS1_11reduce_implILb1ES3_PmS7_m11plus_mod_10ImEEE10hipError_tPvRmT1_T2_T3_mT4_P12ihipStream_tbEUlT_E1_NS1_11comp_targetILNS1_3genE9ELNS1_11target_archE1100ELNS1_3gpuE3ELNS1_3repE0EEENS1_30default_config_static_selectorELNS0_4arch9wavefront6targetE1EEEvSD_, .Lfunc_end565-_ZN7rocprim17ROCPRIM_400000_NS6detail17trampoline_kernelINS0_14default_configENS1_22reduce_config_selectorImEEZNS1_11reduce_implILb1ES3_PmS7_m11plus_mod_10ImEEE10hipError_tPvRmT1_T2_T3_mT4_P12ihipStream_tbEUlT_E1_NS1_11comp_targetILNS1_3genE9ELNS1_11target_archE1100ELNS1_3gpuE3ELNS1_3repE0EEENS1_30default_config_static_selectorELNS0_4arch9wavefront6targetE1EEEvSD_
                                        ; -- End function
	.set _ZN7rocprim17ROCPRIM_400000_NS6detail17trampoline_kernelINS0_14default_configENS1_22reduce_config_selectorImEEZNS1_11reduce_implILb1ES3_PmS7_m11plus_mod_10ImEEE10hipError_tPvRmT1_T2_T3_mT4_P12ihipStream_tbEUlT_E1_NS1_11comp_targetILNS1_3genE9ELNS1_11target_archE1100ELNS1_3gpuE3ELNS1_3repE0EEENS1_30default_config_static_selectorELNS0_4arch9wavefront6targetE1EEEvSD_.num_vgpr, 0
	.set _ZN7rocprim17ROCPRIM_400000_NS6detail17trampoline_kernelINS0_14default_configENS1_22reduce_config_selectorImEEZNS1_11reduce_implILb1ES3_PmS7_m11plus_mod_10ImEEE10hipError_tPvRmT1_T2_T3_mT4_P12ihipStream_tbEUlT_E1_NS1_11comp_targetILNS1_3genE9ELNS1_11target_archE1100ELNS1_3gpuE3ELNS1_3repE0EEENS1_30default_config_static_selectorELNS0_4arch9wavefront6targetE1EEEvSD_.num_agpr, 0
	.set _ZN7rocprim17ROCPRIM_400000_NS6detail17trampoline_kernelINS0_14default_configENS1_22reduce_config_selectorImEEZNS1_11reduce_implILb1ES3_PmS7_m11plus_mod_10ImEEE10hipError_tPvRmT1_T2_T3_mT4_P12ihipStream_tbEUlT_E1_NS1_11comp_targetILNS1_3genE9ELNS1_11target_archE1100ELNS1_3gpuE3ELNS1_3repE0EEENS1_30default_config_static_selectorELNS0_4arch9wavefront6targetE1EEEvSD_.numbered_sgpr, 0
	.set _ZN7rocprim17ROCPRIM_400000_NS6detail17trampoline_kernelINS0_14default_configENS1_22reduce_config_selectorImEEZNS1_11reduce_implILb1ES3_PmS7_m11plus_mod_10ImEEE10hipError_tPvRmT1_T2_T3_mT4_P12ihipStream_tbEUlT_E1_NS1_11comp_targetILNS1_3genE9ELNS1_11target_archE1100ELNS1_3gpuE3ELNS1_3repE0EEENS1_30default_config_static_selectorELNS0_4arch9wavefront6targetE1EEEvSD_.num_named_barrier, 0
	.set _ZN7rocprim17ROCPRIM_400000_NS6detail17trampoline_kernelINS0_14default_configENS1_22reduce_config_selectorImEEZNS1_11reduce_implILb1ES3_PmS7_m11plus_mod_10ImEEE10hipError_tPvRmT1_T2_T3_mT4_P12ihipStream_tbEUlT_E1_NS1_11comp_targetILNS1_3genE9ELNS1_11target_archE1100ELNS1_3gpuE3ELNS1_3repE0EEENS1_30default_config_static_selectorELNS0_4arch9wavefront6targetE1EEEvSD_.private_seg_size, 0
	.set _ZN7rocprim17ROCPRIM_400000_NS6detail17trampoline_kernelINS0_14default_configENS1_22reduce_config_selectorImEEZNS1_11reduce_implILb1ES3_PmS7_m11plus_mod_10ImEEE10hipError_tPvRmT1_T2_T3_mT4_P12ihipStream_tbEUlT_E1_NS1_11comp_targetILNS1_3genE9ELNS1_11target_archE1100ELNS1_3gpuE3ELNS1_3repE0EEENS1_30default_config_static_selectorELNS0_4arch9wavefront6targetE1EEEvSD_.uses_vcc, 0
	.set _ZN7rocprim17ROCPRIM_400000_NS6detail17trampoline_kernelINS0_14default_configENS1_22reduce_config_selectorImEEZNS1_11reduce_implILb1ES3_PmS7_m11plus_mod_10ImEEE10hipError_tPvRmT1_T2_T3_mT4_P12ihipStream_tbEUlT_E1_NS1_11comp_targetILNS1_3genE9ELNS1_11target_archE1100ELNS1_3gpuE3ELNS1_3repE0EEENS1_30default_config_static_selectorELNS0_4arch9wavefront6targetE1EEEvSD_.uses_flat_scratch, 0
	.set _ZN7rocprim17ROCPRIM_400000_NS6detail17trampoline_kernelINS0_14default_configENS1_22reduce_config_selectorImEEZNS1_11reduce_implILb1ES3_PmS7_m11plus_mod_10ImEEE10hipError_tPvRmT1_T2_T3_mT4_P12ihipStream_tbEUlT_E1_NS1_11comp_targetILNS1_3genE9ELNS1_11target_archE1100ELNS1_3gpuE3ELNS1_3repE0EEENS1_30default_config_static_selectorELNS0_4arch9wavefront6targetE1EEEvSD_.has_dyn_sized_stack, 0
	.set _ZN7rocprim17ROCPRIM_400000_NS6detail17trampoline_kernelINS0_14default_configENS1_22reduce_config_selectorImEEZNS1_11reduce_implILb1ES3_PmS7_m11plus_mod_10ImEEE10hipError_tPvRmT1_T2_T3_mT4_P12ihipStream_tbEUlT_E1_NS1_11comp_targetILNS1_3genE9ELNS1_11target_archE1100ELNS1_3gpuE3ELNS1_3repE0EEENS1_30default_config_static_selectorELNS0_4arch9wavefront6targetE1EEEvSD_.has_recursion, 0
	.set _ZN7rocprim17ROCPRIM_400000_NS6detail17trampoline_kernelINS0_14default_configENS1_22reduce_config_selectorImEEZNS1_11reduce_implILb1ES3_PmS7_m11plus_mod_10ImEEE10hipError_tPvRmT1_T2_T3_mT4_P12ihipStream_tbEUlT_E1_NS1_11comp_targetILNS1_3genE9ELNS1_11target_archE1100ELNS1_3gpuE3ELNS1_3repE0EEENS1_30default_config_static_selectorELNS0_4arch9wavefront6targetE1EEEvSD_.has_indirect_call, 0
	.section	.AMDGPU.csdata,"",@progbits
; Kernel info:
; codeLenInByte = 0
; TotalNumSgprs: 6
; NumVgprs: 0
; NumAgprs: 0
; TotalNumVgprs: 0
; ScratchSize: 0
; MemoryBound: 0
; FloatMode: 240
; IeeeMode: 1
; LDSByteSize: 0 bytes/workgroup (compile time only)
; SGPRBlocks: 0
; VGPRBlocks: 0
; NumSGPRsForWavesPerEU: 6
; NumVGPRsForWavesPerEU: 1
; AccumOffset: 4
; Occupancy: 8
; WaveLimiterHint : 0
; COMPUTE_PGM_RSRC2:SCRATCH_EN: 0
; COMPUTE_PGM_RSRC2:USER_SGPR: 2
; COMPUTE_PGM_RSRC2:TRAP_HANDLER: 0
; COMPUTE_PGM_RSRC2:TGID_X_EN: 1
; COMPUTE_PGM_RSRC2:TGID_Y_EN: 0
; COMPUTE_PGM_RSRC2:TGID_Z_EN: 0
; COMPUTE_PGM_RSRC2:TIDIG_COMP_CNT: 0
; COMPUTE_PGM_RSRC3_GFX90A:ACCUM_OFFSET: 0
; COMPUTE_PGM_RSRC3_GFX90A:TG_SPLIT: 0
	.section	.text._ZN7rocprim17ROCPRIM_400000_NS6detail17trampoline_kernelINS0_14default_configENS1_22reduce_config_selectorImEEZNS1_11reduce_implILb1ES3_PmS7_m11plus_mod_10ImEEE10hipError_tPvRmT1_T2_T3_mT4_P12ihipStream_tbEUlT_E1_NS1_11comp_targetILNS1_3genE8ELNS1_11target_archE1030ELNS1_3gpuE2ELNS1_3repE0EEENS1_30default_config_static_selectorELNS0_4arch9wavefront6targetE1EEEvSD_,"axG",@progbits,_ZN7rocprim17ROCPRIM_400000_NS6detail17trampoline_kernelINS0_14default_configENS1_22reduce_config_selectorImEEZNS1_11reduce_implILb1ES3_PmS7_m11plus_mod_10ImEEE10hipError_tPvRmT1_T2_T3_mT4_P12ihipStream_tbEUlT_E1_NS1_11comp_targetILNS1_3genE8ELNS1_11target_archE1030ELNS1_3gpuE2ELNS1_3repE0EEENS1_30default_config_static_selectorELNS0_4arch9wavefront6targetE1EEEvSD_,comdat
	.protected	_ZN7rocprim17ROCPRIM_400000_NS6detail17trampoline_kernelINS0_14default_configENS1_22reduce_config_selectorImEEZNS1_11reduce_implILb1ES3_PmS7_m11plus_mod_10ImEEE10hipError_tPvRmT1_T2_T3_mT4_P12ihipStream_tbEUlT_E1_NS1_11comp_targetILNS1_3genE8ELNS1_11target_archE1030ELNS1_3gpuE2ELNS1_3repE0EEENS1_30default_config_static_selectorELNS0_4arch9wavefront6targetE1EEEvSD_ ; -- Begin function _ZN7rocprim17ROCPRIM_400000_NS6detail17trampoline_kernelINS0_14default_configENS1_22reduce_config_selectorImEEZNS1_11reduce_implILb1ES3_PmS7_m11plus_mod_10ImEEE10hipError_tPvRmT1_T2_T3_mT4_P12ihipStream_tbEUlT_E1_NS1_11comp_targetILNS1_3genE8ELNS1_11target_archE1030ELNS1_3gpuE2ELNS1_3repE0EEENS1_30default_config_static_selectorELNS0_4arch9wavefront6targetE1EEEvSD_
	.globl	_ZN7rocprim17ROCPRIM_400000_NS6detail17trampoline_kernelINS0_14default_configENS1_22reduce_config_selectorImEEZNS1_11reduce_implILb1ES3_PmS7_m11plus_mod_10ImEEE10hipError_tPvRmT1_T2_T3_mT4_P12ihipStream_tbEUlT_E1_NS1_11comp_targetILNS1_3genE8ELNS1_11target_archE1030ELNS1_3gpuE2ELNS1_3repE0EEENS1_30default_config_static_selectorELNS0_4arch9wavefront6targetE1EEEvSD_
	.p2align	8
	.type	_ZN7rocprim17ROCPRIM_400000_NS6detail17trampoline_kernelINS0_14default_configENS1_22reduce_config_selectorImEEZNS1_11reduce_implILb1ES3_PmS7_m11plus_mod_10ImEEE10hipError_tPvRmT1_T2_T3_mT4_P12ihipStream_tbEUlT_E1_NS1_11comp_targetILNS1_3genE8ELNS1_11target_archE1030ELNS1_3gpuE2ELNS1_3repE0EEENS1_30default_config_static_selectorELNS0_4arch9wavefront6targetE1EEEvSD_,@function
_ZN7rocprim17ROCPRIM_400000_NS6detail17trampoline_kernelINS0_14default_configENS1_22reduce_config_selectorImEEZNS1_11reduce_implILb1ES3_PmS7_m11plus_mod_10ImEEE10hipError_tPvRmT1_T2_T3_mT4_P12ihipStream_tbEUlT_E1_NS1_11comp_targetILNS1_3genE8ELNS1_11target_archE1030ELNS1_3gpuE2ELNS1_3repE0EEENS1_30default_config_static_selectorELNS0_4arch9wavefront6targetE1EEEvSD_: ; @_ZN7rocprim17ROCPRIM_400000_NS6detail17trampoline_kernelINS0_14default_configENS1_22reduce_config_selectorImEEZNS1_11reduce_implILb1ES3_PmS7_m11plus_mod_10ImEEE10hipError_tPvRmT1_T2_T3_mT4_P12ihipStream_tbEUlT_E1_NS1_11comp_targetILNS1_3genE8ELNS1_11target_archE1030ELNS1_3gpuE2ELNS1_3repE0EEENS1_30default_config_static_selectorELNS0_4arch9wavefront6targetE1EEEvSD_
; %bb.0:
	.section	.rodata,"a",@progbits
	.p2align	6, 0x0
	.amdhsa_kernel _ZN7rocprim17ROCPRIM_400000_NS6detail17trampoline_kernelINS0_14default_configENS1_22reduce_config_selectorImEEZNS1_11reduce_implILb1ES3_PmS7_m11plus_mod_10ImEEE10hipError_tPvRmT1_T2_T3_mT4_P12ihipStream_tbEUlT_E1_NS1_11comp_targetILNS1_3genE8ELNS1_11target_archE1030ELNS1_3gpuE2ELNS1_3repE0EEENS1_30default_config_static_selectorELNS0_4arch9wavefront6targetE1EEEvSD_
		.amdhsa_group_segment_fixed_size 0
		.amdhsa_private_segment_fixed_size 0
		.amdhsa_kernarg_size 48
		.amdhsa_user_sgpr_count 2
		.amdhsa_user_sgpr_dispatch_ptr 0
		.amdhsa_user_sgpr_queue_ptr 0
		.amdhsa_user_sgpr_kernarg_segment_ptr 1
		.amdhsa_user_sgpr_dispatch_id 0
		.amdhsa_user_sgpr_kernarg_preload_length 0
		.amdhsa_user_sgpr_kernarg_preload_offset 0
		.amdhsa_user_sgpr_private_segment_size 0
		.amdhsa_uses_dynamic_stack 0
		.amdhsa_enable_private_segment 0
		.amdhsa_system_sgpr_workgroup_id_x 1
		.amdhsa_system_sgpr_workgroup_id_y 0
		.amdhsa_system_sgpr_workgroup_id_z 0
		.amdhsa_system_sgpr_workgroup_info 0
		.amdhsa_system_vgpr_workitem_id 0
		.amdhsa_next_free_vgpr 1
		.amdhsa_next_free_sgpr 0
		.amdhsa_accum_offset 4
		.amdhsa_reserve_vcc 0
		.amdhsa_float_round_mode_32 0
		.amdhsa_float_round_mode_16_64 0
		.amdhsa_float_denorm_mode_32 3
		.amdhsa_float_denorm_mode_16_64 3
		.amdhsa_dx10_clamp 1
		.amdhsa_ieee_mode 1
		.amdhsa_fp16_overflow 0
		.amdhsa_tg_split 0
		.amdhsa_exception_fp_ieee_invalid_op 0
		.amdhsa_exception_fp_denorm_src 0
		.amdhsa_exception_fp_ieee_div_zero 0
		.amdhsa_exception_fp_ieee_overflow 0
		.amdhsa_exception_fp_ieee_underflow 0
		.amdhsa_exception_fp_ieee_inexact 0
		.amdhsa_exception_int_div_zero 0
	.end_amdhsa_kernel
	.section	.text._ZN7rocprim17ROCPRIM_400000_NS6detail17trampoline_kernelINS0_14default_configENS1_22reduce_config_selectorImEEZNS1_11reduce_implILb1ES3_PmS7_m11plus_mod_10ImEEE10hipError_tPvRmT1_T2_T3_mT4_P12ihipStream_tbEUlT_E1_NS1_11comp_targetILNS1_3genE8ELNS1_11target_archE1030ELNS1_3gpuE2ELNS1_3repE0EEENS1_30default_config_static_selectorELNS0_4arch9wavefront6targetE1EEEvSD_,"axG",@progbits,_ZN7rocprim17ROCPRIM_400000_NS6detail17trampoline_kernelINS0_14default_configENS1_22reduce_config_selectorImEEZNS1_11reduce_implILb1ES3_PmS7_m11plus_mod_10ImEEE10hipError_tPvRmT1_T2_T3_mT4_P12ihipStream_tbEUlT_E1_NS1_11comp_targetILNS1_3genE8ELNS1_11target_archE1030ELNS1_3gpuE2ELNS1_3repE0EEENS1_30default_config_static_selectorELNS0_4arch9wavefront6targetE1EEEvSD_,comdat
.Lfunc_end566:
	.size	_ZN7rocprim17ROCPRIM_400000_NS6detail17trampoline_kernelINS0_14default_configENS1_22reduce_config_selectorImEEZNS1_11reduce_implILb1ES3_PmS7_m11plus_mod_10ImEEE10hipError_tPvRmT1_T2_T3_mT4_P12ihipStream_tbEUlT_E1_NS1_11comp_targetILNS1_3genE8ELNS1_11target_archE1030ELNS1_3gpuE2ELNS1_3repE0EEENS1_30default_config_static_selectorELNS0_4arch9wavefront6targetE1EEEvSD_, .Lfunc_end566-_ZN7rocprim17ROCPRIM_400000_NS6detail17trampoline_kernelINS0_14default_configENS1_22reduce_config_selectorImEEZNS1_11reduce_implILb1ES3_PmS7_m11plus_mod_10ImEEE10hipError_tPvRmT1_T2_T3_mT4_P12ihipStream_tbEUlT_E1_NS1_11comp_targetILNS1_3genE8ELNS1_11target_archE1030ELNS1_3gpuE2ELNS1_3repE0EEENS1_30default_config_static_selectorELNS0_4arch9wavefront6targetE1EEEvSD_
                                        ; -- End function
	.set _ZN7rocprim17ROCPRIM_400000_NS6detail17trampoline_kernelINS0_14default_configENS1_22reduce_config_selectorImEEZNS1_11reduce_implILb1ES3_PmS7_m11plus_mod_10ImEEE10hipError_tPvRmT1_T2_T3_mT4_P12ihipStream_tbEUlT_E1_NS1_11comp_targetILNS1_3genE8ELNS1_11target_archE1030ELNS1_3gpuE2ELNS1_3repE0EEENS1_30default_config_static_selectorELNS0_4arch9wavefront6targetE1EEEvSD_.num_vgpr, 0
	.set _ZN7rocprim17ROCPRIM_400000_NS6detail17trampoline_kernelINS0_14default_configENS1_22reduce_config_selectorImEEZNS1_11reduce_implILb1ES3_PmS7_m11plus_mod_10ImEEE10hipError_tPvRmT1_T2_T3_mT4_P12ihipStream_tbEUlT_E1_NS1_11comp_targetILNS1_3genE8ELNS1_11target_archE1030ELNS1_3gpuE2ELNS1_3repE0EEENS1_30default_config_static_selectorELNS0_4arch9wavefront6targetE1EEEvSD_.num_agpr, 0
	.set _ZN7rocprim17ROCPRIM_400000_NS6detail17trampoline_kernelINS0_14default_configENS1_22reduce_config_selectorImEEZNS1_11reduce_implILb1ES3_PmS7_m11plus_mod_10ImEEE10hipError_tPvRmT1_T2_T3_mT4_P12ihipStream_tbEUlT_E1_NS1_11comp_targetILNS1_3genE8ELNS1_11target_archE1030ELNS1_3gpuE2ELNS1_3repE0EEENS1_30default_config_static_selectorELNS0_4arch9wavefront6targetE1EEEvSD_.numbered_sgpr, 0
	.set _ZN7rocprim17ROCPRIM_400000_NS6detail17trampoline_kernelINS0_14default_configENS1_22reduce_config_selectorImEEZNS1_11reduce_implILb1ES3_PmS7_m11plus_mod_10ImEEE10hipError_tPvRmT1_T2_T3_mT4_P12ihipStream_tbEUlT_E1_NS1_11comp_targetILNS1_3genE8ELNS1_11target_archE1030ELNS1_3gpuE2ELNS1_3repE0EEENS1_30default_config_static_selectorELNS0_4arch9wavefront6targetE1EEEvSD_.num_named_barrier, 0
	.set _ZN7rocprim17ROCPRIM_400000_NS6detail17trampoline_kernelINS0_14default_configENS1_22reduce_config_selectorImEEZNS1_11reduce_implILb1ES3_PmS7_m11plus_mod_10ImEEE10hipError_tPvRmT1_T2_T3_mT4_P12ihipStream_tbEUlT_E1_NS1_11comp_targetILNS1_3genE8ELNS1_11target_archE1030ELNS1_3gpuE2ELNS1_3repE0EEENS1_30default_config_static_selectorELNS0_4arch9wavefront6targetE1EEEvSD_.private_seg_size, 0
	.set _ZN7rocprim17ROCPRIM_400000_NS6detail17trampoline_kernelINS0_14default_configENS1_22reduce_config_selectorImEEZNS1_11reduce_implILb1ES3_PmS7_m11plus_mod_10ImEEE10hipError_tPvRmT1_T2_T3_mT4_P12ihipStream_tbEUlT_E1_NS1_11comp_targetILNS1_3genE8ELNS1_11target_archE1030ELNS1_3gpuE2ELNS1_3repE0EEENS1_30default_config_static_selectorELNS0_4arch9wavefront6targetE1EEEvSD_.uses_vcc, 0
	.set _ZN7rocprim17ROCPRIM_400000_NS6detail17trampoline_kernelINS0_14default_configENS1_22reduce_config_selectorImEEZNS1_11reduce_implILb1ES3_PmS7_m11plus_mod_10ImEEE10hipError_tPvRmT1_T2_T3_mT4_P12ihipStream_tbEUlT_E1_NS1_11comp_targetILNS1_3genE8ELNS1_11target_archE1030ELNS1_3gpuE2ELNS1_3repE0EEENS1_30default_config_static_selectorELNS0_4arch9wavefront6targetE1EEEvSD_.uses_flat_scratch, 0
	.set _ZN7rocprim17ROCPRIM_400000_NS6detail17trampoline_kernelINS0_14default_configENS1_22reduce_config_selectorImEEZNS1_11reduce_implILb1ES3_PmS7_m11plus_mod_10ImEEE10hipError_tPvRmT1_T2_T3_mT4_P12ihipStream_tbEUlT_E1_NS1_11comp_targetILNS1_3genE8ELNS1_11target_archE1030ELNS1_3gpuE2ELNS1_3repE0EEENS1_30default_config_static_selectorELNS0_4arch9wavefront6targetE1EEEvSD_.has_dyn_sized_stack, 0
	.set _ZN7rocprim17ROCPRIM_400000_NS6detail17trampoline_kernelINS0_14default_configENS1_22reduce_config_selectorImEEZNS1_11reduce_implILb1ES3_PmS7_m11plus_mod_10ImEEE10hipError_tPvRmT1_T2_T3_mT4_P12ihipStream_tbEUlT_E1_NS1_11comp_targetILNS1_3genE8ELNS1_11target_archE1030ELNS1_3gpuE2ELNS1_3repE0EEENS1_30default_config_static_selectorELNS0_4arch9wavefront6targetE1EEEvSD_.has_recursion, 0
	.set _ZN7rocprim17ROCPRIM_400000_NS6detail17trampoline_kernelINS0_14default_configENS1_22reduce_config_selectorImEEZNS1_11reduce_implILb1ES3_PmS7_m11plus_mod_10ImEEE10hipError_tPvRmT1_T2_T3_mT4_P12ihipStream_tbEUlT_E1_NS1_11comp_targetILNS1_3genE8ELNS1_11target_archE1030ELNS1_3gpuE2ELNS1_3repE0EEENS1_30default_config_static_selectorELNS0_4arch9wavefront6targetE1EEEvSD_.has_indirect_call, 0
	.section	.AMDGPU.csdata,"",@progbits
; Kernel info:
; codeLenInByte = 0
; TotalNumSgprs: 6
; NumVgprs: 0
; NumAgprs: 0
; TotalNumVgprs: 0
; ScratchSize: 0
; MemoryBound: 0
; FloatMode: 240
; IeeeMode: 1
; LDSByteSize: 0 bytes/workgroup (compile time only)
; SGPRBlocks: 0
; VGPRBlocks: 0
; NumSGPRsForWavesPerEU: 6
; NumVGPRsForWavesPerEU: 1
; AccumOffset: 4
; Occupancy: 8
; WaveLimiterHint : 0
; COMPUTE_PGM_RSRC2:SCRATCH_EN: 0
; COMPUTE_PGM_RSRC2:USER_SGPR: 2
; COMPUTE_PGM_RSRC2:TRAP_HANDLER: 0
; COMPUTE_PGM_RSRC2:TGID_X_EN: 1
; COMPUTE_PGM_RSRC2:TGID_Y_EN: 0
; COMPUTE_PGM_RSRC2:TGID_Z_EN: 0
; COMPUTE_PGM_RSRC2:TIDIG_COMP_CNT: 0
; COMPUTE_PGM_RSRC3_GFX90A:ACCUM_OFFSET: 0
; COMPUTE_PGM_RSRC3_GFX90A:TG_SPLIT: 0
	.section	.text._ZN7rocprim17ROCPRIM_400000_NS6detail17trampoline_kernelINS0_14default_configENS1_22reduce_config_selectorImEEZNS1_11reduce_implILb1ES3_N6thrust23THRUST_200600_302600_NS6detail15normal_iteratorINS8_10device_ptrImEEEEPmm11plus_mod_10ImEEE10hipError_tPvRmT1_T2_T3_mT4_P12ihipStream_tbEUlT_E0_NS1_11comp_targetILNS1_3genE0ELNS1_11target_archE4294967295ELNS1_3gpuE0ELNS1_3repE0EEENS1_30default_config_static_selectorELNS0_4arch9wavefront6targetE1EEEvSK_,"axG",@progbits,_ZN7rocprim17ROCPRIM_400000_NS6detail17trampoline_kernelINS0_14default_configENS1_22reduce_config_selectorImEEZNS1_11reduce_implILb1ES3_N6thrust23THRUST_200600_302600_NS6detail15normal_iteratorINS8_10device_ptrImEEEEPmm11plus_mod_10ImEEE10hipError_tPvRmT1_T2_T3_mT4_P12ihipStream_tbEUlT_E0_NS1_11comp_targetILNS1_3genE0ELNS1_11target_archE4294967295ELNS1_3gpuE0ELNS1_3repE0EEENS1_30default_config_static_selectorELNS0_4arch9wavefront6targetE1EEEvSK_,comdat
	.protected	_ZN7rocprim17ROCPRIM_400000_NS6detail17trampoline_kernelINS0_14default_configENS1_22reduce_config_selectorImEEZNS1_11reduce_implILb1ES3_N6thrust23THRUST_200600_302600_NS6detail15normal_iteratorINS8_10device_ptrImEEEEPmm11plus_mod_10ImEEE10hipError_tPvRmT1_T2_T3_mT4_P12ihipStream_tbEUlT_E0_NS1_11comp_targetILNS1_3genE0ELNS1_11target_archE4294967295ELNS1_3gpuE0ELNS1_3repE0EEENS1_30default_config_static_selectorELNS0_4arch9wavefront6targetE1EEEvSK_ ; -- Begin function _ZN7rocprim17ROCPRIM_400000_NS6detail17trampoline_kernelINS0_14default_configENS1_22reduce_config_selectorImEEZNS1_11reduce_implILb1ES3_N6thrust23THRUST_200600_302600_NS6detail15normal_iteratorINS8_10device_ptrImEEEEPmm11plus_mod_10ImEEE10hipError_tPvRmT1_T2_T3_mT4_P12ihipStream_tbEUlT_E0_NS1_11comp_targetILNS1_3genE0ELNS1_11target_archE4294967295ELNS1_3gpuE0ELNS1_3repE0EEENS1_30default_config_static_selectorELNS0_4arch9wavefront6targetE1EEEvSK_
	.globl	_ZN7rocprim17ROCPRIM_400000_NS6detail17trampoline_kernelINS0_14default_configENS1_22reduce_config_selectorImEEZNS1_11reduce_implILb1ES3_N6thrust23THRUST_200600_302600_NS6detail15normal_iteratorINS8_10device_ptrImEEEEPmm11plus_mod_10ImEEE10hipError_tPvRmT1_T2_T3_mT4_P12ihipStream_tbEUlT_E0_NS1_11comp_targetILNS1_3genE0ELNS1_11target_archE4294967295ELNS1_3gpuE0ELNS1_3repE0EEENS1_30default_config_static_selectorELNS0_4arch9wavefront6targetE1EEEvSK_
	.p2align	8
	.type	_ZN7rocprim17ROCPRIM_400000_NS6detail17trampoline_kernelINS0_14default_configENS1_22reduce_config_selectorImEEZNS1_11reduce_implILb1ES3_N6thrust23THRUST_200600_302600_NS6detail15normal_iteratorINS8_10device_ptrImEEEEPmm11plus_mod_10ImEEE10hipError_tPvRmT1_T2_T3_mT4_P12ihipStream_tbEUlT_E0_NS1_11comp_targetILNS1_3genE0ELNS1_11target_archE4294967295ELNS1_3gpuE0ELNS1_3repE0EEENS1_30default_config_static_selectorELNS0_4arch9wavefront6targetE1EEEvSK_,@function
_ZN7rocprim17ROCPRIM_400000_NS6detail17trampoline_kernelINS0_14default_configENS1_22reduce_config_selectorImEEZNS1_11reduce_implILb1ES3_N6thrust23THRUST_200600_302600_NS6detail15normal_iteratorINS8_10device_ptrImEEEEPmm11plus_mod_10ImEEE10hipError_tPvRmT1_T2_T3_mT4_P12ihipStream_tbEUlT_E0_NS1_11comp_targetILNS1_3genE0ELNS1_11target_archE4294967295ELNS1_3gpuE0ELNS1_3repE0EEENS1_30default_config_static_selectorELNS0_4arch9wavefront6targetE1EEEvSK_: ; @_ZN7rocprim17ROCPRIM_400000_NS6detail17trampoline_kernelINS0_14default_configENS1_22reduce_config_selectorImEEZNS1_11reduce_implILb1ES3_N6thrust23THRUST_200600_302600_NS6detail15normal_iteratorINS8_10device_ptrImEEEEPmm11plus_mod_10ImEEE10hipError_tPvRmT1_T2_T3_mT4_P12ihipStream_tbEUlT_E0_NS1_11comp_targetILNS1_3genE0ELNS1_11target_archE4294967295ELNS1_3gpuE0ELNS1_3repE0EEENS1_30default_config_static_selectorELNS0_4arch9wavefront6targetE1EEEvSK_
; %bb.0:
	s_load_dwordx8 s[36:43], s[0:1], 0x0
	s_load_dwordx4 s[44:47], s[0:1], 0x20
	s_load_dwordx2 s[30:31], s[0:1], 0x30
	v_lshlrev_b32_e32 v34, 3, v0
	s_waitcnt lgkmcnt(0)
	s_lshl_b64 s[0:1], s[38:39], 3
	s_add_u32 s8, s36, s0
	s_addc_u32 s9, s37, s1
	s_lshl_b32 s0, s2, 12
	s_mov_b32 s1, 0
	s_lshr_b64 s[4:5], s[40:41], 12
	s_lshl_b64 s[6:7], s[0:1], 3
	s_add_u32 s34, s8, s6
	s_mov_b32 s3, s1
	s_addc_u32 s35, s9, s7
	s_cmp_lg_u64 s[4:5], s[2:3]
	s_cbranch_scc0 .LBB567_6
; %bb.1:
	v_mov_b32_e32 v35, 0
	v_lshl_add_u64 v[2:3], s[34:35], 0, v[34:35]
	flat_load_dwordx2 v[20:21], v[2:3] offset:2048
	flat_load_dwordx2 v[22:23], v[2:3]
	v_add_co_u32_e32 v4, vcc, 0x1000, v2
	s_mov_b32 s4, 0xcccccccd
	s_nop 0
	v_addc_co_u32_e32 v5, vcc, 0, v3, vcc
	flat_load_dwordx2 v[32:33], v[4:5]
	flat_load_dwordx2 v[42:43], v[4:5] offset:2048
	v_add_co_u32_e32 v6, vcc, 0x2000, v2
	v_mov_b32_e32 v25, v35
	s_nop 0
	v_addc_co_u32_e32 v7, vcc, 0, v3, vcc
	v_add_co_u32_e32 v4, vcc, 0x3000, v2
	v_mov_b32_e32 v31, v35
	s_nop 0
	v_addc_co_u32_e32 v5, vcc, 0, v3, vcc
	flat_load_dwordx2 v[44:45], v[6:7]
	flat_load_dwordx2 v[46:47], v[6:7] offset:2048
	flat_load_dwordx2 v[48:49], v[4:5]
	flat_load_dwordx2 v[18:19], v[4:5] offset:2048
	s_mov_b32 s1, 0xcccccccc
	v_add_co_u32_e32 v8, vcc, 0x4000, v2
	v_mov_b32_e32 v27, v35
	v_mov_b32_e32 v29, v35
	;; [unrolled: 1-line block ×4, first 2 shown]
	v_addc_co_u32_e32 v9, vcc, 0, v3, vcc
	v_add_co_u32_e32 v4, vcc, 0x5000, v2
	v_mov_b32_e32 v41, v35
	s_nop 0
	v_addc_co_u32_e32 v5, vcc, 0, v3, vcc
	v_add_co_u32_e32 v50, vcc, 0x6000, v2
	flat_load_dwordx2 v[16:17], v[8:9]
	flat_load_dwordx2 v[14:15], v[8:9] offset:2048
	flat_load_dwordx2 v[12:13], v[4:5]
	flat_load_dwordx2 v[10:11], v[4:5] offset:2048
	v_addc_co_u32_e32 v51, vcc, 0, v3, vcc
	v_add_co_u32_e32 v52, vcc, 0x7000, v2
	s_waitcnt vmcnt(0) lgkmcnt(0)
	v_mul_hi_u32 v24, v20, s4
	v_mul_hi_u32 v30, v22, s4
	v_mad_u64_u32 v[24:25], s[6:7], v21, s4, v[24:25]
	v_mad_u64_u32 v[30:31], s[6:7], v23, s4, v[30:31]
	v_mov_b32_e32 v26, v25
	v_mov_b32_e32 v25, v35
	;; [unrolled: 1-line block ×4, first 2 shown]
	v_mad_u64_u32 v[24:25], s[6:7], v20, s1, v[24:25]
	v_mad_u64_u32 v[30:31], s[6:7], v22, s1, v[30:31]
	v_mov_b32_e32 v28, v25
	v_mov_b32_e32 v38, v31
	v_lshl_add_u64 v[24:25], v[26:27], 0, v[28:29]
	v_lshl_add_u64 v[26:27], v[36:37], 0, v[38:39]
	v_mad_u64_u32 v[24:25], s[6:7], v21, s1, v[24:25]
	v_mad_u64_u32 v[26:27], s[6:7], v23, s1, v[26:27]
	v_alignbit_b32 v1, v25, v24, 3
	v_alignbit_b32 v21, v27, v26, 3
	v_mul_lo_u32 v1, v1, 10
	v_mul_lo_u32 v21, v21, 10
	v_sub_u32_e32 v1, v20, v1
	v_sub_u32_e32 v20, v22, v21
	v_addc_co_u32_e32 v53, vcc, 0, v3, vcc
	v_add_u32_e32 v40, v1, v20
	v_lshl_add_u64 v[20:21], v[40:41], 0, -10
	v_cmp_gt_u32_e32 vcc, 10, v40
	v_mov_b32_e32 v23, v35
	flat_load_dwordx2 v[8:9], v[50:51]
	flat_load_dwordx2 v[6:7], v[50:51] offset:2048
	flat_load_dwordx2 v[4:5], v[52:53]
	flat_load_dwordx2 v[2:3], v[52:53] offset:2048
	v_cndmask_b32_e64 v1, v21, 0, vcc
	v_cndmask_b32_e32 v24, v20, v40, vcc
	v_mul_hi_u32 v20, v32, s4
	v_mov_b32_e32 v21, v35
	v_mad_u64_u32 v[20:21], s[6:7], v33, s4, v[20:21]
	v_mov_b32_e32 v22, v21
	v_mov_b32_e32 v21, v35
	v_mad_u64_u32 v[20:21], s[6:7], v32, s1, v[20:21]
	v_mov_b32_e32 v20, v21
	v_mov_b32_e32 v21, v35
	v_lshl_add_u64 v[20:21], v[22:23], 0, v[20:21]
	v_mad_u64_u32 v[20:21], s[6:7], v33, s1, v[20:21]
	v_alignbit_b32 v20, v21, v20, 3
	v_mul_lo_u32 v20, v20, 10
	v_sub_u32_e32 v25, v32, v20
	v_mul_hi_u32 v20, v24, s4
	v_mov_b32_e32 v21, v35
	v_mad_u64_u32 v[20:21], s[6:7], v1, s4, v[20:21]
	v_mov_b32_e32 v22, v21
	v_mov_b32_e32 v21, v35
	v_mad_u64_u32 v[20:21], s[6:7], v24, s1, v[20:21]
	v_mov_b32_e32 v20, v21
	v_mov_b32_e32 v21, v35
	v_lshl_add_u64 v[20:21], v[22:23], 0, v[20:21]
	v_mad_u64_u32 v[20:21], s[6:7], v1, s1, v[20:21]
	v_alignbit_b32 v1, v21, v20, 3
	v_mul_lo_u32 v1, v1, 10
	v_sub_u32_e32 v1, v24, v1
	v_add_u32_e32 v20, v1, v25
	v_mov_b32_e32 v21, v35
	v_lshl_add_u64 v[22:23], v[20:21], 0, -10
	v_cmp_gt_u32_e32 vcc, 10, v20
	s_nop 1
	v_cndmask_b32_e32 v24, v22, v20, vcc
	v_mul_hi_u32 v20, v42, s4
	v_mad_u64_u32 v[20:21], s[6:7], v43, s4, v[20:21]
	v_mov_b32_e32 v22, v21
	v_mov_b32_e32 v21, v35
	v_mad_u64_u32 v[20:21], s[6:7], v42, s1, v[20:21]
	v_cndmask_b32_e64 v1, v23, 0, vcc
	v_mov_b32_e32 v23, v35
	v_mov_b32_e32 v20, v21
	v_mov_b32_e32 v21, v35
	v_lshl_add_u64 v[20:21], v[22:23], 0, v[20:21]
	v_mad_u64_u32 v[20:21], s[6:7], v43, s1, v[20:21]
	v_alignbit_b32 v20, v21, v20, 3
	v_mul_lo_u32 v20, v20, 10
	v_sub_u32_e32 v25, v42, v20
	v_mul_hi_u32 v20, v24, s4
	v_mov_b32_e32 v21, v35
	v_mad_u64_u32 v[20:21], s[6:7], v1, s4, v[20:21]
	v_mov_b32_e32 v22, v21
	v_mov_b32_e32 v21, v35
	v_mad_u64_u32 v[20:21], s[6:7], v24, s1, v[20:21]
	v_mov_b32_e32 v20, v21
	v_mov_b32_e32 v21, v35
	v_lshl_add_u64 v[20:21], v[22:23], 0, v[20:21]
	v_mad_u64_u32 v[20:21], s[6:7], v1, s1, v[20:21]
	v_alignbit_b32 v1, v21, v20, 3
	v_mul_lo_u32 v1, v1, 10
	v_sub_u32_e32 v1, v24, v1
	v_add_u32_e32 v20, v1, v25
	v_mov_b32_e32 v21, v35
	v_lshl_add_u64 v[22:23], v[20:21], 0, -10
	v_cmp_gt_u32_e32 vcc, 10, v20
	s_nop 1
	v_cndmask_b32_e32 v24, v22, v20, vcc
	v_mul_hi_u32 v20, v44, s4
	v_mad_u64_u32 v[20:21], s[6:7], v45, s4, v[20:21]
	v_mov_b32_e32 v22, v21
	v_mov_b32_e32 v21, v35
	v_mad_u64_u32 v[20:21], s[6:7], v44, s1, v[20:21]
	v_cndmask_b32_e64 v1, v23, 0, vcc
	v_mov_b32_e32 v23, v35
	;; [unrolled: 33-line block ×5, first 2 shown]
	v_mov_b32_e32 v20, v21
	v_mov_b32_e32 v21, v35
	v_lshl_add_u64 v[20:21], v[22:23], 0, v[20:21]
	v_mad_u64_u32 v[20:21], s[6:7], v19, s1, v[20:21]
	v_alignbit_b32 v19, v21, v20, 3
	v_mul_lo_u32 v19, v19, 10
	v_sub_u32_e32 v22, v18, v19
	v_mul_hi_u32 v18, v24, s4
	v_mov_b32_e32 v19, v35
	v_mad_u64_u32 v[18:19], s[6:7], v1, s4, v[18:19]
	v_mov_b32_e32 v20, v19
	v_mov_b32_e32 v19, v35
	v_mad_u64_u32 v[18:19], s[6:7], v24, s1, v[18:19]
	v_mov_b32_e32 v21, v35
	v_mov_b32_e32 v18, v19
	v_mov_b32_e32 v19, v35
	v_lshl_add_u64 v[18:19], v[20:21], 0, v[18:19]
	v_mad_u64_u32 v[18:19], s[6:7], v1, s1, v[18:19]
	v_alignbit_b32 v1, v19, v18, 3
	v_mul_lo_u32 v1, v1, 10
	v_sub_u32_e32 v1, v24, v1
	v_add_u32_e32 v18, v1, v22
	v_mov_b32_e32 v19, v35
	v_lshl_add_u64 v[20:21], v[18:19], 0, -10
	v_cmp_gt_u32_e32 vcc, 10, v18
	s_nop 1
	v_cndmask_b32_e32 v22, v20, v18, vcc
	v_mul_hi_u32 v18, v16, s4
	v_mad_u64_u32 v[18:19], s[6:7], v17, s4, v[18:19]
	v_mov_b32_e32 v20, v19
	v_mov_b32_e32 v19, v35
	v_mad_u64_u32 v[18:19], s[6:7], v16, s1, v[18:19]
	v_cndmask_b32_e64 v1, v21, 0, vcc
	v_mov_b32_e32 v21, v35
	v_mov_b32_e32 v18, v19
	v_mov_b32_e32 v19, v35
	v_lshl_add_u64 v[18:19], v[20:21], 0, v[18:19]
	v_mad_u64_u32 v[18:19], s[6:7], v17, s1, v[18:19]
	v_alignbit_b32 v17, v19, v18, 3
	v_mul_lo_u32 v17, v17, 10
	v_sub_u32_e32 v20, v16, v17
	v_mul_hi_u32 v16, v22, s4
	v_mov_b32_e32 v17, v35
	v_mad_u64_u32 v[16:17], s[6:7], v1, s4, v[16:17]
	v_mov_b32_e32 v18, v17
	v_mov_b32_e32 v17, v35
	v_mad_u64_u32 v[16:17], s[6:7], v22, s1, v[16:17]
	v_mov_b32_e32 v19, v35
	v_mov_b32_e32 v16, v17
	v_mov_b32_e32 v17, v35
	v_lshl_add_u64 v[16:17], v[18:19], 0, v[16:17]
	v_mad_u64_u32 v[16:17], s[6:7], v1, s1, v[16:17]
	v_alignbit_b32 v1, v17, v16, 3
	v_mul_lo_u32 v1, v1, 10
	v_sub_u32_e32 v1, v22, v1
	v_add_u32_e32 v16, v1, v20
	v_mov_b32_e32 v17, v35
	v_lshl_add_u64 v[18:19], v[16:17], 0, -10
	v_cmp_gt_u32_e32 vcc, 10, v16
	s_nop 1
	v_cndmask_b32_e32 v20, v18, v16, vcc
	v_mul_hi_u32 v16, v14, s4
	v_mad_u64_u32 v[16:17], s[6:7], v15, s4, v[16:17]
	v_mov_b32_e32 v18, v17
	v_mov_b32_e32 v17, v35
	v_mad_u64_u32 v[16:17], s[6:7], v14, s1, v[16:17]
	v_cndmask_b32_e64 v1, v19, 0, vcc
	v_mov_b32_e32 v19, v35
	;; [unrolled: 34-line block ×4, first 2 shown]
	v_mov_b32_e32 v12, v13
	v_mov_b32_e32 v13, v35
	v_lshl_add_u64 v[12:13], v[14:15], 0, v[12:13]
	v_mad_u64_u32 v[12:13], s[6:7], v11, s1, v[12:13]
	v_alignbit_b32 v11, v13, v12, 3
	v_mul_lo_u32 v11, v11, 10
	v_sub_u32_e32 v14, v10, v11
	v_mul_hi_u32 v10, v16, s4
	v_mov_b32_e32 v11, v35
	v_mad_u64_u32 v[10:11], s[6:7], v1, s4, v[10:11]
	v_mov_b32_e32 v12, v11
	v_mov_b32_e32 v11, v35
	v_mad_u64_u32 v[10:11], s[6:7], v16, s1, v[10:11]
	v_mov_b32_e32 v13, v35
	v_mov_b32_e32 v10, v11
	;; [unrolled: 1-line block ×3, first 2 shown]
	v_lshl_add_u64 v[10:11], v[12:13], 0, v[10:11]
	v_mad_u64_u32 v[10:11], s[6:7], v1, s1, v[10:11]
	v_alignbit_b32 v1, v11, v10, 3
	v_mul_lo_u32 v1, v1, 10
	v_sub_u32_e32 v1, v16, v1
	v_add_u32_e32 v10, v1, v14
	v_mov_b32_e32 v11, v35
	v_lshl_add_u64 v[12:13], v[10:11], 0, -10
	v_cmp_gt_u32_e32 vcc, 10, v10
	s_nop 1
	v_cndmask_b32_e32 v14, v12, v10, vcc
	s_waitcnt vmcnt(0) lgkmcnt(0)
	v_mul_hi_u32 v10, v8, s4
	v_mad_u64_u32 v[10:11], s[6:7], v9, s4, v[10:11]
	v_mov_b32_e32 v12, v11
	v_mov_b32_e32 v11, v35
	v_mad_u64_u32 v[10:11], s[6:7], v8, s1, v[10:11]
	v_cndmask_b32_e64 v1, v13, 0, vcc
	v_mov_b32_e32 v13, v35
	v_mov_b32_e32 v10, v11
	v_mov_b32_e32 v11, v35
	v_lshl_add_u64 v[10:11], v[12:13], 0, v[10:11]
	v_mad_u64_u32 v[10:11], s[6:7], v9, s1, v[10:11]
	v_alignbit_b32 v9, v11, v10, 3
	v_mul_lo_u32 v9, v9, 10
	v_sub_u32_e32 v12, v8, v9
	v_mul_hi_u32 v8, v14, s4
	v_mov_b32_e32 v9, v35
	v_mad_u64_u32 v[8:9], s[6:7], v1, s4, v[8:9]
	v_mov_b32_e32 v10, v9
	v_mov_b32_e32 v9, v35
	v_mad_u64_u32 v[8:9], s[6:7], v14, s1, v[8:9]
	v_mov_b32_e32 v11, v35
	v_mov_b32_e32 v8, v9
	v_mov_b32_e32 v9, v35
	v_lshl_add_u64 v[8:9], v[10:11], 0, v[8:9]
	v_mad_u64_u32 v[8:9], s[6:7], v1, s1, v[8:9]
	v_alignbit_b32 v1, v9, v8, 3
	v_mul_lo_u32 v1, v1, 10
	v_sub_u32_e32 v1, v14, v1
	v_add_u32_e32 v8, v1, v12
	v_mov_b32_e32 v9, v35
	v_lshl_add_u64 v[10:11], v[8:9], 0, -10
	v_cmp_gt_u32_e32 vcc, 10, v8
	s_nop 1
	v_cndmask_b32_e32 v12, v10, v8, vcc
	v_mul_hi_u32 v8, v6, s4
	v_mad_u64_u32 v[8:9], s[6:7], v7, s4, v[8:9]
	v_mov_b32_e32 v10, v9
	v_mov_b32_e32 v9, v35
	v_mad_u64_u32 v[8:9], s[6:7], v6, s1, v[8:9]
	v_cndmask_b32_e64 v1, v11, 0, vcc
	v_mov_b32_e32 v11, v35
	v_mov_b32_e32 v8, v9
	v_mov_b32_e32 v9, v35
	v_lshl_add_u64 v[8:9], v[10:11], 0, v[8:9]
	v_mad_u64_u32 v[8:9], s[6:7], v7, s1, v[8:9]
	v_alignbit_b32 v7, v9, v8, 3
	v_mul_lo_u32 v7, v7, 10
	v_sub_u32_e32 v10, v6, v7
	v_mul_hi_u32 v6, v12, s4
	v_mov_b32_e32 v7, v35
	v_mad_u64_u32 v[6:7], s[6:7], v1, s4, v[6:7]
	v_mov_b32_e32 v8, v7
	v_mov_b32_e32 v7, v35
	v_mad_u64_u32 v[6:7], s[6:7], v12, s1, v[6:7]
	v_mov_b32_e32 v9, v35
	v_mov_b32_e32 v6, v7
	v_mov_b32_e32 v7, v35
	v_lshl_add_u64 v[6:7], v[8:9], 0, v[6:7]
	v_mad_u64_u32 v[6:7], s[6:7], v1, s1, v[6:7]
	v_alignbit_b32 v1, v7, v6, 3
	v_mul_lo_u32 v1, v1, 10
	v_sub_u32_e32 v1, v12, v1
	v_add_u32_e32 v6, v1, v10
	v_mov_b32_e32 v7, v35
	v_lshl_add_u64 v[8:9], v[6:7], 0, -10
	v_cmp_gt_u32_e32 vcc, 10, v6
	s_nop 1
	v_cndmask_b32_e32 v10, v8, v6, vcc
	v_mul_hi_u32 v6, v4, s4
	v_mad_u64_u32 v[6:7], s[6:7], v5, s4, v[6:7]
	v_mov_b32_e32 v8, v7
	v_mov_b32_e32 v7, v35
	v_mad_u64_u32 v[6:7], s[6:7], v4, s1, v[6:7]
	v_cndmask_b32_e64 v1, v9, 0, vcc
	v_mov_b32_e32 v9, v35
	v_mov_b32_e32 v6, v7
	v_mov_b32_e32 v7, v35
	v_lshl_add_u64 v[6:7], v[8:9], 0, v[6:7]
	v_mad_u64_u32 v[6:7], s[6:7], v5, s1, v[6:7]
	v_alignbit_b32 v5, v7, v6, 3
	v_mul_lo_u32 v5, v5, 10
	v_sub_u32_e32 v8, v4, v5
	v_mul_hi_u32 v4, v10, s4
	v_mov_b32_e32 v5, v35
	v_mad_u64_u32 v[4:5], s[6:7], v1, s4, v[4:5]
	v_mov_b32_e32 v6, v5
	v_mov_b32_e32 v5, v35
	v_mad_u64_u32 v[4:5], s[6:7], v10, s1, v[4:5]
	v_mov_b32_e32 v7, v35
	v_mov_b32_e32 v4, v5
	v_mov_b32_e32 v5, v35
	v_lshl_add_u64 v[4:5], v[6:7], 0, v[4:5]
	v_mad_u64_u32 v[4:5], s[6:7], v1, s1, v[4:5]
	v_alignbit_b32 v1, v5, v4, 3
	v_mul_lo_u32 v1, v1, 10
	v_sub_u32_e32 v1, v10, v1
	v_add_u32_e32 v4, v1, v8
	v_mov_b32_e32 v5, v35
	v_lshl_add_u64 v[6:7], v[4:5], 0, -10
	v_cmp_gt_u32_e32 vcc, 10, v4
	s_nop 1
	v_cndmask_b32_e32 v8, v6, v4, vcc
	v_mul_hi_u32 v4, v2, s4
	v_mad_u64_u32 v[4:5], s[6:7], v3, s4, v[4:5]
	v_mov_b32_e32 v6, v5
	v_mov_b32_e32 v5, v35
	v_mad_u64_u32 v[4:5], s[6:7], v2, s1, v[4:5]
	v_cndmask_b32_e64 v1, v7, 0, vcc
	v_mov_b32_e32 v7, v35
	v_mov_b32_e32 v4, v5
	v_mov_b32_e32 v5, v35
	v_lshl_add_u64 v[4:5], v[6:7], 0, v[4:5]
	v_mad_u64_u32 v[4:5], s[6:7], v3, s1, v[4:5]
	v_alignbit_b32 v3, v5, v4, 3
	v_mul_lo_u32 v3, v3, 10
	v_sub_u32_e32 v6, v2, v3
	v_mul_hi_u32 v2, v8, s4
	v_mov_b32_e32 v3, v35
	v_mad_u64_u32 v[2:3], s[6:7], v1, s4, v[2:3]
	v_mov_b32_e32 v4, v3
	v_mov_b32_e32 v3, v35
	v_mad_u64_u32 v[2:3], s[6:7], v8, s1, v[2:3]
	v_mov_b32_e32 v5, v35
	v_mov_b32_e32 v2, v3
	;; [unrolled: 1-line block ×3, first 2 shown]
	v_lshl_add_u64 v[2:3], v[4:5], 0, v[2:3]
	v_mad_u64_u32 v[2:3], s[6:7], v1, s1, v[2:3]
	v_alignbit_b32 v1, v3, v2, 3
	v_mul_lo_u32 v1, v1, 10
	v_sub_u32_e32 v1, v8, v1
	v_add_u32_e32 v2, v1, v6
	v_mov_b32_e32 v3, v35
	v_lshl_add_u64 v[4:5], v[2:3], 0, -10
	v_cmp_gt_u32_e32 vcc, 10, v2
	v_mbcnt_lo_u32_b32 v1, -1, 0
	v_mbcnt_hi_u32_b32 v1, -1, v1
	v_cndmask_b32_e32 v7, v4, v2, vcc
	v_cndmask_b32_e64 v6, v5, 0, vcc
	v_mul_hi_u32 v2, v7, s4
	v_mad_u64_u32 v[2:3], s[6:7], v6, s4, v[2:3]
	v_mov_b32_e32 v4, v3
	v_mov_b32_e32 v3, v35
	v_mad_u64_u32 v[2:3], s[6:7], v7, s1, v[2:3]
	v_mov_b32_e32 v5, v35
	v_mov_b32_e32 v2, v3
	;; [unrolled: 1-line block ×3, first 2 shown]
	v_lshl_add_u64 v[2:3], v[4:5], 0, v[2:3]
	v_mad_u64_u32 v[2:3], s[6:7], v6, s1, v[2:3]
	v_alignbit_b32 v2, v3, v2, 3
	v_mov_b32_dpp v8, v7 quad_perm:[1,0,3,2] row_mask:0xf bank_mask:0xf bound_ctrl:1
	v_mul_lo_u32 v2, v2, 10
	v_mov_b32_dpp v9, v6 quad_perm:[1,0,3,2] row_mask:0xf bank_mask:0xf bound_ctrl:1
	v_sub_u32_e32 v6, v7, v2
	v_mul_hi_u32 v2, v8, s4
	v_mov_b32_e32 v3, v35
	v_mad_u64_u32 v[2:3], s[6:7], v9, s4, v[2:3]
	v_mov_b32_e32 v4, v3
	v_mov_b32_e32 v3, v35
	v_mad_u64_u32 v[2:3], s[6:7], v8, s1, v[2:3]
	v_mov_b32_e32 v2, v3
	v_mov_b32_e32 v3, v35
	v_lshl_add_u64 v[2:3], v[4:5], 0, v[2:3]
	v_mad_u64_u32 v[2:3], s[6:7], v9, s1, v[2:3]
	v_alignbit_b32 v2, v3, v2, 3
	v_mul_lo_u32 v2, v2, 10
	v_sub_u32_e32 v2, v8, v2
	v_add_u32_e32 v2, v6, v2
	v_mov_b32_e32 v3, v35
	v_lshl_add_u64 v[4:5], v[2:3], 0, -10
	v_cmp_gt_u32_e32 vcc, 10, v2
	s_nop 1
	v_cndmask_b32_e32 v7, v4, v2, vcc
	v_cndmask_b32_e64 v6, v5, 0, vcc
	v_mul_hi_u32 v2, v7, s4
	v_mad_u64_u32 v[2:3], s[6:7], v6, s4, v[2:3]
	v_mov_b32_e32 v4, v3
	v_mov_b32_e32 v3, v35
	v_mad_u64_u32 v[2:3], s[6:7], v7, s1, v[2:3]
	v_mov_b32_e32 v5, v35
	v_mov_b32_e32 v2, v3
	;; [unrolled: 1-line block ×3, first 2 shown]
	v_lshl_add_u64 v[2:3], v[4:5], 0, v[2:3]
	v_mad_u64_u32 v[2:3], s[6:7], v6, s1, v[2:3]
	v_alignbit_b32 v2, v3, v2, 3
	v_mov_b32_dpp v8, v7 quad_perm:[2,3,0,1] row_mask:0xf bank_mask:0xf bound_ctrl:1
	v_mul_lo_u32 v2, v2, 10
	v_mov_b32_dpp v9, v6 quad_perm:[2,3,0,1] row_mask:0xf bank_mask:0xf bound_ctrl:1
	v_sub_u32_e32 v6, v7, v2
	v_mul_hi_u32 v2, v8, s4
	v_mov_b32_e32 v3, v35
	v_mad_u64_u32 v[2:3], s[6:7], v9, s4, v[2:3]
	v_mov_b32_e32 v4, v3
	v_mov_b32_e32 v3, v35
	v_mad_u64_u32 v[2:3], s[6:7], v8, s1, v[2:3]
	v_mov_b32_e32 v2, v3
	v_mov_b32_e32 v3, v35
	v_lshl_add_u64 v[2:3], v[4:5], 0, v[2:3]
	v_mad_u64_u32 v[2:3], s[6:7], v9, s1, v[2:3]
	v_alignbit_b32 v2, v3, v2, 3
	v_mul_lo_u32 v2, v2, 10
	v_sub_u32_e32 v2, v8, v2
	v_add_u32_e32 v2, v6, v2
	v_mov_b32_e32 v3, v35
	v_lshl_add_u64 v[4:5], v[2:3], 0, -10
	v_cmp_gt_u32_e32 vcc, 10, v2
	s_nop 1
	v_cndmask_b32_e32 v7, v4, v2, vcc
	v_cndmask_b32_e64 v6, v5, 0, vcc
	v_mul_hi_u32 v2, v7, s4
	v_mad_u64_u32 v[2:3], s[6:7], v6, s4, v[2:3]
	v_mov_b32_e32 v4, v3
	v_mov_b32_e32 v3, v35
	v_mad_u64_u32 v[2:3], s[6:7], v7, s1, v[2:3]
	v_mov_b32_e32 v5, v35
	v_mov_b32_e32 v2, v3
	;; [unrolled: 1-line block ×3, first 2 shown]
	v_lshl_add_u64 v[2:3], v[4:5], 0, v[2:3]
	v_mad_u64_u32 v[2:3], s[6:7], v6, s1, v[2:3]
	v_alignbit_b32 v2, v3, v2, 3
	v_mov_b32_dpp v8, v7 row_ror:4 row_mask:0xf bank_mask:0xf bound_ctrl:1
	v_mul_lo_u32 v2, v2, 10
	v_mov_b32_dpp v9, v6 row_ror:4 row_mask:0xf bank_mask:0xf bound_ctrl:1
	v_sub_u32_e32 v6, v7, v2
	v_mul_hi_u32 v2, v8, s4
	v_mov_b32_e32 v3, v35
	v_mad_u64_u32 v[2:3], s[6:7], v9, s4, v[2:3]
	v_mov_b32_e32 v4, v3
	v_mov_b32_e32 v3, v35
	v_mad_u64_u32 v[2:3], s[6:7], v8, s1, v[2:3]
	v_mov_b32_e32 v2, v3
	v_mov_b32_e32 v3, v35
	v_lshl_add_u64 v[2:3], v[4:5], 0, v[2:3]
	v_mad_u64_u32 v[2:3], s[6:7], v9, s1, v[2:3]
	v_alignbit_b32 v2, v3, v2, 3
	v_mul_lo_u32 v2, v2, 10
	v_sub_u32_e32 v2, v8, v2
	v_add_u32_e32 v2, v6, v2
	v_mov_b32_e32 v3, v35
	v_lshl_add_u64 v[4:5], v[2:3], 0, -10
	v_cmp_gt_u32_e32 vcc, 10, v2
	s_nop 1
	v_cndmask_b32_e32 v7, v4, v2, vcc
	v_cndmask_b32_e64 v6, v5, 0, vcc
	v_mul_hi_u32 v2, v7, s4
	v_mad_u64_u32 v[2:3], s[6:7], v6, s4, v[2:3]
	v_mov_b32_e32 v4, v3
	v_mov_b32_e32 v3, v35
	v_mad_u64_u32 v[2:3], s[6:7], v7, s1, v[2:3]
	v_mov_b32_e32 v5, v35
	v_mov_b32_e32 v2, v3
	v_mov_b32_e32 v3, v35
	v_lshl_add_u64 v[2:3], v[4:5], 0, v[2:3]
	v_mad_u64_u32 v[2:3], s[6:7], v6, s1, v[2:3]
	v_alignbit_b32 v2, v3, v2, 3
	v_mov_b32_dpp v8, v7 row_ror:8 row_mask:0xf bank_mask:0xf bound_ctrl:1
	v_mul_lo_u32 v2, v2, 10
	v_mov_b32_dpp v9, v6 row_ror:8 row_mask:0xf bank_mask:0xf bound_ctrl:1
	v_sub_u32_e32 v6, v7, v2
	v_mul_hi_u32 v2, v8, s4
	v_mov_b32_e32 v3, v35
	v_mad_u64_u32 v[2:3], s[6:7], v9, s4, v[2:3]
	v_mov_b32_e32 v4, v3
	v_mov_b32_e32 v3, v35
	v_mad_u64_u32 v[2:3], s[6:7], v8, s1, v[2:3]
	v_mov_b32_e32 v2, v3
	v_mov_b32_e32 v3, v35
	v_lshl_add_u64 v[2:3], v[4:5], 0, v[2:3]
	v_mad_u64_u32 v[2:3], s[6:7], v9, s1, v[2:3]
	v_alignbit_b32 v2, v3, v2, 3
	v_mul_lo_u32 v2, v2, 10
	v_sub_u32_e32 v2, v8, v2
	v_add_u32_e32 v2, v6, v2
	v_mov_b32_e32 v3, v35
	v_lshl_add_u64 v[4:5], v[2:3], 0, -10
	v_cmp_gt_u32_e32 vcc, 10, v2
	s_nop 1
	v_cndmask_b32_e32 v7, v4, v2, vcc
	v_cndmask_b32_e64 v6, v5, 0, vcc
	v_mul_hi_u32 v2, v7, s4
	v_mad_u64_u32 v[2:3], s[6:7], v6, s4, v[2:3]
	v_mov_b32_e32 v4, v3
	v_mov_b32_e32 v3, v35
	v_mad_u64_u32 v[2:3], s[6:7], v7, s1, v[2:3]
	v_mov_b32_e32 v5, v35
	v_mov_b32_e32 v2, v3
	;; [unrolled: 1-line block ×3, first 2 shown]
	v_lshl_add_u64 v[2:3], v[4:5], 0, v[2:3]
	v_mad_u64_u32 v[2:3], s[6:7], v6, s1, v[2:3]
	v_alignbit_b32 v2, v3, v2, 3
	v_mov_b32_dpp v8, v7 row_bcast:15 row_mask:0xf bank_mask:0xf bound_ctrl:1
	v_mul_lo_u32 v2, v2, 10
	v_mov_b32_dpp v9, v6 row_bcast:15 row_mask:0xf bank_mask:0xf bound_ctrl:1
	v_sub_u32_e32 v6, v7, v2
	v_mul_hi_u32 v2, v8, s4
	v_mov_b32_e32 v3, v35
	v_mad_u64_u32 v[2:3], s[6:7], v9, s4, v[2:3]
	v_mov_b32_e32 v4, v3
	v_mov_b32_e32 v3, v35
	v_mad_u64_u32 v[2:3], s[6:7], v8, s1, v[2:3]
	v_mov_b32_e32 v2, v3
	v_mov_b32_e32 v3, v35
	v_lshl_add_u64 v[2:3], v[4:5], 0, v[2:3]
	v_mad_u64_u32 v[2:3], s[6:7], v9, s1, v[2:3]
	v_alignbit_b32 v2, v3, v2, 3
	v_mul_lo_u32 v2, v2, 10
	v_sub_u32_e32 v2, v8, v2
	v_add_u32_e32 v2, v6, v2
	v_mov_b32_e32 v3, v35
	v_lshl_add_u64 v[4:5], v[2:3], 0, -10
	v_cmp_gt_u32_e32 vcc, 10, v2
	s_nop 1
	v_cndmask_b32_e32 v7, v4, v2, vcc
	v_cndmask_b32_e64 v6, v5, 0, vcc
	v_mul_hi_u32 v2, v7, s4
	v_mad_u64_u32 v[2:3], s[6:7], v6, s4, v[2:3]
	v_mov_b32_e32 v4, v3
	v_mov_b32_e32 v3, v35
	v_mad_u64_u32 v[2:3], s[6:7], v7, s1, v[2:3]
	v_mov_b32_e32 v5, v35
	v_mov_b32_e32 v2, v3
	;; [unrolled: 1-line block ×3, first 2 shown]
	v_lshl_add_u64 v[2:3], v[4:5], 0, v[2:3]
	v_mad_u64_u32 v[2:3], s[6:7], v6, s1, v[2:3]
	v_alignbit_b32 v2, v3, v2, 3
	v_mov_b32_dpp v8, v7 row_bcast:31 row_mask:0xf bank_mask:0xf bound_ctrl:1
	v_mul_lo_u32 v2, v2, 10
	v_mov_b32_dpp v9, v6 row_bcast:31 row_mask:0xf bank_mask:0xf bound_ctrl:1
	v_sub_u32_e32 v6, v7, v2
	v_mul_hi_u32 v2, v8, s4
	v_mov_b32_e32 v3, v35
	v_mad_u64_u32 v[2:3], s[4:5], v9, s4, v[2:3]
	v_mov_b32_e32 v4, v3
	v_mov_b32_e32 v3, v35
	v_mad_u64_u32 v[2:3], s[4:5], v8, s1, v[2:3]
	v_mov_b32_e32 v2, v3
	v_mov_b32_e32 v3, v35
	v_lshl_add_u64 v[2:3], v[4:5], 0, v[2:3]
	v_mad_u64_u32 v[2:3], s[4:5], v9, s1, v[2:3]
	v_alignbit_b32 v2, v3, v2, 3
	v_mul_lo_u32 v2, v2, 10
	v_sub_u32_e32 v2, v8, v2
	v_add_u32_e32 v2, v6, v2
	v_mov_b32_e32 v3, v35
	v_lshl_add_u64 v[4:5], v[2:3], 0, -10
	v_cmp_gt_u32_e32 vcc, 10, v2
	s_nop 1
	v_cndmask_b32_e32 v2, v4, v2, vcc
	v_lshlrev_b32_e32 v4, 2, v1
	v_cndmask_b32_e64 v3, v5, 0, vcc
	v_or_b32_e32 v5, 0xfc, v4
	ds_bpermute_b32 v2, v5, v2
	ds_bpermute_b32 v3, v5, v3
	v_cmp_eq_u32_e32 vcc, 0, v1
	s_and_saveexec_b64 s[4:5], vcc
	s_cbranch_execz .LBB567_3
; %bb.2:
	v_lshrrev_b32_e32 v5, 3, v0
	v_and_b32_e32 v5, 24, v5
	s_waitcnt lgkmcnt(0)
	ds_write_b64 v5, v[2:3] offset:32
.LBB567_3:
	s_or_b64 exec, exec, s[4:5]
	v_cmp_gt_u32_e32 vcc, 64, v0
	s_waitcnt lgkmcnt(0)
	s_barrier
	s_and_saveexec_b64 s[4:5], vcc
	s_cbranch_execz .LBB567_5
; %bb.4:
	v_and_b32_e32 v5, 3, v1
	v_lshlrev_b32_e32 v2, 3, v5
	ds_read_b64 v[2:3], v2 offset:32
	v_cmp_ne_u32_e32 vcc, 3, v5
	s_mov_b32 s1, 0xcccccccd
	v_mov_b32_e32 v7, 0
	v_addc_co_u32_e32 v1, vcc, 0, v1, vcc
	v_lshlrev_b32_e32 v1, 2, v1
	s_waitcnt lgkmcnt(0)
	ds_bpermute_b32 v5, v1, v2
	ds_bpermute_b32 v1, v1, v3
	s_mov_b32 s8, 0xcccccccc
	s_waitcnt lgkmcnt(1)
	v_mul_hi_u32 v6, v5, s1
	s_waitcnt lgkmcnt(0)
	v_mad_u64_u32 v[8:9], s[6:7], v1, s1, v[6:7]
	v_mov_b32_e32 v6, v9
	v_mov_b32_e32 v9, v7
	v_mad_u64_u32 v[8:9], s[6:7], v5, s8, v[8:9]
	v_mov_b32_e32 v8, v9
	v_mov_b32_e32 v9, v7
	v_lshl_add_u64 v[8:9], v[6:7], 0, v[8:9]
	v_mad_u64_u32 v[8:9], s[6:7], v1, s8, v[8:9]
	v_mul_hi_u32 v6, v2, s1
	v_alignbit_b32 v1, v9, v8, 3
	v_mad_u64_u32 v[8:9], s[6:7], v3, s1, v[6:7]
	v_mov_b32_e32 v6, v9
	v_mov_b32_e32 v9, v7
	v_mad_u64_u32 v[8:9], s[6:7], v2, s8, v[8:9]
	v_mov_b32_e32 v8, v9
	v_mov_b32_e32 v9, v7
	v_lshl_add_u64 v[8:9], v[6:7], 0, v[8:9]
	v_mad_u64_u32 v[8:9], s[6:7], v3, s8, v[8:9]
	v_alignbit_b32 v3, v9, v8, 3
	v_mul_lo_u32 v1, v1, 10
	v_mul_lo_u32 v3, v3, 10
	v_sub_u32_e32 v1, v5, v1
	v_sub_u32_e32 v2, v2, v3
	v_add_u32_e32 v6, v1, v2
	v_lshl_add_u64 v[2:3], v[6:7], 0, -10
	v_cmp_gt_u32_e32 vcc, 10, v6
	s_nop 1
	v_cndmask_b32_e32 v5, v2, v6, vcc
	v_or_b32_e32 v2, 8, v4
	v_cndmask_b32_e64 v1, v3, 0, vcc
	ds_bpermute_b32 v4, v2, v5
	ds_bpermute_b32 v8, v2, v1
	s_waitcnt lgkmcnt(1)
	v_mul_hi_u32 v6, v4, s1
	s_waitcnt lgkmcnt(0)
	v_mad_u64_u32 v[2:3], s[6:7], v8, s1, v[6:7]
	v_mov_b32_e32 v6, v3
	v_mov_b32_e32 v3, v7
	v_mad_u64_u32 v[2:3], s[6:7], v4, s8, v[2:3]
	v_mov_b32_e32 v2, v3
	v_mov_b32_e32 v3, v7
	v_lshl_add_u64 v[2:3], v[6:7], 0, v[2:3]
	v_mad_u64_u32 v[2:3], s[6:7], v8, s8, v[2:3]
	v_alignbit_b32 v2, v3, v2, 3
	v_mul_lo_u32 v2, v2, 10
	v_mul_hi_u32 v6, v5, s1
	v_sub_u32_e32 v4, v4, v2
	v_mad_u64_u32 v[2:3], s[6:7], v1, s1, v[6:7]
	v_mov_b32_e32 v6, v3
	v_mov_b32_e32 v3, v7
	v_mad_u64_u32 v[2:3], s[6:7], v5, s8, v[2:3]
	v_mov_b32_e32 v2, v3
	v_mov_b32_e32 v3, v7
	v_lshl_add_u64 v[2:3], v[6:7], 0, v[2:3]
	v_mad_u64_u32 v[2:3], s[6:7], v1, s8, v[2:3]
	v_alignbit_b32 v1, v3, v2, 3
	v_mul_lo_u32 v1, v1, 10
	v_sub_u32_e32 v1, v5, v1
	v_add_u32_e32 v6, v1, v4
	v_lshl_add_u64 v[2:3], v[6:7], 0, -10
	v_cmp_gt_u32_e32 vcc, 10, v6
	s_nop 1
	v_cndmask_b32_e64 v3, v3, 0, vcc
	v_cndmask_b32_e32 v2, v2, v6, vcc
.LBB567_5:
	s_or_b64 exec, exec, s[4:5]
	s_branch .LBB567_75
.LBB567_6:
                                        ; implicit-def: $vgpr2_vgpr3
	s_cbranch_execz .LBB567_75
; %bb.7:
	s_sub_i32 s33, s40, s0
	v_mov_b32_e32 v2, 0
	v_cmp_gt_u32_e32 vcc, s33, v0
	v_mov_b32_e32 v3, v2
	v_mov_b32_e32 v4, v2
	;; [unrolled: 1-line block ×31, first 2 shown]
	s_and_saveexec_b64 s[0:1], vcc
	s_cbranch_execz .LBB567_9
; %bb.8:
	v_mov_b32_e32 v35, v2
	v_lshl_add_u64 v[4:5], s[34:35], 0, v[34:35]
	flat_load_dwordx2 v[36:37], v[4:5]
	v_mov_b32_e32 v38, v2
	v_mov_b32_e32 v39, v2
	;; [unrolled: 1-line block ×30, first 2 shown]
	s_waitcnt vmcnt(0) lgkmcnt(0)
	v_mov_b64_e32 v[2:3], v[36:37]
	v_mov_b64_e32 v[4:5], v[38:39]
	;; [unrolled: 1-line block ×16, first 2 shown]
.LBB567_9:
	s_or_b64 exec, exec, s[0:1]
	v_or_b32_e32 v1, 0x100, v0
	v_cmp_gt_u32_e64 s[28:29], s33, v1
	s_and_saveexec_b64 s[0:1], s[28:29]
	s_cbranch_execz .LBB567_11
; %bb.10:
	v_mov_b32_e32 v35, 0
	v_lshl_add_u64 v[4:5], s[34:35], 0, v[34:35]
	flat_load_dwordx2 v[4:5], v[4:5] offset:2048
.LBB567_11:
	s_or_b64 exec, exec, s[0:1]
	v_or_b32_e32 v1, 0x200, v0
	v_cmp_gt_u32_e64 s[26:27], s33, v1
	s_and_saveexec_b64 s[0:1], s[26:27]
	s_cbranch_execz .LBB567_13
; %bb.12:
	v_lshlrev_b32_e32 v6, 3, v1
	v_mov_b32_e32 v7, 0
	v_lshl_add_u64 v[6:7], s[34:35], 0, v[6:7]
	flat_load_dwordx2 v[6:7], v[6:7]
.LBB567_13:
	s_or_b64 exec, exec, s[0:1]
	v_or_b32_e32 v1, 0x300, v0
	v_cmp_gt_u32_e64 s[24:25], s33, v1
	s_and_saveexec_b64 s[0:1], s[24:25]
	s_cbranch_execz .LBB567_15
; %bb.14:
	v_lshlrev_b32_e32 v8, 3, v1
	v_mov_b32_e32 v9, 0
	v_lshl_add_u64 v[8:9], s[34:35], 0, v[8:9]
	flat_load_dwordx2 v[8:9], v[8:9]
.LBB567_15:
	;; [unrolled: 11-line block ×13, first 2 shown]
	s_or_b64 exec, exec, s[36:37]
	v_or_b32_e32 v1, 0xf00, v0
	v_cmp_gt_u32_e32 vcc, s33, v1
	s_and_saveexec_b64 s[36:37], vcc
	s_cbranch_execnz .LBB567_78
; %bb.38:
	s_or_b64 exec, exec, s[36:37]
	s_and_saveexec_b64 s[34:35], s[28:29]
	s_cbranch_execnz .LBB567_79
.LBB567_39:
	s_or_b64 exec, exec, s[34:35]
	s_and_saveexec_b64 s[28:29], s[26:27]
	s_cbranch_execnz .LBB567_80
.LBB567_40:
	s_or_b64 exec, exec, s[28:29]
	s_and_saveexec_b64 s[26:27], s[24:25]
	s_cbranch_execnz .LBB567_81
.LBB567_41:
	s_or_b64 exec, exec, s[26:27]
	s_and_saveexec_b64 s[24:25], s[22:23]
	s_cbranch_execnz .LBB567_82
.LBB567_42:
	s_or_b64 exec, exec, s[24:25]
	s_and_saveexec_b64 s[22:23], s[20:21]
	s_cbranch_execnz .LBB567_83
.LBB567_43:
	s_or_b64 exec, exec, s[22:23]
	s_and_saveexec_b64 s[20:21], s[18:19]
	s_cbranch_execnz .LBB567_84
.LBB567_44:
	s_or_b64 exec, exec, s[20:21]
	s_and_saveexec_b64 s[18:19], s[16:17]
	s_cbranch_execnz .LBB567_85
.LBB567_45:
	s_or_b64 exec, exec, s[18:19]
	s_and_saveexec_b64 s[16:17], s[14:15]
	s_cbranch_execnz .LBB567_86
.LBB567_46:
	s_or_b64 exec, exec, s[16:17]
	s_and_saveexec_b64 s[14:15], s[12:13]
	s_cbranch_execnz .LBB567_87
.LBB567_47:
	s_or_b64 exec, exec, s[14:15]
	s_and_saveexec_b64 s[12:13], s[10:11]
	s_cbranch_execnz .LBB567_88
.LBB567_48:
	s_or_b64 exec, exec, s[12:13]
	s_and_saveexec_b64 s[10:11], s[8:9]
	s_cbranch_execnz .LBB567_89
.LBB567_49:
	s_or_b64 exec, exec, s[10:11]
	s_and_saveexec_b64 s[8:9], s[6:7]
	s_cbranch_execnz .LBB567_90
.LBB567_50:
	s_or_b64 exec, exec, s[8:9]
	s_and_saveexec_b64 s[6:7], s[4:5]
	s_cbranch_execnz .LBB567_91
.LBB567_51:
	s_or_b64 exec, exec, s[6:7]
	s_and_saveexec_b64 s[4:5], s[0:1]
	s_cbranch_execnz .LBB567_92
.LBB567_52:
	s_or_b64 exec, exec, s[4:5]
	s_and_saveexec_b64 s[0:1], vcc
	s_cbranch_execz .LBB567_54
.LBB567_53:
	s_mov_b32 s6, 0xcccccccd
	s_waitcnt vmcnt(0) lgkmcnt(0)
	v_mul_hi_u32 v4, v32, s6
	v_mov_b32_e32 v5, 0
	v_mad_u64_u32 v[6:7], s[4:5], v33, s6, v[4:5]
	v_mov_b32_e32 v4, v7
	v_mov_b32_e32 v7, v5
	s_mov_b32 s7, 0xcccccccc
	v_mad_u64_u32 v[6:7], s[4:5], v32, s7, v[6:7]
	v_mov_b32_e32 v6, v7
	v_mov_b32_e32 v7, v5
	v_lshl_add_u64 v[6:7], v[4:5], 0, v[6:7]
	v_mad_u64_u32 v[6:7], s[4:5], v33, s7, v[6:7]
	v_mul_hi_u32 v4, v2, s6
	v_alignbit_b32 v1, v7, v6, 3
	v_mad_u64_u32 v[6:7], s[4:5], v3, s6, v[4:5]
	v_mov_b32_e32 v4, v7
	v_mov_b32_e32 v7, v5
	v_mad_u64_u32 v[6:7], s[4:5], v2, s7, v[6:7]
	v_mov_b32_e32 v6, v7
	v_mov_b32_e32 v7, v5
	v_lshl_add_u64 v[6:7], v[4:5], 0, v[6:7]
	v_mad_u64_u32 v[6:7], s[4:5], v3, s7, v[6:7]
	v_alignbit_b32 v3, v7, v6, 3
	v_mul_lo_u32 v1, v1, 10
	v_mul_lo_u32 v3, v3, 10
	v_sub_u32_e32 v1, v32, v1
	v_sub_u32_e32 v2, v2, v3
	v_add_u32_e32 v4, v2, v1
	v_lshl_add_u64 v[2:3], v[4:5], 0, -10
	v_cmp_gt_u32_e32 vcc, 10, v4
	s_nop 1
	v_cndmask_b32_e64 v3, v3, 0, vcc
	v_cndmask_b32_e32 v2, v2, v4, vcc
.LBB567_54:
	s_or_b64 exec, exec, s[0:1]
	v_mbcnt_lo_u32_b32 v1, -1, 0
	v_mbcnt_hi_u32_b32 v1, -1, v1
	s_waitcnt vmcnt(0) lgkmcnt(0)
	v_and_b32_e32 v4, 63, v1
	v_cmp_ne_u32_e32 vcc, 63, v4
	s_min_u32 s4, s33, 0x100
	v_add_u32_e32 v8, 1, v4
	v_addc_co_u32_e32 v5, vcc, 0, v1, vcc
	v_lshlrev_b32_e32 v5, 2, v5
	ds_bpermute_b32 v6, v5, v2
	ds_bpermute_b32 v7, v5, v3
	v_and_b32_e32 v5, 0xc0, v0
	v_sub_u32_e64 v5, s4, v5 clamp
	v_cmp_lt_u32_e32 vcc, v8, v5
	s_and_saveexec_b64 s[0:1], vcc
	s_xor_b64 s[0:1], exec, s[0:1]
	s_cbranch_execz .LBB567_56
; %bb.55:
	s_mov_b32 s5, 0xcccccccd
	s_waitcnt lgkmcnt(1)
	v_mul_hi_u32 v8, v6, s5
	v_mov_b32_e32 v9, 0
	s_waitcnt lgkmcnt(0)
	v_mad_u64_u32 v[10:11], s[6:7], v7, s5, v[8:9]
	v_mov_b32_e32 v8, v11
	v_mov_b32_e32 v11, v9
	s_mov_b32 s8, 0xcccccccc
	v_mad_u64_u32 v[10:11], s[6:7], v6, s8, v[10:11]
	v_mov_b32_e32 v10, v11
	v_mov_b32_e32 v11, v9
	v_lshl_add_u64 v[10:11], v[8:9], 0, v[10:11]
	v_mad_u64_u32 v[10:11], s[6:7], v7, s8, v[10:11]
	v_alignbit_b32 v7, v11, v10, 3
	v_mul_lo_u32 v7, v7, 10
	v_mul_hi_u32 v8, v2, s5
	v_sub_u32_e32 v10, v6, v7
	v_mad_u64_u32 v[6:7], s[6:7], v3, s5, v[8:9]
	v_mov_b32_e32 v8, v7
	v_mov_b32_e32 v7, v9
	v_mad_u64_u32 v[6:7], s[6:7], v2, s8, v[6:7]
	v_mov_b32_e32 v6, v7
	v_mov_b32_e32 v7, v9
	v_lshl_add_u64 v[6:7], v[8:9], 0, v[6:7]
	v_mad_u64_u32 v[6:7], s[6:7], v3, s8, v[6:7]
	v_alignbit_b32 v3, v7, v6, 3
	v_mul_lo_u32 v3, v3, 10
	v_sub_u32_e32 v2, v2, v3
	v_add_u32_e32 v8, v10, v2
	v_lshl_add_u64 v[2:3], v[8:9], 0, -10
	v_cmp_gt_u32_e32 vcc, 10, v8
	s_nop 1
	v_cndmask_b32_e64 v3, v3, 0, vcc
	v_cndmask_b32_e32 v2, v2, v8, vcc
.LBB567_56:
	s_or_b64 exec, exec, s[0:1]
	v_cmp_gt_u32_e32 vcc, 62, v4
	v_add_u32_e32 v8, 2, v4
	s_waitcnt lgkmcnt(1)
	v_cndmask_b32_e64 v6, 0, 2, vcc
	s_waitcnt lgkmcnt(0)
	v_add_lshl_u32 v7, v6, v1, 2
	ds_bpermute_b32 v6, v7, v2
	ds_bpermute_b32 v7, v7, v3
	v_cmp_lt_u32_e32 vcc, v8, v5
	s_and_saveexec_b64 s[0:1], vcc
	s_cbranch_execz .LBB567_58
; %bb.57:
	s_mov_b32 s5, 0xcccccccd
	s_waitcnt lgkmcnt(1)
	v_mul_hi_u32 v8, v6, s5
	v_mov_b32_e32 v9, 0
	s_waitcnt lgkmcnt(0)
	v_mad_u64_u32 v[10:11], s[6:7], v7, s5, v[8:9]
	v_mov_b32_e32 v8, v11
	v_mov_b32_e32 v11, v9
	s_mov_b32 s8, 0xcccccccc
	v_mad_u64_u32 v[10:11], s[6:7], v6, s8, v[10:11]
	v_mov_b32_e32 v10, v11
	v_mov_b32_e32 v11, v9
	v_lshl_add_u64 v[10:11], v[8:9], 0, v[10:11]
	v_mad_u64_u32 v[10:11], s[6:7], v7, s8, v[10:11]
	v_alignbit_b32 v7, v11, v10, 3
	v_mul_lo_u32 v7, v7, 10
	v_mul_hi_u32 v8, v2, s5
	v_sub_u32_e32 v10, v6, v7
	v_mad_u64_u32 v[6:7], s[6:7], v3, s5, v[8:9]
	v_mov_b32_e32 v8, v7
	v_mov_b32_e32 v7, v9
	v_mad_u64_u32 v[6:7], s[6:7], v2, s8, v[6:7]
	v_mov_b32_e32 v6, v7
	v_mov_b32_e32 v7, v9
	v_lshl_add_u64 v[6:7], v[8:9], 0, v[6:7]
	v_mad_u64_u32 v[6:7], s[6:7], v3, s8, v[6:7]
	v_alignbit_b32 v3, v7, v6, 3
	v_mul_lo_u32 v3, v3, 10
	v_sub_u32_e32 v2, v2, v3
	v_add_u32_e32 v8, v10, v2
	v_lshl_add_u64 v[2:3], v[8:9], 0, -10
	v_cmp_gt_u32_e32 vcc, 10, v8
	s_nop 1
	v_cndmask_b32_e64 v3, v3, 0, vcc
	v_cndmask_b32_e32 v2, v2, v8, vcc
.LBB567_58:
	s_or_b64 exec, exec, s[0:1]
	v_cmp_gt_u32_e32 vcc, 60, v4
	v_add_u32_e32 v8, 4, v4
	s_waitcnt lgkmcnt(1)
	v_cndmask_b32_e64 v6, 0, 4, vcc
	s_waitcnt lgkmcnt(0)
	v_add_lshl_u32 v7, v6, v1, 2
	ds_bpermute_b32 v6, v7, v2
	ds_bpermute_b32 v7, v7, v3
	v_cmp_lt_u32_e32 vcc, v8, v5
	s_and_saveexec_b64 s[0:1], vcc
	;; [unrolled: 49-line block ×4, first 2 shown]
	s_cbranch_execz .LBB567_64
; %bb.63:
	s_mov_b32 s5, 0xcccccccd
	s_waitcnt lgkmcnt(1)
	v_mul_hi_u32 v8, v6, s5
	v_mov_b32_e32 v9, 0
	s_waitcnt lgkmcnt(0)
	v_mad_u64_u32 v[10:11], s[6:7], v7, s5, v[8:9]
	v_mov_b32_e32 v8, v11
	v_mov_b32_e32 v11, v9
	s_mov_b32 s8, 0xcccccccc
	v_mad_u64_u32 v[10:11], s[6:7], v6, s8, v[10:11]
	v_mov_b32_e32 v10, v11
	v_mov_b32_e32 v11, v9
	v_lshl_add_u64 v[10:11], v[8:9], 0, v[10:11]
	v_mad_u64_u32 v[10:11], s[6:7], v7, s8, v[10:11]
	v_alignbit_b32 v7, v11, v10, 3
	v_mul_lo_u32 v7, v7, 10
	v_mul_hi_u32 v8, v2, s5
	v_sub_u32_e32 v10, v6, v7
	v_mad_u64_u32 v[6:7], s[6:7], v3, s5, v[8:9]
	v_mov_b32_e32 v8, v7
	v_mov_b32_e32 v7, v9
	v_mad_u64_u32 v[6:7], s[6:7], v2, s8, v[6:7]
	v_mov_b32_e32 v6, v7
	v_mov_b32_e32 v7, v9
	v_lshl_add_u64 v[6:7], v[8:9], 0, v[6:7]
	v_mad_u64_u32 v[6:7], s[6:7], v3, s8, v[6:7]
	v_alignbit_b32 v3, v7, v6, 3
	v_mul_lo_u32 v3, v3, 10
	v_sub_u32_e32 v2, v2, v3
	v_add_u32_e32 v8, v10, v2
	v_lshl_add_u64 v[2:3], v[8:9], 0, -10
	v_cmp_gt_u32_e32 vcc, 10, v8
	s_nop 1
	v_cndmask_b32_e64 v3, v3, 0, vcc
	v_cndmask_b32_e32 v2, v2, v8, vcc
.LBB567_64:
	s_or_b64 exec, exec, s[0:1]
	s_waitcnt lgkmcnt(1)
	v_lshlrev_b32_e32 v6, 2, v1
	v_or_b32_e32 v8, 0x80, v6
	s_waitcnt lgkmcnt(0)
	ds_bpermute_b32 v7, v8, v2
	ds_bpermute_b32 v8, v8, v3
	v_add_u32_e32 v4, 32, v4
	v_cmp_lt_u32_e32 vcc, v4, v5
	s_and_saveexec_b64 s[0:1], vcc
	s_cbranch_execz .LBB567_66
; %bb.65:
	s_mov_b32 s5, 0xcccccccd
	s_waitcnt lgkmcnt(1)
	v_mul_hi_u32 v4, v7, s5
	v_mov_b32_e32 v5, 0
	s_waitcnt lgkmcnt(0)
	v_mad_u64_u32 v[10:11], s[6:7], v8, s5, v[4:5]
	v_mov_b32_e32 v4, v11
	v_mov_b32_e32 v11, v5
	s_mov_b32 s8, 0xcccccccc
	v_mad_u64_u32 v[10:11], s[6:7], v7, s8, v[10:11]
	v_mov_b32_e32 v10, v11
	v_mov_b32_e32 v11, v5
	v_lshl_add_u64 v[10:11], v[4:5], 0, v[10:11]
	v_mad_u64_u32 v[8:9], s[6:7], v8, s8, v[10:11]
	v_alignbit_b32 v4, v9, v8, 3
	v_mul_lo_u32 v4, v4, 10
	v_sub_u32_e32 v7, v7, v4
	v_mul_hi_u32 v4, v2, s5
	v_mad_u64_u32 v[8:9], s[6:7], v3, s5, v[4:5]
	v_mov_b32_e32 v4, v9
	v_mov_b32_e32 v9, v5
	v_mad_u64_u32 v[8:9], s[6:7], v2, s8, v[8:9]
	v_mov_b32_e32 v8, v9
	v_mov_b32_e32 v9, v5
	v_lshl_add_u64 v[8:9], v[4:5], 0, v[8:9]
	v_mad_u64_u32 v[8:9], s[6:7], v3, s8, v[8:9]
	v_alignbit_b32 v3, v9, v8, 3
	v_mul_lo_u32 v3, v3, 10
	v_sub_u32_e32 v2, v2, v3
	v_add_u32_e32 v4, v7, v2
	v_lshl_add_u64 v[2:3], v[4:5], 0, -10
	v_cmp_gt_u32_e32 vcc, 10, v4
	s_nop 1
	v_cndmask_b32_e64 v3, v3, 0, vcc
	v_cndmask_b32_e32 v2, v2, v4, vcc
.LBB567_66:
	s_or_b64 exec, exec, s[0:1]
	v_cmp_eq_u32_e32 vcc, 0, v1
	s_and_saveexec_b64 s[0:1], vcc
; %bb.67:
	v_lshrrev_b32_e32 v4, 3, v0
	v_and_b32_e32 v4, 24, v4
	ds_write_b64 v4, v[2:3]
; %bb.68:
	s_or_b64 exec, exec, s[0:1]
	v_cmp_gt_u32_e32 vcc, 4, v0
	s_waitcnt lgkmcnt(0)
	s_barrier
	s_and_saveexec_b64 s[0:1], vcc
	s_cbranch_execz .LBB567_74
; %bb.69:
	v_lshlrev_b32_e32 v2, 3, v1
	ds_read_b64 v[2:3], v2
	v_and_b32_e32 v4, 3, v1
	v_cmp_ne_u32_e32 vcc, 3, v4
	s_add_i32 s4, s4, 63
	s_lshr_b32 s6, s4, 6
	v_addc_co_u32_e32 v1, vcc, 0, v1, vcc
	v_lshlrev_b32_e32 v5, 2, v1
	s_waitcnt lgkmcnt(0)
	ds_bpermute_b32 v1, v5, v2
	ds_bpermute_b32 v5, v5, v3
	v_add_u32_e32 v7, 1, v4
	v_cmp_gt_u32_e32 vcc, s6, v7
	s_and_saveexec_b64 s[4:5], vcc
	s_cbranch_execz .LBB567_71
; %bb.70:
	s_mov_b32 s7, 0xcccccccd
	s_waitcnt lgkmcnt(1)
	v_mul_hi_u32 v8, v1, s7
	v_mov_b32_e32 v9, 0
	s_waitcnt lgkmcnt(0)
	v_mad_u64_u32 v[10:11], s[8:9], v5, s7, v[8:9]
	v_mov_b32_e32 v8, v11
	v_mov_b32_e32 v11, v9
	s_mov_b32 s10, 0xcccccccc
	v_mad_u64_u32 v[10:11], s[8:9], v1, s10, v[10:11]
	v_mov_b32_e32 v10, v11
	v_mov_b32_e32 v11, v9
	v_lshl_add_u64 v[10:11], v[8:9], 0, v[10:11]
	v_mad_u64_u32 v[10:11], s[8:9], v5, s10, v[10:11]
	v_mul_hi_u32 v8, v2, s7
	v_alignbit_b32 v5, v11, v10, 3
	v_mad_u64_u32 v[10:11], s[8:9], v3, s7, v[8:9]
	v_mov_b32_e32 v8, v11
	v_mov_b32_e32 v11, v9
	v_mad_u64_u32 v[10:11], s[8:9], v2, s10, v[10:11]
	v_mov_b32_e32 v10, v11
	v_mov_b32_e32 v11, v9
	v_lshl_add_u64 v[10:11], v[8:9], 0, v[10:11]
	v_mad_u64_u32 v[10:11], s[8:9], v3, s10, v[10:11]
	v_alignbit_b32 v3, v11, v10, 3
	v_mul_lo_u32 v5, v5, 10
	v_mul_lo_u32 v3, v3, 10
	v_sub_u32_e32 v1, v1, v5
	v_sub_u32_e32 v2, v2, v3
	v_add_u32_e32 v8, v1, v2
	v_lshl_add_u64 v[2:3], v[8:9], 0, -10
	v_cmp_gt_u32_e32 vcc, 10, v8
	s_nop 1
	v_cndmask_b32_e64 v3, v3, 0, vcc
	v_cndmask_b32_e32 v2, v2, v8, vcc
.LBB567_71:
	s_or_b64 exec, exec, s[4:5]
	s_waitcnt lgkmcnt(0)
	v_or_b32_e32 v5, 8, v6
	ds_bpermute_b32 v1, v5, v2
	ds_bpermute_b32 v5, v5, v3
	v_add_u32_e32 v4, 2, v4
	v_cmp_gt_u32_e32 vcc, s6, v4
	s_and_saveexec_b64 s[4:5], vcc
	s_cbranch_execz .LBB567_73
; %bb.72:
	s_mov_b32 s8, 0xcccccccd
	s_waitcnt lgkmcnt(1)
	v_mul_hi_u32 v6, v1, s8
	v_mov_b32_e32 v7, 0
	s_waitcnt lgkmcnt(0)
	v_mad_u64_u32 v[8:9], s[6:7], v5, s8, v[6:7]
	v_mov_b32_e32 v6, v9
	v_mov_b32_e32 v9, v7
	s_mov_b32 s9, 0xcccccccc
	v_mad_u64_u32 v[8:9], s[6:7], v1, s9, v[8:9]
	v_mov_b32_e32 v8, v9
	v_mov_b32_e32 v9, v7
	v_lshl_add_u64 v[8:9], v[6:7], 0, v[8:9]
	v_mad_u64_u32 v[4:5], s[6:7], v5, s9, v[8:9]
	v_alignbit_b32 v4, v5, v4, 3
	v_mul_lo_u32 v4, v4, 10
	v_mul_hi_u32 v6, v2, s8
	v_sub_u32_e32 v1, v1, v4
	v_mad_u64_u32 v[4:5], s[6:7], v3, s8, v[6:7]
	v_mov_b32_e32 v6, v5
	v_mov_b32_e32 v5, v7
	v_mad_u64_u32 v[4:5], s[6:7], v2, s9, v[4:5]
	v_mov_b32_e32 v4, v5
	v_mov_b32_e32 v5, v7
	v_lshl_add_u64 v[4:5], v[6:7], 0, v[4:5]
	v_mad_u64_u32 v[4:5], s[6:7], v3, s9, v[4:5]
	v_alignbit_b32 v3, v5, v4, 3
	v_mul_lo_u32 v3, v3, 10
	v_sub_u32_e32 v2, v2, v3
	v_add_u32_e32 v6, v1, v2
	v_lshl_add_u64 v[2:3], v[6:7], 0, -10
	v_cmp_gt_u32_e32 vcc, 10, v6
	s_nop 1
	v_cndmask_b32_e64 v3, v3, 0, vcc
	v_cndmask_b32_e32 v2, v2, v6, vcc
.LBB567_73:
	s_or_b64 exec, exec, s[4:5]
.LBB567_74:
	s_or_b64 exec, exec, s[0:1]
.LBB567_75:
	v_cmp_eq_u32_e32 vcc, 0, v0
	s_and_saveexec_b64 s[0:1], vcc
	s_cbranch_execnz .LBB567_77
; %bb.76:
	s_endpgm
.LBB567_77:
	s_mul_i32 s0, s46, s45
	s_mul_hi_u32 s1, s46, s44
	s_add_i32 s0, s1, s0
	s_mul_i32 s1, s47, s44
	s_add_i32 s1, s0, s1
	s_mul_i32 s0, s46, s44
	s_lshl_b64 s[0:1], s[0:1], 3
	s_add_u32 s4, s42, s0
	s_addc_u32 s5, s43, s1
	s_cmp_eq_u64 s[40:41], 0
	v_mov_b32_e32 v0, s31
	s_cselect_b64 vcc, -1, 0
	s_lshl_b64 s[0:1], s[2:3], 3
	s_waitcnt lgkmcnt(1)
	v_cndmask_b32_e32 v1, v3, v0, vcc
	v_mov_b32_e32 v0, s30
	s_add_u32 s0, s4, s0
	v_cndmask_b32_e32 v0, v2, v0, vcc
	s_addc_u32 s1, s5, s1
	v_mov_b32_e32 v2, 0
	global_store_dwordx2 v2, v[0:1], s[0:1]
	s_endpgm
.LBB567_78:
	v_lshlrev_b32_e32 v32, 3, v1
	v_mov_b32_e32 v33, 0
	v_lshl_add_u64 v[32:33], s[34:35], 0, v[32:33]
	flat_load_dwordx2 v[32:33], v[32:33]
	s_or_b64 exec, exec, s[36:37]
	s_and_saveexec_b64 s[34:35], s[28:29]
	s_cbranch_execz .LBB567_39
.LBB567_79:
	s_mov_b32 s36, 0xcccccccd
	s_waitcnt vmcnt(0) lgkmcnt(0)
	v_mul_hi_u32 v34, v4, s36
	v_mov_b32_e32 v35, 0
	v_mad_u64_u32 v[36:37], s[28:29], v5, s36, v[34:35]
	v_mov_b32_e32 v34, v37
	v_mov_b32_e32 v37, v35
	s_mov_b32 s37, 0xcccccccc
	v_mad_u64_u32 v[36:37], s[28:29], v4, s37, v[36:37]
	v_mov_b32_e32 v36, v37
	v_mov_b32_e32 v37, v35
	v_lshl_add_u64 v[36:37], v[34:35], 0, v[36:37]
	v_mad_u64_u32 v[36:37], s[28:29], v5, s37, v[36:37]
	v_alignbit_b32 v1, v37, v36, 3
	v_mul_lo_u32 v1, v1, 10
	v_mul_hi_u32 v34, v2, s36
	v_sub_u32_e32 v1, v4, v1
	v_mad_u64_u32 v[4:5], s[28:29], v3, s36, v[34:35]
	v_mov_b32_e32 v34, v5
	v_mov_b32_e32 v5, v35
	v_mad_u64_u32 v[4:5], s[28:29], v2, s37, v[4:5]
	v_mov_b32_e32 v4, v5
	v_mov_b32_e32 v5, v35
	v_lshl_add_u64 v[4:5], v[34:35], 0, v[4:5]
	v_mad_u64_u32 v[4:5], s[28:29], v3, s37, v[4:5]
	v_alignbit_b32 v3, v5, v4, 3
	v_mul_lo_u32 v3, v3, 10
	v_sub_u32_e32 v2, v2, v3
	v_add_u32_e32 v34, v1, v2
	v_lshl_add_u64 v[2:3], v[34:35], 0, -10
	v_cmp_gt_u32_e64 s[28:29], 10, v34
	s_nop 1
	v_cndmask_b32_e64 v3, v3, 0, s[28:29]
	v_cndmask_b32_e64 v2, v2, v34, s[28:29]
	s_or_b64 exec, exec, s[34:35]
	s_and_saveexec_b64 s[28:29], s[26:27]
	s_cbranch_execz .LBB567_40
.LBB567_80:
	s_mov_b32 s34, 0xcccccccd
	s_waitcnt vmcnt(0) lgkmcnt(0)
	v_mul_hi_u32 v4, v6, s34
	v_mov_b32_e32 v5, 0
	v_mad_u64_u32 v[34:35], s[26:27], v7, s34, v[4:5]
	v_mov_b32_e32 v4, v35
	v_mov_b32_e32 v35, v5
	s_mov_b32 s35, 0xcccccccc
	v_mad_u64_u32 v[34:35], s[26:27], v6, s35, v[34:35]
	v_mov_b32_e32 v34, v35
	v_mov_b32_e32 v35, v5
	v_lshl_add_u64 v[34:35], v[4:5], 0, v[34:35]
	v_mad_u64_u32 v[34:35], s[26:27], v7, s35, v[34:35]
	v_alignbit_b32 v1, v35, v34, 3
	v_mul_lo_u32 v1, v1, 10
	v_mul_hi_u32 v4, v2, s34
	v_sub_u32_e32 v1, v6, v1
	v_mad_u64_u32 v[6:7], s[26:27], v3, s34, v[4:5]
	v_mov_b32_e32 v4, v7
	v_mov_b32_e32 v7, v5
	v_mad_u64_u32 v[6:7], s[26:27], v2, s35, v[6:7]
	v_mov_b32_e32 v6, v7
	v_mov_b32_e32 v7, v5
	v_lshl_add_u64 v[6:7], v[4:5], 0, v[6:7]
	v_mad_u64_u32 v[6:7], s[26:27], v3, s35, v[6:7]
	v_alignbit_b32 v3, v7, v6, 3
	v_mul_lo_u32 v3, v3, 10
	v_sub_u32_e32 v2, v2, v3
	v_add_u32_e32 v4, v2, v1
	v_lshl_add_u64 v[2:3], v[4:5], 0, -10
	v_cmp_gt_u32_e64 s[26:27], 10, v4
	s_nop 1
	v_cndmask_b32_e64 v3, v3, 0, s[26:27]
	v_cndmask_b32_e64 v2, v2, v4, s[26:27]
	s_or_b64 exec, exec, s[28:29]
	s_and_saveexec_b64 s[26:27], s[24:25]
	s_cbranch_execz .LBB567_41
.LBB567_81:
	s_mov_b32 s28, 0xcccccccd
	s_waitcnt vmcnt(0) lgkmcnt(0)
	v_mul_hi_u32 v4, v8, s28
	v_mov_b32_e32 v5, 0
	v_mad_u64_u32 v[6:7], s[24:25], v9, s28, v[4:5]
	v_mov_b32_e32 v4, v7
	v_mov_b32_e32 v7, v5
	s_mov_b32 s29, 0xcccccccc
	v_mad_u64_u32 v[6:7], s[24:25], v8, s29, v[6:7]
	v_mov_b32_e32 v6, v7
	v_mov_b32_e32 v7, v5
	v_lshl_add_u64 v[6:7], v[4:5], 0, v[6:7]
	v_mad_u64_u32 v[6:7], s[24:25], v9, s29, v[6:7]
	v_mul_hi_u32 v4, v2, s28
	v_alignbit_b32 v1, v7, v6, 3
	v_mad_u64_u32 v[6:7], s[24:25], v3, s28, v[4:5]
	v_mov_b32_e32 v4, v7
	v_mov_b32_e32 v7, v5
	v_mad_u64_u32 v[6:7], s[24:25], v2, s29, v[6:7]
	v_mov_b32_e32 v6, v7
	v_mov_b32_e32 v7, v5
	v_lshl_add_u64 v[6:7], v[4:5], 0, v[6:7]
	v_mad_u64_u32 v[6:7], s[24:25], v3, s29, v[6:7]
	v_alignbit_b32 v3, v7, v6, 3
	v_mul_lo_u32 v1, v1, 10
	v_mul_lo_u32 v3, v3, 10
	v_sub_u32_e32 v1, v8, v1
	v_sub_u32_e32 v2, v2, v3
	v_add_u32_e32 v4, v2, v1
	v_lshl_add_u64 v[2:3], v[4:5], 0, -10
	v_cmp_gt_u32_e64 s[24:25], 10, v4
	s_nop 1
	v_cndmask_b32_e64 v3, v3, 0, s[24:25]
	v_cndmask_b32_e64 v2, v2, v4, s[24:25]
	s_or_b64 exec, exec, s[26:27]
	s_and_saveexec_b64 s[24:25], s[22:23]
	s_cbranch_execz .LBB567_42
.LBB567_82:
	s_mov_b32 s26, 0xcccccccd
	s_waitcnt vmcnt(0) lgkmcnt(0)
	v_mul_hi_u32 v4, v10, s26
	v_mov_b32_e32 v5, 0
	v_mad_u64_u32 v[6:7], s[22:23], v11, s26, v[4:5]
	v_mov_b32_e32 v4, v7
	v_mov_b32_e32 v7, v5
	s_mov_b32 s27, 0xcccccccc
	v_mad_u64_u32 v[6:7], s[22:23], v10, s27, v[6:7]
	v_mov_b32_e32 v6, v7
	v_mov_b32_e32 v7, v5
	v_lshl_add_u64 v[6:7], v[4:5], 0, v[6:7]
	v_mad_u64_u32 v[6:7], s[22:23], v11, s27, v[6:7]
	v_mul_hi_u32 v4, v2, s26
	v_alignbit_b32 v1, v7, v6, 3
	v_mad_u64_u32 v[6:7], s[22:23], v3, s26, v[4:5]
	v_mov_b32_e32 v4, v7
	v_mov_b32_e32 v7, v5
	v_mad_u64_u32 v[6:7], s[22:23], v2, s27, v[6:7]
	v_mov_b32_e32 v6, v7
	v_mov_b32_e32 v7, v5
	v_lshl_add_u64 v[6:7], v[4:5], 0, v[6:7]
	v_mad_u64_u32 v[6:7], s[22:23], v3, s27, v[6:7]
	v_alignbit_b32 v3, v7, v6, 3
	v_mul_lo_u32 v1, v1, 10
	v_mul_lo_u32 v3, v3, 10
	v_sub_u32_e32 v1, v10, v1
	v_sub_u32_e32 v2, v2, v3
	v_add_u32_e32 v4, v2, v1
	v_lshl_add_u64 v[2:3], v[4:5], 0, -10
	v_cmp_gt_u32_e64 s[22:23], 10, v4
	s_nop 1
	v_cndmask_b32_e64 v3, v3, 0, s[22:23]
	v_cndmask_b32_e64 v2, v2, v4, s[22:23]
	s_or_b64 exec, exec, s[24:25]
	s_and_saveexec_b64 s[22:23], s[20:21]
	s_cbranch_execz .LBB567_43
.LBB567_83:
	s_mov_b32 s24, 0xcccccccd
	s_waitcnt vmcnt(0) lgkmcnt(0)
	v_mul_hi_u32 v4, v12, s24
	v_mov_b32_e32 v5, 0
	v_mad_u64_u32 v[6:7], s[20:21], v13, s24, v[4:5]
	v_mov_b32_e32 v4, v7
	v_mov_b32_e32 v7, v5
	s_mov_b32 s25, 0xcccccccc
	v_mad_u64_u32 v[6:7], s[20:21], v12, s25, v[6:7]
	v_mov_b32_e32 v6, v7
	v_mov_b32_e32 v7, v5
	v_lshl_add_u64 v[6:7], v[4:5], 0, v[6:7]
	v_mad_u64_u32 v[6:7], s[20:21], v13, s25, v[6:7]
	v_mul_hi_u32 v4, v2, s24
	v_alignbit_b32 v1, v7, v6, 3
	v_mad_u64_u32 v[6:7], s[20:21], v3, s24, v[4:5]
	v_mov_b32_e32 v4, v7
	v_mov_b32_e32 v7, v5
	v_mad_u64_u32 v[6:7], s[20:21], v2, s25, v[6:7]
	v_mov_b32_e32 v6, v7
	v_mov_b32_e32 v7, v5
	v_lshl_add_u64 v[6:7], v[4:5], 0, v[6:7]
	v_mad_u64_u32 v[6:7], s[20:21], v3, s25, v[6:7]
	v_alignbit_b32 v3, v7, v6, 3
	v_mul_lo_u32 v1, v1, 10
	v_mul_lo_u32 v3, v3, 10
	v_sub_u32_e32 v1, v12, v1
	v_sub_u32_e32 v2, v2, v3
	v_add_u32_e32 v4, v2, v1
	v_lshl_add_u64 v[2:3], v[4:5], 0, -10
	v_cmp_gt_u32_e64 s[20:21], 10, v4
	s_nop 1
	v_cndmask_b32_e64 v3, v3, 0, s[20:21]
	v_cndmask_b32_e64 v2, v2, v4, s[20:21]
	s_or_b64 exec, exec, s[22:23]
	s_and_saveexec_b64 s[20:21], s[18:19]
	s_cbranch_execz .LBB567_44
.LBB567_84:
	s_mov_b32 s22, 0xcccccccd
	s_waitcnt vmcnt(0) lgkmcnt(0)
	v_mul_hi_u32 v4, v14, s22
	v_mov_b32_e32 v5, 0
	v_mad_u64_u32 v[6:7], s[18:19], v15, s22, v[4:5]
	v_mov_b32_e32 v4, v7
	v_mov_b32_e32 v7, v5
	s_mov_b32 s23, 0xcccccccc
	v_mad_u64_u32 v[6:7], s[18:19], v14, s23, v[6:7]
	v_mov_b32_e32 v6, v7
	v_mov_b32_e32 v7, v5
	v_lshl_add_u64 v[6:7], v[4:5], 0, v[6:7]
	v_mad_u64_u32 v[6:7], s[18:19], v15, s23, v[6:7]
	v_mul_hi_u32 v4, v2, s22
	v_alignbit_b32 v1, v7, v6, 3
	v_mad_u64_u32 v[6:7], s[18:19], v3, s22, v[4:5]
	v_mov_b32_e32 v4, v7
	v_mov_b32_e32 v7, v5
	v_mad_u64_u32 v[6:7], s[18:19], v2, s23, v[6:7]
	v_mov_b32_e32 v6, v7
	v_mov_b32_e32 v7, v5
	v_lshl_add_u64 v[6:7], v[4:5], 0, v[6:7]
	v_mad_u64_u32 v[6:7], s[18:19], v3, s23, v[6:7]
	v_alignbit_b32 v3, v7, v6, 3
	v_mul_lo_u32 v1, v1, 10
	v_mul_lo_u32 v3, v3, 10
	v_sub_u32_e32 v1, v14, v1
	v_sub_u32_e32 v2, v2, v3
	v_add_u32_e32 v4, v2, v1
	v_lshl_add_u64 v[2:3], v[4:5], 0, -10
	v_cmp_gt_u32_e64 s[18:19], 10, v4
	s_nop 1
	v_cndmask_b32_e64 v3, v3, 0, s[18:19]
	v_cndmask_b32_e64 v2, v2, v4, s[18:19]
	s_or_b64 exec, exec, s[20:21]
	s_and_saveexec_b64 s[18:19], s[16:17]
	s_cbranch_execz .LBB567_45
.LBB567_85:
	s_mov_b32 s20, 0xcccccccd
	s_waitcnt vmcnt(0) lgkmcnt(0)
	v_mul_hi_u32 v4, v16, s20
	v_mov_b32_e32 v5, 0
	v_mad_u64_u32 v[6:7], s[16:17], v17, s20, v[4:5]
	v_mov_b32_e32 v4, v7
	v_mov_b32_e32 v7, v5
	s_mov_b32 s21, 0xcccccccc
	v_mad_u64_u32 v[6:7], s[16:17], v16, s21, v[6:7]
	v_mov_b32_e32 v6, v7
	v_mov_b32_e32 v7, v5
	v_lshl_add_u64 v[6:7], v[4:5], 0, v[6:7]
	v_mad_u64_u32 v[6:7], s[16:17], v17, s21, v[6:7]
	v_mul_hi_u32 v4, v2, s20
	v_alignbit_b32 v1, v7, v6, 3
	v_mad_u64_u32 v[6:7], s[16:17], v3, s20, v[4:5]
	v_mov_b32_e32 v4, v7
	v_mov_b32_e32 v7, v5
	v_mad_u64_u32 v[6:7], s[16:17], v2, s21, v[6:7]
	v_mov_b32_e32 v6, v7
	v_mov_b32_e32 v7, v5
	v_lshl_add_u64 v[6:7], v[4:5], 0, v[6:7]
	v_mad_u64_u32 v[6:7], s[16:17], v3, s21, v[6:7]
	v_alignbit_b32 v3, v7, v6, 3
	v_mul_lo_u32 v1, v1, 10
	v_mul_lo_u32 v3, v3, 10
	v_sub_u32_e32 v1, v16, v1
	v_sub_u32_e32 v2, v2, v3
	v_add_u32_e32 v4, v2, v1
	v_lshl_add_u64 v[2:3], v[4:5], 0, -10
	v_cmp_gt_u32_e64 s[16:17], 10, v4
	s_nop 1
	v_cndmask_b32_e64 v3, v3, 0, s[16:17]
	v_cndmask_b32_e64 v2, v2, v4, s[16:17]
	s_or_b64 exec, exec, s[18:19]
	s_and_saveexec_b64 s[16:17], s[14:15]
	s_cbranch_execz .LBB567_46
.LBB567_86:
	s_mov_b32 s18, 0xcccccccd
	s_waitcnt vmcnt(0) lgkmcnt(0)
	v_mul_hi_u32 v4, v18, s18
	v_mov_b32_e32 v5, 0
	v_mad_u64_u32 v[6:7], s[14:15], v19, s18, v[4:5]
	v_mov_b32_e32 v4, v7
	v_mov_b32_e32 v7, v5
	s_mov_b32 s19, 0xcccccccc
	v_mad_u64_u32 v[6:7], s[14:15], v18, s19, v[6:7]
	v_mov_b32_e32 v6, v7
	v_mov_b32_e32 v7, v5
	v_lshl_add_u64 v[6:7], v[4:5], 0, v[6:7]
	v_mad_u64_u32 v[6:7], s[14:15], v19, s19, v[6:7]
	v_mul_hi_u32 v4, v2, s18
	v_alignbit_b32 v1, v7, v6, 3
	v_mad_u64_u32 v[6:7], s[14:15], v3, s18, v[4:5]
	v_mov_b32_e32 v4, v7
	v_mov_b32_e32 v7, v5
	v_mad_u64_u32 v[6:7], s[14:15], v2, s19, v[6:7]
	v_mov_b32_e32 v6, v7
	v_mov_b32_e32 v7, v5
	v_lshl_add_u64 v[6:7], v[4:5], 0, v[6:7]
	v_mad_u64_u32 v[6:7], s[14:15], v3, s19, v[6:7]
	v_alignbit_b32 v3, v7, v6, 3
	v_mul_lo_u32 v1, v1, 10
	v_mul_lo_u32 v3, v3, 10
	v_sub_u32_e32 v1, v18, v1
	v_sub_u32_e32 v2, v2, v3
	v_add_u32_e32 v4, v2, v1
	v_lshl_add_u64 v[2:3], v[4:5], 0, -10
	v_cmp_gt_u32_e64 s[14:15], 10, v4
	s_nop 1
	v_cndmask_b32_e64 v3, v3, 0, s[14:15]
	v_cndmask_b32_e64 v2, v2, v4, s[14:15]
	s_or_b64 exec, exec, s[16:17]
	s_and_saveexec_b64 s[14:15], s[12:13]
	s_cbranch_execz .LBB567_47
.LBB567_87:
	s_mov_b32 s16, 0xcccccccd
	s_waitcnt vmcnt(0) lgkmcnt(0)
	v_mul_hi_u32 v4, v20, s16
	v_mov_b32_e32 v5, 0
	v_mad_u64_u32 v[6:7], s[12:13], v21, s16, v[4:5]
	v_mov_b32_e32 v4, v7
	v_mov_b32_e32 v7, v5
	s_mov_b32 s17, 0xcccccccc
	v_mad_u64_u32 v[6:7], s[12:13], v20, s17, v[6:7]
	v_mov_b32_e32 v6, v7
	v_mov_b32_e32 v7, v5
	v_lshl_add_u64 v[6:7], v[4:5], 0, v[6:7]
	v_mad_u64_u32 v[6:7], s[12:13], v21, s17, v[6:7]
	v_mul_hi_u32 v4, v2, s16
	v_alignbit_b32 v1, v7, v6, 3
	v_mad_u64_u32 v[6:7], s[12:13], v3, s16, v[4:5]
	v_mov_b32_e32 v4, v7
	v_mov_b32_e32 v7, v5
	v_mad_u64_u32 v[6:7], s[12:13], v2, s17, v[6:7]
	v_mov_b32_e32 v6, v7
	v_mov_b32_e32 v7, v5
	v_lshl_add_u64 v[6:7], v[4:5], 0, v[6:7]
	v_mad_u64_u32 v[6:7], s[12:13], v3, s17, v[6:7]
	v_alignbit_b32 v3, v7, v6, 3
	v_mul_lo_u32 v1, v1, 10
	v_mul_lo_u32 v3, v3, 10
	v_sub_u32_e32 v1, v20, v1
	v_sub_u32_e32 v2, v2, v3
	v_add_u32_e32 v4, v2, v1
	v_lshl_add_u64 v[2:3], v[4:5], 0, -10
	v_cmp_gt_u32_e64 s[12:13], 10, v4
	s_nop 1
	v_cndmask_b32_e64 v3, v3, 0, s[12:13]
	v_cndmask_b32_e64 v2, v2, v4, s[12:13]
	s_or_b64 exec, exec, s[14:15]
	s_and_saveexec_b64 s[12:13], s[10:11]
	s_cbranch_execz .LBB567_48
.LBB567_88:
	s_mov_b32 s14, 0xcccccccd
	s_waitcnt vmcnt(0) lgkmcnt(0)
	v_mul_hi_u32 v4, v22, s14
	v_mov_b32_e32 v5, 0
	v_mad_u64_u32 v[6:7], s[10:11], v23, s14, v[4:5]
	v_mov_b32_e32 v4, v7
	v_mov_b32_e32 v7, v5
	s_mov_b32 s15, 0xcccccccc
	v_mad_u64_u32 v[6:7], s[10:11], v22, s15, v[6:7]
	v_mov_b32_e32 v6, v7
	v_mov_b32_e32 v7, v5
	v_lshl_add_u64 v[6:7], v[4:5], 0, v[6:7]
	v_mad_u64_u32 v[6:7], s[10:11], v23, s15, v[6:7]
	v_mul_hi_u32 v4, v2, s14
	v_alignbit_b32 v1, v7, v6, 3
	v_mad_u64_u32 v[6:7], s[10:11], v3, s14, v[4:5]
	v_mov_b32_e32 v4, v7
	v_mov_b32_e32 v7, v5
	v_mad_u64_u32 v[6:7], s[10:11], v2, s15, v[6:7]
	v_mov_b32_e32 v6, v7
	v_mov_b32_e32 v7, v5
	v_lshl_add_u64 v[6:7], v[4:5], 0, v[6:7]
	v_mad_u64_u32 v[6:7], s[10:11], v3, s15, v[6:7]
	v_alignbit_b32 v3, v7, v6, 3
	v_mul_lo_u32 v1, v1, 10
	v_mul_lo_u32 v3, v3, 10
	v_sub_u32_e32 v1, v22, v1
	v_sub_u32_e32 v2, v2, v3
	v_add_u32_e32 v4, v2, v1
	v_lshl_add_u64 v[2:3], v[4:5], 0, -10
	v_cmp_gt_u32_e64 s[10:11], 10, v4
	s_nop 1
	v_cndmask_b32_e64 v3, v3, 0, s[10:11]
	v_cndmask_b32_e64 v2, v2, v4, s[10:11]
	s_or_b64 exec, exec, s[12:13]
	s_and_saveexec_b64 s[10:11], s[8:9]
	s_cbranch_execz .LBB567_49
.LBB567_89:
	s_mov_b32 s12, 0xcccccccd
	s_waitcnt vmcnt(0) lgkmcnt(0)
	v_mul_hi_u32 v4, v24, s12
	v_mov_b32_e32 v5, 0
	v_mad_u64_u32 v[6:7], s[8:9], v25, s12, v[4:5]
	v_mov_b32_e32 v4, v7
	v_mov_b32_e32 v7, v5
	s_mov_b32 s13, 0xcccccccc
	v_mad_u64_u32 v[6:7], s[8:9], v24, s13, v[6:7]
	v_mov_b32_e32 v6, v7
	v_mov_b32_e32 v7, v5
	v_lshl_add_u64 v[6:7], v[4:5], 0, v[6:7]
	v_mad_u64_u32 v[6:7], s[8:9], v25, s13, v[6:7]
	v_mul_hi_u32 v4, v2, s12
	v_alignbit_b32 v1, v7, v6, 3
	v_mad_u64_u32 v[6:7], s[8:9], v3, s12, v[4:5]
	v_mov_b32_e32 v4, v7
	v_mov_b32_e32 v7, v5
	v_mad_u64_u32 v[6:7], s[8:9], v2, s13, v[6:7]
	v_mov_b32_e32 v6, v7
	v_mov_b32_e32 v7, v5
	v_lshl_add_u64 v[6:7], v[4:5], 0, v[6:7]
	v_mad_u64_u32 v[6:7], s[8:9], v3, s13, v[6:7]
	v_alignbit_b32 v3, v7, v6, 3
	v_mul_lo_u32 v1, v1, 10
	v_mul_lo_u32 v3, v3, 10
	v_sub_u32_e32 v1, v24, v1
	v_sub_u32_e32 v2, v2, v3
	v_add_u32_e32 v4, v2, v1
	v_lshl_add_u64 v[2:3], v[4:5], 0, -10
	v_cmp_gt_u32_e64 s[8:9], 10, v4
	s_nop 1
	v_cndmask_b32_e64 v3, v3, 0, s[8:9]
	v_cndmask_b32_e64 v2, v2, v4, s[8:9]
	s_or_b64 exec, exec, s[10:11]
	s_and_saveexec_b64 s[8:9], s[6:7]
	s_cbranch_execz .LBB567_50
.LBB567_90:
	s_mov_b32 s10, 0xcccccccd
	s_waitcnt vmcnt(0) lgkmcnt(0)
	v_mul_hi_u32 v4, v26, s10
	v_mov_b32_e32 v5, 0
	v_mad_u64_u32 v[6:7], s[6:7], v27, s10, v[4:5]
	v_mov_b32_e32 v4, v7
	v_mov_b32_e32 v7, v5
	s_mov_b32 s11, 0xcccccccc
	v_mad_u64_u32 v[6:7], s[6:7], v26, s11, v[6:7]
	v_mov_b32_e32 v6, v7
	v_mov_b32_e32 v7, v5
	v_lshl_add_u64 v[6:7], v[4:5], 0, v[6:7]
	v_mad_u64_u32 v[6:7], s[6:7], v27, s11, v[6:7]
	v_mul_hi_u32 v4, v2, s10
	v_alignbit_b32 v1, v7, v6, 3
	v_mad_u64_u32 v[6:7], s[6:7], v3, s10, v[4:5]
	v_mov_b32_e32 v4, v7
	v_mov_b32_e32 v7, v5
	v_mad_u64_u32 v[6:7], s[6:7], v2, s11, v[6:7]
	v_mov_b32_e32 v6, v7
	v_mov_b32_e32 v7, v5
	v_lshl_add_u64 v[6:7], v[4:5], 0, v[6:7]
	v_mad_u64_u32 v[6:7], s[6:7], v3, s11, v[6:7]
	v_alignbit_b32 v3, v7, v6, 3
	v_mul_lo_u32 v1, v1, 10
	v_mul_lo_u32 v3, v3, 10
	v_sub_u32_e32 v1, v26, v1
	v_sub_u32_e32 v2, v2, v3
	v_add_u32_e32 v4, v2, v1
	v_lshl_add_u64 v[2:3], v[4:5], 0, -10
	v_cmp_gt_u32_e64 s[6:7], 10, v4
	s_nop 1
	v_cndmask_b32_e64 v3, v3, 0, s[6:7]
	v_cndmask_b32_e64 v2, v2, v4, s[6:7]
	s_or_b64 exec, exec, s[8:9]
	s_and_saveexec_b64 s[6:7], s[4:5]
	s_cbranch_execz .LBB567_51
.LBB567_91:
	s_mov_b32 s8, 0xcccccccd
	s_waitcnt vmcnt(0) lgkmcnt(0)
	v_mul_hi_u32 v4, v28, s8
	v_mov_b32_e32 v5, 0
	v_mad_u64_u32 v[6:7], s[4:5], v29, s8, v[4:5]
	v_mov_b32_e32 v4, v7
	v_mov_b32_e32 v7, v5
	s_mov_b32 s9, 0xcccccccc
	v_mad_u64_u32 v[6:7], s[4:5], v28, s9, v[6:7]
	v_mov_b32_e32 v6, v7
	v_mov_b32_e32 v7, v5
	v_lshl_add_u64 v[6:7], v[4:5], 0, v[6:7]
	v_mad_u64_u32 v[6:7], s[4:5], v29, s9, v[6:7]
	v_mul_hi_u32 v4, v2, s8
	v_alignbit_b32 v1, v7, v6, 3
	v_mad_u64_u32 v[6:7], s[4:5], v3, s8, v[4:5]
	v_mov_b32_e32 v4, v7
	v_mov_b32_e32 v7, v5
	v_mad_u64_u32 v[6:7], s[4:5], v2, s9, v[6:7]
	v_mov_b32_e32 v6, v7
	v_mov_b32_e32 v7, v5
	v_lshl_add_u64 v[6:7], v[4:5], 0, v[6:7]
	v_mad_u64_u32 v[6:7], s[4:5], v3, s9, v[6:7]
	v_alignbit_b32 v3, v7, v6, 3
	v_mul_lo_u32 v1, v1, 10
	v_mul_lo_u32 v3, v3, 10
	v_sub_u32_e32 v1, v28, v1
	v_sub_u32_e32 v2, v2, v3
	v_add_u32_e32 v4, v2, v1
	v_lshl_add_u64 v[2:3], v[4:5], 0, -10
	v_cmp_gt_u32_e64 s[4:5], 10, v4
	s_nop 1
	v_cndmask_b32_e64 v3, v3, 0, s[4:5]
	v_cndmask_b32_e64 v2, v2, v4, s[4:5]
	s_or_b64 exec, exec, s[6:7]
	s_and_saveexec_b64 s[4:5], s[0:1]
	s_cbranch_execz .LBB567_52
.LBB567_92:
	s_mov_b32 s6, 0xcccccccd
	s_waitcnt vmcnt(0) lgkmcnt(0)
	v_mul_hi_u32 v4, v30, s6
	v_mov_b32_e32 v5, 0
	v_mad_u64_u32 v[6:7], s[0:1], v31, s6, v[4:5]
	v_mov_b32_e32 v4, v7
	v_mov_b32_e32 v7, v5
	s_mov_b32 s7, 0xcccccccc
	v_mad_u64_u32 v[6:7], s[0:1], v30, s7, v[6:7]
	v_mov_b32_e32 v6, v7
	v_mov_b32_e32 v7, v5
	v_lshl_add_u64 v[6:7], v[4:5], 0, v[6:7]
	v_mad_u64_u32 v[6:7], s[0:1], v31, s7, v[6:7]
	v_mul_hi_u32 v4, v2, s6
	v_alignbit_b32 v1, v7, v6, 3
	v_mad_u64_u32 v[6:7], s[0:1], v3, s6, v[4:5]
	v_mov_b32_e32 v4, v7
	v_mov_b32_e32 v7, v5
	v_mad_u64_u32 v[6:7], s[0:1], v2, s7, v[6:7]
	v_mov_b32_e32 v6, v7
	v_mov_b32_e32 v7, v5
	v_lshl_add_u64 v[6:7], v[4:5], 0, v[6:7]
	v_mad_u64_u32 v[6:7], s[0:1], v3, s7, v[6:7]
	v_alignbit_b32 v3, v7, v6, 3
	v_mul_lo_u32 v1, v1, 10
	v_mul_lo_u32 v3, v3, 10
	v_sub_u32_e32 v1, v30, v1
	v_sub_u32_e32 v2, v2, v3
	v_add_u32_e32 v4, v2, v1
	v_lshl_add_u64 v[2:3], v[4:5], 0, -10
	v_cmp_gt_u32_e64 s[0:1], 10, v4
	s_nop 1
	v_cndmask_b32_e64 v3, v3, 0, s[0:1]
	v_cndmask_b32_e64 v2, v2, v4, s[0:1]
	s_or_b64 exec, exec, s[4:5]
	s_and_saveexec_b64 s[0:1], vcc
	s_cbranch_execnz .LBB567_53
	s_branch .LBB567_54
	.section	.rodata,"a",@progbits
	.p2align	6, 0x0
	.amdhsa_kernel _ZN7rocprim17ROCPRIM_400000_NS6detail17trampoline_kernelINS0_14default_configENS1_22reduce_config_selectorImEEZNS1_11reduce_implILb1ES3_N6thrust23THRUST_200600_302600_NS6detail15normal_iteratorINS8_10device_ptrImEEEEPmm11plus_mod_10ImEEE10hipError_tPvRmT1_T2_T3_mT4_P12ihipStream_tbEUlT_E0_NS1_11comp_targetILNS1_3genE0ELNS1_11target_archE4294967295ELNS1_3gpuE0ELNS1_3repE0EEENS1_30default_config_static_selectorELNS0_4arch9wavefront6targetE1EEEvSK_
		.amdhsa_group_segment_fixed_size 64
		.amdhsa_private_segment_fixed_size 0
		.amdhsa_kernarg_size 64
		.amdhsa_user_sgpr_count 2
		.amdhsa_user_sgpr_dispatch_ptr 0
		.amdhsa_user_sgpr_queue_ptr 0
		.amdhsa_user_sgpr_kernarg_segment_ptr 1
		.amdhsa_user_sgpr_dispatch_id 0
		.amdhsa_user_sgpr_kernarg_preload_length 0
		.amdhsa_user_sgpr_kernarg_preload_offset 0
		.amdhsa_user_sgpr_private_segment_size 0
		.amdhsa_uses_dynamic_stack 0
		.amdhsa_enable_private_segment 0
		.amdhsa_system_sgpr_workgroup_id_x 1
		.amdhsa_system_sgpr_workgroup_id_y 0
		.amdhsa_system_sgpr_workgroup_id_z 0
		.amdhsa_system_sgpr_workgroup_info 0
		.amdhsa_system_vgpr_workitem_id 0
		.amdhsa_next_free_vgpr 68
		.amdhsa_next_free_sgpr 48
		.amdhsa_accum_offset 68
		.amdhsa_reserve_vcc 1
		.amdhsa_float_round_mode_32 0
		.amdhsa_float_round_mode_16_64 0
		.amdhsa_float_denorm_mode_32 3
		.amdhsa_float_denorm_mode_16_64 3
		.amdhsa_dx10_clamp 1
		.amdhsa_ieee_mode 1
		.amdhsa_fp16_overflow 0
		.amdhsa_tg_split 0
		.amdhsa_exception_fp_ieee_invalid_op 0
		.amdhsa_exception_fp_denorm_src 0
		.amdhsa_exception_fp_ieee_div_zero 0
		.amdhsa_exception_fp_ieee_overflow 0
		.amdhsa_exception_fp_ieee_underflow 0
		.amdhsa_exception_fp_ieee_inexact 0
		.amdhsa_exception_int_div_zero 0
	.end_amdhsa_kernel
	.section	.text._ZN7rocprim17ROCPRIM_400000_NS6detail17trampoline_kernelINS0_14default_configENS1_22reduce_config_selectorImEEZNS1_11reduce_implILb1ES3_N6thrust23THRUST_200600_302600_NS6detail15normal_iteratorINS8_10device_ptrImEEEEPmm11plus_mod_10ImEEE10hipError_tPvRmT1_T2_T3_mT4_P12ihipStream_tbEUlT_E0_NS1_11comp_targetILNS1_3genE0ELNS1_11target_archE4294967295ELNS1_3gpuE0ELNS1_3repE0EEENS1_30default_config_static_selectorELNS0_4arch9wavefront6targetE1EEEvSK_,"axG",@progbits,_ZN7rocprim17ROCPRIM_400000_NS6detail17trampoline_kernelINS0_14default_configENS1_22reduce_config_selectorImEEZNS1_11reduce_implILb1ES3_N6thrust23THRUST_200600_302600_NS6detail15normal_iteratorINS8_10device_ptrImEEEEPmm11plus_mod_10ImEEE10hipError_tPvRmT1_T2_T3_mT4_P12ihipStream_tbEUlT_E0_NS1_11comp_targetILNS1_3genE0ELNS1_11target_archE4294967295ELNS1_3gpuE0ELNS1_3repE0EEENS1_30default_config_static_selectorELNS0_4arch9wavefront6targetE1EEEvSK_,comdat
.Lfunc_end567:
	.size	_ZN7rocprim17ROCPRIM_400000_NS6detail17trampoline_kernelINS0_14default_configENS1_22reduce_config_selectorImEEZNS1_11reduce_implILb1ES3_N6thrust23THRUST_200600_302600_NS6detail15normal_iteratorINS8_10device_ptrImEEEEPmm11plus_mod_10ImEEE10hipError_tPvRmT1_T2_T3_mT4_P12ihipStream_tbEUlT_E0_NS1_11comp_targetILNS1_3genE0ELNS1_11target_archE4294967295ELNS1_3gpuE0ELNS1_3repE0EEENS1_30default_config_static_selectorELNS0_4arch9wavefront6targetE1EEEvSK_, .Lfunc_end567-_ZN7rocprim17ROCPRIM_400000_NS6detail17trampoline_kernelINS0_14default_configENS1_22reduce_config_selectorImEEZNS1_11reduce_implILb1ES3_N6thrust23THRUST_200600_302600_NS6detail15normal_iteratorINS8_10device_ptrImEEEEPmm11plus_mod_10ImEEE10hipError_tPvRmT1_T2_T3_mT4_P12ihipStream_tbEUlT_E0_NS1_11comp_targetILNS1_3genE0ELNS1_11target_archE4294967295ELNS1_3gpuE0ELNS1_3repE0EEENS1_30default_config_static_selectorELNS0_4arch9wavefront6targetE1EEEvSK_
                                        ; -- End function
	.set _ZN7rocprim17ROCPRIM_400000_NS6detail17trampoline_kernelINS0_14default_configENS1_22reduce_config_selectorImEEZNS1_11reduce_implILb1ES3_N6thrust23THRUST_200600_302600_NS6detail15normal_iteratorINS8_10device_ptrImEEEEPmm11plus_mod_10ImEEE10hipError_tPvRmT1_T2_T3_mT4_P12ihipStream_tbEUlT_E0_NS1_11comp_targetILNS1_3genE0ELNS1_11target_archE4294967295ELNS1_3gpuE0ELNS1_3repE0EEENS1_30default_config_static_selectorELNS0_4arch9wavefront6targetE1EEEvSK_.num_vgpr, 68
	.set _ZN7rocprim17ROCPRIM_400000_NS6detail17trampoline_kernelINS0_14default_configENS1_22reduce_config_selectorImEEZNS1_11reduce_implILb1ES3_N6thrust23THRUST_200600_302600_NS6detail15normal_iteratorINS8_10device_ptrImEEEEPmm11plus_mod_10ImEEE10hipError_tPvRmT1_T2_T3_mT4_P12ihipStream_tbEUlT_E0_NS1_11comp_targetILNS1_3genE0ELNS1_11target_archE4294967295ELNS1_3gpuE0ELNS1_3repE0EEENS1_30default_config_static_selectorELNS0_4arch9wavefront6targetE1EEEvSK_.num_agpr, 0
	.set _ZN7rocprim17ROCPRIM_400000_NS6detail17trampoline_kernelINS0_14default_configENS1_22reduce_config_selectorImEEZNS1_11reduce_implILb1ES3_N6thrust23THRUST_200600_302600_NS6detail15normal_iteratorINS8_10device_ptrImEEEEPmm11plus_mod_10ImEEE10hipError_tPvRmT1_T2_T3_mT4_P12ihipStream_tbEUlT_E0_NS1_11comp_targetILNS1_3genE0ELNS1_11target_archE4294967295ELNS1_3gpuE0ELNS1_3repE0EEENS1_30default_config_static_selectorELNS0_4arch9wavefront6targetE1EEEvSK_.numbered_sgpr, 48
	.set _ZN7rocprim17ROCPRIM_400000_NS6detail17trampoline_kernelINS0_14default_configENS1_22reduce_config_selectorImEEZNS1_11reduce_implILb1ES3_N6thrust23THRUST_200600_302600_NS6detail15normal_iteratorINS8_10device_ptrImEEEEPmm11plus_mod_10ImEEE10hipError_tPvRmT1_T2_T3_mT4_P12ihipStream_tbEUlT_E0_NS1_11comp_targetILNS1_3genE0ELNS1_11target_archE4294967295ELNS1_3gpuE0ELNS1_3repE0EEENS1_30default_config_static_selectorELNS0_4arch9wavefront6targetE1EEEvSK_.num_named_barrier, 0
	.set _ZN7rocprim17ROCPRIM_400000_NS6detail17trampoline_kernelINS0_14default_configENS1_22reduce_config_selectorImEEZNS1_11reduce_implILb1ES3_N6thrust23THRUST_200600_302600_NS6detail15normal_iteratorINS8_10device_ptrImEEEEPmm11plus_mod_10ImEEE10hipError_tPvRmT1_T2_T3_mT4_P12ihipStream_tbEUlT_E0_NS1_11comp_targetILNS1_3genE0ELNS1_11target_archE4294967295ELNS1_3gpuE0ELNS1_3repE0EEENS1_30default_config_static_selectorELNS0_4arch9wavefront6targetE1EEEvSK_.private_seg_size, 0
	.set _ZN7rocprim17ROCPRIM_400000_NS6detail17trampoline_kernelINS0_14default_configENS1_22reduce_config_selectorImEEZNS1_11reduce_implILb1ES3_N6thrust23THRUST_200600_302600_NS6detail15normal_iteratorINS8_10device_ptrImEEEEPmm11plus_mod_10ImEEE10hipError_tPvRmT1_T2_T3_mT4_P12ihipStream_tbEUlT_E0_NS1_11comp_targetILNS1_3genE0ELNS1_11target_archE4294967295ELNS1_3gpuE0ELNS1_3repE0EEENS1_30default_config_static_selectorELNS0_4arch9wavefront6targetE1EEEvSK_.uses_vcc, 1
	.set _ZN7rocprim17ROCPRIM_400000_NS6detail17trampoline_kernelINS0_14default_configENS1_22reduce_config_selectorImEEZNS1_11reduce_implILb1ES3_N6thrust23THRUST_200600_302600_NS6detail15normal_iteratorINS8_10device_ptrImEEEEPmm11plus_mod_10ImEEE10hipError_tPvRmT1_T2_T3_mT4_P12ihipStream_tbEUlT_E0_NS1_11comp_targetILNS1_3genE0ELNS1_11target_archE4294967295ELNS1_3gpuE0ELNS1_3repE0EEENS1_30default_config_static_selectorELNS0_4arch9wavefront6targetE1EEEvSK_.uses_flat_scratch, 0
	.set _ZN7rocprim17ROCPRIM_400000_NS6detail17trampoline_kernelINS0_14default_configENS1_22reduce_config_selectorImEEZNS1_11reduce_implILb1ES3_N6thrust23THRUST_200600_302600_NS6detail15normal_iteratorINS8_10device_ptrImEEEEPmm11plus_mod_10ImEEE10hipError_tPvRmT1_T2_T3_mT4_P12ihipStream_tbEUlT_E0_NS1_11comp_targetILNS1_3genE0ELNS1_11target_archE4294967295ELNS1_3gpuE0ELNS1_3repE0EEENS1_30default_config_static_selectorELNS0_4arch9wavefront6targetE1EEEvSK_.has_dyn_sized_stack, 0
	.set _ZN7rocprim17ROCPRIM_400000_NS6detail17trampoline_kernelINS0_14default_configENS1_22reduce_config_selectorImEEZNS1_11reduce_implILb1ES3_N6thrust23THRUST_200600_302600_NS6detail15normal_iteratorINS8_10device_ptrImEEEEPmm11plus_mod_10ImEEE10hipError_tPvRmT1_T2_T3_mT4_P12ihipStream_tbEUlT_E0_NS1_11comp_targetILNS1_3genE0ELNS1_11target_archE4294967295ELNS1_3gpuE0ELNS1_3repE0EEENS1_30default_config_static_selectorELNS0_4arch9wavefront6targetE1EEEvSK_.has_recursion, 0
	.set _ZN7rocprim17ROCPRIM_400000_NS6detail17trampoline_kernelINS0_14default_configENS1_22reduce_config_selectorImEEZNS1_11reduce_implILb1ES3_N6thrust23THRUST_200600_302600_NS6detail15normal_iteratorINS8_10device_ptrImEEEEPmm11plus_mod_10ImEEE10hipError_tPvRmT1_T2_T3_mT4_P12ihipStream_tbEUlT_E0_NS1_11comp_targetILNS1_3genE0ELNS1_11target_archE4294967295ELNS1_3gpuE0ELNS1_3repE0EEENS1_30default_config_static_selectorELNS0_4arch9wavefront6targetE1EEEvSK_.has_indirect_call, 0
	.section	.AMDGPU.csdata,"",@progbits
; Kernel info:
; codeLenInByte = 12292
; TotalNumSgprs: 54
; NumVgprs: 68
; NumAgprs: 0
; TotalNumVgprs: 68
; ScratchSize: 0
; MemoryBound: 0
; FloatMode: 240
; IeeeMode: 1
; LDSByteSize: 64 bytes/workgroup (compile time only)
; SGPRBlocks: 6
; VGPRBlocks: 8
; NumSGPRsForWavesPerEU: 54
; NumVGPRsForWavesPerEU: 68
; AccumOffset: 68
; Occupancy: 7
; WaveLimiterHint : 1
; COMPUTE_PGM_RSRC2:SCRATCH_EN: 0
; COMPUTE_PGM_RSRC2:USER_SGPR: 2
; COMPUTE_PGM_RSRC2:TRAP_HANDLER: 0
; COMPUTE_PGM_RSRC2:TGID_X_EN: 1
; COMPUTE_PGM_RSRC2:TGID_Y_EN: 0
; COMPUTE_PGM_RSRC2:TGID_Z_EN: 0
; COMPUTE_PGM_RSRC2:TIDIG_COMP_CNT: 0
; COMPUTE_PGM_RSRC3_GFX90A:ACCUM_OFFSET: 16
; COMPUTE_PGM_RSRC3_GFX90A:TG_SPLIT: 0
	.section	.text._ZN7rocprim17ROCPRIM_400000_NS6detail17trampoline_kernelINS0_14default_configENS1_22reduce_config_selectorImEEZNS1_11reduce_implILb1ES3_N6thrust23THRUST_200600_302600_NS6detail15normal_iteratorINS8_10device_ptrImEEEEPmm11plus_mod_10ImEEE10hipError_tPvRmT1_T2_T3_mT4_P12ihipStream_tbEUlT_E0_NS1_11comp_targetILNS1_3genE5ELNS1_11target_archE942ELNS1_3gpuE9ELNS1_3repE0EEENS1_30default_config_static_selectorELNS0_4arch9wavefront6targetE1EEEvSK_,"axG",@progbits,_ZN7rocprim17ROCPRIM_400000_NS6detail17trampoline_kernelINS0_14default_configENS1_22reduce_config_selectorImEEZNS1_11reduce_implILb1ES3_N6thrust23THRUST_200600_302600_NS6detail15normal_iteratorINS8_10device_ptrImEEEEPmm11plus_mod_10ImEEE10hipError_tPvRmT1_T2_T3_mT4_P12ihipStream_tbEUlT_E0_NS1_11comp_targetILNS1_3genE5ELNS1_11target_archE942ELNS1_3gpuE9ELNS1_3repE0EEENS1_30default_config_static_selectorELNS0_4arch9wavefront6targetE1EEEvSK_,comdat
	.protected	_ZN7rocprim17ROCPRIM_400000_NS6detail17trampoline_kernelINS0_14default_configENS1_22reduce_config_selectorImEEZNS1_11reduce_implILb1ES3_N6thrust23THRUST_200600_302600_NS6detail15normal_iteratorINS8_10device_ptrImEEEEPmm11plus_mod_10ImEEE10hipError_tPvRmT1_T2_T3_mT4_P12ihipStream_tbEUlT_E0_NS1_11comp_targetILNS1_3genE5ELNS1_11target_archE942ELNS1_3gpuE9ELNS1_3repE0EEENS1_30default_config_static_selectorELNS0_4arch9wavefront6targetE1EEEvSK_ ; -- Begin function _ZN7rocprim17ROCPRIM_400000_NS6detail17trampoline_kernelINS0_14default_configENS1_22reduce_config_selectorImEEZNS1_11reduce_implILb1ES3_N6thrust23THRUST_200600_302600_NS6detail15normal_iteratorINS8_10device_ptrImEEEEPmm11plus_mod_10ImEEE10hipError_tPvRmT1_T2_T3_mT4_P12ihipStream_tbEUlT_E0_NS1_11comp_targetILNS1_3genE5ELNS1_11target_archE942ELNS1_3gpuE9ELNS1_3repE0EEENS1_30default_config_static_selectorELNS0_4arch9wavefront6targetE1EEEvSK_
	.globl	_ZN7rocprim17ROCPRIM_400000_NS6detail17trampoline_kernelINS0_14default_configENS1_22reduce_config_selectorImEEZNS1_11reduce_implILb1ES3_N6thrust23THRUST_200600_302600_NS6detail15normal_iteratorINS8_10device_ptrImEEEEPmm11plus_mod_10ImEEE10hipError_tPvRmT1_T2_T3_mT4_P12ihipStream_tbEUlT_E0_NS1_11comp_targetILNS1_3genE5ELNS1_11target_archE942ELNS1_3gpuE9ELNS1_3repE0EEENS1_30default_config_static_selectorELNS0_4arch9wavefront6targetE1EEEvSK_
	.p2align	8
	.type	_ZN7rocprim17ROCPRIM_400000_NS6detail17trampoline_kernelINS0_14default_configENS1_22reduce_config_selectorImEEZNS1_11reduce_implILb1ES3_N6thrust23THRUST_200600_302600_NS6detail15normal_iteratorINS8_10device_ptrImEEEEPmm11plus_mod_10ImEEE10hipError_tPvRmT1_T2_T3_mT4_P12ihipStream_tbEUlT_E0_NS1_11comp_targetILNS1_3genE5ELNS1_11target_archE942ELNS1_3gpuE9ELNS1_3repE0EEENS1_30default_config_static_selectorELNS0_4arch9wavefront6targetE1EEEvSK_,@function
_ZN7rocprim17ROCPRIM_400000_NS6detail17trampoline_kernelINS0_14default_configENS1_22reduce_config_selectorImEEZNS1_11reduce_implILb1ES3_N6thrust23THRUST_200600_302600_NS6detail15normal_iteratorINS8_10device_ptrImEEEEPmm11plus_mod_10ImEEE10hipError_tPvRmT1_T2_T3_mT4_P12ihipStream_tbEUlT_E0_NS1_11comp_targetILNS1_3genE5ELNS1_11target_archE942ELNS1_3gpuE9ELNS1_3repE0EEENS1_30default_config_static_selectorELNS0_4arch9wavefront6targetE1EEEvSK_: ; @_ZN7rocprim17ROCPRIM_400000_NS6detail17trampoline_kernelINS0_14default_configENS1_22reduce_config_selectorImEEZNS1_11reduce_implILb1ES3_N6thrust23THRUST_200600_302600_NS6detail15normal_iteratorINS8_10device_ptrImEEEEPmm11plus_mod_10ImEEE10hipError_tPvRmT1_T2_T3_mT4_P12ihipStream_tbEUlT_E0_NS1_11comp_targetILNS1_3genE5ELNS1_11target_archE942ELNS1_3gpuE9ELNS1_3repE0EEENS1_30default_config_static_selectorELNS0_4arch9wavefront6targetE1EEEvSK_
; %bb.0:
	.section	.rodata,"a",@progbits
	.p2align	6, 0x0
	.amdhsa_kernel _ZN7rocprim17ROCPRIM_400000_NS6detail17trampoline_kernelINS0_14default_configENS1_22reduce_config_selectorImEEZNS1_11reduce_implILb1ES3_N6thrust23THRUST_200600_302600_NS6detail15normal_iteratorINS8_10device_ptrImEEEEPmm11plus_mod_10ImEEE10hipError_tPvRmT1_T2_T3_mT4_P12ihipStream_tbEUlT_E0_NS1_11comp_targetILNS1_3genE5ELNS1_11target_archE942ELNS1_3gpuE9ELNS1_3repE0EEENS1_30default_config_static_selectorELNS0_4arch9wavefront6targetE1EEEvSK_
		.amdhsa_group_segment_fixed_size 0
		.amdhsa_private_segment_fixed_size 0
		.amdhsa_kernarg_size 64
		.amdhsa_user_sgpr_count 2
		.amdhsa_user_sgpr_dispatch_ptr 0
		.amdhsa_user_sgpr_queue_ptr 0
		.amdhsa_user_sgpr_kernarg_segment_ptr 1
		.amdhsa_user_sgpr_dispatch_id 0
		.amdhsa_user_sgpr_kernarg_preload_length 0
		.amdhsa_user_sgpr_kernarg_preload_offset 0
		.amdhsa_user_sgpr_private_segment_size 0
		.amdhsa_uses_dynamic_stack 0
		.amdhsa_enable_private_segment 0
		.amdhsa_system_sgpr_workgroup_id_x 1
		.amdhsa_system_sgpr_workgroup_id_y 0
		.amdhsa_system_sgpr_workgroup_id_z 0
		.amdhsa_system_sgpr_workgroup_info 0
		.amdhsa_system_vgpr_workitem_id 0
		.amdhsa_next_free_vgpr 1
		.amdhsa_next_free_sgpr 0
		.amdhsa_accum_offset 4
		.amdhsa_reserve_vcc 0
		.amdhsa_float_round_mode_32 0
		.amdhsa_float_round_mode_16_64 0
		.amdhsa_float_denorm_mode_32 3
		.amdhsa_float_denorm_mode_16_64 3
		.amdhsa_dx10_clamp 1
		.amdhsa_ieee_mode 1
		.amdhsa_fp16_overflow 0
		.amdhsa_tg_split 0
		.amdhsa_exception_fp_ieee_invalid_op 0
		.amdhsa_exception_fp_denorm_src 0
		.amdhsa_exception_fp_ieee_div_zero 0
		.amdhsa_exception_fp_ieee_overflow 0
		.amdhsa_exception_fp_ieee_underflow 0
		.amdhsa_exception_fp_ieee_inexact 0
		.amdhsa_exception_int_div_zero 0
	.end_amdhsa_kernel
	.section	.text._ZN7rocprim17ROCPRIM_400000_NS6detail17trampoline_kernelINS0_14default_configENS1_22reduce_config_selectorImEEZNS1_11reduce_implILb1ES3_N6thrust23THRUST_200600_302600_NS6detail15normal_iteratorINS8_10device_ptrImEEEEPmm11plus_mod_10ImEEE10hipError_tPvRmT1_T2_T3_mT4_P12ihipStream_tbEUlT_E0_NS1_11comp_targetILNS1_3genE5ELNS1_11target_archE942ELNS1_3gpuE9ELNS1_3repE0EEENS1_30default_config_static_selectorELNS0_4arch9wavefront6targetE1EEEvSK_,"axG",@progbits,_ZN7rocprim17ROCPRIM_400000_NS6detail17trampoline_kernelINS0_14default_configENS1_22reduce_config_selectorImEEZNS1_11reduce_implILb1ES3_N6thrust23THRUST_200600_302600_NS6detail15normal_iteratorINS8_10device_ptrImEEEEPmm11plus_mod_10ImEEE10hipError_tPvRmT1_T2_T3_mT4_P12ihipStream_tbEUlT_E0_NS1_11comp_targetILNS1_3genE5ELNS1_11target_archE942ELNS1_3gpuE9ELNS1_3repE0EEENS1_30default_config_static_selectorELNS0_4arch9wavefront6targetE1EEEvSK_,comdat
.Lfunc_end568:
	.size	_ZN7rocprim17ROCPRIM_400000_NS6detail17trampoline_kernelINS0_14default_configENS1_22reduce_config_selectorImEEZNS1_11reduce_implILb1ES3_N6thrust23THRUST_200600_302600_NS6detail15normal_iteratorINS8_10device_ptrImEEEEPmm11plus_mod_10ImEEE10hipError_tPvRmT1_T2_T3_mT4_P12ihipStream_tbEUlT_E0_NS1_11comp_targetILNS1_3genE5ELNS1_11target_archE942ELNS1_3gpuE9ELNS1_3repE0EEENS1_30default_config_static_selectorELNS0_4arch9wavefront6targetE1EEEvSK_, .Lfunc_end568-_ZN7rocprim17ROCPRIM_400000_NS6detail17trampoline_kernelINS0_14default_configENS1_22reduce_config_selectorImEEZNS1_11reduce_implILb1ES3_N6thrust23THRUST_200600_302600_NS6detail15normal_iteratorINS8_10device_ptrImEEEEPmm11plus_mod_10ImEEE10hipError_tPvRmT1_T2_T3_mT4_P12ihipStream_tbEUlT_E0_NS1_11comp_targetILNS1_3genE5ELNS1_11target_archE942ELNS1_3gpuE9ELNS1_3repE0EEENS1_30default_config_static_selectorELNS0_4arch9wavefront6targetE1EEEvSK_
                                        ; -- End function
	.set _ZN7rocprim17ROCPRIM_400000_NS6detail17trampoline_kernelINS0_14default_configENS1_22reduce_config_selectorImEEZNS1_11reduce_implILb1ES3_N6thrust23THRUST_200600_302600_NS6detail15normal_iteratorINS8_10device_ptrImEEEEPmm11plus_mod_10ImEEE10hipError_tPvRmT1_T2_T3_mT4_P12ihipStream_tbEUlT_E0_NS1_11comp_targetILNS1_3genE5ELNS1_11target_archE942ELNS1_3gpuE9ELNS1_3repE0EEENS1_30default_config_static_selectorELNS0_4arch9wavefront6targetE1EEEvSK_.num_vgpr, 0
	.set _ZN7rocprim17ROCPRIM_400000_NS6detail17trampoline_kernelINS0_14default_configENS1_22reduce_config_selectorImEEZNS1_11reduce_implILb1ES3_N6thrust23THRUST_200600_302600_NS6detail15normal_iteratorINS8_10device_ptrImEEEEPmm11plus_mod_10ImEEE10hipError_tPvRmT1_T2_T3_mT4_P12ihipStream_tbEUlT_E0_NS1_11comp_targetILNS1_3genE5ELNS1_11target_archE942ELNS1_3gpuE9ELNS1_3repE0EEENS1_30default_config_static_selectorELNS0_4arch9wavefront6targetE1EEEvSK_.num_agpr, 0
	.set _ZN7rocprim17ROCPRIM_400000_NS6detail17trampoline_kernelINS0_14default_configENS1_22reduce_config_selectorImEEZNS1_11reduce_implILb1ES3_N6thrust23THRUST_200600_302600_NS6detail15normal_iteratorINS8_10device_ptrImEEEEPmm11plus_mod_10ImEEE10hipError_tPvRmT1_T2_T3_mT4_P12ihipStream_tbEUlT_E0_NS1_11comp_targetILNS1_3genE5ELNS1_11target_archE942ELNS1_3gpuE9ELNS1_3repE0EEENS1_30default_config_static_selectorELNS0_4arch9wavefront6targetE1EEEvSK_.numbered_sgpr, 0
	.set _ZN7rocprim17ROCPRIM_400000_NS6detail17trampoline_kernelINS0_14default_configENS1_22reduce_config_selectorImEEZNS1_11reduce_implILb1ES3_N6thrust23THRUST_200600_302600_NS6detail15normal_iteratorINS8_10device_ptrImEEEEPmm11plus_mod_10ImEEE10hipError_tPvRmT1_T2_T3_mT4_P12ihipStream_tbEUlT_E0_NS1_11comp_targetILNS1_3genE5ELNS1_11target_archE942ELNS1_3gpuE9ELNS1_3repE0EEENS1_30default_config_static_selectorELNS0_4arch9wavefront6targetE1EEEvSK_.num_named_barrier, 0
	.set _ZN7rocprim17ROCPRIM_400000_NS6detail17trampoline_kernelINS0_14default_configENS1_22reduce_config_selectorImEEZNS1_11reduce_implILb1ES3_N6thrust23THRUST_200600_302600_NS6detail15normal_iteratorINS8_10device_ptrImEEEEPmm11plus_mod_10ImEEE10hipError_tPvRmT1_T2_T3_mT4_P12ihipStream_tbEUlT_E0_NS1_11comp_targetILNS1_3genE5ELNS1_11target_archE942ELNS1_3gpuE9ELNS1_3repE0EEENS1_30default_config_static_selectorELNS0_4arch9wavefront6targetE1EEEvSK_.private_seg_size, 0
	.set _ZN7rocprim17ROCPRIM_400000_NS6detail17trampoline_kernelINS0_14default_configENS1_22reduce_config_selectorImEEZNS1_11reduce_implILb1ES3_N6thrust23THRUST_200600_302600_NS6detail15normal_iteratorINS8_10device_ptrImEEEEPmm11plus_mod_10ImEEE10hipError_tPvRmT1_T2_T3_mT4_P12ihipStream_tbEUlT_E0_NS1_11comp_targetILNS1_3genE5ELNS1_11target_archE942ELNS1_3gpuE9ELNS1_3repE0EEENS1_30default_config_static_selectorELNS0_4arch9wavefront6targetE1EEEvSK_.uses_vcc, 0
	.set _ZN7rocprim17ROCPRIM_400000_NS6detail17trampoline_kernelINS0_14default_configENS1_22reduce_config_selectorImEEZNS1_11reduce_implILb1ES3_N6thrust23THRUST_200600_302600_NS6detail15normal_iteratorINS8_10device_ptrImEEEEPmm11plus_mod_10ImEEE10hipError_tPvRmT1_T2_T3_mT4_P12ihipStream_tbEUlT_E0_NS1_11comp_targetILNS1_3genE5ELNS1_11target_archE942ELNS1_3gpuE9ELNS1_3repE0EEENS1_30default_config_static_selectorELNS0_4arch9wavefront6targetE1EEEvSK_.uses_flat_scratch, 0
	.set _ZN7rocprim17ROCPRIM_400000_NS6detail17trampoline_kernelINS0_14default_configENS1_22reduce_config_selectorImEEZNS1_11reduce_implILb1ES3_N6thrust23THRUST_200600_302600_NS6detail15normal_iteratorINS8_10device_ptrImEEEEPmm11plus_mod_10ImEEE10hipError_tPvRmT1_T2_T3_mT4_P12ihipStream_tbEUlT_E0_NS1_11comp_targetILNS1_3genE5ELNS1_11target_archE942ELNS1_3gpuE9ELNS1_3repE0EEENS1_30default_config_static_selectorELNS0_4arch9wavefront6targetE1EEEvSK_.has_dyn_sized_stack, 0
	.set _ZN7rocprim17ROCPRIM_400000_NS6detail17trampoline_kernelINS0_14default_configENS1_22reduce_config_selectorImEEZNS1_11reduce_implILb1ES3_N6thrust23THRUST_200600_302600_NS6detail15normal_iteratorINS8_10device_ptrImEEEEPmm11plus_mod_10ImEEE10hipError_tPvRmT1_T2_T3_mT4_P12ihipStream_tbEUlT_E0_NS1_11comp_targetILNS1_3genE5ELNS1_11target_archE942ELNS1_3gpuE9ELNS1_3repE0EEENS1_30default_config_static_selectorELNS0_4arch9wavefront6targetE1EEEvSK_.has_recursion, 0
	.set _ZN7rocprim17ROCPRIM_400000_NS6detail17trampoline_kernelINS0_14default_configENS1_22reduce_config_selectorImEEZNS1_11reduce_implILb1ES3_N6thrust23THRUST_200600_302600_NS6detail15normal_iteratorINS8_10device_ptrImEEEEPmm11plus_mod_10ImEEE10hipError_tPvRmT1_T2_T3_mT4_P12ihipStream_tbEUlT_E0_NS1_11comp_targetILNS1_3genE5ELNS1_11target_archE942ELNS1_3gpuE9ELNS1_3repE0EEENS1_30default_config_static_selectorELNS0_4arch9wavefront6targetE1EEEvSK_.has_indirect_call, 0
	.section	.AMDGPU.csdata,"",@progbits
; Kernel info:
; codeLenInByte = 0
; TotalNumSgprs: 6
; NumVgprs: 0
; NumAgprs: 0
; TotalNumVgprs: 0
; ScratchSize: 0
; MemoryBound: 0
; FloatMode: 240
; IeeeMode: 1
; LDSByteSize: 0 bytes/workgroup (compile time only)
; SGPRBlocks: 0
; VGPRBlocks: 0
; NumSGPRsForWavesPerEU: 6
; NumVGPRsForWavesPerEU: 1
; AccumOffset: 4
; Occupancy: 8
; WaveLimiterHint : 0
; COMPUTE_PGM_RSRC2:SCRATCH_EN: 0
; COMPUTE_PGM_RSRC2:USER_SGPR: 2
; COMPUTE_PGM_RSRC2:TRAP_HANDLER: 0
; COMPUTE_PGM_RSRC2:TGID_X_EN: 1
; COMPUTE_PGM_RSRC2:TGID_Y_EN: 0
; COMPUTE_PGM_RSRC2:TGID_Z_EN: 0
; COMPUTE_PGM_RSRC2:TIDIG_COMP_CNT: 0
; COMPUTE_PGM_RSRC3_GFX90A:ACCUM_OFFSET: 0
; COMPUTE_PGM_RSRC3_GFX90A:TG_SPLIT: 0
	.section	.text._ZN7rocprim17ROCPRIM_400000_NS6detail17trampoline_kernelINS0_14default_configENS1_22reduce_config_selectorImEEZNS1_11reduce_implILb1ES3_N6thrust23THRUST_200600_302600_NS6detail15normal_iteratorINS8_10device_ptrImEEEEPmm11plus_mod_10ImEEE10hipError_tPvRmT1_T2_T3_mT4_P12ihipStream_tbEUlT_E0_NS1_11comp_targetILNS1_3genE4ELNS1_11target_archE910ELNS1_3gpuE8ELNS1_3repE0EEENS1_30default_config_static_selectorELNS0_4arch9wavefront6targetE1EEEvSK_,"axG",@progbits,_ZN7rocprim17ROCPRIM_400000_NS6detail17trampoline_kernelINS0_14default_configENS1_22reduce_config_selectorImEEZNS1_11reduce_implILb1ES3_N6thrust23THRUST_200600_302600_NS6detail15normal_iteratorINS8_10device_ptrImEEEEPmm11plus_mod_10ImEEE10hipError_tPvRmT1_T2_T3_mT4_P12ihipStream_tbEUlT_E0_NS1_11comp_targetILNS1_3genE4ELNS1_11target_archE910ELNS1_3gpuE8ELNS1_3repE0EEENS1_30default_config_static_selectorELNS0_4arch9wavefront6targetE1EEEvSK_,comdat
	.protected	_ZN7rocprim17ROCPRIM_400000_NS6detail17trampoline_kernelINS0_14default_configENS1_22reduce_config_selectorImEEZNS1_11reduce_implILb1ES3_N6thrust23THRUST_200600_302600_NS6detail15normal_iteratorINS8_10device_ptrImEEEEPmm11plus_mod_10ImEEE10hipError_tPvRmT1_T2_T3_mT4_P12ihipStream_tbEUlT_E0_NS1_11comp_targetILNS1_3genE4ELNS1_11target_archE910ELNS1_3gpuE8ELNS1_3repE0EEENS1_30default_config_static_selectorELNS0_4arch9wavefront6targetE1EEEvSK_ ; -- Begin function _ZN7rocprim17ROCPRIM_400000_NS6detail17trampoline_kernelINS0_14default_configENS1_22reduce_config_selectorImEEZNS1_11reduce_implILb1ES3_N6thrust23THRUST_200600_302600_NS6detail15normal_iteratorINS8_10device_ptrImEEEEPmm11plus_mod_10ImEEE10hipError_tPvRmT1_T2_T3_mT4_P12ihipStream_tbEUlT_E0_NS1_11comp_targetILNS1_3genE4ELNS1_11target_archE910ELNS1_3gpuE8ELNS1_3repE0EEENS1_30default_config_static_selectorELNS0_4arch9wavefront6targetE1EEEvSK_
	.globl	_ZN7rocprim17ROCPRIM_400000_NS6detail17trampoline_kernelINS0_14default_configENS1_22reduce_config_selectorImEEZNS1_11reduce_implILb1ES3_N6thrust23THRUST_200600_302600_NS6detail15normal_iteratorINS8_10device_ptrImEEEEPmm11plus_mod_10ImEEE10hipError_tPvRmT1_T2_T3_mT4_P12ihipStream_tbEUlT_E0_NS1_11comp_targetILNS1_3genE4ELNS1_11target_archE910ELNS1_3gpuE8ELNS1_3repE0EEENS1_30default_config_static_selectorELNS0_4arch9wavefront6targetE1EEEvSK_
	.p2align	8
	.type	_ZN7rocprim17ROCPRIM_400000_NS6detail17trampoline_kernelINS0_14default_configENS1_22reduce_config_selectorImEEZNS1_11reduce_implILb1ES3_N6thrust23THRUST_200600_302600_NS6detail15normal_iteratorINS8_10device_ptrImEEEEPmm11plus_mod_10ImEEE10hipError_tPvRmT1_T2_T3_mT4_P12ihipStream_tbEUlT_E0_NS1_11comp_targetILNS1_3genE4ELNS1_11target_archE910ELNS1_3gpuE8ELNS1_3repE0EEENS1_30default_config_static_selectorELNS0_4arch9wavefront6targetE1EEEvSK_,@function
_ZN7rocprim17ROCPRIM_400000_NS6detail17trampoline_kernelINS0_14default_configENS1_22reduce_config_selectorImEEZNS1_11reduce_implILb1ES3_N6thrust23THRUST_200600_302600_NS6detail15normal_iteratorINS8_10device_ptrImEEEEPmm11plus_mod_10ImEEE10hipError_tPvRmT1_T2_T3_mT4_P12ihipStream_tbEUlT_E0_NS1_11comp_targetILNS1_3genE4ELNS1_11target_archE910ELNS1_3gpuE8ELNS1_3repE0EEENS1_30default_config_static_selectorELNS0_4arch9wavefront6targetE1EEEvSK_: ; @_ZN7rocprim17ROCPRIM_400000_NS6detail17trampoline_kernelINS0_14default_configENS1_22reduce_config_selectorImEEZNS1_11reduce_implILb1ES3_N6thrust23THRUST_200600_302600_NS6detail15normal_iteratorINS8_10device_ptrImEEEEPmm11plus_mod_10ImEEE10hipError_tPvRmT1_T2_T3_mT4_P12ihipStream_tbEUlT_E0_NS1_11comp_targetILNS1_3genE4ELNS1_11target_archE910ELNS1_3gpuE8ELNS1_3repE0EEENS1_30default_config_static_selectorELNS0_4arch9wavefront6targetE1EEEvSK_
; %bb.0:
	.section	.rodata,"a",@progbits
	.p2align	6, 0x0
	.amdhsa_kernel _ZN7rocprim17ROCPRIM_400000_NS6detail17trampoline_kernelINS0_14default_configENS1_22reduce_config_selectorImEEZNS1_11reduce_implILb1ES3_N6thrust23THRUST_200600_302600_NS6detail15normal_iteratorINS8_10device_ptrImEEEEPmm11plus_mod_10ImEEE10hipError_tPvRmT1_T2_T3_mT4_P12ihipStream_tbEUlT_E0_NS1_11comp_targetILNS1_3genE4ELNS1_11target_archE910ELNS1_3gpuE8ELNS1_3repE0EEENS1_30default_config_static_selectorELNS0_4arch9wavefront6targetE1EEEvSK_
		.amdhsa_group_segment_fixed_size 0
		.amdhsa_private_segment_fixed_size 0
		.amdhsa_kernarg_size 64
		.amdhsa_user_sgpr_count 2
		.amdhsa_user_sgpr_dispatch_ptr 0
		.amdhsa_user_sgpr_queue_ptr 0
		.amdhsa_user_sgpr_kernarg_segment_ptr 1
		.amdhsa_user_sgpr_dispatch_id 0
		.amdhsa_user_sgpr_kernarg_preload_length 0
		.amdhsa_user_sgpr_kernarg_preload_offset 0
		.amdhsa_user_sgpr_private_segment_size 0
		.amdhsa_uses_dynamic_stack 0
		.amdhsa_enable_private_segment 0
		.amdhsa_system_sgpr_workgroup_id_x 1
		.amdhsa_system_sgpr_workgroup_id_y 0
		.amdhsa_system_sgpr_workgroup_id_z 0
		.amdhsa_system_sgpr_workgroup_info 0
		.amdhsa_system_vgpr_workitem_id 0
		.amdhsa_next_free_vgpr 1
		.amdhsa_next_free_sgpr 0
		.amdhsa_accum_offset 4
		.amdhsa_reserve_vcc 0
		.amdhsa_float_round_mode_32 0
		.amdhsa_float_round_mode_16_64 0
		.amdhsa_float_denorm_mode_32 3
		.amdhsa_float_denorm_mode_16_64 3
		.amdhsa_dx10_clamp 1
		.amdhsa_ieee_mode 1
		.amdhsa_fp16_overflow 0
		.amdhsa_tg_split 0
		.amdhsa_exception_fp_ieee_invalid_op 0
		.amdhsa_exception_fp_denorm_src 0
		.amdhsa_exception_fp_ieee_div_zero 0
		.amdhsa_exception_fp_ieee_overflow 0
		.amdhsa_exception_fp_ieee_underflow 0
		.amdhsa_exception_fp_ieee_inexact 0
		.amdhsa_exception_int_div_zero 0
	.end_amdhsa_kernel
	.section	.text._ZN7rocprim17ROCPRIM_400000_NS6detail17trampoline_kernelINS0_14default_configENS1_22reduce_config_selectorImEEZNS1_11reduce_implILb1ES3_N6thrust23THRUST_200600_302600_NS6detail15normal_iteratorINS8_10device_ptrImEEEEPmm11plus_mod_10ImEEE10hipError_tPvRmT1_T2_T3_mT4_P12ihipStream_tbEUlT_E0_NS1_11comp_targetILNS1_3genE4ELNS1_11target_archE910ELNS1_3gpuE8ELNS1_3repE0EEENS1_30default_config_static_selectorELNS0_4arch9wavefront6targetE1EEEvSK_,"axG",@progbits,_ZN7rocprim17ROCPRIM_400000_NS6detail17trampoline_kernelINS0_14default_configENS1_22reduce_config_selectorImEEZNS1_11reduce_implILb1ES3_N6thrust23THRUST_200600_302600_NS6detail15normal_iteratorINS8_10device_ptrImEEEEPmm11plus_mod_10ImEEE10hipError_tPvRmT1_T2_T3_mT4_P12ihipStream_tbEUlT_E0_NS1_11comp_targetILNS1_3genE4ELNS1_11target_archE910ELNS1_3gpuE8ELNS1_3repE0EEENS1_30default_config_static_selectorELNS0_4arch9wavefront6targetE1EEEvSK_,comdat
.Lfunc_end569:
	.size	_ZN7rocprim17ROCPRIM_400000_NS6detail17trampoline_kernelINS0_14default_configENS1_22reduce_config_selectorImEEZNS1_11reduce_implILb1ES3_N6thrust23THRUST_200600_302600_NS6detail15normal_iteratorINS8_10device_ptrImEEEEPmm11plus_mod_10ImEEE10hipError_tPvRmT1_T2_T3_mT4_P12ihipStream_tbEUlT_E0_NS1_11comp_targetILNS1_3genE4ELNS1_11target_archE910ELNS1_3gpuE8ELNS1_3repE0EEENS1_30default_config_static_selectorELNS0_4arch9wavefront6targetE1EEEvSK_, .Lfunc_end569-_ZN7rocprim17ROCPRIM_400000_NS6detail17trampoline_kernelINS0_14default_configENS1_22reduce_config_selectorImEEZNS1_11reduce_implILb1ES3_N6thrust23THRUST_200600_302600_NS6detail15normal_iteratorINS8_10device_ptrImEEEEPmm11plus_mod_10ImEEE10hipError_tPvRmT1_T2_T3_mT4_P12ihipStream_tbEUlT_E0_NS1_11comp_targetILNS1_3genE4ELNS1_11target_archE910ELNS1_3gpuE8ELNS1_3repE0EEENS1_30default_config_static_selectorELNS0_4arch9wavefront6targetE1EEEvSK_
                                        ; -- End function
	.set _ZN7rocprim17ROCPRIM_400000_NS6detail17trampoline_kernelINS0_14default_configENS1_22reduce_config_selectorImEEZNS1_11reduce_implILb1ES3_N6thrust23THRUST_200600_302600_NS6detail15normal_iteratorINS8_10device_ptrImEEEEPmm11plus_mod_10ImEEE10hipError_tPvRmT1_T2_T3_mT4_P12ihipStream_tbEUlT_E0_NS1_11comp_targetILNS1_3genE4ELNS1_11target_archE910ELNS1_3gpuE8ELNS1_3repE0EEENS1_30default_config_static_selectorELNS0_4arch9wavefront6targetE1EEEvSK_.num_vgpr, 0
	.set _ZN7rocprim17ROCPRIM_400000_NS6detail17trampoline_kernelINS0_14default_configENS1_22reduce_config_selectorImEEZNS1_11reduce_implILb1ES3_N6thrust23THRUST_200600_302600_NS6detail15normal_iteratorINS8_10device_ptrImEEEEPmm11plus_mod_10ImEEE10hipError_tPvRmT1_T2_T3_mT4_P12ihipStream_tbEUlT_E0_NS1_11comp_targetILNS1_3genE4ELNS1_11target_archE910ELNS1_3gpuE8ELNS1_3repE0EEENS1_30default_config_static_selectorELNS0_4arch9wavefront6targetE1EEEvSK_.num_agpr, 0
	.set _ZN7rocprim17ROCPRIM_400000_NS6detail17trampoline_kernelINS0_14default_configENS1_22reduce_config_selectorImEEZNS1_11reduce_implILb1ES3_N6thrust23THRUST_200600_302600_NS6detail15normal_iteratorINS8_10device_ptrImEEEEPmm11plus_mod_10ImEEE10hipError_tPvRmT1_T2_T3_mT4_P12ihipStream_tbEUlT_E0_NS1_11comp_targetILNS1_3genE4ELNS1_11target_archE910ELNS1_3gpuE8ELNS1_3repE0EEENS1_30default_config_static_selectorELNS0_4arch9wavefront6targetE1EEEvSK_.numbered_sgpr, 0
	.set _ZN7rocprim17ROCPRIM_400000_NS6detail17trampoline_kernelINS0_14default_configENS1_22reduce_config_selectorImEEZNS1_11reduce_implILb1ES3_N6thrust23THRUST_200600_302600_NS6detail15normal_iteratorINS8_10device_ptrImEEEEPmm11plus_mod_10ImEEE10hipError_tPvRmT1_T2_T3_mT4_P12ihipStream_tbEUlT_E0_NS1_11comp_targetILNS1_3genE4ELNS1_11target_archE910ELNS1_3gpuE8ELNS1_3repE0EEENS1_30default_config_static_selectorELNS0_4arch9wavefront6targetE1EEEvSK_.num_named_barrier, 0
	.set _ZN7rocprim17ROCPRIM_400000_NS6detail17trampoline_kernelINS0_14default_configENS1_22reduce_config_selectorImEEZNS1_11reduce_implILb1ES3_N6thrust23THRUST_200600_302600_NS6detail15normal_iteratorINS8_10device_ptrImEEEEPmm11plus_mod_10ImEEE10hipError_tPvRmT1_T2_T3_mT4_P12ihipStream_tbEUlT_E0_NS1_11comp_targetILNS1_3genE4ELNS1_11target_archE910ELNS1_3gpuE8ELNS1_3repE0EEENS1_30default_config_static_selectorELNS0_4arch9wavefront6targetE1EEEvSK_.private_seg_size, 0
	.set _ZN7rocprim17ROCPRIM_400000_NS6detail17trampoline_kernelINS0_14default_configENS1_22reduce_config_selectorImEEZNS1_11reduce_implILb1ES3_N6thrust23THRUST_200600_302600_NS6detail15normal_iteratorINS8_10device_ptrImEEEEPmm11plus_mod_10ImEEE10hipError_tPvRmT1_T2_T3_mT4_P12ihipStream_tbEUlT_E0_NS1_11comp_targetILNS1_3genE4ELNS1_11target_archE910ELNS1_3gpuE8ELNS1_3repE0EEENS1_30default_config_static_selectorELNS0_4arch9wavefront6targetE1EEEvSK_.uses_vcc, 0
	.set _ZN7rocprim17ROCPRIM_400000_NS6detail17trampoline_kernelINS0_14default_configENS1_22reduce_config_selectorImEEZNS1_11reduce_implILb1ES3_N6thrust23THRUST_200600_302600_NS6detail15normal_iteratorINS8_10device_ptrImEEEEPmm11plus_mod_10ImEEE10hipError_tPvRmT1_T2_T3_mT4_P12ihipStream_tbEUlT_E0_NS1_11comp_targetILNS1_3genE4ELNS1_11target_archE910ELNS1_3gpuE8ELNS1_3repE0EEENS1_30default_config_static_selectorELNS0_4arch9wavefront6targetE1EEEvSK_.uses_flat_scratch, 0
	.set _ZN7rocprim17ROCPRIM_400000_NS6detail17trampoline_kernelINS0_14default_configENS1_22reduce_config_selectorImEEZNS1_11reduce_implILb1ES3_N6thrust23THRUST_200600_302600_NS6detail15normal_iteratorINS8_10device_ptrImEEEEPmm11plus_mod_10ImEEE10hipError_tPvRmT1_T2_T3_mT4_P12ihipStream_tbEUlT_E0_NS1_11comp_targetILNS1_3genE4ELNS1_11target_archE910ELNS1_3gpuE8ELNS1_3repE0EEENS1_30default_config_static_selectorELNS0_4arch9wavefront6targetE1EEEvSK_.has_dyn_sized_stack, 0
	.set _ZN7rocprim17ROCPRIM_400000_NS6detail17trampoline_kernelINS0_14default_configENS1_22reduce_config_selectorImEEZNS1_11reduce_implILb1ES3_N6thrust23THRUST_200600_302600_NS6detail15normal_iteratorINS8_10device_ptrImEEEEPmm11plus_mod_10ImEEE10hipError_tPvRmT1_T2_T3_mT4_P12ihipStream_tbEUlT_E0_NS1_11comp_targetILNS1_3genE4ELNS1_11target_archE910ELNS1_3gpuE8ELNS1_3repE0EEENS1_30default_config_static_selectorELNS0_4arch9wavefront6targetE1EEEvSK_.has_recursion, 0
	.set _ZN7rocprim17ROCPRIM_400000_NS6detail17trampoline_kernelINS0_14default_configENS1_22reduce_config_selectorImEEZNS1_11reduce_implILb1ES3_N6thrust23THRUST_200600_302600_NS6detail15normal_iteratorINS8_10device_ptrImEEEEPmm11plus_mod_10ImEEE10hipError_tPvRmT1_T2_T3_mT4_P12ihipStream_tbEUlT_E0_NS1_11comp_targetILNS1_3genE4ELNS1_11target_archE910ELNS1_3gpuE8ELNS1_3repE0EEENS1_30default_config_static_selectorELNS0_4arch9wavefront6targetE1EEEvSK_.has_indirect_call, 0
	.section	.AMDGPU.csdata,"",@progbits
; Kernel info:
; codeLenInByte = 0
; TotalNumSgprs: 6
; NumVgprs: 0
; NumAgprs: 0
; TotalNumVgprs: 0
; ScratchSize: 0
; MemoryBound: 0
; FloatMode: 240
; IeeeMode: 1
; LDSByteSize: 0 bytes/workgroup (compile time only)
; SGPRBlocks: 0
; VGPRBlocks: 0
; NumSGPRsForWavesPerEU: 6
; NumVGPRsForWavesPerEU: 1
; AccumOffset: 4
; Occupancy: 8
; WaveLimiterHint : 0
; COMPUTE_PGM_RSRC2:SCRATCH_EN: 0
; COMPUTE_PGM_RSRC2:USER_SGPR: 2
; COMPUTE_PGM_RSRC2:TRAP_HANDLER: 0
; COMPUTE_PGM_RSRC2:TGID_X_EN: 1
; COMPUTE_PGM_RSRC2:TGID_Y_EN: 0
; COMPUTE_PGM_RSRC2:TGID_Z_EN: 0
; COMPUTE_PGM_RSRC2:TIDIG_COMP_CNT: 0
; COMPUTE_PGM_RSRC3_GFX90A:ACCUM_OFFSET: 0
; COMPUTE_PGM_RSRC3_GFX90A:TG_SPLIT: 0
	.section	.text._ZN7rocprim17ROCPRIM_400000_NS6detail17trampoline_kernelINS0_14default_configENS1_22reduce_config_selectorImEEZNS1_11reduce_implILb1ES3_N6thrust23THRUST_200600_302600_NS6detail15normal_iteratorINS8_10device_ptrImEEEEPmm11plus_mod_10ImEEE10hipError_tPvRmT1_T2_T3_mT4_P12ihipStream_tbEUlT_E0_NS1_11comp_targetILNS1_3genE3ELNS1_11target_archE908ELNS1_3gpuE7ELNS1_3repE0EEENS1_30default_config_static_selectorELNS0_4arch9wavefront6targetE1EEEvSK_,"axG",@progbits,_ZN7rocprim17ROCPRIM_400000_NS6detail17trampoline_kernelINS0_14default_configENS1_22reduce_config_selectorImEEZNS1_11reduce_implILb1ES3_N6thrust23THRUST_200600_302600_NS6detail15normal_iteratorINS8_10device_ptrImEEEEPmm11plus_mod_10ImEEE10hipError_tPvRmT1_T2_T3_mT4_P12ihipStream_tbEUlT_E0_NS1_11comp_targetILNS1_3genE3ELNS1_11target_archE908ELNS1_3gpuE7ELNS1_3repE0EEENS1_30default_config_static_selectorELNS0_4arch9wavefront6targetE1EEEvSK_,comdat
	.protected	_ZN7rocprim17ROCPRIM_400000_NS6detail17trampoline_kernelINS0_14default_configENS1_22reduce_config_selectorImEEZNS1_11reduce_implILb1ES3_N6thrust23THRUST_200600_302600_NS6detail15normal_iteratorINS8_10device_ptrImEEEEPmm11plus_mod_10ImEEE10hipError_tPvRmT1_T2_T3_mT4_P12ihipStream_tbEUlT_E0_NS1_11comp_targetILNS1_3genE3ELNS1_11target_archE908ELNS1_3gpuE7ELNS1_3repE0EEENS1_30default_config_static_selectorELNS0_4arch9wavefront6targetE1EEEvSK_ ; -- Begin function _ZN7rocprim17ROCPRIM_400000_NS6detail17trampoline_kernelINS0_14default_configENS1_22reduce_config_selectorImEEZNS1_11reduce_implILb1ES3_N6thrust23THRUST_200600_302600_NS6detail15normal_iteratorINS8_10device_ptrImEEEEPmm11plus_mod_10ImEEE10hipError_tPvRmT1_T2_T3_mT4_P12ihipStream_tbEUlT_E0_NS1_11comp_targetILNS1_3genE3ELNS1_11target_archE908ELNS1_3gpuE7ELNS1_3repE0EEENS1_30default_config_static_selectorELNS0_4arch9wavefront6targetE1EEEvSK_
	.globl	_ZN7rocprim17ROCPRIM_400000_NS6detail17trampoline_kernelINS0_14default_configENS1_22reduce_config_selectorImEEZNS1_11reduce_implILb1ES3_N6thrust23THRUST_200600_302600_NS6detail15normal_iteratorINS8_10device_ptrImEEEEPmm11plus_mod_10ImEEE10hipError_tPvRmT1_T2_T3_mT4_P12ihipStream_tbEUlT_E0_NS1_11comp_targetILNS1_3genE3ELNS1_11target_archE908ELNS1_3gpuE7ELNS1_3repE0EEENS1_30default_config_static_selectorELNS0_4arch9wavefront6targetE1EEEvSK_
	.p2align	8
	.type	_ZN7rocprim17ROCPRIM_400000_NS6detail17trampoline_kernelINS0_14default_configENS1_22reduce_config_selectorImEEZNS1_11reduce_implILb1ES3_N6thrust23THRUST_200600_302600_NS6detail15normal_iteratorINS8_10device_ptrImEEEEPmm11plus_mod_10ImEEE10hipError_tPvRmT1_T2_T3_mT4_P12ihipStream_tbEUlT_E0_NS1_11comp_targetILNS1_3genE3ELNS1_11target_archE908ELNS1_3gpuE7ELNS1_3repE0EEENS1_30default_config_static_selectorELNS0_4arch9wavefront6targetE1EEEvSK_,@function
_ZN7rocprim17ROCPRIM_400000_NS6detail17trampoline_kernelINS0_14default_configENS1_22reduce_config_selectorImEEZNS1_11reduce_implILb1ES3_N6thrust23THRUST_200600_302600_NS6detail15normal_iteratorINS8_10device_ptrImEEEEPmm11plus_mod_10ImEEE10hipError_tPvRmT1_T2_T3_mT4_P12ihipStream_tbEUlT_E0_NS1_11comp_targetILNS1_3genE3ELNS1_11target_archE908ELNS1_3gpuE7ELNS1_3repE0EEENS1_30default_config_static_selectorELNS0_4arch9wavefront6targetE1EEEvSK_: ; @_ZN7rocprim17ROCPRIM_400000_NS6detail17trampoline_kernelINS0_14default_configENS1_22reduce_config_selectorImEEZNS1_11reduce_implILb1ES3_N6thrust23THRUST_200600_302600_NS6detail15normal_iteratorINS8_10device_ptrImEEEEPmm11plus_mod_10ImEEE10hipError_tPvRmT1_T2_T3_mT4_P12ihipStream_tbEUlT_E0_NS1_11comp_targetILNS1_3genE3ELNS1_11target_archE908ELNS1_3gpuE7ELNS1_3repE0EEENS1_30default_config_static_selectorELNS0_4arch9wavefront6targetE1EEEvSK_
; %bb.0:
	.section	.rodata,"a",@progbits
	.p2align	6, 0x0
	.amdhsa_kernel _ZN7rocprim17ROCPRIM_400000_NS6detail17trampoline_kernelINS0_14default_configENS1_22reduce_config_selectorImEEZNS1_11reduce_implILb1ES3_N6thrust23THRUST_200600_302600_NS6detail15normal_iteratorINS8_10device_ptrImEEEEPmm11plus_mod_10ImEEE10hipError_tPvRmT1_T2_T3_mT4_P12ihipStream_tbEUlT_E0_NS1_11comp_targetILNS1_3genE3ELNS1_11target_archE908ELNS1_3gpuE7ELNS1_3repE0EEENS1_30default_config_static_selectorELNS0_4arch9wavefront6targetE1EEEvSK_
		.amdhsa_group_segment_fixed_size 0
		.amdhsa_private_segment_fixed_size 0
		.amdhsa_kernarg_size 64
		.amdhsa_user_sgpr_count 2
		.amdhsa_user_sgpr_dispatch_ptr 0
		.amdhsa_user_sgpr_queue_ptr 0
		.amdhsa_user_sgpr_kernarg_segment_ptr 1
		.amdhsa_user_sgpr_dispatch_id 0
		.amdhsa_user_sgpr_kernarg_preload_length 0
		.amdhsa_user_sgpr_kernarg_preload_offset 0
		.amdhsa_user_sgpr_private_segment_size 0
		.amdhsa_uses_dynamic_stack 0
		.amdhsa_enable_private_segment 0
		.amdhsa_system_sgpr_workgroup_id_x 1
		.amdhsa_system_sgpr_workgroup_id_y 0
		.amdhsa_system_sgpr_workgroup_id_z 0
		.amdhsa_system_sgpr_workgroup_info 0
		.amdhsa_system_vgpr_workitem_id 0
		.amdhsa_next_free_vgpr 1
		.amdhsa_next_free_sgpr 0
		.amdhsa_accum_offset 4
		.amdhsa_reserve_vcc 0
		.amdhsa_float_round_mode_32 0
		.amdhsa_float_round_mode_16_64 0
		.amdhsa_float_denorm_mode_32 3
		.amdhsa_float_denorm_mode_16_64 3
		.amdhsa_dx10_clamp 1
		.amdhsa_ieee_mode 1
		.amdhsa_fp16_overflow 0
		.amdhsa_tg_split 0
		.amdhsa_exception_fp_ieee_invalid_op 0
		.amdhsa_exception_fp_denorm_src 0
		.amdhsa_exception_fp_ieee_div_zero 0
		.amdhsa_exception_fp_ieee_overflow 0
		.amdhsa_exception_fp_ieee_underflow 0
		.amdhsa_exception_fp_ieee_inexact 0
		.amdhsa_exception_int_div_zero 0
	.end_amdhsa_kernel
	.section	.text._ZN7rocprim17ROCPRIM_400000_NS6detail17trampoline_kernelINS0_14default_configENS1_22reduce_config_selectorImEEZNS1_11reduce_implILb1ES3_N6thrust23THRUST_200600_302600_NS6detail15normal_iteratorINS8_10device_ptrImEEEEPmm11plus_mod_10ImEEE10hipError_tPvRmT1_T2_T3_mT4_P12ihipStream_tbEUlT_E0_NS1_11comp_targetILNS1_3genE3ELNS1_11target_archE908ELNS1_3gpuE7ELNS1_3repE0EEENS1_30default_config_static_selectorELNS0_4arch9wavefront6targetE1EEEvSK_,"axG",@progbits,_ZN7rocprim17ROCPRIM_400000_NS6detail17trampoline_kernelINS0_14default_configENS1_22reduce_config_selectorImEEZNS1_11reduce_implILb1ES3_N6thrust23THRUST_200600_302600_NS6detail15normal_iteratorINS8_10device_ptrImEEEEPmm11plus_mod_10ImEEE10hipError_tPvRmT1_T2_T3_mT4_P12ihipStream_tbEUlT_E0_NS1_11comp_targetILNS1_3genE3ELNS1_11target_archE908ELNS1_3gpuE7ELNS1_3repE0EEENS1_30default_config_static_selectorELNS0_4arch9wavefront6targetE1EEEvSK_,comdat
.Lfunc_end570:
	.size	_ZN7rocprim17ROCPRIM_400000_NS6detail17trampoline_kernelINS0_14default_configENS1_22reduce_config_selectorImEEZNS1_11reduce_implILb1ES3_N6thrust23THRUST_200600_302600_NS6detail15normal_iteratorINS8_10device_ptrImEEEEPmm11plus_mod_10ImEEE10hipError_tPvRmT1_T2_T3_mT4_P12ihipStream_tbEUlT_E0_NS1_11comp_targetILNS1_3genE3ELNS1_11target_archE908ELNS1_3gpuE7ELNS1_3repE0EEENS1_30default_config_static_selectorELNS0_4arch9wavefront6targetE1EEEvSK_, .Lfunc_end570-_ZN7rocprim17ROCPRIM_400000_NS6detail17trampoline_kernelINS0_14default_configENS1_22reduce_config_selectorImEEZNS1_11reduce_implILb1ES3_N6thrust23THRUST_200600_302600_NS6detail15normal_iteratorINS8_10device_ptrImEEEEPmm11plus_mod_10ImEEE10hipError_tPvRmT1_T2_T3_mT4_P12ihipStream_tbEUlT_E0_NS1_11comp_targetILNS1_3genE3ELNS1_11target_archE908ELNS1_3gpuE7ELNS1_3repE0EEENS1_30default_config_static_selectorELNS0_4arch9wavefront6targetE1EEEvSK_
                                        ; -- End function
	.set _ZN7rocprim17ROCPRIM_400000_NS6detail17trampoline_kernelINS0_14default_configENS1_22reduce_config_selectorImEEZNS1_11reduce_implILb1ES3_N6thrust23THRUST_200600_302600_NS6detail15normal_iteratorINS8_10device_ptrImEEEEPmm11plus_mod_10ImEEE10hipError_tPvRmT1_T2_T3_mT4_P12ihipStream_tbEUlT_E0_NS1_11comp_targetILNS1_3genE3ELNS1_11target_archE908ELNS1_3gpuE7ELNS1_3repE0EEENS1_30default_config_static_selectorELNS0_4arch9wavefront6targetE1EEEvSK_.num_vgpr, 0
	.set _ZN7rocprim17ROCPRIM_400000_NS6detail17trampoline_kernelINS0_14default_configENS1_22reduce_config_selectorImEEZNS1_11reduce_implILb1ES3_N6thrust23THRUST_200600_302600_NS6detail15normal_iteratorINS8_10device_ptrImEEEEPmm11plus_mod_10ImEEE10hipError_tPvRmT1_T2_T3_mT4_P12ihipStream_tbEUlT_E0_NS1_11comp_targetILNS1_3genE3ELNS1_11target_archE908ELNS1_3gpuE7ELNS1_3repE0EEENS1_30default_config_static_selectorELNS0_4arch9wavefront6targetE1EEEvSK_.num_agpr, 0
	.set _ZN7rocprim17ROCPRIM_400000_NS6detail17trampoline_kernelINS0_14default_configENS1_22reduce_config_selectorImEEZNS1_11reduce_implILb1ES3_N6thrust23THRUST_200600_302600_NS6detail15normal_iteratorINS8_10device_ptrImEEEEPmm11plus_mod_10ImEEE10hipError_tPvRmT1_T2_T3_mT4_P12ihipStream_tbEUlT_E0_NS1_11comp_targetILNS1_3genE3ELNS1_11target_archE908ELNS1_3gpuE7ELNS1_3repE0EEENS1_30default_config_static_selectorELNS0_4arch9wavefront6targetE1EEEvSK_.numbered_sgpr, 0
	.set _ZN7rocprim17ROCPRIM_400000_NS6detail17trampoline_kernelINS0_14default_configENS1_22reduce_config_selectorImEEZNS1_11reduce_implILb1ES3_N6thrust23THRUST_200600_302600_NS6detail15normal_iteratorINS8_10device_ptrImEEEEPmm11plus_mod_10ImEEE10hipError_tPvRmT1_T2_T3_mT4_P12ihipStream_tbEUlT_E0_NS1_11comp_targetILNS1_3genE3ELNS1_11target_archE908ELNS1_3gpuE7ELNS1_3repE0EEENS1_30default_config_static_selectorELNS0_4arch9wavefront6targetE1EEEvSK_.num_named_barrier, 0
	.set _ZN7rocprim17ROCPRIM_400000_NS6detail17trampoline_kernelINS0_14default_configENS1_22reduce_config_selectorImEEZNS1_11reduce_implILb1ES3_N6thrust23THRUST_200600_302600_NS6detail15normal_iteratorINS8_10device_ptrImEEEEPmm11plus_mod_10ImEEE10hipError_tPvRmT1_T2_T3_mT4_P12ihipStream_tbEUlT_E0_NS1_11comp_targetILNS1_3genE3ELNS1_11target_archE908ELNS1_3gpuE7ELNS1_3repE0EEENS1_30default_config_static_selectorELNS0_4arch9wavefront6targetE1EEEvSK_.private_seg_size, 0
	.set _ZN7rocprim17ROCPRIM_400000_NS6detail17trampoline_kernelINS0_14default_configENS1_22reduce_config_selectorImEEZNS1_11reduce_implILb1ES3_N6thrust23THRUST_200600_302600_NS6detail15normal_iteratorINS8_10device_ptrImEEEEPmm11plus_mod_10ImEEE10hipError_tPvRmT1_T2_T3_mT4_P12ihipStream_tbEUlT_E0_NS1_11comp_targetILNS1_3genE3ELNS1_11target_archE908ELNS1_3gpuE7ELNS1_3repE0EEENS1_30default_config_static_selectorELNS0_4arch9wavefront6targetE1EEEvSK_.uses_vcc, 0
	.set _ZN7rocprim17ROCPRIM_400000_NS6detail17trampoline_kernelINS0_14default_configENS1_22reduce_config_selectorImEEZNS1_11reduce_implILb1ES3_N6thrust23THRUST_200600_302600_NS6detail15normal_iteratorINS8_10device_ptrImEEEEPmm11plus_mod_10ImEEE10hipError_tPvRmT1_T2_T3_mT4_P12ihipStream_tbEUlT_E0_NS1_11comp_targetILNS1_3genE3ELNS1_11target_archE908ELNS1_3gpuE7ELNS1_3repE0EEENS1_30default_config_static_selectorELNS0_4arch9wavefront6targetE1EEEvSK_.uses_flat_scratch, 0
	.set _ZN7rocprim17ROCPRIM_400000_NS6detail17trampoline_kernelINS0_14default_configENS1_22reduce_config_selectorImEEZNS1_11reduce_implILb1ES3_N6thrust23THRUST_200600_302600_NS6detail15normal_iteratorINS8_10device_ptrImEEEEPmm11plus_mod_10ImEEE10hipError_tPvRmT1_T2_T3_mT4_P12ihipStream_tbEUlT_E0_NS1_11comp_targetILNS1_3genE3ELNS1_11target_archE908ELNS1_3gpuE7ELNS1_3repE0EEENS1_30default_config_static_selectorELNS0_4arch9wavefront6targetE1EEEvSK_.has_dyn_sized_stack, 0
	.set _ZN7rocprim17ROCPRIM_400000_NS6detail17trampoline_kernelINS0_14default_configENS1_22reduce_config_selectorImEEZNS1_11reduce_implILb1ES3_N6thrust23THRUST_200600_302600_NS6detail15normal_iteratorINS8_10device_ptrImEEEEPmm11plus_mod_10ImEEE10hipError_tPvRmT1_T2_T3_mT4_P12ihipStream_tbEUlT_E0_NS1_11comp_targetILNS1_3genE3ELNS1_11target_archE908ELNS1_3gpuE7ELNS1_3repE0EEENS1_30default_config_static_selectorELNS0_4arch9wavefront6targetE1EEEvSK_.has_recursion, 0
	.set _ZN7rocprim17ROCPRIM_400000_NS6detail17trampoline_kernelINS0_14default_configENS1_22reduce_config_selectorImEEZNS1_11reduce_implILb1ES3_N6thrust23THRUST_200600_302600_NS6detail15normal_iteratorINS8_10device_ptrImEEEEPmm11plus_mod_10ImEEE10hipError_tPvRmT1_T2_T3_mT4_P12ihipStream_tbEUlT_E0_NS1_11comp_targetILNS1_3genE3ELNS1_11target_archE908ELNS1_3gpuE7ELNS1_3repE0EEENS1_30default_config_static_selectorELNS0_4arch9wavefront6targetE1EEEvSK_.has_indirect_call, 0
	.section	.AMDGPU.csdata,"",@progbits
; Kernel info:
; codeLenInByte = 0
; TotalNumSgprs: 6
; NumVgprs: 0
; NumAgprs: 0
; TotalNumVgprs: 0
; ScratchSize: 0
; MemoryBound: 0
; FloatMode: 240
; IeeeMode: 1
; LDSByteSize: 0 bytes/workgroup (compile time only)
; SGPRBlocks: 0
; VGPRBlocks: 0
; NumSGPRsForWavesPerEU: 6
; NumVGPRsForWavesPerEU: 1
; AccumOffset: 4
; Occupancy: 8
; WaveLimiterHint : 0
; COMPUTE_PGM_RSRC2:SCRATCH_EN: 0
; COMPUTE_PGM_RSRC2:USER_SGPR: 2
; COMPUTE_PGM_RSRC2:TRAP_HANDLER: 0
; COMPUTE_PGM_RSRC2:TGID_X_EN: 1
; COMPUTE_PGM_RSRC2:TGID_Y_EN: 0
; COMPUTE_PGM_RSRC2:TGID_Z_EN: 0
; COMPUTE_PGM_RSRC2:TIDIG_COMP_CNT: 0
; COMPUTE_PGM_RSRC3_GFX90A:ACCUM_OFFSET: 0
; COMPUTE_PGM_RSRC3_GFX90A:TG_SPLIT: 0
	.section	.text._ZN7rocprim17ROCPRIM_400000_NS6detail17trampoline_kernelINS0_14default_configENS1_22reduce_config_selectorImEEZNS1_11reduce_implILb1ES3_N6thrust23THRUST_200600_302600_NS6detail15normal_iteratorINS8_10device_ptrImEEEEPmm11plus_mod_10ImEEE10hipError_tPvRmT1_T2_T3_mT4_P12ihipStream_tbEUlT_E0_NS1_11comp_targetILNS1_3genE2ELNS1_11target_archE906ELNS1_3gpuE6ELNS1_3repE0EEENS1_30default_config_static_selectorELNS0_4arch9wavefront6targetE1EEEvSK_,"axG",@progbits,_ZN7rocprim17ROCPRIM_400000_NS6detail17trampoline_kernelINS0_14default_configENS1_22reduce_config_selectorImEEZNS1_11reduce_implILb1ES3_N6thrust23THRUST_200600_302600_NS6detail15normal_iteratorINS8_10device_ptrImEEEEPmm11plus_mod_10ImEEE10hipError_tPvRmT1_T2_T3_mT4_P12ihipStream_tbEUlT_E0_NS1_11comp_targetILNS1_3genE2ELNS1_11target_archE906ELNS1_3gpuE6ELNS1_3repE0EEENS1_30default_config_static_selectorELNS0_4arch9wavefront6targetE1EEEvSK_,comdat
	.protected	_ZN7rocprim17ROCPRIM_400000_NS6detail17trampoline_kernelINS0_14default_configENS1_22reduce_config_selectorImEEZNS1_11reduce_implILb1ES3_N6thrust23THRUST_200600_302600_NS6detail15normal_iteratorINS8_10device_ptrImEEEEPmm11plus_mod_10ImEEE10hipError_tPvRmT1_T2_T3_mT4_P12ihipStream_tbEUlT_E0_NS1_11comp_targetILNS1_3genE2ELNS1_11target_archE906ELNS1_3gpuE6ELNS1_3repE0EEENS1_30default_config_static_selectorELNS0_4arch9wavefront6targetE1EEEvSK_ ; -- Begin function _ZN7rocprim17ROCPRIM_400000_NS6detail17trampoline_kernelINS0_14default_configENS1_22reduce_config_selectorImEEZNS1_11reduce_implILb1ES3_N6thrust23THRUST_200600_302600_NS6detail15normal_iteratorINS8_10device_ptrImEEEEPmm11plus_mod_10ImEEE10hipError_tPvRmT1_T2_T3_mT4_P12ihipStream_tbEUlT_E0_NS1_11comp_targetILNS1_3genE2ELNS1_11target_archE906ELNS1_3gpuE6ELNS1_3repE0EEENS1_30default_config_static_selectorELNS0_4arch9wavefront6targetE1EEEvSK_
	.globl	_ZN7rocprim17ROCPRIM_400000_NS6detail17trampoline_kernelINS0_14default_configENS1_22reduce_config_selectorImEEZNS1_11reduce_implILb1ES3_N6thrust23THRUST_200600_302600_NS6detail15normal_iteratorINS8_10device_ptrImEEEEPmm11plus_mod_10ImEEE10hipError_tPvRmT1_T2_T3_mT4_P12ihipStream_tbEUlT_E0_NS1_11comp_targetILNS1_3genE2ELNS1_11target_archE906ELNS1_3gpuE6ELNS1_3repE0EEENS1_30default_config_static_selectorELNS0_4arch9wavefront6targetE1EEEvSK_
	.p2align	8
	.type	_ZN7rocprim17ROCPRIM_400000_NS6detail17trampoline_kernelINS0_14default_configENS1_22reduce_config_selectorImEEZNS1_11reduce_implILb1ES3_N6thrust23THRUST_200600_302600_NS6detail15normal_iteratorINS8_10device_ptrImEEEEPmm11plus_mod_10ImEEE10hipError_tPvRmT1_T2_T3_mT4_P12ihipStream_tbEUlT_E0_NS1_11comp_targetILNS1_3genE2ELNS1_11target_archE906ELNS1_3gpuE6ELNS1_3repE0EEENS1_30default_config_static_selectorELNS0_4arch9wavefront6targetE1EEEvSK_,@function
_ZN7rocprim17ROCPRIM_400000_NS6detail17trampoline_kernelINS0_14default_configENS1_22reduce_config_selectorImEEZNS1_11reduce_implILb1ES3_N6thrust23THRUST_200600_302600_NS6detail15normal_iteratorINS8_10device_ptrImEEEEPmm11plus_mod_10ImEEE10hipError_tPvRmT1_T2_T3_mT4_P12ihipStream_tbEUlT_E0_NS1_11comp_targetILNS1_3genE2ELNS1_11target_archE906ELNS1_3gpuE6ELNS1_3repE0EEENS1_30default_config_static_selectorELNS0_4arch9wavefront6targetE1EEEvSK_: ; @_ZN7rocprim17ROCPRIM_400000_NS6detail17trampoline_kernelINS0_14default_configENS1_22reduce_config_selectorImEEZNS1_11reduce_implILb1ES3_N6thrust23THRUST_200600_302600_NS6detail15normal_iteratorINS8_10device_ptrImEEEEPmm11plus_mod_10ImEEE10hipError_tPvRmT1_T2_T3_mT4_P12ihipStream_tbEUlT_E0_NS1_11comp_targetILNS1_3genE2ELNS1_11target_archE906ELNS1_3gpuE6ELNS1_3repE0EEENS1_30default_config_static_selectorELNS0_4arch9wavefront6targetE1EEEvSK_
; %bb.0:
	.section	.rodata,"a",@progbits
	.p2align	6, 0x0
	.amdhsa_kernel _ZN7rocprim17ROCPRIM_400000_NS6detail17trampoline_kernelINS0_14default_configENS1_22reduce_config_selectorImEEZNS1_11reduce_implILb1ES3_N6thrust23THRUST_200600_302600_NS6detail15normal_iteratorINS8_10device_ptrImEEEEPmm11plus_mod_10ImEEE10hipError_tPvRmT1_T2_T3_mT4_P12ihipStream_tbEUlT_E0_NS1_11comp_targetILNS1_3genE2ELNS1_11target_archE906ELNS1_3gpuE6ELNS1_3repE0EEENS1_30default_config_static_selectorELNS0_4arch9wavefront6targetE1EEEvSK_
		.amdhsa_group_segment_fixed_size 0
		.amdhsa_private_segment_fixed_size 0
		.amdhsa_kernarg_size 64
		.amdhsa_user_sgpr_count 2
		.amdhsa_user_sgpr_dispatch_ptr 0
		.amdhsa_user_sgpr_queue_ptr 0
		.amdhsa_user_sgpr_kernarg_segment_ptr 1
		.amdhsa_user_sgpr_dispatch_id 0
		.amdhsa_user_sgpr_kernarg_preload_length 0
		.amdhsa_user_sgpr_kernarg_preload_offset 0
		.amdhsa_user_sgpr_private_segment_size 0
		.amdhsa_uses_dynamic_stack 0
		.amdhsa_enable_private_segment 0
		.amdhsa_system_sgpr_workgroup_id_x 1
		.amdhsa_system_sgpr_workgroup_id_y 0
		.amdhsa_system_sgpr_workgroup_id_z 0
		.amdhsa_system_sgpr_workgroup_info 0
		.amdhsa_system_vgpr_workitem_id 0
		.amdhsa_next_free_vgpr 1
		.amdhsa_next_free_sgpr 0
		.amdhsa_accum_offset 4
		.amdhsa_reserve_vcc 0
		.amdhsa_float_round_mode_32 0
		.amdhsa_float_round_mode_16_64 0
		.amdhsa_float_denorm_mode_32 3
		.amdhsa_float_denorm_mode_16_64 3
		.amdhsa_dx10_clamp 1
		.amdhsa_ieee_mode 1
		.amdhsa_fp16_overflow 0
		.amdhsa_tg_split 0
		.amdhsa_exception_fp_ieee_invalid_op 0
		.amdhsa_exception_fp_denorm_src 0
		.amdhsa_exception_fp_ieee_div_zero 0
		.amdhsa_exception_fp_ieee_overflow 0
		.amdhsa_exception_fp_ieee_underflow 0
		.amdhsa_exception_fp_ieee_inexact 0
		.amdhsa_exception_int_div_zero 0
	.end_amdhsa_kernel
	.section	.text._ZN7rocprim17ROCPRIM_400000_NS6detail17trampoline_kernelINS0_14default_configENS1_22reduce_config_selectorImEEZNS1_11reduce_implILb1ES3_N6thrust23THRUST_200600_302600_NS6detail15normal_iteratorINS8_10device_ptrImEEEEPmm11plus_mod_10ImEEE10hipError_tPvRmT1_T2_T3_mT4_P12ihipStream_tbEUlT_E0_NS1_11comp_targetILNS1_3genE2ELNS1_11target_archE906ELNS1_3gpuE6ELNS1_3repE0EEENS1_30default_config_static_selectorELNS0_4arch9wavefront6targetE1EEEvSK_,"axG",@progbits,_ZN7rocprim17ROCPRIM_400000_NS6detail17trampoline_kernelINS0_14default_configENS1_22reduce_config_selectorImEEZNS1_11reduce_implILb1ES3_N6thrust23THRUST_200600_302600_NS6detail15normal_iteratorINS8_10device_ptrImEEEEPmm11plus_mod_10ImEEE10hipError_tPvRmT1_T2_T3_mT4_P12ihipStream_tbEUlT_E0_NS1_11comp_targetILNS1_3genE2ELNS1_11target_archE906ELNS1_3gpuE6ELNS1_3repE0EEENS1_30default_config_static_selectorELNS0_4arch9wavefront6targetE1EEEvSK_,comdat
.Lfunc_end571:
	.size	_ZN7rocprim17ROCPRIM_400000_NS6detail17trampoline_kernelINS0_14default_configENS1_22reduce_config_selectorImEEZNS1_11reduce_implILb1ES3_N6thrust23THRUST_200600_302600_NS6detail15normal_iteratorINS8_10device_ptrImEEEEPmm11plus_mod_10ImEEE10hipError_tPvRmT1_T2_T3_mT4_P12ihipStream_tbEUlT_E0_NS1_11comp_targetILNS1_3genE2ELNS1_11target_archE906ELNS1_3gpuE6ELNS1_3repE0EEENS1_30default_config_static_selectorELNS0_4arch9wavefront6targetE1EEEvSK_, .Lfunc_end571-_ZN7rocprim17ROCPRIM_400000_NS6detail17trampoline_kernelINS0_14default_configENS1_22reduce_config_selectorImEEZNS1_11reduce_implILb1ES3_N6thrust23THRUST_200600_302600_NS6detail15normal_iteratorINS8_10device_ptrImEEEEPmm11plus_mod_10ImEEE10hipError_tPvRmT1_T2_T3_mT4_P12ihipStream_tbEUlT_E0_NS1_11comp_targetILNS1_3genE2ELNS1_11target_archE906ELNS1_3gpuE6ELNS1_3repE0EEENS1_30default_config_static_selectorELNS0_4arch9wavefront6targetE1EEEvSK_
                                        ; -- End function
	.set _ZN7rocprim17ROCPRIM_400000_NS6detail17trampoline_kernelINS0_14default_configENS1_22reduce_config_selectorImEEZNS1_11reduce_implILb1ES3_N6thrust23THRUST_200600_302600_NS6detail15normal_iteratorINS8_10device_ptrImEEEEPmm11plus_mod_10ImEEE10hipError_tPvRmT1_T2_T3_mT4_P12ihipStream_tbEUlT_E0_NS1_11comp_targetILNS1_3genE2ELNS1_11target_archE906ELNS1_3gpuE6ELNS1_3repE0EEENS1_30default_config_static_selectorELNS0_4arch9wavefront6targetE1EEEvSK_.num_vgpr, 0
	.set _ZN7rocprim17ROCPRIM_400000_NS6detail17trampoline_kernelINS0_14default_configENS1_22reduce_config_selectorImEEZNS1_11reduce_implILb1ES3_N6thrust23THRUST_200600_302600_NS6detail15normal_iteratorINS8_10device_ptrImEEEEPmm11plus_mod_10ImEEE10hipError_tPvRmT1_T2_T3_mT4_P12ihipStream_tbEUlT_E0_NS1_11comp_targetILNS1_3genE2ELNS1_11target_archE906ELNS1_3gpuE6ELNS1_3repE0EEENS1_30default_config_static_selectorELNS0_4arch9wavefront6targetE1EEEvSK_.num_agpr, 0
	.set _ZN7rocprim17ROCPRIM_400000_NS6detail17trampoline_kernelINS0_14default_configENS1_22reduce_config_selectorImEEZNS1_11reduce_implILb1ES3_N6thrust23THRUST_200600_302600_NS6detail15normal_iteratorINS8_10device_ptrImEEEEPmm11plus_mod_10ImEEE10hipError_tPvRmT1_T2_T3_mT4_P12ihipStream_tbEUlT_E0_NS1_11comp_targetILNS1_3genE2ELNS1_11target_archE906ELNS1_3gpuE6ELNS1_3repE0EEENS1_30default_config_static_selectorELNS0_4arch9wavefront6targetE1EEEvSK_.numbered_sgpr, 0
	.set _ZN7rocprim17ROCPRIM_400000_NS6detail17trampoline_kernelINS0_14default_configENS1_22reduce_config_selectorImEEZNS1_11reduce_implILb1ES3_N6thrust23THRUST_200600_302600_NS6detail15normal_iteratorINS8_10device_ptrImEEEEPmm11plus_mod_10ImEEE10hipError_tPvRmT1_T2_T3_mT4_P12ihipStream_tbEUlT_E0_NS1_11comp_targetILNS1_3genE2ELNS1_11target_archE906ELNS1_3gpuE6ELNS1_3repE0EEENS1_30default_config_static_selectorELNS0_4arch9wavefront6targetE1EEEvSK_.num_named_barrier, 0
	.set _ZN7rocprim17ROCPRIM_400000_NS6detail17trampoline_kernelINS0_14default_configENS1_22reduce_config_selectorImEEZNS1_11reduce_implILb1ES3_N6thrust23THRUST_200600_302600_NS6detail15normal_iteratorINS8_10device_ptrImEEEEPmm11plus_mod_10ImEEE10hipError_tPvRmT1_T2_T3_mT4_P12ihipStream_tbEUlT_E0_NS1_11comp_targetILNS1_3genE2ELNS1_11target_archE906ELNS1_3gpuE6ELNS1_3repE0EEENS1_30default_config_static_selectorELNS0_4arch9wavefront6targetE1EEEvSK_.private_seg_size, 0
	.set _ZN7rocprim17ROCPRIM_400000_NS6detail17trampoline_kernelINS0_14default_configENS1_22reduce_config_selectorImEEZNS1_11reduce_implILb1ES3_N6thrust23THRUST_200600_302600_NS6detail15normal_iteratorINS8_10device_ptrImEEEEPmm11plus_mod_10ImEEE10hipError_tPvRmT1_T2_T3_mT4_P12ihipStream_tbEUlT_E0_NS1_11comp_targetILNS1_3genE2ELNS1_11target_archE906ELNS1_3gpuE6ELNS1_3repE0EEENS1_30default_config_static_selectorELNS0_4arch9wavefront6targetE1EEEvSK_.uses_vcc, 0
	.set _ZN7rocprim17ROCPRIM_400000_NS6detail17trampoline_kernelINS0_14default_configENS1_22reduce_config_selectorImEEZNS1_11reduce_implILb1ES3_N6thrust23THRUST_200600_302600_NS6detail15normal_iteratorINS8_10device_ptrImEEEEPmm11plus_mod_10ImEEE10hipError_tPvRmT1_T2_T3_mT4_P12ihipStream_tbEUlT_E0_NS1_11comp_targetILNS1_3genE2ELNS1_11target_archE906ELNS1_3gpuE6ELNS1_3repE0EEENS1_30default_config_static_selectorELNS0_4arch9wavefront6targetE1EEEvSK_.uses_flat_scratch, 0
	.set _ZN7rocprim17ROCPRIM_400000_NS6detail17trampoline_kernelINS0_14default_configENS1_22reduce_config_selectorImEEZNS1_11reduce_implILb1ES3_N6thrust23THRUST_200600_302600_NS6detail15normal_iteratorINS8_10device_ptrImEEEEPmm11plus_mod_10ImEEE10hipError_tPvRmT1_T2_T3_mT4_P12ihipStream_tbEUlT_E0_NS1_11comp_targetILNS1_3genE2ELNS1_11target_archE906ELNS1_3gpuE6ELNS1_3repE0EEENS1_30default_config_static_selectorELNS0_4arch9wavefront6targetE1EEEvSK_.has_dyn_sized_stack, 0
	.set _ZN7rocprim17ROCPRIM_400000_NS6detail17trampoline_kernelINS0_14default_configENS1_22reduce_config_selectorImEEZNS1_11reduce_implILb1ES3_N6thrust23THRUST_200600_302600_NS6detail15normal_iteratorINS8_10device_ptrImEEEEPmm11plus_mod_10ImEEE10hipError_tPvRmT1_T2_T3_mT4_P12ihipStream_tbEUlT_E0_NS1_11comp_targetILNS1_3genE2ELNS1_11target_archE906ELNS1_3gpuE6ELNS1_3repE0EEENS1_30default_config_static_selectorELNS0_4arch9wavefront6targetE1EEEvSK_.has_recursion, 0
	.set _ZN7rocprim17ROCPRIM_400000_NS6detail17trampoline_kernelINS0_14default_configENS1_22reduce_config_selectorImEEZNS1_11reduce_implILb1ES3_N6thrust23THRUST_200600_302600_NS6detail15normal_iteratorINS8_10device_ptrImEEEEPmm11plus_mod_10ImEEE10hipError_tPvRmT1_T2_T3_mT4_P12ihipStream_tbEUlT_E0_NS1_11comp_targetILNS1_3genE2ELNS1_11target_archE906ELNS1_3gpuE6ELNS1_3repE0EEENS1_30default_config_static_selectorELNS0_4arch9wavefront6targetE1EEEvSK_.has_indirect_call, 0
	.section	.AMDGPU.csdata,"",@progbits
; Kernel info:
; codeLenInByte = 0
; TotalNumSgprs: 6
; NumVgprs: 0
; NumAgprs: 0
; TotalNumVgprs: 0
; ScratchSize: 0
; MemoryBound: 0
; FloatMode: 240
; IeeeMode: 1
; LDSByteSize: 0 bytes/workgroup (compile time only)
; SGPRBlocks: 0
; VGPRBlocks: 0
; NumSGPRsForWavesPerEU: 6
; NumVGPRsForWavesPerEU: 1
; AccumOffset: 4
; Occupancy: 8
; WaveLimiterHint : 0
; COMPUTE_PGM_RSRC2:SCRATCH_EN: 0
; COMPUTE_PGM_RSRC2:USER_SGPR: 2
; COMPUTE_PGM_RSRC2:TRAP_HANDLER: 0
; COMPUTE_PGM_RSRC2:TGID_X_EN: 1
; COMPUTE_PGM_RSRC2:TGID_Y_EN: 0
; COMPUTE_PGM_RSRC2:TGID_Z_EN: 0
; COMPUTE_PGM_RSRC2:TIDIG_COMP_CNT: 0
; COMPUTE_PGM_RSRC3_GFX90A:ACCUM_OFFSET: 0
; COMPUTE_PGM_RSRC3_GFX90A:TG_SPLIT: 0
	.section	.text._ZN7rocprim17ROCPRIM_400000_NS6detail17trampoline_kernelINS0_14default_configENS1_22reduce_config_selectorImEEZNS1_11reduce_implILb1ES3_N6thrust23THRUST_200600_302600_NS6detail15normal_iteratorINS8_10device_ptrImEEEEPmm11plus_mod_10ImEEE10hipError_tPvRmT1_T2_T3_mT4_P12ihipStream_tbEUlT_E0_NS1_11comp_targetILNS1_3genE10ELNS1_11target_archE1201ELNS1_3gpuE5ELNS1_3repE0EEENS1_30default_config_static_selectorELNS0_4arch9wavefront6targetE1EEEvSK_,"axG",@progbits,_ZN7rocprim17ROCPRIM_400000_NS6detail17trampoline_kernelINS0_14default_configENS1_22reduce_config_selectorImEEZNS1_11reduce_implILb1ES3_N6thrust23THRUST_200600_302600_NS6detail15normal_iteratorINS8_10device_ptrImEEEEPmm11plus_mod_10ImEEE10hipError_tPvRmT1_T2_T3_mT4_P12ihipStream_tbEUlT_E0_NS1_11comp_targetILNS1_3genE10ELNS1_11target_archE1201ELNS1_3gpuE5ELNS1_3repE0EEENS1_30default_config_static_selectorELNS0_4arch9wavefront6targetE1EEEvSK_,comdat
	.protected	_ZN7rocprim17ROCPRIM_400000_NS6detail17trampoline_kernelINS0_14default_configENS1_22reduce_config_selectorImEEZNS1_11reduce_implILb1ES3_N6thrust23THRUST_200600_302600_NS6detail15normal_iteratorINS8_10device_ptrImEEEEPmm11plus_mod_10ImEEE10hipError_tPvRmT1_T2_T3_mT4_P12ihipStream_tbEUlT_E0_NS1_11comp_targetILNS1_3genE10ELNS1_11target_archE1201ELNS1_3gpuE5ELNS1_3repE0EEENS1_30default_config_static_selectorELNS0_4arch9wavefront6targetE1EEEvSK_ ; -- Begin function _ZN7rocprim17ROCPRIM_400000_NS6detail17trampoline_kernelINS0_14default_configENS1_22reduce_config_selectorImEEZNS1_11reduce_implILb1ES3_N6thrust23THRUST_200600_302600_NS6detail15normal_iteratorINS8_10device_ptrImEEEEPmm11plus_mod_10ImEEE10hipError_tPvRmT1_T2_T3_mT4_P12ihipStream_tbEUlT_E0_NS1_11comp_targetILNS1_3genE10ELNS1_11target_archE1201ELNS1_3gpuE5ELNS1_3repE0EEENS1_30default_config_static_selectorELNS0_4arch9wavefront6targetE1EEEvSK_
	.globl	_ZN7rocprim17ROCPRIM_400000_NS6detail17trampoline_kernelINS0_14default_configENS1_22reduce_config_selectorImEEZNS1_11reduce_implILb1ES3_N6thrust23THRUST_200600_302600_NS6detail15normal_iteratorINS8_10device_ptrImEEEEPmm11plus_mod_10ImEEE10hipError_tPvRmT1_T2_T3_mT4_P12ihipStream_tbEUlT_E0_NS1_11comp_targetILNS1_3genE10ELNS1_11target_archE1201ELNS1_3gpuE5ELNS1_3repE0EEENS1_30default_config_static_selectorELNS0_4arch9wavefront6targetE1EEEvSK_
	.p2align	8
	.type	_ZN7rocprim17ROCPRIM_400000_NS6detail17trampoline_kernelINS0_14default_configENS1_22reduce_config_selectorImEEZNS1_11reduce_implILb1ES3_N6thrust23THRUST_200600_302600_NS6detail15normal_iteratorINS8_10device_ptrImEEEEPmm11plus_mod_10ImEEE10hipError_tPvRmT1_T2_T3_mT4_P12ihipStream_tbEUlT_E0_NS1_11comp_targetILNS1_3genE10ELNS1_11target_archE1201ELNS1_3gpuE5ELNS1_3repE0EEENS1_30default_config_static_selectorELNS0_4arch9wavefront6targetE1EEEvSK_,@function
_ZN7rocprim17ROCPRIM_400000_NS6detail17trampoline_kernelINS0_14default_configENS1_22reduce_config_selectorImEEZNS1_11reduce_implILb1ES3_N6thrust23THRUST_200600_302600_NS6detail15normal_iteratorINS8_10device_ptrImEEEEPmm11plus_mod_10ImEEE10hipError_tPvRmT1_T2_T3_mT4_P12ihipStream_tbEUlT_E0_NS1_11comp_targetILNS1_3genE10ELNS1_11target_archE1201ELNS1_3gpuE5ELNS1_3repE0EEENS1_30default_config_static_selectorELNS0_4arch9wavefront6targetE1EEEvSK_: ; @_ZN7rocprim17ROCPRIM_400000_NS6detail17trampoline_kernelINS0_14default_configENS1_22reduce_config_selectorImEEZNS1_11reduce_implILb1ES3_N6thrust23THRUST_200600_302600_NS6detail15normal_iteratorINS8_10device_ptrImEEEEPmm11plus_mod_10ImEEE10hipError_tPvRmT1_T2_T3_mT4_P12ihipStream_tbEUlT_E0_NS1_11comp_targetILNS1_3genE10ELNS1_11target_archE1201ELNS1_3gpuE5ELNS1_3repE0EEENS1_30default_config_static_selectorELNS0_4arch9wavefront6targetE1EEEvSK_
; %bb.0:
	.section	.rodata,"a",@progbits
	.p2align	6, 0x0
	.amdhsa_kernel _ZN7rocprim17ROCPRIM_400000_NS6detail17trampoline_kernelINS0_14default_configENS1_22reduce_config_selectorImEEZNS1_11reduce_implILb1ES3_N6thrust23THRUST_200600_302600_NS6detail15normal_iteratorINS8_10device_ptrImEEEEPmm11plus_mod_10ImEEE10hipError_tPvRmT1_T2_T3_mT4_P12ihipStream_tbEUlT_E0_NS1_11comp_targetILNS1_3genE10ELNS1_11target_archE1201ELNS1_3gpuE5ELNS1_3repE0EEENS1_30default_config_static_selectorELNS0_4arch9wavefront6targetE1EEEvSK_
		.amdhsa_group_segment_fixed_size 0
		.amdhsa_private_segment_fixed_size 0
		.amdhsa_kernarg_size 64
		.amdhsa_user_sgpr_count 2
		.amdhsa_user_sgpr_dispatch_ptr 0
		.amdhsa_user_sgpr_queue_ptr 0
		.amdhsa_user_sgpr_kernarg_segment_ptr 1
		.amdhsa_user_sgpr_dispatch_id 0
		.amdhsa_user_sgpr_kernarg_preload_length 0
		.amdhsa_user_sgpr_kernarg_preload_offset 0
		.amdhsa_user_sgpr_private_segment_size 0
		.amdhsa_uses_dynamic_stack 0
		.amdhsa_enable_private_segment 0
		.amdhsa_system_sgpr_workgroup_id_x 1
		.amdhsa_system_sgpr_workgroup_id_y 0
		.amdhsa_system_sgpr_workgroup_id_z 0
		.amdhsa_system_sgpr_workgroup_info 0
		.amdhsa_system_vgpr_workitem_id 0
		.amdhsa_next_free_vgpr 1
		.amdhsa_next_free_sgpr 0
		.amdhsa_accum_offset 4
		.amdhsa_reserve_vcc 0
		.amdhsa_float_round_mode_32 0
		.amdhsa_float_round_mode_16_64 0
		.amdhsa_float_denorm_mode_32 3
		.amdhsa_float_denorm_mode_16_64 3
		.amdhsa_dx10_clamp 1
		.amdhsa_ieee_mode 1
		.amdhsa_fp16_overflow 0
		.amdhsa_tg_split 0
		.amdhsa_exception_fp_ieee_invalid_op 0
		.amdhsa_exception_fp_denorm_src 0
		.amdhsa_exception_fp_ieee_div_zero 0
		.amdhsa_exception_fp_ieee_overflow 0
		.amdhsa_exception_fp_ieee_underflow 0
		.amdhsa_exception_fp_ieee_inexact 0
		.amdhsa_exception_int_div_zero 0
	.end_amdhsa_kernel
	.section	.text._ZN7rocprim17ROCPRIM_400000_NS6detail17trampoline_kernelINS0_14default_configENS1_22reduce_config_selectorImEEZNS1_11reduce_implILb1ES3_N6thrust23THRUST_200600_302600_NS6detail15normal_iteratorINS8_10device_ptrImEEEEPmm11plus_mod_10ImEEE10hipError_tPvRmT1_T2_T3_mT4_P12ihipStream_tbEUlT_E0_NS1_11comp_targetILNS1_3genE10ELNS1_11target_archE1201ELNS1_3gpuE5ELNS1_3repE0EEENS1_30default_config_static_selectorELNS0_4arch9wavefront6targetE1EEEvSK_,"axG",@progbits,_ZN7rocprim17ROCPRIM_400000_NS6detail17trampoline_kernelINS0_14default_configENS1_22reduce_config_selectorImEEZNS1_11reduce_implILb1ES3_N6thrust23THRUST_200600_302600_NS6detail15normal_iteratorINS8_10device_ptrImEEEEPmm11plus_mod_10ImEEE10hipError_tPvRmT1_T2_T3_mT4_P12ihipStream_tbEUlT_E0_NS1_11comp_targetILNS1_3genE10ELNS1_11target_archE1201ELNS1_3gpuE5ELNS1_3repE0EEENS1_30default_config_static_selectorELNS0_4arch9wavefront6targetE1EEEvSK_,comdat
.Lfunc_end572:
	.size	_ZN7rocprim17ROCPRIM_400000_NS6detail17trampoline_kernelINS0_14default_configENS1_22reduce_config_selectorImEEZNS1_11reduce_implILb1ES3_N6thrust23THRUST_200600_302600_NS6detail15normal_iteratorINS8_10device_ptrImEEEEPmm11plus_mod_10ImEEE10hipError_tPvRmT1_T2_T3_mT4_P12ihipStream_tbEUlT_E0_NS1_11comp_targetILNS1_3genE10ELNS1_11target_archE1201ELNS1_3gpuE5ELNS1_3repE0EEENS1_30default_config_static_selectorELNS0_4arch9wavefront6targetE1EEEvSK_, .Lfunc_end572-_ZN7rocprim17ROCPRIM_400000_NS6detail17trampoline_kernelINS0_14default_configENS1_22reduce_config_selectorImEEZNS1_11reduce_implILb1ES3_N6thrust23THRUST_200600_302600_NS6detail15normal_iteratorINS8_10device_ptrImEEEEPmm11plus_mod_10ImEEE10hipError_tPvRmT1_T2_T3_mT4_P12ihipStream_tbEUlT_E0_NS1_11comp_targetILNS1_3genE10ELNS1_11target_archE1201ELNS1_3gpuE5ELNS1_3repE0EEENS1_30default_config_static_selectorELNS0_4arch9wavefront6targetE1EEEvSK_
                                        ; -- End function
	.set _ZN7rocprim17ROCPRIM_400000_NS6detail17trampoline_kernelINS0_14default_configENS1_22reduce_config_selectorImEEZNS1_11reduce_implILb1ES3_N6thrust23THRUST_200600_302600_NS6detail15normal_iteratorINS8_10device_ptrImEEEEPmm11plus_mod_10ImEEE10hipError_tPvRmT1_T2_T3_mT4_P12ihipStream_tbEUlT_E0_NS1_11comp_targetILNS1_3genE10ELNS1_11target_archE1201ELNS1_3gpuE5ELNS1_3repE0EEENS1_30default_config_static_selectorELNS0_4arch9wavefront6targetE1EEEvSK_.num_vgpr, 0
	.set _ZN7rocprim17ROCPRIM_400000_NS6detail17trampoline_kernelINS0_14default_configENS1_22reduce_config_selectorImEEZNS1_11reduce_implILb1ES3_N6thrust23THRUST_200600_302600_NS6detail15normal_iteratorINS8_10device_ptrImEEEEPmm11plus_mod_10ImEEE10hipError_tPvRmT1_T2_T3_mT4_P12ihipStream_tbEUlT_E0_NS1_11comp_targetILNS1_3genE10ELNS1_11target_archE1201ELNS1_3gpuE5ELNS1_3repE0EEENS1_30default_config_static_selectorELNS0_4arch9wavefront6targetE1EEEvSK_.num_agpr, 0
	.set _ZN7rocprim17ROCPRIM_400000_NS6detail17trampoline_kernelINS0_14default_configENS1_22reduce_config_selectorImEEZNS1_11reduce_implILb1ES3_N6thrust23THRUST_200600_302600_NS6detail15normal_iteratorINS8_10device_ptrImEEEEPmm11plus_mod_10ImEEE10hipError_tPvRmT1_T2_T3_mT4_P12ihipStream_tbEUlT_E0_NS1_11comp_targetILNS1_3genE10ELNS1_11target_archE1201ELNS1_3gpuE5ELNS1_3repE0EEENS1_30default_config_static_selectorELNS0_4arch9wavefront6targetE1EEEvSK_.numbered_sgpr, 0
	.set _ZN7rocprim17ROCPRIM_400000_NS6detail17trampoline_kernelINS0_14default_configENS1_22reduce_config_selectorImEEZNS1_11reduce_implILb1ES3_N6thrust23THRUST_200600_302600_NS6detail15normal_iteratorINS8_10device_ptrImEEEEPmm11plus_mod_10ImEEE10hipError_tPvRmT1_T2_T3_mT4_P12ihipStream_tbEUlT_E0_NS1_11comp_targetILNS1_3genE10ELNS1_11target_archE1201ELNS1_3gpuE5ELNS1_3repE0EEENS1_30default_config_static_selectorELNS0_4arch9wavefront6targetE1EEEvSK_.num_named_barrier, 0
	.set _ZN7rocprim17ROCPRIM_400000_NS6detail17trampoline_kernelINS0_14default_configENS1_22reduce_config_selectorImEEZNS1_11reduce_implILb1ES3_N6thrust23THRUST_200600_302600_NS6detail15normal_iteratorINS8_10device_ptrImEEEEPmm11plus_mod_10ImEEE10hipError_tPvRmT1_T2_T3_mT4_P12ihipStream_tbEUlT_E0_NS1_11comp_targetILNS1_3genE10ELNS1_11target_archE1201ELNS1_3gpuE5ELNS1_3repE0EEENS1_30default_config_static_selectorELNS0_4arch9wavefront6targetE1EEEvSK_.private_seg_size, 0
	.set _ZN7rocprim17ROCPRIM_400000_NS6detail17trampoline_kernelINS0_14default_configENS1_22reduce_config_selectorImEEZNS1_11reduce_implILb1ES3_N6thrust23THRUST_200600_302600_NS6detail15normal_iteratorINS8_10device_ptrImEEEEPmm11plus_mod_10ImEEE10hipError_tPvRmT1_T2_T3_mT4_P12ihipStream_tbEUlT_E0_NS1_11comp_targetILNS1_3genE10ELNS1_11target_archE1201ELNS1_3gpuE5ELNS1_3repE0EEENS1_30default_config_static_selectorELNS0_4arch9wavefront6targetE1EEEvSK_.uses_vcc, 0
	.set _ZN7rocprim17ROCPRIM_400000_NS6detail17trampoline_kernelINS0_14default_configENS1_22reduce_config_selectorImEEZNS1_11reduce_implILb1ES3_N6thrust23THRUST_200600_302600_NS6detail15normal_iteratorINS8_10device_ptrImEEEEPmm11plus_mod_10ImEEE10hipError_tPvRmT1_T2_T3_mT4_P12ihipStream_tbEUlT_E0_NS1_11comp_targetILNS1_3genE10ELNS1_11target_archE1201ELNS1_3gpuE5ELNS1_3repE0EEENS1_30default_config_static_selectorELNS0_4arch9wavefront6targetE1EEEvSK_.uses_flat_scratch, 0
	.set _ZN7rocprim17ROCPRIM_400000_NS6detail17trampoline_kernelINS0_14default_configENS1_22reduce_config_selectorImEEZNS1_11reduce_implILb1ES3_N6thrust23THRUST_200600_302600_NS6detail15normal_iteratorINS8_10device_ptrImEEEEPmm11plus_mod_10ImEEE10hipError_tPvRmT1_T2_T3_mT4_P12ihipStream_tbEUlT_E0_NS1_11comp_targetILNS1_3genE10ELNS1_11target_archE1201ELNS1_3gpuE5ELNS1_3repE0EEENS1_30default_config_static_selectorELNS0_4arch9wavefront6targetE1EEEvSK_.has_dyn_sized_stack, 0
	.set _ZN7rocprim17ROCPRIM_400000_NS6detail17trampoline_kernelINS0_14default_configENS1_22reduce_config_selectorImEEZNS1_11reduce_implILb1ES3_N6thrust23THRUST_200600_302600_NS6detail15normal_iteratorINS8_10device_ptrImEEEEPmm11plus_mod_10ImEEE10hipError_tPvRmT1_T2_T3_mT4_P12ihipStream_tbEUlT_E0_NS1_11comp_targetILNS1_3genE10ELNS1_11target_archE1201ELNS1_3gpuE5ELNS1_3repE0EEENS1_30default_config_static_selectorELNS0_4arch9wavefront6targetE1EEEvSK_.has_recursion, 0
	.set _ZN7rocprim17ROCPRIM_400000_NS6detail17trampoline_kernelINS0_14default_configENS1_22reduce_config_selectorImEEZNS1_11reduce_implILb1ES3_N6thrust23THRUST_200600_302600_NS6detail15normal_iteratorINS8_10device_ptrImEEEEPmm11plus_mod_10ImEEE10hipError_tPvRmT1_T2_T3_mT4_P12ihipStream_tbEUlT_E0_NS1_11comp_targetILNS1_3genE10ELNS1_11target_archE1201ELNS1_3gpuE5ELNS1_3repE0EEENS1_30default_config_static_selectorELNS0_4arch9wavefront6targetE1EEEvSK_.has_indirect_call, 0
	.section	.AMDGPU.csdata,"",@progbits
; Kernel info:
; codeLenInByte = 0
; TotalNumSgprs: 6
; NumVgprs: 0
; NumAgprs: 0
; TotalNumVgprs: 0
; ScratchSize: 0
; MemoryBound: 0
; FloatMode: 240
; IeeeMode: 1
; LDSByteSize: 0 bytes/workgroup (compile time only)
; SGPRBlocks: 0
; VGPRBlocks: 0
; NumSGPRsForWavesPerEU: 6
; NumVGPRsForWavesPerEU: 1
; AccumOffset: 4
; Occupancy: 8
; WaveLimiterHint : 0
; COMPUTE_PGM_RSRC2:SCRATCH_EN: 0
; COMPUTE_PGM_RSRC2:USER_SGPR: 2
; COMPUTE_PGM_RSRC2:TRAP_HANDLER: 0
; COMPUTE_PGM_RSRC2:TGID_X_EN: 1
; COMPUTE_PGM_RSRC2:TGID_Y_EN: 0
; COMPUTE_PGM_RSRC2:TGID_Z_EN: 0
; COMPUTE_PGM_RSRC2:TIDIG_COMP_CNT: 0
; COMPUTE_PGM_RSRC3_GFX90A:ACCUM_OFFSET: 0
; COMPUTE_PGM_RSRC3_GFX90A:TG_SPLIT: 0
	.section	.text._ZN7rocprim17ROCPRIM_400000_NS6detail17trampoline_kernelINS0_14default_configENS1_22reduce_config_selectorImEEZNS1_11reduce_implILb1ES3_N6thrust23THRUST_200600_302600_NS6detail15normal_iteratorINS8_10device_ptrImEEEEPmm11plus_mod_10ImEEE10hipError_tPvRmT1_T2_T3_mT4_P12ihipStream_tbEUlT_E0_NS1_11comp_targetILNS1_3genE10ELNS1_11target_archE1200ELNS1_3gpuE4ELNS1_3repE0EEENS1_30default_config_static_selectorELNS0_4arch9wavefront6targetE1EEEvSK_,"axG",@progbits,_ZN7rocprim17ROCPRIM_400000_NS6detail17trampoline_kernelINS0_14default_configENS1_22reduce_config_selectorImEEZNS1_11reduce_implILb1ES3_N6thrust23THRUST_200600_302600_NS6detail15normal_iteratorINS8_10device_ptrImEEEEPmm11plus_mod_10ImEEE10hipError_tPvRmT1_T2_T3_mT4_P12ihipStream_tbEUlT_E0_NS1_11comp_targetILNS1_3genE10ELNS1_11target_archE1200ELNS1_3gpuE4ELNS1_3repE0EEENS1_30default_config_static_selectorELNS0_4arch9wavefront6targetE1EEEvSK_,comdat
	.protected	_ZN7rocprim17ROCPRIM_400000_NS6detail17trampoline_kernelINS0_14default_configENS1_22reduce_config_selectorImEEZNS1_11reduce_implILb1ES3_N6thrust23THRUST_200600_302600_NS6detail15normal_iteratorINS8_10device_ptrImEEEEPmm11plus_mod_10ImEEE10hipError_tPvRmT1_T2_T3_mT4_P12ihipStream_tbEUlT_E0_NS1_11comp_targetILNS1_3genE10ELNS1_11target_archE1200ELNS1_3gpuE4ELNS1_3repE0EEENS1_30default_config_static_selectorELNS0_4arch9wavefront6targetE1EEEvSK_ ; -- Begin function _ZN7rocprim17ROCPRIM_400000_NS6detail17trampoline_kernelINS0_14default_configENS1_22reduce_config_selectorImEEZNS1_11reduce_implILb1ES3_N6thrust23THRUST_200600_302600_NS6detail15normal_iteratorINS8_10device_ptrImEEEEPmm11plus_mod_10ImEEE10hipError_tPvRmT1_T2_T3_mT4_P12ihipStream_tbEUlT_E0_NS1_11comp_targetILNS1_3genE10ELNS1_11target_archE1200ELNS1_3gpuE4ELNS1_3repE0EEENS1_30default_config_static_selectorELNS0_4arch9wavefront6targetE1EEEvSK_
	.globl	_ZN7rocprim17ROCPRIM_400000_NS6detail17trampoline_kernelINS0_14default_configENS1_22reduce_config_selectorImEEZNS1_11reduce_implILb1ES3_N6thrust23THRUST_200600_302600_NS6detail15normal_iteratorINS8_10device_ptrImEEEEPmm11plus_mod_10ImEEE10hipError_tPvRmT1_T2_T3_mT4_P12ihipStream_tbEUlT_E0_NS1_11comp_targetILNS1_3genE10ELNS1_11target_archE1200ELNS1_3gpuE4ELNS1_3repE0EEENS1_30default_config_static_selectorELNS0_4arch9wavefront6targetE1EEEvSK_
	.p2align	8
	.type	_ZN7rocprim17ROCPRIM_400000_NS6detail17trampoline_kernelINS0_14default_configENS1_22reduce_config_selectorImEEZNS1_11reduce_implILb1ES3_N6thrust23THRUST_200600_302600_NS6detail15normal_iteratorINS8_10device_ptrImEEEEPmm11plus_mod_10ImEEE10hipError_tPvRmT1_T2_T3_mT4_P12ihipStream_tbEUlT_E0_NS1_11comp_targetILNS1_3genE10ELNS1_11target_archE1200ELNS1_3gpuE4ELNS1_3repE0EEENS1_30default_config_static_selectorELNS0_4arch9wavefront6targetE1EEEvSK_,@function
_ZN7rocprim17ROCPRIM_400000_NS6detail17trampoline_kernelINS0_14default_configENS1_22reduce_config_selectorImEEZNS1_11reduce_implILb1ES3_N6thrust23THRUST_200600_302600_NS6detail15normal_iteratorINS8_10device_ptrImEEEEPmm11plus_mod_10ImEEE10hipError_tPvRmT1_T2_T3_mT4_P12ihipStream_tbEUlT_E0_NS1_11comp_targetILNS1_3genE10ELNS1_11target_archE1200ELNS1_3gpuE4ELNS1_3repE0EEENS1_30default_config_static_selectorELNS0_4arch9wavefront6targetE1EEEvSK_: ; @_ZN7rocprim17ROCPRIM_400000_NS6detail17trampoline_kernelINS0_14default_configENS1_22reduce_config_selectorImEEZNS1_11reduce_implILb1ES3_N6thrust23THRUST_200600_302600_NS6detail15normal_iteratorINS8_10device_ptrImEEEEPmm11plus_mod_10ImEEE10hipError_tPvRmT1_T2_T3_mT4_P12ihipStream_tbEUlT_E0_NS1_11comp_targetILNS1_3genE10ELNS1_11target_archE1200ELNS1_3gpuE4ELNS1_3repE0EEENS1_30default_config_static_selectorELNS0_4arch9wavefront6targetE1EEEvSK_
; %bb.0:
	.section	.rodata,"a",@progbits
	.p2align	6, 0x0
	.amdhsa_kernel _ZN7rocprim17ROCPRIM_400000_NS6detail17trampoline_kernelINS0_14default_configENS1_22reduce_config_selectorImEEZNS1_11reduce_implILb1ES3_N6thrust23THRUST_200600_302600_NS6detail15normal_iteratorINS8_10device_ptrImEEEEPmm11plus_mod_10ImEEE10hipError_tPvRmT1_T2_T3_mT4_P12ihipStream_tbEUlT_E0_NS1_11comp_targetILNS1_3genE10ELNS1_11target_archE1200ELNS1_3gpuE4ELNS1_3repE0EEENS1_30default_config_static_selectorELNS0_4arch9wavefront6targetE1EEEvSK_
		.amdhsa_group_segment_fixed_size 0
		.amdhsa_private_segment_fixed_size 0
		.amdhsa_kernarg_size 64
		.amdhsa_user_sgpr_count 2
		.amdhsa_user_sgpr_dispatch_ptr 0
		.amdhsa_user_sgpr_queue_ptr 0
		.amdhsa_user_sgpr_kernarg_segment_ptr 1
		.amdhsa_user_sgpr_dispatch_id 0
		.amdhsa_user_sgpr_kernarg_preload_length 0
		.amdhsa_user_sgpr_kernarg_preload_offset 0
		.amdhsa_user_sgpr_private_segment_size 0
		.amdhsa_uses_dynamic_stack 0
		.amdhsa_enable_private_segment 0
		.amdhsa_system_sgpr_workgroup_id_x 1
		.amdhsa_system_sgpr_workgroup_id_y 0
		.amdhsa_system_sgpr_workgroup_id_z 0
		.amdhsa_system_sgpr_workgroup_info 0
		.amdhsa_system_vgpr_workitem_id 0
		.amdhsa_next_free_vgpr 1
		.amdhsa_next_free_sgpr 0
		.amdhsa_accum_offset 4
		.amdhsa_reserve_vcc 0
		.amdhsa_float_round_mode_32 0
		.amdhsa_float_round_mode_16_64 0
		.amdhsa_float_denorm_mode_32 3
		.amdhsa_float_denorm_mode_16_64 3
		.amdhsa_dx10_clamp 1
		.amdhsa_ieee_mode 1
		.amdhsa_fp16_overflow 0
		.amdhsa_tg_split 0
		.amdhsa_exception_fp_ieee_invalid_op 0
		.amdhsa_exception_fp_denorm_src 0
		.amdhsa_exception_fp_ieee_div_zero 0
		.amdhsa_exception_fp_ieee_overflow 0
		.amdhsa_exception_fp_ieee_underflow 0
		.amdhsa_exception_fp_ieee_inexact 0
		.amdhsa_exception_int_div_zero 0
	.end_amdhsa_kernel
	.section	.text._ZN7rocprim17ROCPRIM_400000_NS6detail17trampoline_kernelINS0_14default_configENS1_22reduce_config_selectorImEEZNS1_11reduce_implILb1ES3_N6thrust23THRUST_200600_302600_NS6detail15normal_iteratorINS8_10device_ptrImEEEEPmm11plus_mod_10ImEEE10hipError_tPvRmT1_T2_T3_mT4_P12ihipStream_tbEUlT_E0_NS1_11comp_targetILNS1_3genE10ELNS1_11target_archE1200ELNS1_3gpuE4ELNS1_3repE0EEENS1_30default_config_static_selectorELNS0_4arch9wavefront6targetE1EEEvSK_,"axG",@progbits,_ZN7rocprim17ROCPRIM_400000_NS6detail17trampoline_kernelINS0_14default_configENS1_22reduce_config_selectorImEEZNS1_11reduce_implILb1ES3_N6thrust23THRUST_200600_302600_NS6detail15normal_iteratorINS8_10device_ptrImEEEEPmm11plus_mod_10ImEEE10hipError_tPvRmT1_T2_T3_mT4_P12ihipStream_tbEUlT_E0_NS1_11comp_targetILNS1_3genE10ELNS1_11target_archE1200ELNS1_3gpuE4ELNS1_3repE0EEENS1_30default_config_static_selectorELNS0_4arch9wavefront6targetE1EEEvSK_,comdat
.Lfunc_end573:
	.size	_ZN7rocprim17ROCPRIM_400000_NS6detail17trampoline_kernelINS0_14default_configENS1_22reduce_config_selectorImEEZNS1_11reduce_implILb1ES3_N6thrust23THRUST_200600_302600_NS6detail15normal_iteratorINS8_10device_ptrImEEEEPmm11plus_mod_10ImEEE10hipError_tPvRmT1_T2_T3_mT4_P12ihipStream_tbEUlT_E0_NS1_11comp_targetILNS1_3genE10ELNS1_11target_archE1200ELNS1_3gpuE4ELNS1_3repE0EEENS1_30default_config_static_selectorELNS0_4arch9wavefront6targetE1EEEvSK_, .Lfunc_end573-_ZN7rocprim17ROCPRIM_400000_NS6detail17trampoline_kernelINS0_14default_configENS1_22reduce_config_selectorImEEZNS1_11reduce_implILb1ES3_N6thrust23THRUST_200600_302600_NS6detail15normal_iteratorINS8_10device_ptrImEEEEPmm11plus_mod_10ImEEE10hipError_tPvRmT1_T2_T3_mT4_P12ihipStream_tbEUlT_E0_NS1_11comp_targetILNS1_3genE10ELNS1_11target_archE1200ELNS1_3gpuE4ELNS1_3repE0EEENS1_30default_config_static_selectorELNS0_4arch9wavefront6targetE1EEEvSK_
                                        ; -- End function
	.set _ZN7rocprim17ROCPRIM_400000_NS6detail17trampoline_kernelINS0_14default_configENS1_22reduce_config_selectorImEEZNS1_11reduce_implILb1ES3_N6thrust23THRUST_200600_302600_NS6detail15normal_iteratorINS8_10device_ptrImEEEEPmm11plus_mod_10ImEEE10hipError_tPvRmT1_T2_T3_mT4_P12ihipStream_tbEUlT_E0_NS1_11comp_targetILNS1_3genE10ELNS1_11target_archE1200ELNS1_3gpuE4ELNS1_3repE0EEENS1_30default_config_static_selectorELNS0_4arch9wavefront6targetE1EEEvSK_.num_vgpr, 0
	.set _ZN7rocprim17ROCPRIM_400000_NS6detail17trampoline_kernelINS0_14default_configENS1_22reduce_config_selectorImEEZNS1_11reduce_implILb1ES3_N6thrust23THRUST_200600_302600_NS6detail15normal_iteratorINS8_10device_ptrImEEEEPmm11plus_mod_10ImEEE10hipError_tPvRmT1_T2_T3_mT4_P12ihipStream_tbEUlT_E0_NS1_11comp_targetILNS1_3genE10ELNS1_11target_archE1200ELNS1_3gpuE4ELNS1_3repE0EEENS1_30default_config_static_selectorELNS0_4arch9wavefront6targetE1EEEvSK_.num_agpr, 0
	.set _ZN7rocprim17ROCPRIM_400000_NS6detail17trampoline_kernelINS0_14default_configENS1_22reduce_config_selectorImEEZNS1_11reduce_implILb1ES3_N6thrust23THRUST_200600_302600_NS6detail15normal_iteratorINS8_10device_ptrImEEEEPmm11plus_mod_10ImEEE10hipError_tPvRmT1_T2_T3_mT4_P12ihipStream_tbEUlT_E0_NS1_11comp_targetILNS1_3genE10ELNS1_11target_archE1200ELNS1_3gpuE4ELNS1_3repE0EEENS1_30default_config_static_selectorELNS0_4arch9wavefront6targetE1EEEvSK_.numbered_sgpr, 0
	.set _ZN7rocprim17ROCPRIM_400000_NS6detail17trampoline_kernelINS0_14default_configENS1_22reduce_config_selectorImEEZNS1_11reduce_implILb1ES3_N6thrust23THRUST_200600_302600_NS6detail15normal_iteratorINS8_10device_ptrImEEEEPmm11plus_mod_10ImEEE10hipError_tPvRmT1_T2_T3_mT4_P12ihipStream_tbEUlT_E0_NS1_11comp_targetILNS1_3genE10ELNS1_11target_archE1200ELNS1_3gpuE4ELNS1_3repE0EEENS1_30default_config_static_selectorELNS0_4arch9wavefront6targetE1EEEvSK_.num_named_barrier, 0
	.set _ZN7rocprim17ROCPRIM_400000_NS6detail17trampoline_kernelINS0_14default_configENS1_22reduce_config_selectorImEEZNS1_11reduce_implILb1ES3_N6thrust23THRUST_200600_302600_NS6detail15normal_iteratorINS8_10device_ptrImEEEEPmm11plus_mod_10ImEEE10hipError_tPvRmT1_T2_T3_mT4_P12ihipStream_tbEUlT_E0_NS1_11comp_targetILNS1_3genE10ELNS1_11target_archE1200ELNS1_3gpuE4ELNS1_3repE0EEENS1_30default_config_static_selectorELNS0_4arch9wavefront6targetE1EEEvSK_.private_seg_size, 0
	.set _ZN7rocprim17ROCPRIM_400000_NS6detail17trampoline_kernelINS0_14default_configENS1_22reduce_config_selectorImEEZNS1_11reduce_implILb1ES3_N6thrust23THRUST_200600_302600_NS6detail15normal_iteratorINS8_10device_ptrImEEEEPmm11plus_mod_10ImEEE10hipError_tPvRmT1_T2_T3_mT4_P12ihipStream_tbEUlT_E0_NS1_11comp_targetILNS1_3genE10ELNS1_11target_archE1200ELNS1_3gpuE4ELNS1_3repE0EEENS1_30default_config_static_selectorELNS0_4arch9wavefront6targetE1EEEvSK_.uses_vcc, 0
	.set _ZN7rocprim17ROCPRIM_400000_NS6detail17trampoline_kernelINS0_14default_configENS1_22reduce_config_selectorImEEZNS1_11reduce_implILb1ES3_N6thrust23THRUST_200600_302600_NS6detail15normal_iteratorINS8_10device_ptrImEEEEPmm11plus_mod_10ImEEE10hipError_tPvRmT1_T2_T3_mT4_P12ihipStream_tbEUlT_E0_NS1_11comp_targetILNS1_3genE10ELNS1_11target_archE1200ELNS1_3gpuE4ELNS1_3repE0EEENS1_30default_config_static_selectorELNS0_4arch9wavefront6targetE1EEEvSK_.uses_flat_scratch, 0
	.set _ZN7rocprim17ROCPRIM_400000_NS6detail17trampoline_kernelINS0_14default_configENS1_22reduce_config_selectorImEEZNS1_11reduce_implILb1ES3_N6thrust23THRUST_200600_302600_NS6detail15normal_iteratorINS8_10device_ptrImEEEEPmm11plus_mod_10ImEEE10hipError_tPvRmT1_T2_T3_mT4_P12ihipStream_tbEUlT_E0_NS1_11comp_targetILNS1_3genE10ELNS1_11target_archE1200ELNS1_3gpuE4ELNS1_3repE0EEENS1_30default_config_static_selectorELNS0_4arch9wavefront6targetE1EEEvSK_.has_dyn_sized_stack, 0
	.set _ZN7rocprim17ROCPRIM_400000_NS6detail17trampoline_kernelINS0_14default_configENS1_22reduce_config_selectorImEEZNS1_11reduce_implILb1ES3_N6thrust23THRUST_200600_302600_NS6detail15normal_iteratorINS8_10device_ptrImEEEEPmm11plus_mod_10ImEEE10hipError_tPvRmT1_T2_T3_mT4_P12ihipStream_tbEUlT_E0_NS1_11comp_targetILNS1_3genE10ELNS1_11target_archE1200ELNS1_3gpuE4ELNS1_3repE0EEENS1_30default_config_static_selectorELNS0_4arch9wavefront6targetE1EEEvSK_.has_recursion, 0
	.set _ZN7rocprim17ROCPRIM_400000_NS6detail17trampoline_kernelINS0_14default_configENS1_22reduce_config_selectorImEEZNS1_11reduce_implILb1ES3_N6thrust23THRUST_200600_302600_NS6detail15normal_iteratorINS8_10device_ptrImEEEEPmm11plus_mod_10ImEEE10hipError_tPvRmT1_T2_T3_mT4_P12ihipStream_tbEUlT_E0_NS1_11comp_targetILNS1_3genE10ELNS1_11target_archE1200ELNS1_3gpuE4ELNS1_3repE0EEENS1_30default_config_static_selectorELNS0_4arch9wavefront6targetE1EEEvSK_.has_indirect_call, 0
	.section	.AMDGPU.csdata,"",@progbits
; Kernel info:
; codeLenInByte = 0
; TotalNumSgprs: 6
; NumVgprs: 0
; NumAgprs: 0
; TotalNumVgprs: 0
; ScratchSize: 0
; MemoryBound: 0
; FloatMode: 240
; IeeeMode: 1
; LDSByteSize: 0 bytes/workgroup (compile time only)
; SGPRBlocks: 0
; VGPRBlocks: 0
; NumSGPRsForWavesPerEU: 6
; NumVGPRsForWavesPerEU: 1
; AccumOffset: 4
; Occupancy: 8
; WaveLimiterHint : 0
; COMPUTE_PGM_RSRC2:SCRATCH_EN: 0
; COMPUTE_PGM_RSRC2:USER_SGPR: 2
; COMPUTE_PGM_RSRC2:TRAP_HANDLER: 0
; COMPUTE_PGM_RSRC2:TGID_X_EN: 1
; COMPUTE_PGM_RSRC2:TGID_Y_EN: 0
; COMPUTE_PGM_RSRC2:TGID_Z_EN: 0
; COMPUTE_PGM_RSRC2:TIDIG_COMP_CNT: 0
; COMPUTE_PGM_RSRC3_GFX90A:ACCUM_OFFSET: 0
; COMPUTE_PGM_RSRC3_GFX90A:TG_SPLIT: 0
	.section	.text._ZN7rocprim17ROCPRIM_400000_NS6detail17trampoline_kernelINS0_14default_configENS1_22reduce_config_selectorImEEZNS1_11reduce_implILb1ES3_N6thrust23THRUST_200600_302600_NS6detail15normal_iteratorINS8_10device_ptrImEEEEPmm11plus_mod_10ImEEE10hipError_tPvRmT1_T2_T3_mT4_P12ihipStream_tbEUlT_E0_NS1_11comp_targetILNS1_3genE9ELNS1_11target_archE1100ELNS1_3gpuE3ELNS1_3repE0EEENS1_30default_config_static_selectorELNS0_4arch9wavefront6targetE1EEEvSK_,"axG",@progbits,_ZN7rocprim17ROCPRIM_400000_NS6detail17trampoline_kernelINS0_14default_configENS1_22reduce_config_selectorImEEZNS1_11reduce_implILb1ES3_N6thrust23THRUST_200600_302600_NS6detail15normal_iteratorINS8_10device_ptrImEEEEPmm11plus_mod_10ImEEE10hipError_tPvRmT1_T2_T3_mT4_P12ihipStream_tbEUlT_E0_NS1_11comp_targetILNS1_3genE9ELNS1_11target_archE1100ELNS1_3gpuE3ELNS1_3repE0EEENS1_30default_config_static_selectorELNS0_4arch9wavefront6targetE1EEEvSK_,comdat
	.protected	_ZN7rocprim17ROCPRIM_400000_NS6detail17trampoline_kernelINS0_14default_configENS1_22reduce_config_selectorImEEZNS1_11reduce_implILb1ES3_N6thrust23THRUST_200600_302600_NS6detail15normal_iteratorINS8_10device_ptrImEEEEPmm11plus_mod_10ImEEE10hipError_tPvRmT1_T2_T3_mT4_P12ihipStream_tbEUlT_E0_NS1_11comp_targetILNS1_3genE9ELNS1_11target_archE1100ELNS1_3gpuE3ELNS1_3repE0EEENS1_30default_config_static_selectorELNS0_4arch9wavefront6targetE1EEEvSK_ ; -- Begin function _ZN7rocprim17ROCPRIM_400000_NS6detail17trampoline_kernelINS0_14default_configENS1_22reduce_config_selectorImEEZNS1_11reduce_implILb1ES3_N6thrust23THRUST_200600_302600_NS6detail15normal_iteratorINS8_10device_ptrImEEEEPmm11plus_mod_10ImEEE10hipError_tPvRmT1_T2_T3_mT4_P12ihipStream_tbEUlT_E0_NS1_11comp_targetILNS1_3genE9ELNS1_11target_archE1100ELNS1_3gpuE3ELNS1_3repE0EEENS1_30default_config_static_selectorELNS0_4arch9wavefront6targetE1EEEvSK_
	.globl	_ZN7rocprim17ROCPRIM_400000_NS6detail17trampoline_kernelINS0_14default_configENS1_22reduce_config_selectorImEEZNS1_11reduce_implILb1ES3_N6thrust23THRUST_200600_302600_NS6detail15normal_iteratorINS8_10device_ptrImEEEEPmm11plus_mod_10ImEEE10hipError_tPvRmT1_T2_T3_mT4_P12ihipStream_tbEUlT_E0_NS1_11comp_targetILNS1_3genE9ELNS1_11target_archE1100ELNS1_3gpuE3ELNS1_3repE0EEENS1_30default_config_static_selectorELNS0_4arch9wavefront6targetE1EEEvSK_
	.p2align	8
	.type	_ZN7rocprim17ROCPRIM_400000_NS6detail17trampoline_kernelINS0_14default_configENS1_22reduce_config_selectorImEEZNS1_11reduce_implILb1ES3_N6thrust23THRUST_200600_302600_NS6detail15normal_iteratorINS8_10device_ptrImEEEEPmm11plus_mod_10ImEEE10hipError_tPvRmT1_T2_T3_mT4_P12ihipStream_tbEUlT_E0_NS1_11comp_targetILNS1_3genE9ELNS1_11target_archE1100ELNS1_3gpuE3ELNS1_3repE0EEENS1_30default_config_static_selectorELNS0_4arch9wavefront6targetE1EEEvSK_,@function
_ZN7rocprim17ROCPRIM_400000_NS6detail17trampoline_kernelINS0_14default_configENS1_22reduce_config_selectorImEEZNS1_11reduce_implILb1ES3_N6thrust23THRUST_200600_302600_NS6detail15normal_iteratorINS8_10device_ptrImEEEEPmm11plus_mod_10ImEEE10hipError_tPvRmT1_T2_T3_mT4_P12ihipStream_tbEUlT_E0_NS1_11comp_targetILNS1_3genE9ELNS1_11target_archE1100ELNS1_3gpuE3ELNS1_3repE0EEENS1_30default_config_static_selectorELNS0_4arch9wavefront6targetE1EEEvSK_: ; @_ZN7rocprim17ROCPRIM_400000_NS6detail17trampoline_kernelINS0_14default_configENS1_22reduce_config_selectorImEEZNS1_11reduce_implILb1ES3_N6thrust23THRUST_200600_302600_NS6detail15normal_iteratorINS8_10device_ptrImEEEEPmm11plus_mod_10ImEEE10hipError_tPvRmT1_T2_T3_mT4_P12ihipStream_tbEUlT_E0_NS1_11comp_targetILNS1_3genE9ELNS1_11target_archE1100ELNS1_3gpuE3ELNS1_3repE0EEENS1_30default_config_static_selectorELNS0_4arch9wavefront6targetE1EEEvSK_
; %bb.0:
	.section	.rodata,"a",@progbits
	.p2align	6, 0x0
	.amdhsa_kernel _ZN7rocprim17ROCPRIM_400000_NS6detail17trampoline_kernelINS0_14default_configENS1_22reduce_config_selectorImEEZNS1_11reduce_implILb1ES3_N6thrust23THRUST_200600_302600_NS6detail15normal_iteratorINS8_10device_ptrImEEEEPmm11plus_mod_10ImEEE10hipError_tPvRmT1_T2_T3_mT4_P12ihipStream_tbEUlT_E0_NS1_11comp_targetILNS1_3genE9ELNS1_11target_archE1100ELNS1_3gpuE3ELNS1_3repE0EEENS1_30default_config_static_selectorELNS0_4arch9wavefront6targetE1EEEvSK_
		.amdhsa_group_segment_fixed_size 0
		.amdhsa_private_segment_fixed_size 0
		.amdhsa_kernarg_size 64
		.amdhsa_user_sgpr_count 2
		.amdhsa_user_sgpr_dispatch_ptr 0
		.amdhsa_user_sgpr_queue_ptr 0
		.amdhsa_user_sgpr_kernarg_segment_ptr 1
		.amdhsa_user_sgpr_dispatch_id 0
		.amdhsa_user_sgpr_kernarg_preload_length 0
		.amdhsa_user_sgpr_kernarg_preload_offset 0
		.amdhsa_user_sgpr_private_segment_size 0
		.amdhsa_uses_dynamic_stack 0
		.amdhsa_enable_private_segment 0
		.amdhsa_system_sgpr_workgroup_id_x 1
		.amdhsa_system_sgpr_workgroup_id_y 0
		.amdhsa_system_sgpr_workgroup_id_z 0
		.amdhsa_system_sgpr_workgroup_info 0
		.amdhsa_system_vgpr_workitem_id 0
		.amdhsa_next_free_vgpr 1
		.amdhsa_next_free_sgpr 0
		.amdhsa_accum_offset 4
		.amdhsa_reserve_vcc 0
		.amdhsa_float_round_mode_32 0
		.amdhsa_float_round_mode_16_64 0
		.amdhsa_float_denorm_mode_32 3
		.amdhsa_float_denorm_mode_16_64 3
		.amdhsa_dx10_clamp 1
		.amdhsa_ieee_mode 1
		.amdhsa_fp16_overflow 0
		.amdhsa_tg_split 0
		.amdhsa_exception_fp_ieee_invalid_op 0
		.amdhsa_exception_fp_denorm_src 0
		.amdhsa_exception_fp_ieee_div_zero 0
		.amdhsa_exception_fp_ieee_overflow 0
		.amdhsa_exception_fp_ieee_underflow 0
		.amdhsa_exception_fp_ieee_inexact 0
		.amdhsa_exception_int_div_zero 0
	.end_amdhsa_kernel
	.section	.text._ZN7rocprim17ROCPRIM_400000_NS6detail17trampoline_kernelINS0_14default_configENS1_22reduce_config_selectorImEEZNS1_11reduce_implILb1ES3_N6thrust23THRUST_200600_302600_NS6detail15normal_iteratorINS8_10device_ptrImEEEEPmm11plus_mod_10ImEEE10hipError_tPvRmT1_T2_T3_mT4_P12ihipStream_tbEUlT_E0_NS1_11comp_targetILNS1_3genE9ELNS1_11target_archE1100ELNS1_3gpuE3ELNS1_3repE0EEENS1_30default_config_static_selectorELNS0_4arch9wavefront6targetE1EEEvSK_,"axG",@progbits,_ZN7rocprim17ROCPRIM_400000_NS6detail17trampoline_kernelINS0_14default_configENS1_22reduce_config_selectorImEEZNS1_11reduce_implILb1ES3_N6thrust23THRUST_200600_302600_NS6detail15normal_iteratorINS8_10device_ptrImEEEEPmm11plus_mod_10ImEEE10hipError_tPvRmT1_T2_T3_mT4_P12ihipStream_tbEUlT_E0_NS1_11comp_targetILNS1_3genE9ELNS1_11target_archE1100ELNS1_3gpuE3ELNS1_3repE0EEENS1_30default_config_static_selectorELNS0_4arch9wavefront6targetE1EEEvSK_,comdat
.Lfunc_end574:
	.size	_ZN7rocprim17ROCPRIM_400000_NS6detail17trampoline_kernelINS0_14default_configENS1_22reduce_config_selectorImEEZNS1_11reduce_implILb1ES3_N6thrust23THRUST_200600_302600_NS6detail15normal_iteratorINS8_10device_ptrImEEEEPmm11plus_mod_10ImEEE10hipError_tPvRmT1_T2_T3_mT4_P12ihipStream_tbEUlT_E0_NS1_11comp_targetILNS1_3genE9ELNS1_11target_archE1100ELNS1_3gpuE3ELNS1_3repE0EEENS1_30default_config_static_selectorELNS0_4arch9wavefront6targetE1EEEvSK_, .Lfunc_end574-_ZN7rocprim17ROCPRIM_400000_NS6detail17trampoline_kernelINS0_14default_configENS1_22reduce_config_selectorImEEZNS1_11reduce_implILb1ES3_N6thrust23THRUST_200600_302600_NS6detail15normal_iteratorINS8_10device_ptrImEEEEPmm11plus_mod_10ImEEE10hipError_tPvRmT1_T2_T3_mT4_P12ihipStream_tbEUlT_E0_NS1_11comp_targetILNS1_3genE9ELNS1_11target_archE1100ELNS1_3gpuE3ELNS1_3repE0EEENS1_30default_config_static_selectorELNS0_4arch9wavefront6targetE1EEEvSK_
                                        ; -- End function
	.set _ZN7rocprim17ROCPRIM_400000_NS6detail17trampoline_kernelINS0_14default_configENS1_22reduce_config_selectorImEEZNS1_11reduce_implILb1ES3_N6thrust23THRUST_200600_302600_NS6detail15normal_iteratorINS8_10device_ptrImEEEEPmm11plus_mod_10ImEEE10hipError_tPvRmT1_T2_T3_mT4_P12ihipStream_tbEUlT_E0_NS1_11comp_targetILNS1_3genE9ELNS1_11target_archE1100ELNS1_3gpuE3ELNS1_3repE0EEENS1_30default_config_static_selectorELNS0_4arch9wavefront6targetE1EEEvSK_.num_vgpr, 0
	.set _ZN7rocprim17ROCPRIM_400000_NS6detail17trampoline_kernelINS0_14default_configENS1_22reduce_config_selectorImEEZNS1_11reduce_implILb1ES3_N6thrust23THRUST_200600_302600_NS6detail15normal_iteratorINS8_10device_ptrImEEEEPmm11plus_mod_10ImEEE10hipError_tPvRmT1_T2_T3_mT4_P12ihipStream_tbEUlT_E0_NS1_11comp_targetILNS1_3genE9ELNS1_11target_archE1100ELNS1_3gpuE3ELNS1_3repE0EEENS1_30default_config_static_selectorELNS0_4arch9wavefront6targetE1EEEvSK_.num_agpr, 0
	.set _ZN7rocprim17ROCPRIM_400000_NS6detail17trampoline_kernelINS0_14default_configENS1_22reduce_config_selectorImEEZNS1_11reduce_implILb1ES3_N6thrust23THRUST_200600_302600_NS6detail15normal_iteratorINS8_10device_ptrImEEEEPmm11plus_mod_10ImEEE10hipError_tPvRmT1_T2_T3_mT4_P12ihipStream_tbEUlT_E0_NS1_11comp_targetILNS1_3genE9ELNS1_11target_archE1100ELNS1_3gpuE3ELNS1_3repE0EEENS1_30default_config_static_selectorELNS0_4arch9wavefront6targetE1EEEvSK_.numbered_sgpr, 0
	.set _ZN7rocprim17ROCPRIM_400000_NS6detail17trampoline_kernelINS0_14default_configENS1_22reduce_config_selectorImEEZNS1_11reduce_implILb1ES3_N6thrust23THRUST_200600_302600_NS6detail15normal_iteratorINS8_10device_ptrImEEEEPmm11plus_mod_10ImEEE10hipError_tPvRmT1_T2_T3_mT4_P12ihipStream_tbEUlT_E0_NS1_11comp_targetILNS1_3genE9ELNS1_11target_archE1100ELNS1_3gpuE3ELNS1_3repE0EEENS1_30default_config_static_selectorELNS0_4arch9wavefront6targetE1EEEvSK_.num_named_barrier, 0
	.set _ZN7rocprim17ROCPRIM_400000_NS6detail17trampoline_kernelINS0_14default_configENS1_22reduce_config_selectorImEEZNS1_11reduce_implILb1ES3_N6thrust23THRUST_200600_302600_NS6detail15normal_iteratorINS8_10device_ptrImEEEEPmm11plus_mod_10ImEEE10hipError_tPvRmT1_T2_T3_mT4_P12ihipStream_tbEUlT_E0_NS1_11comp_targetILNS1_3genE9ELNS1_11target_archE1100ELNS1_3gpuE3ELNS1_3repE0EEENS1_30default_config_static_selectorELNS0_4arch9wavefront6targetE1EEEvSK_.private_seg_size, 0
	.set _ZN7rocprim17ROCPRIM_400000_NS6detail17trampoline_kernelINS0_14default_configENS1_22reduce_config_selectorImEEZNS1_11reduce_implILb1ES3_N6thrust23THRUST_200600_302600_NS6detail15normal_iteratorINS8_10device_ptrImEEEEPmm11plus_mod_10ImEEE10hipError_tPvRmT1_T2_T3_mT4_P12ihipStream_tbEUlT_E0_NS1_11comp_targetILNS1_3genE9ELNS1_11target_archE1100ELNS1_3gpuE3ELNS1_3repE0EEENS1_30default_config_static_selectorELNS0_4arch9wavefront6targetE1EEEvSK_.uses_vcc, 0
	.set _ZN7rocprim17ROCPRIM_400000_NS6detail17trampoline_kernelINS0_14default_configENS1_22reduce_config_selectorImEEZNS1_11reduce_implILb1ES3_N6thrust23THRUST_200600_302600_NS6detail15normal_iteratorINS8_10device_ptrImEEEEPmm11plus_mod_10ImEEE10hipError_tPvRmT1_T2_T3_mT4_P12ihipStream_tbEUlT_E0_NS1_11comp_targetILNS1_3genE9ELNS1_11target_archE1100ELNS1_3gpuE3ELNS1_3repE0EEENS1_30default_config_static_selectorELNS0_4arch9wavefront6targetE1EEEvSK_.uses_flat_scratch, 0
	.set _ZN7rocprim17ROCPRIM_400000_NS6detail17trampoline_kernelINS0_14default_configENS1_22reduce_config_selectorImEEZNS1_11reduce_implILb1ES3_N6thrust23THRUST_200600_302600_NS6detail15normal_iteratorINS8_10device_ptrImEEEEPmm11plus_mod_10ImEEE10hipError_tPvRmT1_T2_T3_mT4_P12ihipStream_tbEUlT_E0_NS1_11comp_targetILNS1_3genE9ELNS1_11target_archE1100ELNS1_3gpuE3ELNS1_3repE0EEENS1_30default_config_static_selectorELNS0_4arch9wavefront6targetE1EEEvSK_.has_dyn_sized_stack, 0
	.set _ZN7rocprim17ROCPRIM_400000_NS6detail17trampoline_kernelINS0_14default_configENS1_22reduce_config_selectorImEEZNS1_11reduce_implILb1ES3_N6thrust23THRUST_200600_302600_NS6detail15normal_iteratorINS8_10device_ptrImEEEEPmm11plus_mod_10ImEEE10hipError_tPvRmT1_T2_T3_mT4_P12ihipStream_tbEUlT_E0_NS1_11comp_targetILNS1_3genE9ELNS1_11target_archE1100ELNS1_3gpuE3ELNS1_3repE0EEENS1_30default_config_static_selectorELNS0_4arch9wavefront6targetE1EEEvSK_.has_recursion, 0
	.set _ZN7rocprim17ROCPRIM_400000_NS6detail17trampoline_kernelINS0_14default_configENS1_22reduce_config_selectorImEEZNS1_11reduce_implILb1ES3_N6thrust23THRUST_200600_302600_NS6detail15normal_iteratorINS8_10device_ptrImEEEEPmm11plus_mod_10ImEEE10hipError_tPvRmT1_T2_T3_mT4_P12ihipStream_tbEUlT_E0_NS1_11comp_targetILNS1_3genE9ELNS1_11target_archE1100ELNS1_3gpuE3ELNS1_3repE0EEENS1_30default_config_static_selectorELNS0_4arch9wavefront6targetE1EEEvSK_.has_indirect_call, 0
	.section	.AMDGPU.csdata,"",@progbits
; Kernel info:
; codeLenInByte = 0
; TotalNumSgprs: 6
; NumVgprs: 0
; NumAgprs: 0
; TotalNumVgprs: 0
; ScratchSize: 0
; MemoryBound: 0
; FloatMode: 240
; IeeeMode: 1
; LDSByteSize: 0 bytes/workgroup (compile time only)
; SGPRBlocks: 0
; VGPRBlocks: 0
; NumSGPRsForWavesPerEU: 6
; NumVGPRsForWavesPerEU: 1
; AccumOffset: 4
; Occupancy: 8
; WaveLimiterHint : 0
; COMPUTE_PGM_RSRC2:SCRATCH_EN: 0
; COMPUTE_PGM_RSRC2:USER_SGPR: 2
; COMPUTE_PGM_RSRC2:TRAP_HANDLER: 0
; COMPUTE_PGM_RSRC2:TGID_X_EN: 1
; COMPUTE_PGM_RSRC2:TGID_Y_EN: 0
; COMPUTE_PGM_RSRC2:TGID_Z_EN: 0
; COMPUTE_PGM_RSRC2:TIDIG_COMP_CNT: 0
; COMPUTE_PGM_RSRC3_GFX90A:ACCUM_OFFSET: 0
; COMPUTE_PGM_RSRC3_GFX90A:TG_SPLIT: 0
	.section	.text._ZN7rocprim17ROCPRIM_400000_NS6detail17trampoline_kernelINS0_14default_configENS1_22reduce_config_selectorImEEZNS1_11reduce_implILb1ES3_N6thrust23THRUST_200600_302600_NS6detail15normal_iteratorINS8_10device_ptrImEEEEPmm11plus_mod_10ImEEE10hipError_tPvRmT1_T2_T3_mT4_P12ihipStream_tbEUlT_E0_NS1_11comp_targetILNS1_3genE8ELNS1_11target_archE1030ELNS1_3gpuE2ELNS1_3repE0EEENS1_30default_config_static_selectorELNS0_4arch9wavefront6targetE1EEEvSK_,"axG",@progbits,_ZN7rocprim17ROCPRIM_400000_NS6detail17trampoline_kernelINS0_14default_configENS1_22reduce_config_selectorImEEZNS1_11reduce_implILb1ES3_N6thrust23THRUST_200600_302600_NS6detail15normal_iteratorINS8_10device_ptrImEEEEPmm11plus_mod_10ImEEE10hipError_tPvRmT1_T2_T3_mT4_P12ihipStream_tbEUlT_E0_NS1_11comp_targetILNS1_3genE8ELNS1_11target_archE1030ELNS1_3gpuE2ELNS1_3repE0EEENS1_30default_config_static_selectorELNS0_4arch9wavefront6targetE1EEEvSK_,comdat
	.protected	_ZN7rocprim17ROCPRIM_400000_NS6detail17trampoline_kernelINS0_14default_configENS1_22reduce_config_selectorImEEZNS1_11reduce_implILb1ES3_N6thrust23THRUST_200600_302600_NS6detail15normal_iteratorINS8_10device_ptrImEEEEPmm11plus_mod_10ImEEE10hipError_tPvRmT1_T2_T3_mT4_P12ihipStream_tbEUlT_E0_NS1_11comp_targetILNS1_3genE8ELNS1_11target_archE1030ELNS1_3gpuE2ELNS1_3repE0EEENS1_30default_config_static_selectorELNS0_4arch9wavefront6targetE1EEEvSK_ ; -- Begin function _ZN7rocprim17ROCPRIM_400000_NS6detail17trampoline_kernelINS0_14default_configENS1_22reduce_config_selectorImEEZNS1_11reduce_implILb1ES3_N6thrust23THRUST_200600_302600_NS6detail15normal_iteratorINS8_10device_ptrImEEEEPmm11plus_mod_10ImEEE10hipError_tPvRmT1_T2_T3_mT4_P12ihipStream_tbEUlT_E0_NS1_11comp_targetILNS1_3genE8ELNS1_11target_archE1030ELNS1_3gpuE2ELNS1_3repE0EEENS1_30default_config_static_selectorELNS0_4arch9wavefront6targetE1EEEvSK_
	.globl	_ZN7rocprim17ROCPRIM_400000_NS6detail17trampoline_kernelINS0_14default_configENS1_22reduce_config_selectorImEEZNS1_11reduce_implILb1ES3_N6thrust23THRUST_200600_302600_NS6detail15normal_iteratorINS8_10device_ptrImEEEEPmm11plus_mod_10ImEEE10hipError_tPvRmT1_T2_T3_mT4_P12ihipStream_tbEUlT_E0_NS1_11comp_targetILNS1_3genE8ELNS1_11target_archE1030ELNS1_3gpuE2ELNS1_3repE0EEENS1_30default_config_static_selectorELNS0_4arch9wavefront6targetE1EEEvSK_
	.p2align	8
	.type	_ZN7rocprim17ROCPRIM_400000_NS6detail17trampoline_kernelINS0_14default_configENS1_22reduce_config_selectorImEEZNS1_11reduce_implILb1ES3_N6thrust23THRUST_200600_302600_NS6detail15normal_iteratorINS8_10device_ptrImEEEEPmm11plus_mod_10ImEEE10hipError_tPvRmT1_T2_T3_mT4_P12ihipStream_tbEUlT_E0_NS1_11comp_targetILNS1_3genE8ELNS1_11target_archE1030ELNS1_3gpuE2ELNS1_3repE0EEENS1_30default_config_static_selectorELNS0_4arch9wavefront6targetE1EEEvSK_,@function
_ZN7rocprim17ROCPRIM_400000_NS6detail17trampoline_kernelINS0_14default_configENS1_22reduce_config_selectorImEEZNS1_11reduce_implILb1ES3_N6thrust23THRUST_200600_302600_NS6detail15normal_iteratorINS8_10device_ptrImEEEEPmm11plus_mod_10ImEEE10hipError_tPvRmT1_T2_T3_mT4_P12ihipStream_tbEUlT_E0_NS1_11comp_targetILNS1_3genE8ELNS1_11target_archE1030ELNS1_3gpuE2ELNS1_3repE0EEENS1_30default_config_static_selectorELNS0_4arch9wavefront6targetE1EEEvSK_: ; @_ZN7rocprim17ROCPRIM_400000_NS6detail17trampoline_kernelINS0_14default_configENS1_22reduce_config_selectorImEEZNS1_11reduce_implILb1ES3_N6thrust23THRUST_200600_302600_NS6detail15normal_iteratorINS8_10device_ptrImEEEEPmm11plus_mod_10ImEEE10hipError_tPvRmT1_T2_T3_mT4_P12ihipStream_tbEUlT_E0_NS1_11comp_targetILNS1_3genE8ELNS1_11target_archE1030ELNS1_3gpuE2ELNS1_3repE0EEENS1_30default_config_static_selectorELNS0_4arch9wavefront6targetE1EEEvSK_
; %bb.0:
	.section	.rodata,"a",@progbits
	.p2align	6, 0x0
	.amdhsa_kernel _ZN7rocprim17ROCPRIM_400000_NS6detail17trampoline_kernelINS0_14default_configENS1_22reduce_config_selectorImEEZNS1_11reduce_implILb1ES3_N6thrust23THRUST_200600_302600_NS6detail15normal_iteratorINS8_10device_ptrImEEEEPmm11plus_mod_10ImEEE10hipError_tPvRmT1_T2_T3_mT4_P12ihipStream_tbEUlT_E0_NS1_11comp_targetILNS1_3genE8ELNS1_11target_archE1030ELNS1_3gpuE2ELNS1_3repE0EEENS1_30default_config_static_selectorELNS0_4arch9wavefront6targetE1EEEvSK_
		.amdhsa_group_segment_fixed_size 0
		.amdhsa_private_segment_fixed_size 0
		.amdhsa_kernarg_size 64
		.amdhsa_user_sgpr_count 2
		.amdhsa_user_sgpr_dispatch_ptr 0
		.amdhsa_user_sgpr_queue_ptr 0
		.amdhsa_user_sgpr_kernarg_segment_ptr 1
		.amdhsa_user_sgpr_dispatch_id 0
		.amdhsa_user_sgpr_kernarg_preload_length 0
		.amdhsa_user_sgpr_kernarg_preload_offset 0
		.amdhsa_user_sgpr_private_segment_size 0
		.amdhsa_uses_dynamic_stack 0
		.amdhsa_enable_private_segment 0
		.amdhsa_system_sgpr_workgroup_id_x 1
		.amdhsa_system_sgpr_workgroup_id_y 0
		.amdhsa_system_sgpr_workgroup_id_z 0
		.amdhsa_system_sgpr_workgroup_info 0
		.amdhsa_system_vgpr_workitem_id 0
		.amdhsa_next_free_vgpr 1
		.amdhsa_next_free_sgpr 0
		.amdhsa_accum_offset 4
		.amdhsa_reserve_vcc 0
		.amdhsa_float_round_mode_32 0
		.amdhsa_float_round_mode_16_64 0
		.amdhsa_float_denorm_mode_32 3
		.amdhsa_float_denorm_mode_16_64 3
		.amdhsa_dx10_clamp 1
		.amdhsa_ieee_mode 1
		.amdhsa_fp16_overflow 0
		.amdhsa_tg_split 0
		.amdhsa_exception_fp_ieee_invalid_op 0
		.amdhsa_exception_fp_denorm_src 0
		.amdhsa_exception_fp_ieee_div_zero 0
		.amdhsa_exception_fp_ieee_overflow 0
		.amdhsa_exception_fp_ieee_underflow 0
		.amdhsa_exception_fp_ieee_inexact 0
		.amdhsa_exception_int_div_zero 0
	.end_amdhsa_kernel
	.section	.text._ZN7rocprim17ROCPRIM_400000_NS6detail17trampoline_kernelINS0_14default_configENS1_22reduce_config_selectorImEEZNS1_11reduce_implILb1ES3_N6thrust23THRUST_200600_302600_NS6detail15normal_iteratorINS8_10device_ptrImEEEEPmm11plus_mod_10ImEEE10hipError_tPvRmT1_T2_T3_mT4_P12ihipStream_tbEUlT_E0_NS1_11comp_targetILNS1_3genE8ELNS1_11target_archE1030ELNS1_3gpuE2ELNS1_3repE0EEENS1_30default_config_static_selectorELNS0_4arch9wavefront6targetE1EEEvSK_,"axG",@progbits,_ZN7rocprim17ROCPRIM_400000_NS6detail17trampoline_kernelINS0_14default_configENS1_22reduce_config_selectorImEEZNS1_11reduce_implILb1ES3_N6thrust23THRUST_200600_302600_NS6detail15normal_iteratorINS8_10device_ptrImEEEEPmm11plus_mod_10ImEEE10hipError_tPvRmT1_T2_T3_mT4_P12ihipStream_tbEUlT_E0_NS1_11comp_targetILNS1_3genE8ELNS1_11target_archE1030ELNS1_3gpuE2ELNS1_3repE0EEENS1_30default_config_static_selectorELNS0_4arch9wavefront6targetE1EEEvSK_,comdat
.Lfunc_end575:
	.size	_ZN7rocprim17ROCPRIM_400000_NS6detail17trampoline_kernelINS0_14default_configENS1_22reduce_config_selectorImEEZNS1_11reduce_implILb1ES3_N6thrust23THRUST_200600_302600_NS6detail15normal_iteratorINS8_10device_ptrImEEEEPmm11plus_mod_10ImEEE10hipError_tPvRmT1_T2_T3_mT4_P12ihipStream_tbEUlT_E0_NS1_11comp_targetILNS1_3genE8ELNS1_11target_archE1030ELNS1_3gpuE2ELNS1_3repE0EEENS1_30default_config_static_selectorELNS0_4arch9wavefront6targetE1EEEvSK_, .Lfunc_end575-_ZN7rocprim17ROCPRIM_400000_NS6detail17trampoline_kernelINS0_14default_configENS1_22reduce_config_selectorImEEZNS1_11reduce_implILb1ES3_N6thrust23THRUST_200600_302600_NS6detail15normal_iteratorINS8_10device_ptrImEEEEPmm11plus_mod_10ImEEE10hipError_tPvRmT1_T2_T3_mT4_P12ihipStream_tbEUlT_E0_NS1_11comp_targetILNS1_3genE8ELNS1_11target_archE1030ELNS1_3gpuE2ELNS1_3repE0EEENS1_30default_config_static_selectorELNS0_4arch9wavefront6targetE1EEEvSK_
                                        ; -- End function
	.set _ZN7rocprim17ROCPRIM_400000_NS6detail17trampoline_kernelINS0_14default_configENS1_22reduce_config_selectorImEEZNS1_11reduce_implILb1ES3_N6thrust23THRUST_200600_302600_NS6detail15normal_iteratorINS8_10device_ptrImEEEEPmm11plus_mod_10ImEEE10hipError_tPvRmT1_T2_T3_mT4_P12ihipStream_tbEUlT_E0_NS1_11comp_targetILNS1_3genE8ELNS1_11target_archE1030ELNS1_3gpuE2ELNS1_3repE0EEENS1_30default_config_static_selectorELNS0_4arch9wavefront6targetE1EEEvSK_.num_vgpr, 0
	.set _ZN7rocprim17ROCPRIM_400000_NS6detail17trampoline_kernelINS0_14default_configENS1_22reduce_config_selectorImEEZNS1_11reduce_implILb1ES3_N6thrust23THRUST_200600_302600_NS6detail15normal_iteratorINS8_10device_ptrImEEEEPmm11plus_mod_10ImEEE10hipError_tPvRmT1_T2_T3_mT4_P12ihipStream_tbEUlT_E0_NS1_11comp_targetILNS1_3genE8ELNS1_11target_archE1030ELNS1_3gpuE2ELNS1_3repE0EEENS1_30default_config_static_selectorELNS0_4arch9wavefront6targetE1EEEvSK_.num_agpr, 0
	.set _ZN7rocprim17ROCPRIM_400000_NS6detail17trampoline_kernelINS0_14default_configENS1_22reduce_config_selectorImEEZNS1_11reduce_implILb1ES3_N6thrust23THRUST_200600_302600_NS6detail15normal_iteratorINS8_10device_ptrImEEEEPmm11plus_mod_10ImEEE10hipError_tPvRmT1_T2_T3_mT4_P12ihipStream_tbEUlT_E0_NS1_11comp_targetILNS1_3genE8ELNS1_11target_archE1030ELNS1_3gpuE2ELNS1_3repE0EEENS1_30default_config_static_selectorELNS0_4arch9wavefront6targetE1EEEvSK_.numbered_sgpr, 0
	.set _ZN7rocprim17ROCPRIM_400000_NS6detail17trampoline_kernelINS0_14default_configENS1_22reduce_config_selectorImEEZNS1_11reduce_implILb1ES3_N6thrust23THRUST_200600_302600_NS6detail15normal_iteratorINS8_10device_ptrImEEEEPmm11plus_mod_10ImEEE10hipError_tPvRmT1_T2_T3_mT4_P12ihipStream_tbEUlT_E0_NS1_11comp_targetILNS1_3genE8ELNS1_11target_archE1030ELNS1_3gpuE2ELNS1_3repE0EEENS1_30default_config_static_selectorELNS0_4arch9wavefront6targetE1EEEvSK_.num_named_barrier, 0
	.set _ZN7rocprim17ROCPRIM_400000_NS6detail17trampoline_kernelINS0_14default_configENS1_22reduce_config_selectorImEEZNS1_11reduce_implILb1ES3_N6thrust23THRUST_200600_302600_NS6detail15normal_iteratorINS8_10device_ptrImEEEEPmm11plus_mod_10ImEEE10hipError_tPvRmT1_T2_T3_mT4_P12ihipStream_tbEUlT_E0_NS1_11comp_targetILNS1_3genE8ELNS1_11target_archE1030ELNS1_3gpuE2ELNS1_3repE0EEENS1_30default_config_static_selectorELNS0_4arch9wavefront6targetE1EEEvSK_.private_seg_size, 0
	.set _ZN7rocprim17ROCPRIM_400000_NS6detail17trampoline_kernelINS0_14default_configENS1_22reduce_config_selectorImEEZNS1_11reduce_implILb1ES3_N6thrust23THRUST_200600_302600_NS6detail15normal_iteratorINS8_10device_ptrImEEEEPmm11plus_mod_10ImEEE10hipError_tPvRmT1_T2_T3_mT4_P12ihipStream_tbEUlT_E0_NS1_11comp_targetILNS1_3genE8ELNS1_11target_archE1030ELNS1_3gpuE2ELNS1_3repE0EEENS1_30default_config_static_selectorELNS0_4arch9wavefront6targetE1EEEvSK_.uses_vcc, 0
	.set _ZN7rocprim17ROCPRIM_400000_NS6detail17trampoline_kernelINS0_14default_configENS1_22reduce_config_selectorImEEZNS1_11reduce_implILb1ES3_N6thrust23THRUST_200600_302600_NS6detail15normal_iteratorINS8_10device_ptrImEEEEPmm11plus_mod_10ImEEE10hipError_tPvRmT1_T2_T3_mT4_P12ihipStream_tbEUlT_E0_NS1_11comp_targetILNS1_3genE8ELNS1_11target_archE1030ELNS1_3gpuE2ELNS1_3repE0EEENS1_30default_config_static_selectorELNS0_4arch9wavefront6targetE1EEEvSK_.uses_flat_scratch, 0
	.set _ZN7rocprim17ROCPRIM_400000_NS6detail17trampoline_kernelINS0_14default_configENS1_22reduce_config_selectorImEEZNS1_11reduce_implILb1ES3_N6thrust23THRUST_200600_302600_NS6detail15normal_iteratorINS8_10device_ptrImEEEEPmm11plus_mod_10ImEEE10hipError_tPvRmT1_T2_T3_mT4_P12ihipStream_tbEUlT_E0_NS1_11comp_targetILNS1_3genE8ELNS1_11target_archE1030ELNS1_3gpuE2ELNS1_3repE0EEENS1_30default_config_static_selectorELNS0_4arch9wavefront6targetE1EEEvSK_.has_dyn_sized_stack, 0
	.set _ZN7rocprim17ROCPRIM_400000_NS6detail17trampoline_kernelINS0_14default_configENS1_22reduce_config_selectorImEEZNS1_11reduce_implILb1ES3_N6thrust23THRUST_200600_302600_NS6detail15normal_iteratorINS8_10device_ptrImEEEEPmm11plus_mod_10ImEEE10hipError_tPvRmT1_T2_T3_mT4_P12ihipStream_tbEUlT_E0_NS1_11comp_targetILNS1_3genE8ELNS1_11target_archE1030ELNS1_3gpuE2ELNS1_3repE0EEENS1_30default_config_static_selectorELNS0_4arch9wavefront6targetE1EEEvSK_.has_recursion, 0
	.set _ZN7rocprim17ROCPRIM_400000_NS6detail17trampoline_kernelINS0_14default_configENS1_22reduce_config_selectorImEEZNS1_11reduce_implILb1ES3_N6thrust23THRUST_200600_302600_NS6detail15normal_iteratorINS8_10device_ptrImEEEEPmm11plus_mod_10ImEEE10hipError_tPvRmT1_T2_T3_mT4_P12ihipStream_tbEUlT_E0_NS1_11comp_targetILNS1_3genE8ELNS1_11target_archE1030ELNS1_3gpuE2ELNS1_3repE0EEENS1_30default_config_static_selectorELNS0_4arch9wavefront6targetE1EEEvSK_.has_indirect_call, 0
	.section	.AMDGPU.csdata,"",@progbits
; Kernel info:
; codeLenInByte = 0
; TotalNumSgprs: 6
; NumVgprs: 0
; NumAgprs: 0
; TotalNumVgprs: 0
; ScratchSize: 0
; MemoryBound: 0
; FloatMode: 240
; IeeeMode: 1
; LDSByteSize: 0 bytes/workgroup (compile time only)
; SGPRBlocks: 0
; VGPRBlocks: 0
; NumSGPRsForWavesPerEU: 6
; NumVGPRsForWavesPerEU: 1
; AccumOffset: 4
; Occupancy: 8
; WaveLimiterHint : 0
; COMPUTE_PGM_RSRC2:SCRATCH_EN: 0
; COMPUTE_PGM_RSRC2:USER_SGPR: 2
; COMPUTE_PGM_RSRC2:TRAP_HANDLER: 0
; COMPUTE_PGM_RSRC2:TGID_X_EN: 1
; COMPUTE_PGM_RSRC2:TGID_Y_EN: 0
; COMPUTE_PGM_RSRC2:TGID_Z_EN: 0
; COMPUTE_PGM_RSRC2:TIDIG_COMP_CNT: 0
; COMPUTE_PGM_RSRC3_GFX90A:ACCUM_OFFSET: 0
; COMPUTE_PGM_RSRC3_GFX90A:TG_SPLIT: 0
	.section	.text._ZN7rocprim17ROCPRIM_400000_NS6detail17trampoline_kernelINS0_14default_configENS1_22reduce_config_selectorImEEZNS1_11reduce_implILb1ES3_N6thrust23THRUST_200600_302600_NS6detail15normal_iteratorINS8_10device_ptrImEEEEPmm11plus_mod_10ImEEE10hipError_tPvRmT1_T2_T3_mT4_P12ihipStream_tbEUlT_E1_NS1_11comp_targetILNS1_3genE0ELNS1_11target_archE4294967295ELNS1_3gpuE0ELNS1_3repE0EEENS1_30default_config_static_selectorELNS0_4arch9wavefront6targetE1EEEvSK_,"axG",@progbits,_ZN7rocprim17ROCPRIM_400000_NS6detail17trampoline_kernelINS0_14default_configENS1_22reduce_config_selectorImEEZNS1_11reduce_implILb1ES3_N6thrust23THRUST_200600_302600_NS6detail15normal_iteratorINS8_10device_ptrImEEEEPmm11plus_mod_10ImEEE10hipError_tPvRmT1_T2_T3_mT4_P12ihipStream_tbEUlT_E1_NS1_11comp_targetILNS1_3genE0ELNS1_11target_archE4294967295ELNS1_3gpuE0ELNS1_3repE0EEENS1_30default_config_static_selectorELNS0_4arch9wavefront6targetE1EEEvSK_,comdat
	.protected	_ZN7rocprim17ROCPRIM_400000_NS6detail17trampoline_kernelINS0_14default_configENS1_22reduce_config_selectorImEEZNS1_11reduce_implILb1ES3_N6thrust23THRUST_200600_302600_NS6detail15normal_iteratorINS8_10device_ptrImEEEEPmm11plus_mod_10ImEEE10hipError_tPvRmT1_T2_T3_mT4_P12ihipStream_tbEUlT_E1_NS1_11comp_targetILNS1_3genE0ELNS1_11target_archE4294967295ELNS1_3gpuE0ELNS1_3repE0EEENS1_30default_config_static_selectorELNS0_4arch9wavefront6targetE1EEEvSK_ ; -- Begin function _ZN7rocprim17ROCPRIM_400000_NS6detail17trampoline_kernelINS0_14default_configENS1_22reduce_config_selectorImEEZNS1_11reduce_implILb1ES3_N6thrust23THRUST_200600_302600_NS6detail15normal_iteratorINS8_10device_ptrImEEEEPmm11plus_mod_10ImEEE10hipError_tPvRmT1_T2_T3_mT4_P12ihipStream_tbEUlT_E1_NS1_11comp_targetILNS1_3genE0ELNS1_11target_archE4294967295ELNS1_3gpuE0ELNS1_3repE0EEENS1_30default_config_static_selectorELNS0_4arch9wavefront6targetE1EEEvSK_
	.globl	_ZN7rocprim17ROCPRIM_400000_NS6detail17trampoline_kernelINS0_14default_configENS1_22reduce_config_selectorImEEZNS1_11reduce_implILb1ES3_N6thrust23THRUST_200600_302600_NS6detail15normal_iteratorINS8_10device_ptrImEEEEPmm11plus_mod_10ImEEE10hipError_tPvRmT1_T2_T3_mT4_P12ihipStream_tbEUlT_E1_NS1_11comp_targetILNS1_3genE0ELNS1_11target_archE4294967295ELNS1_3gpuE0ELNS1_3repE0EEENS1_30default_config_static_selectorELNS0_4arch9wavefront6targetE1EEEvSK_
	.p2align	8
	.type	_ZN7rocprim17ROCPRIM_400000_NS6detail17trampoline_kernelINS0_14default_configENS1_22reduce_config_selectorImEEZNS1_11reduce_implILb1ES3_N6thrust23THRUST_200600_302600_NS6detail15normal_iteratorINS8_10device_ptrImEEEEPmm11plus_mod_10ImEEE10hipError_tPvRmT1_T2_T3_mT4_P12ihipStream_tbEUlT_E1_NS1_11comp_targetILNS1_3genE0ELNS1_11target_archE4294967295ELNS1_3gpuE0ELNS1_3repE0EEENS1_30default_config_static_selectorELNS0_4arch9wavefront6targetE1EEEvSK_,@function
_ZN7rocprim17ROCPRIM_400000_NS6detail17trampoline_kernelINS0_14default_configENS1_22reduce_config_selectorImEEZNS1_11reduce_implILb1ES3_N6thrust23THRUST_200600_302600_NS6detail15normal_iteratorINS8_10device_ptrImEEEEPmm11plus_mod_10ImEEE10hipError_tPvRmT1_T2_T3_mT4_P12ihipStream_tbEUlT_E1_NS1_11comp_targetILNS1_3genE0ELNS1_11target_archE4294967295ELNS1_3gpuE0ELNS1_3repE0EEENS1_30default_config_static_selectorELNS0_4arch9wavefront6targetE1EEEvSK_: ; @_ZN7rocprim17ROCPRIM_400000_NS6detail17trampoline_kernelINS0_14default_configENS1_22reduce_config_selectorImEEZNS1_11reduce_implILb1ES3_N6thrust23THRUST_200600_302600_NS6detail15normal_iteratorINS8_10device_ptrImEEEEPmm11plus_mod_10ImEEE10hipError_tPvRmT1_T2_T3_mT4_P12ihipStream_tbEUlT_E1_NS1_11comp_targetILNS1_3genE0ELNS1_11target_archE4294967295ELNS1_3gpuE0ELNS1_3repE0EEENS1_30default_config_static_selectorELNS0_4arch9wavefront6targetE1EEEvSK_
; %bb.0:
	s_load_dword s33, s[0:1], 0x4
	s_load_dwordx8 s[36:43], s[0:1], 0x8
	s_waitcnt lgkmcnt(0)
	s_cmp_lt_i32 s33, 4
	s_cbranch_scc1 .LBB576_10
; %bb.1:
	s_cmp_gt_i32 s33, 7
	s_cbranch_scc0 .LBB576_11
; %bb.2:
	s_cmp_gt_i32 s33, 15
	s_cbranch_scc0 .LBB576_12
; %bb.3:
	s_mov_b64 s[30:31], 0
	s_cmp_eq_u32 s33, 16
	s_mov_b64 s[14:15], 0
                                        ; implicit-def: $vgpr4_vgpr5
                                        ; implicit-def: $vgpr2_vgpr3
	s_cbranch_scc0 .LBB576_13
; %bb.4:
	s_mov_b32 s3, 0
	s_lshl_b32 s0, s2, 12
	s_mov_b32 s1, s3
	s_lshr_b64 s[4:5], s[38:39], 12
	s_lshl_b64 s[6:7], s[0:1], 3
	s_add_u32 s34, s36, s6
	s_addc_u32 s35, s37, s7
	s_cmp_lg_u64 s[4:5], s[2:3]
	s_cbranch_scc0 .LBB576_22
; %bb.5:
	v_lshlrev_b32_e32 v2, 3, v0
	global_load_dwordx2 v[22:23], v2, s[34:35] offset:2048
	global_load_dwordx2 v[24:25], v2, s[34:35]
	v_mov_b32_e32 v3, 0
	v_lshl_add_u64 v[4:5], s[34:35], 0, v[2:3]
	v_add_co_u32_e32 v6, vcc, 0x1000, v4
	s_mov_b32 s4, 0xcccccccd
	s_nop 0
	v_addc_co_u32_e32 v7, vcc, 0, v5, vcc
	global_load_dwordx2 v[26:27], v[6:7], off
	v_add_co_u32_e32 v8, vcc, 0x2000, v4
	s_mov_b32 s1, 0xcccccccc
	s_nop 0
	v_addc_co_u32_e32 v9, vcc, 0, v5, vcc
	global_load_dwordx2 v[34:35], v[6:7], off offset:2048
	global_load_dwordx2 v[36:37], v[8:9], off
	global_load_dwordx2 v[38:39], v[8:9], off offset:2048
	v_add_co_u32_e32 v10, vcc, 0x3000, v4
	v_mov_b32_e32 v29, v3
	s_nop 0
	v_addc_co_u32_e32 v11, vcc, 0, v5, vcc
	v_add_co_u32_e32 v6, vcc, 0x4000, v4
	v_mov_b32_e32 v31, v3
	s_nop 0
	v_addc_co_u32_e32 v7, vcc, 0, v5, vcc
	v_add_co_u32_e32 v40, vcc, 0x5000, v4
	global_load_dwordx2 v[42:43], v[10:11], off
	global_load_dwordx2 v[20:21], v[10:11], off offset:2048
	global_load_dwordx2 v[18:19], v[6:7], off
	global_load_dwordx2 v[16:17], v[6:7], off offset:2048
	v_addc_co_u32_e32 v41, vcc, 0, v5, vcc
	v_add_co_u32_e32 v6, vcc, 0x6000, v4
	v_mov_b32_e32 v33, v3
	s_nop 0
	v_addc_co_u32_e32 v7, vcc, 0, v5, vcc
	global_load_dwordx2 v[14:15], v[40:41], off
	global_load_dwordx2 v[12:13], v[40:41], off offset:2048
	global_load_dwordx2 v[10:11], v[6:7], off
	global_load_dwordx2 v[8:9], v[6:7], off offset:2048
	v_add_co_u32_e32 v44, vcc, 0x7000, v4
	s_waitcnt vmcnt(13)
	v_mul_hi_u32 v2, v22, s4
	v_mad_u64_u32 v[40:41], s[6:7], v23, s4, v[2:3]
	v_mov_b32_e32 v2, v41
	v_mov_b32_e32 v41, v3
	v_mad_u64_u32 v[40:41], s[6:7], v22, s1, v[40:41]
	v_mov_b32_e32 v28, v41
	v_lshl_add_u64 v[28:29], v[2:3], 0, v[28:29]
	s_waitcnt vmcnt(12)
	v_mul_hi_u32 v2, v24, s4
	v_mad_u64_u32 v[40:41], s[6:7], v25, s4, v[2:3]
	v_mad_u64_u32 v[28:29], s[6:7], v23, s1, v[28:29]
	v_mov_b32_e32 v2, v41
	v_mov_b32_e32 v41, v3
	v_alignbit_b32 v1, v29, v28, 3
	v_mad_u64_u32 v[28:29], s[6:7], v24, s1, v[40:41]
	v_mul_lo_u32 v1, v1, 10
	v_mov_b32_e32 v30, v29
	v_sub_u32_e32 v1, v22, v1
	v_lshl_add_u64 v[22:23], v[2:3], 0, v[30:31]
	v_mad_u64_u32 v[22:23], s[6:7], v25, s1, v[22:23]
	v_alignbit_b32 v2, v23, v22, 3
	v_mul_lo_u32 v2, v2, 10
	v_sub_u32_e32 v2, v24, v2
	v_addc_co_u32_e32 v45, vcc, 0, v5, vcc
	v_add_u32_e32 v2, v1, v2
	v_lshl_add_u64 v[22:23], v[2:3], 0, -10
	v_cmp_gt_u32_e32 vcc, 10, v2
	global_load_dwordx2 v[6:7], v[44:45], off
	global_load_dwordx2 v[4:5], v[44:45], off offset:2048
	v_cndmask_b32_e32 v24, v22, v2, vcc
	s_waitcnt vmcnt(13)
	v_mul_hi_u32 v2, v26, s4
	v_cndmask_b32_e64 v1, v23, 0, vcc
	v_mad_u64_u32 v[22:23], s[6:7], v27, s4, v[2:3]
	v_mov_b32_e32 v2, v23
	v_mov_b32_e32 v23, v3
	v_mad_u64_u32 v[22:23], s[6:7], v26, s1, v[22:23]
	v_mov_b32_e32 v32, v23
	v_lshl_add_u64 v[22:23], v[2:3], 0, v[32:33]
	v_mad_u64_u32 v[22:23], s[6:7], v27, s1, v[22:23]
	v_alignbit_b32 v22, v23, v22, 3
	v_mul_hi_u32 v2, v24, s4
	v_mul_lo_u32 v22, v22, 10
	v_sub_u32_e32 v25, v26, v22
	v_mad_u64_u32 v[22:23], s[6:7], v1, s4, v[2:3]
	v_mov_b32_e32 v2, v23
	v_mov_b32_e32 v23, v3
	v_mad_u64_u32 v[22:23], s[6:7], v24, s1, v[22:23]
	v_mov_b32_e32 v22, v23
	v_mov_b32_e32 v23, v3
	v_lshl_add_u64 v[22:23], v[2:3], 0, v[22:23]
	v_mad_u64_u32 v[22:23], s[6:7], v1, s1, v[22:23]
	v_alignbit_b32 v1, v23, v22, 3
	v_mul_lo_u32 v1, v1, 10
	v_sub_u32_e32 v1, v24, v1
	v_add_u32_e32 v2, v1, v25
	v_lshl_add_u64 v[22:23], v[2:3], 0, -10
	v_cmp_gt_u32_e32 vcc, 10, v2
	s_nop 1
	v_cndmask_b32_e32 v24, v22, v2, vcc
	s_waitcnt vmcnt(12)
	v_mul_hi_u32 v2, v34, s4
	v_cndmask_b32_e64 v1, v23, 0, vcc
	v_mad_u64_u32 v[22:23], s[6:7], v35, s4, v[2:3]
	v_mov_b32_e32 v2, v23
	v_mov_b32_e32 v23, v3
	v_mad_u64_u32 v[22:23], s[6:7], v34, s1, v[22:23]
	v_mov_b32_e32 v22, v23
	v_mov_b32_e32 v23, v3
	v_lshl_add_u64 v[22:23], v[2:3], 0, v[22:23]
	v_mad_u64_u32 v[22:23], s[6:7], v35, s1, v[22:23]
	v_alignbit_b32 v2, v23, v22, 3
	v_mul_lo_u32 v2, v2, 10
	v_sub_u32_e32 v25, v34, v2
	v_mul_hi_u32 v2, v24, s4
	v_mad_u64_u32 v[22:23], s[6:7], v1, s4, v[2:3]
	v_mov_b32_e32 v2, v23
	v_mov_b32_e32 v23, v3
	v_mad_u64_u32 v[22:23], s[6:7], v24, s1, v[22:23]
	v_mov_b32_e32 v22, v23
	v_mov_b32_e32 v23, v3
	v_lshl_add_u64 v[22:23], v[2:3], 0, v[22:23]
	v_mad_u64_u32 v[22:23], s[6:7], v1, s1, v[22:23]
	v_alignbit_b32 v1, v23, v22, 3
	v_mul_lo_u32 v1, v1, 10
	v_sub_u32_e32 v1, v24, v1
	v_add_u32_e32 v2, v1, v25
	v_lshl_add_u64 v[22:23], v[2:3], 0, -10
	v_cmp_gt_u32_e32 vcc, 10, v2
	s_nop 1
	v_cndmask_b32_e32 v24, v22, v2, vcc
	s_waitcnt vmcnt(11)
	v_mul_hi_u32 v2, v36, s4
	v_cndmask_b32_e64 v1, v23, 0, vcc
	v_mad_u64_u32 v[22:23], s[6:7], v37, s4, v[2:3]
	v_mov_b32_e32 v2, v23
	v_mov_b32_e32 v23, v3
	v_mad_u64_u32 v[22:23], s[6:7], v36, s1, v[22:23]
	v_mov_b32_e32 v22, v23
	v_mov_b32_e32 v23, v3
	v_lshl_add_u64 v[22:23], v[2:3], 0, v[22:23]
	v_mad_u64_u32 v[22:23], s[6:7], v37, s1, v[22:23]
	v_alignbit_b32 v2, v23, v22, 3
	v_mul_lo_u32 v2, v2, 10
	v_sub_u32_e32 v25, v36, v2
	v_mul_hi_u32 v2, v24, s4
	;; [unrolled: 31-line block ×13, first 2 shown]
	v_mad_u64_u32 v[4:5], s[6:7], v1, s4, v[2:3]
	v_mov_b32_e32 v2, v5
	v_mov_b32_e32 v5, v3
	v_mad_u64_u32 v[4:5], s[6:7], v8, s1, v[4:5]
	v_mov_b32_e32 v4, v5
	v_mov_b32_e32 v5, v3
	v_lshl_add_u64 v[4:5], v[2:3], 0, v[4:5]
	v_mad_u64_u32 v[4:5], s[6:7], v1, s1, v[4:5]
	v_alignbit_b32 v1, v5, v4, 3
	v_mul_lo_u32 v1, v1, 10
	v_sub_u32_e32 v1, v8, v1
	v_add_u32_e32 v2, v1, v6
	v_lshl_add_u64 v[4:5], v[2:3], 0, -10
	v_cmp_gt_u32_e32 vcc, 10, v2
	v_mbcnt_lo_u32_b32 v1, -1, 0
	v_mbcnt_hi_u32_b32 v1, -1, v1
	v_cndmask_b32_e32 v7, v4, v2, vcc
	v_cndmask_b32_e64 v6, v5, 0, vcc
	v_mul_hi_u32 v2, v7, s4
	v_mad_u64_u32 v[4:5], s[6:7], v6, s4, v[2:3]
	v_mov_b32_e32 v2, v5
	v_mov_b32_e32 v5, v3
	v_mad_u64_u32 v[4:5], s[6:7], v7, s1, v[4:5]
	v_mov_b32_e32 v4, v5
	v_mov_b32_e32 v5, v3
	v_lshl_add_u64 v[4:5], v[2:3], 0, v[4:5]
	v_mad_u64_u32 v[4:5], s[6:7], v6, s1, v[4:5]
	v_alignbit_b32 v2, v5, v4, 3
	v_mov_b32_dpp v8, v7 quad_perm:[1,0,3,2] row_mask:0xf bank_mask:0xf bound_ctrl:1
	v_mul_lo_u32 v2, v2, 10
	v_mov_b32_dpp v9, v6 quad_perm:[1,0,3,2] row_mask:0xf bank_mask:0xf bound_ctrl:1
	v_sub_u32_e32 v6, v7, v2
	v_mul_hi_u32 v2, v8, s4
	v_mad_u64_u32 v[4:5], s[6:7], v9, s4, v[2:3]
	v_mov_b32_e32 v2, v5
	v_mov_b32_e32 v5, v3
	v_mad_u64_u32 v[4:5], s[6:7], v8, s1, v[4:5]
	v_mov_b32_e32 v4, v5
	v_mov_b32_e32 v5, v3
	v_lshl_add_u64 v[4:5], v[2:3], 0, v[4:5]
	v_mad_u64_u32 v[4:5], s[6:7], v9, s1, v[4:5]
	v_alignbit_b32 v2, v5, v4, 3
	v_mul_lo_u32 v2, v2, 10
	v_sub_u32_e32 v2, v8, v2
	v_add_u32_e32 v2, v6, v2
	v_lshl_add_u64 v[4:5], v[2:3], 0, -10
	v_cmp_gt_u32_e32 vcc, 10, v2
	s_nop 1
	v_cndmask_b32_e32 v7, v4, v2, vcc
	v_cndmask_b32_e64 v6, v5, 0, vcc
	v_mul_hi_u32 v2, v7, s4
	v_mad_u64_u32 v[4:5], s[6:7], v6, s4, v[2:3]
	v_mov_b32_e32 v2, v5
	v_mov_b32_e32 v5, v3
	v_mad_u64_u32 v[4:5], s[6:7], v7, s1, v[4:5]
	v_mov_b32_e32 v4, v5
	v_mov_b32_e32 v5, v3
	v_lshl_add_u64 v[4:5], v[2:3], 0, v[4:5]
	v_mad_u64_u32 v[4:5], s[6:7], v6, s1, v[4:5]
	v_alignbit_b32 v2, v5, v4, 3
	v_mov_b32_dpp v8, v7 quad_perm:[2,3,0,1] row_mask:0xf bank_mask:0xf bound_ctrl:1
	v_mul_lo_u32 v2, v2, 10
	v_mov_b32_dpp v9, v6 quad_perm:[2,3,0,1] row_mask:0xf bank_mask:0xf bound_ctrl:1
	v_sub_u32_e32 v6, v7, v2
	v_mul_hi_u32 v2, v8, s4
	v_mad_u64_u32 v[4:5], s[6:7], v9, s4, v[2:3]
	v_mov_b32_e32 v2, v5
	v_mov_b32_e32 v5, v3
	v_mad_u64_u32 v[4:5], s[6:7], v8, s1, v[4:5]
	v_mov_b32_e32 v4, v5
	v_mov_b32_e32 v5, v3
	v_lshl_add_u64 v[4:5], v[2:3], 0, v[4:5]
	v_mad_u64_u32 v[4:5], s[6:7], v9, s1, v[4:5]
	v_alignbit_b32 v2, v5, v4, 3
	v_mul_lo_u32 v2, v2, 10
	v_sub_u32_e32 v2, v8, v2
	v_add_u32_e32 v2, v6, v2
	v_lshl_add_u64 v[4:5], v[2:3], 0, -10
	v_cmp_gt_u32_e32 vcc, 10, v2
	s_nop 1
	v_cndmask_b32_e32 v7, v4, v2, vcc
	v_cndmask_b32_e64 v6, v5, 0, vcc
	v_mul_hi_u32 v2, v7, s4
	v_mad_u64_u32 v[4:5], s[6:7], v6, s4, v[2:3]
	v_mov_b32_e32 v2, v5
	v_mov_b32_e32 v5, v3
	v_mad_u64_u32 v[4:5], s[6:7], v7, s1, v[4:5]
	v_mov_b32_e32 v4, v5
	v_mov_b32_e32 v5, v3
	v_lshl_add_u64 v[4:5], v[2:3], 0, v[4:5]
	v_mad_u64_u32 v[4:5], s[6:7], v6, s1, v[4:5]
	v_alignbit_b32 v2, v5, v4, 3
	v_mov_b32_dpp v8, v7 row_ror:4 row_mask:0xf bank_mask:0xf bound_ctrl:1
	v_mul_lo_u32 v2, v2, 10
	v_mov_b32_dpp v9, v6 row_ror:4 row_mask:0xf bank_mask:0xf bound_ctrl:1
	v_sub_u32_e32 v6, v7, v2
	v_mul_hi_u32 v2, v8, s4
	v_mad_u64_u32 v[4:5], s[6:7], v9, s4, v[2:3]
	v_mov_b32_e32 v2, v5
	v_mov_b32_e32 v5, v3
	v_mad_u64_u32 v[4:5], s[6:7], v8, s1, v[4:5]
	v_mov_b32_e32 v4, v5
	v_mov_b32_e32 v5, v3
	v_lshl_add_u64 v[4:5], v[2:3], 0, v[4:5]
	v_mad_u64_u32 v[4:5], s[6:7], v9, s1, v[4:5]
	v_alignbit_b32 v2, v5, v4, 3
	v_mul_lo_u32 v2, v2, 10
	v_sub_u32_e32 v2, v8, v2
	v_add_u32_e32 v2, v6, v2
	v_lshl_add_u64 v[4:5], v[2:3], 0, -10
	v_cmp_gt_u32_e32 vcc, 10, v2
	s_nop 1
	v_cndmask_b32_e32 v7, v4, v2, vcc
	v_cndmask_b32_e64 v6, v5, 0, vcc
	v_mul_hi_u32 v2, v7, s4
	v_mad_u64_u32 v[4:5], s[6:7], v6, s4, v[2:3]
	v_mov_b32_e32 v2, v5
	v_mov_b32_e32 v5, v3
	v_mad_u64_u32 v[4:5], s[6:7], v7, s1, v[4:5]
	v_mov_b32_e32 v4, v5
	v_mov_b32_e32 v5, v3
	v_lshl_add_u64 v[4:5], v[2:3], 0, v[4:5]
	v_mad_u64_u32 v[4:5], s[6:7], v6, s1, v[4:5]
	v_alignbit_b32 v2, v5, v4, 3
	v_mov_b32_dpp v8, v7 row_ror:8 row_mask:0xf bank_mask:0xf bound_ctrl:1
	v_mul_lo_u32 v2, v2, 10
	v_mov_b32_dpp v9, v6 row_ror:8 row_mask:0xf bank_mask:0xf bound_ctrl:1
	v_sub_u32_e32 v6, v7, v2
	v_mul_hi_u32 v2, v8, s4
	v_mad_u64_u32 v[4:5], s[6:7], v9, s4, v[2:3]
	v_mov_b32_e32 v2, v5
	v_mov_b32_e32 v5, v3
	v_mad_u64_u32 v[4:5], s[6:7], v8, s1, v[4:5]
	v_mov_b32_e32 v4, v5
	v_mov_b32_e32 v5, v3
	v_lshl_add_u64 v[4:5], v[2:3], 0, v[4:5]
	v_mad_u64_u32 v[4:5], s[6:7], v9, s1, v[4:5]
	v_alignbit_b32 v2, v5, v4, 3
	v_mul_lo_u32 v2, v2, 10
	v_sub_u32_e32 v2, v8, v2
	v_add_u32_e32 v2, v6, v2
	v_lshl_add_u64 v[4:5], v[2:3], 0, -10
	v_cmp_gt_u32_e32 vcc, 10, v2
	s_nop 1
	v_cndmask_b32_e32 v7, v4, v2, vcc
	v_cndmask_b32_e64 v6, v5, 0, vcc
	v_mul_hi_u32 v2, v7, s4
	v_mad_u64_u32 v[4:5], s[6:7], v6, s4, v[2:3]
	v_mov_b32_e32 v2, v5
	v_mov_b32_e32 v5, v3
	v_mad_u64_u32 v[4:5], s[6:7], v7, s1, v[4:5]
	v_mov_b32_e32 v4, v5
	v_mov_b32_e32 v5, v3
	v_lshl_add_u64 v[4:5], v[2:3], 0, v[4:5]
	v_mad_u64_u32 v[4:5], s[6:7], v6, s1, v[4:5]
	v_alignbit_b32 v2, v5, v4, 3
	v_mov_b32_dpp v8, v7 row_bcast:15 row_mask:0xf bank_mask:0xf bound_ctrl:1
	v_mul_lo_u32 v2, v2, 10
	v_mov_b32_dpp v9, v6 row_bcast:15 row_mask:0xf bank_mask:0xf bound_ctrl:1
	v_sub_u32_e32 v6, v7, v2
	v_mul_hi_u32 v2, v8, s4
	v_mad_u64_u32 v[4:5], s[6:7], v9, s4, v[2:3]
	v_mov_b32_e32 v2, v5
	v_mov_b32_e32 v5, v3
	v_mad_u64_u32 v[4:5], s[6:7], v8, s1, v[4:5]
	v_mov_b32_e32 v4, v5
	v_mov_b32_e32 v5, v3
	v_lshl_add_u64 v[4:5], v[2:3], 0, v[4:5]
	v_mad_u64_u32 v[4:5], s[6:7], v9, s1, v[4:5]
	v_alignbit_b32 v2, v5, v4, 3
	v_mul_lo_u32 v2, v2, 10
	v_sub_u32_e32 v2, v8, v2
	v_add_u32_e32 v2, v6, v2
	v_lshl_add_u64 v[4:5], v[2:3], 0, -10
	v_cmp_gt_u32_e32 vcc, 10, v2
	s_nop 1
	v_cndmask_b32_e32 v7, v4, v2, vcc
	v_cndmask_b32_e64 v6, v5, 0, vcc
	v_mul_hi_u32 v2, v7, s4
	v_mad_u64_u32 v[4:5], s[6:7], v6, s4, v[2:3]
	v_mov_b32_e32 v2, v5
	v_mov_b32_e32 v5, v3
	v_mad_u64_u32 v[4:5], s[6:7], v7, s1, v[4:5]
	v_mov_b32_e32 v4, v5
	v_mov_b32_e32 v5, v3
	v_lshl_add_u64 v[4:5], v[2:3], 0, v[4:5]
	v_mad_u64_u32 v[4:5], s[6:7], v6, s1, v[4:5]
	v_alignbit_b32 v2, v5, v4, 3
	v_mov_b32_dpp v8, v7 row_bcast:31 row_mask:0xf bank_mask:0xf bound_ctrl:1
	v_mul_lo_u32 v2, v2, 10
	v_mov_b32_dpp v9, v6 row_bcast:31 row_mask:0xf bank_mask:0xf bound_ctrl:1
	v_sub_u32_e32 v6, v7, v2
	v_mul_hi_u32 v2, v8, s4
	v_mad_u64_u32 v[4:5], s[4:5], v9, s4, v[2:3]
	v_mov_b32_e32 v2, v5
	v_mov_b32_e32 v5, v3
	v_mad_u64_u32 v[4:5], s[4:5], v8, s1, v[4:5]
	v_mov_b32_e32 v4, v5
	v_mov_b32_e32 v5, v3
	v_lshl_add_u64 v[4:5], v[2:3], 0, v[4:5]
	v_mad_u64_u32 v[4:5], s[4:5], v9, s1, v[4:5]
	v_alignbit_b32 v2, v5, v4, 3
	v_mul_lo_u32 v2, v2, 10
	v_sub_u32_e32 v2, v8, v2
	v_add_u32_e32 v2, v6, v2
	v_lshl_add_u64 v[4:5], v[2:3], 0, -10
	v_cmp_gt_u32_e32 vcc, 10, v2
	s_nop 1
	v_cndmask_b32_e32 v2, v4, v2, vcc
	v_lshlrev_b32_e32 v4, 2, v1
	v_cndmask_b32_e64 v3, v5, 0, vcc
	v_or_b32_e32 v5, 0xfc, v4
	ds_bpermute_b32 v2, v5, v2
	ds_bpermute_b32 v3, v5, v3
	v_cmp_eq_u32_e32 vcc, 0, v1
	s_and_saveexec_b64 s[4:5], vcc
	s_cbranch_execz .LBB576_7
; %bb.6:
	v_lshrrev_b32_e32 v5, 3, v0
	v_and_b32_e32 v5, 24, v5
	s_waitcnt lgkmcnt(0)
	ds_write_b64 v5, v[2:3] offset:32
.LBB576_7:
	s_or_b64 exec, exec, s[4:5]
	v_cmp_gt_u32_e32 vcc, 64, v0
	s_waitcnt lgkmcnt(0)
	s_barrier
	s_and_saveexec_b64 s[4:5], vcc
	s_cbranch_execz .LBB576_9
; %bb.8:
	v_and_b32_e32 v5, 3, v1
	v_lshlrev_b32_e32 v2, 3, v5
	ds_read_b64 v[2:3], v2 offset:32
	v_cmp_ne_u32_e32 vcc, 3, v5
	s_mov_b32 s1, 0xcccccccd
	v_mov_b32_e32 v7, 0
	v_addc_co_u32_e32 v1, vcc, 0, v1, vcc
	v_lshlrev_b32_e32 v1, 2, v1
	s_waitcnt lgkmcnt(0)
	ds_bpermute_b32 v5, v1, v2
	ds_bpermute_b32 v1, v1, v3
	s_mov_b32 s8, 0xcccccccc
	s_waitcnt lgkmcnt(1)
	v_mul_hi_u32 v6, v5, s1
	s_waitcnt lgkmcnt(0)
	v_mad_u64_u32 v[8:9], s[6:7], v1, s1, v[6:7]
	v_mov_b32_e32 v6, v9
	v_mov_b32_e32 v9, v7
	v_mad_u64_u32 v[8:9], s[6:7], v5, s8, v[8:9]
	v_mov_b32_e32 v8, v9
	v_mov_b32_e32 v9, v7
	v_lshl_add_u64 v[8:9], v[6:7], 0, v[8:9]
	v_mad_u64_u32 v[8:9], s[6:7], v1, s8, v[8:9]
	v_mul_hi_u32 v6, v2, s1
	v_alignbit_b32 v1, v9, v8, 3
	v_mad_u64_u32 v[8:9], s[6:7], v3, s1, v[6:7]
	v_mov_b32_e32 v6, v9
	v_mov_b32_e32 v9, v7
	v_mad_u64_u32 v[8:9], s[6:7], v2, s8, v[8:9]
	v_mov_b32_e32 v8, v9
	v_mov_b32_e32 v9, v7
	v_lshl_add_u64 v[8:9], v[6:7], 0, v[8:9]
	v_mad_u64_u32 v[8:9], s[6:7], v3, s8, v[8:9]
	v_alignbit_b32 v3, v9, v8, 3
	v_mul_lo_u32 v1, v1, 10
	v_mul_lo_u32 v3, v3, 10
	v_sub_u32_e32 v1, v5, v1
	v_sub_u32_e32 v2, v2, v3
	v_add_u32_e32 v6, v1, v2
	v_lshl_add_u64 v[2:3], v[6:7], 0, -10
	v_cmp_gt_u32_e32 vcc, 10, v6
	s_nop 1
	v_cndmask_b32_e32 v5, v2, v6, vcc
	v_or_b32_e32 v2, 8, v4
	v_cndmask_b32_e64 v1, v3, 0, vcc
	ds_bpermute_b32 v4, v2, v5
	ds_bpermute_b32 v8, v2, v1
	s_waitcnt lgkmcnt(1)
	v_mul_hi_u32 v6, v4, s1
	s_waitcnt lgkmcnt(0)
	v_mad_u64_u32 v[2:3], s[6:7], v8, s1, v[6:7]
	v_mov_b32_e32 v6, v3
	v_mov_b32_e32 v3, v7
	v_mad_u64_u32 v[2:3], s[6:7], v4, s8, v[2:3]
	v_mov_b32_e32 v2, v3
	v_mov_b32_e32 v3, v7
	v_lshl_add_u64 v[2:3], v[6:7], 0, v[2:3]
	v_mad_u64_u32 v[2:3], s[6:7], v8, s8, v[2:3]
	v_alignbit_b32 v2, v3, v2, 3
	v_mul_lo_u32 v2, v2, 10
	v_mul_hi_u32 v6, v5, s1
	v_sub_u32_e32 v4, v4, v2
	v_mad_u64_u32 v[2:3], s[6:7], v1, s1, v[6:7]
	v_mov_b32_e32 v6, v3
	v_mov_b32_e32 v3, v7
	v_mad_u64_u32 v[2:3], s[6:7], v5, s8, v[2:3]
	v_mov_b32_e32 v2, v3
	v_mov_b32_e32 v3, v7
	v_lshl_add_u64 v[2:3], v[6:7], 0, v[2:3]
	v_mad_u64_u32 v[2:3], s[6:7], v1, s8, v[2:3]
	v_alignbit_b32 v1, v3, v2, 3
	v_mul_lo_u32 v1, v1, 10
	v_sub_u32_e32 v1, v5, v1
	v_add_u32_e32 v6, v1, v4
	v_lshl_add_u64 v[2:3], v[6:7], 0, -10
	v_cmp_gt_u32_e32 vcc, 10, v6
	s_nop 1
	v_cndmask_b32_e64 v3, v3, 0, vcc
	v_cndmask_b32_e32 v2, v2, v6, vcc
.LBB576_9:
	s_or_b64 exec, exec, s[4:5]
	s_mov_b64 s[4:5], 0
	s_branch .LBB576_23
.LBB576_10:
	s_mov_b64 s[14:15], 0
                                        ; implicit-def: $vgpr4_vgpr5
                                        ; implicit-def: $vgpr2_vgpr3
	s_cbranch_execnz .LBB576_196
	s_branch .LBB576_247
.LBB576_11:
	s_mov_b64 s[14:15], 0
                                        ; implicit-def: $vgpr4_vgpr5
                                        ; implicit-def: $vgpr2_vgpr3
	s_cbranch_execnz .LBB576_149
	s_branch .LBB576_157
.LBB576_12:
	s_mov_b64 s[30:31], -1
	s_mov_b64 s[14:15], 0
                                        ; implicit-def: $vgpr4_vgpr5
                                        ; implicit-def: $vgpr2_vgpr3
.LBB576_13:
	s_and_b64 vcc, exec, s[30:31]
	s_cbranch_vccz .LBB576_97
.LBB576_14:
	s_cmp_eq_u32 s33, 8
	s_cbranch_scc0 .LBB576_21
; %bb.15:
	s_mov_b32 s3, 0
	s_lshl_b32 s0, s2, 11
	s_mov_b32 s1, s3
	s_lshr_b64 s[4:5], s[38:39], 11
	s_lshl_b64 s[6:7], s[0:1], 3
	s_add_u32 s16, s36, s6
	s_addc_u32 s17, s37, s7
	s_cmp_lg_u64 s[4:5], s[2:3]
	s_cbranch_scc0 .LBB576_98
; %bb.16:
	v_lshlrev_b32_e32 v2, 3, v0
	s_waitcnt lgkmcnt(0)
	global_load_dwordx2 v[4:5], v2, s[16:17] offset:2048
	global_load_dwordx2 v[6:7], v2, s[16:17]
	v_mov_b32_e32 v3, 0
	v_lshl_add_u64 v[8:9], s[16:17], 0, v[2:3]
	v_add_co_u32_e32 v10, vcc, 0x1000, v8
	s_mov_b32 s4, 0xcccccccd
	s_nop 0
	v_addc_co_u32_e32 v11, vcc, 0, v9, vcc
	global_load_dwordx2 v[12:13], v[10:11], off
	v_add_co_u32_e32 v26, vcc, 0x2000, v8
	global_load_dwordx2 v[10:11], v[10:11], off offset:2048
	s_nop 0
	v_addc_co_u32_e32 v27, vcc, 0, v9, vcc
	global_load_dwordx2 v[28:29], v[26:27], off
	global_load_dwordx2 v[30:31], v[26:27], off offset:2048
	v_add_co_u32_e32 v8, vcc, 0x3000, v8
	s_mov_b32 s1, 0xcccccccc
	s_nop 0
	v_addc_co_u32_e32 v9, vcc, 0, v9, vcc
	global_load_dwordx2 v[26:27], v[8:9], off
	global_load_dwordx2 v[32:33], v[8:9], off offset:2048
	v_mov_b32_e32 v15, v3
	v_mov_b32_e32 v17, v3
	;; [unrolled: 1-line block ×6, first 2 shown]
	s_waitcnt vmcnt(7)
	v_mul_hi_u32 v2, v4, s4
	v_mad_u64_u32 v[8:9], s[6:7], v5, s4, v[2:3]
	v_mov_b32_e32 v2, v9
	v_mov_b32_e32 v9, v3
	v_mad_u64_u32 v[8:9], s[6:7], v4, s1, v[8:9]
	v_mov_b32_e32 v14, v9
	v_lshl_add_u64 v[8:9], v[2:3], 0, v[14:15]
	s_waitcnt vmcnt(6)
	v_mul_hi_u32 v2, v6, s4
	v_mad_u64_u32 v[14:15], s[6:7], v7, s4, v[2:3]
	v_mad_u64_u32 v[8:9], s[6:7], v5, s1, v[8:9]
	v_mov_b32_e32 v2, v15
	v_mov_b32_e32 v15, v3
	v_alignbit_b32 v1, v9, v8, 3
	v_mad_u64_u32 v[8:9], s[6:7], v6, s1, v[14:15]
	v_mul_lo_u32 v1, v1, 10
	v_mov_b32_e32 v16, v9
	v_sub_u32_e32 v1, v4, v1
	v_lshl_add_u64 v[4:5], v[2:3], 0, v[16:17]
	v_mad_u64_u32 v[4:5], s[6:7], v7, s1, v[4:5]
	v_alignbit_b32 v2, v5, v4, 3
	v_mul_lo_u32 v2, v2, 10
	v_sub_u32_e32 v2, v6, v2
	v_add_u32_e32 v2, v1, v2
	v_lshl_add_u64 v[4:5], v[2:3], 0, -10
	v_cmp_gt_u32_e32 vcc, 10, v2
	s_nop 1
	v_cndmask_b32_e32 v8, v4, v2, vcc
	s_waitcnt vmcnt(5)
	v_mul_hi_u32 v2, v12, s4
	v_cndmask_b32_e64 v1, v5, 0, vcc
	v_mad_u64_u32 v[4:5], s[6:7], v13, s4, v[2:3]
	v_mov_b32_e32 v2, v5
	v_mov_b32_e32 v5, v3
	v_mad_u64_u32 v[4:5], s[6:7], v12, s1, v[4:5]
	v_mov_b32_e32 v18, v5
	v_lshl_add_u64 v[4:5], v[2:3], 0, v[18:19]
	v_mul_hi_u32 v2, v8, s4
	v_mad_u64_u32 v[4:5], s[6:7], v13, s1, v[4:5]
	v_mad_u64_u32 v[6:7], s[6:7], v1, s4, v[2:3]
	v_alignbit_b32 v4, v5, v4, 3
	v_mov_b32_e32 v2, v7
	v_mov_b32_e32 v7, v3
	v_mul_lo_u32 v9, v4, 10
	v_mad_u64_u32 v[4:5], s[6:7], v8, s1, v[6:7]
	v_mov_b32_e32 v20, v5
	v_lshl_add_u64 v[4:5], v[2:3], 0, v[20:21]
	v_mad_u64_u32 v[4:5], s[6:7], v1, s1, v[4:5]
	v_alignbit_b32 v1, v5, v4, 3
	v_mul_lo_u32 v1, v1, 10
	v_sub_u32_e32 v6, v12, v9
	v_sub_u32_e32 v1, v8, v1
	v_add_u32_e32 v2, v1, v6
	v_lshl_add_u64 v[4:5], v[2:3], 0, -10
	v_cmp_gt_u32_e32 vcc, 10, v2
	s_nop 1
	v_cndmask_b32_e32 v8, v4, v2, vcc
	s_waitcnt vmcnt(4)
	v_mul_hi_u32 v2, v10, s4
	v_cndmask_b32_e64 v1, v5, 0, vcc
	v_mad_u64_u32 v[4:5], s[6:7], v11, s4, v[2:3]
	v_mov_b32_e32 v2, v5
	v_mov_b32_e32 v5, v3
	v_mad_u64_u32 v[4:5], s[6:7], v10, s1, v[4:5]
	v_mov_b32_e32 v22, v5
	v_lshl_add_u64 v[4:5], v[2:3], 0, v[22:23]
	v_mul_hi_u32 v2, v8, s4
	v_mad_u64_u32 v[4:5], s[6:7], v11, s1, v[4:5]
	v_mad_u64_u32 v[6:7], s[6:7], v1, s4, v[2:3]
	v_alignbit_b32 v4, v5, v4, 3
	v_mov_b32_e32 v2, v7
	v_mov_b32_e32 v7, v3
	v_mul_lo_u32 v9, v4, 10
	v_mad_u64_u32 v[4:5], s[6:7], v8, s1, v[6:7]
	v_mov_b32_e32 v24, v5
	v_lshl_add_u64 v[4:5], v[2:3], 0, v[24:25]
	v_mad_u64_u32 v[4:5], s[6:7], v1, s1, v[4:5]
	v_alignbit_b32 v1, v5, v4, 3
	v_mul_lo_u32 v1, v1, 10
	v_sub_u32_e32 v6, v10, v9
	v_sub_u32_e32 v1, v8, v1
	v_add_u32_e32 v2, v1, v6
	v_lshl_add_u64 v[4:5], v[2:3], 0, -10
	v_cmp_gt_u32_e32 vcc, 10, v2
	s_nop 1
	v_cndmask_b32_e32 v6, v4, v2, vcc
	s_waitcnt vmcnt(3)
	v_mul_hi_u32 v2, v28, s4
	v_cndmask_b32_e64 v1, v5, 0, vcc
	v_mad_u64_u32 v[4:5], s[6:7], v29, s4, v[2:3]
	v_mov_b32_e32 v2, v5
	v_mov_b32_e32 v5, v3
	v_mad_u64_u32 v[4:5], s[6:7], v28, s1, v[4:5]
	v_mov_b32_e32 v4, v5
	v_mov_b32_e32 v5, v3
	v_lshl_add_u64 v[4:5], v[2:3], 0, v[4:5]
	v_mad_u64_u32 v[4:5], s[6:7], v29, s1, v[4:5]
	v_alignbit_b32 v2, v5, v4, 3
	v_mul_lo_u32 v2, v2, 10
	v_sub_u32_e32 v7, v28, v2
	v_mul_hi_u32 v2, v6, s4
	v_mad_u64_u32 v[4:5], s[6:7], v1, s4, v[2:3]
	v_mov_b32_e32 v2, v5
	v_mov_b32_e32 v5, v3
	v_mad_u64_u32 v[4:5], s[6:7], v6, s1, v[4:5]
	v_mov_b32_e32 v4, v5
	v_mov_b32_e32 v5, v3
	v_lshl_add_u64 v[4:5], v[2:3], 0, v[4:5]
	v_mad_u64_u32 v[4:5], s[6:7], v1, s1, v[4:5]
	v_alignbit_b32 v1, v5, v4, 3
	v_mul_lo_u32 v1, v1, 10
	v_sub_u32_e32 v1, v6, v1
	v_add_u32_e32 v2, v1, v7
	v_lshl_add_u64 v[4:5], v[2:3], 0, -10
	v_cmp_gt_u32_e32 vcc, 10, v2
	s_nop 1
	v_cndmask_b32_e32 v6, v4, v2, vcc
	s_waitcnt vmcnt(2)
	v_mul_hi_u32 v2, v30, s4
	v_cndmask_b32_e64 v1, v5, 0, vcc
	v_mad_u64_u32 v[4:5], s[6:7], v31, s4, v[2:3]
	v_mov_b32_e32 v2, v5
	v_mov_b32_e32 v5, v3
	v_mad_u64_u32 v[4:5], s[6:7], v30, s1, v[4:5]
	v_mov_b32_e32 v4, v5
	v_mov_b32_e32 v5, v3
	v_lshl_add_u64 v[4:5], v[2:3], 0, v[4:5]
	v_mad_u64_u32 v[4:5], s[6:7], v31, s1, v[4:5]
	v_alignbit_b32 v2, v5, v4, 3
	v_mul_lo_u32 v2, v2, 10
	v_sub_u32_e32 v7, v30, v2
	v_mul_hi_u32 v2, v6, s4
	v_mad_u64_u32 v[4:5], s[6:7], v1, s4, v[2:3]
	v_mov_b32_e32 v2, v5
	v_mov_b32_e32 v5, v3
	v_mad_u64_u32 v[4:5], s[6:7], v6, s1, v[4:5]
	v_mov_b32_e32 v4, v5
	v_mov_b32_e32 v5, v3
	v_lshl_add_u64 v[4:5], v[2:3], 0, v[4:5]
	v_mad_u64_u32 v[4:5], s[6:7], v1, s1, v[4:5]
	v_alignbit_b32 v1, v5, v4, 3
	v_mul_lo_u32 v1, v1, 10
	;; [unrolled: 31-line block ×4, first 2 shown]
	v_sub_u32_e32 v1, v6, v1
	v_add_u32_e32 v2, v1, v7
	v_lshl_add_u64 v[4:5], v[2:3], 0, -10
	v_cmp_gt_u32_e32 vcc, 10, v2
	v_mbcnt_lo_u32_b32 v1, -1, 0
	v_mbcnt_hi_u32_b32 v1, -1, v1
	v_cndmask_b32_e32 v7, v4, v2, vcc
	v_cndmask_b32_e64 v6, v5, 0, vcc
	v_mul_hi_u32 v2, v7, s4
	v_mad_u64_u32 v[4:5], s[6:7], v6, s4, v[2:3]
	v_mov_b32_e32 v2, v5
	v_mov_b32_e32 v5, v3
	v_mad_u64_u32 v[4:5], s[6:7], v7, s1, v[4:5]
	v_mov_b32_e32 v4, v5
	v_mov_b32_e32 v5, v3
	v_lshl_add_u64 v[4:5], v[2:3], 0, v[4:5]
	v_mad_u64_u32 v[4:5], s[6:7], v6, s1, v[4:5]
	v_alignbit_b32 v2, v5, v4, 3
	v_mov_b32_dpp v8, v7 quad_perm:[1,0,3,2] row_mask:0xf bank_mask:0xf bound_ctrl:1
	v_mul_lo_u32 v2, v2, 10
	v_mov_b32_dpp v9, v6 quad_perm:[1,0,3,2] row_mask:0xf bank_mask:0xf bound_ctrl:1
	v_sub_u32_e32 v6, v7, v2
	v_mul_hi_u32 v2, v8, s4
	v_mad_u64_u32 v[4:5], s[6:7], v9, s4, v[2:3]
	v_mov_b32_e32 v2, v5
	v_mov_b32_e32 v5, v3
	v_mad_u64_u32 v[4:5], s[6:7], v8, s1, v[4:5]
	v_mov_b32_e32 v4, v5
	v_mov_b32_e32 v5, v3
	v_lshl_add_u64 v[4:5], v[2:3], 0, v[4:5]
	v_mad_u64_u32 v[4:5], s[6:7], v9, s1, v[4:5]
	v_alignbit_b32 v2, v5, v4, 3
	v_mul_lo_u32 v2, v2, 10
	v_sub_u32_e32 v2, v8, v2
	v_add_u32_e32 v2, v6, v2
	v_lshl_add_u64 v[4:5], v[2:3], 0, -10
	v_cmp_gt_u32_e32 vcc, 10, v2
	s_nop 1
	v_cndmask_b32_e32 v7, v4, v2, vcc
	v_cndmask_b32_e64 v6, v5, 0, vcc
	v_mul_hi_u32 v2, v7, s4
	v_mad_u64_u32 v[4:5], s[6:7], v6, s4, v[2:3]
	v_mov_b32_e32 v2, v5
	v_mov_b32_e32 v5, v3
	v_mad_u64_u32 v[4:5], s[6:7], v7, s1, v[4:5]
	v_mov_b32_e32 v4, v5
	v_mov_b32_e32 v5, v3
	v_lshl_add_u64 v[4:5], v[2:3], 0, v[4:5]
	v_mad_u64_u32 v[4:5], s[6:7], v6, s1, v[4:5]
	v_alignbit_b32 v2, v5, v4, 3
	v_mov_b32_dpp v8, v7 quad_perm:[2,3,0,1] row_mask:0xf bank_mask:0xf bound_ctrl:1
	v_mul_lo_u32 v2, v2, 10
	v_mov_b32_dpp v9, v6 quad_perm:[2,3,0,1] row_mask:0xf bank_mask:0xf bound_ctrl:1
	v_sub_u32_e32 v6, v7, v2
	v_mul_hi_u32 v2, v8, s4
	v_mad_u64_u32 v[4:5], s[6:7], v9, s4, v[2:3]
	v_mov_b32_e32 v2, v5
	v_mov_b32_e32 v5, v3
	v_mad_u64_u32 v[4:5], s[6:7], v8, s1, v[4:5]
	v_mov_b32_e32 v4, v5
	v_mov_b32_e32 v5, v3
	v_lshl_add_u64 v[4:5], v[2:3], 0, v[4:5]
	v_mad_u64_u32 v[4:5], s[6:7], v9, s1, v[4:5]
	v_alignbit_b32 v2, v5, v4, 3
	v_mul_lo_u32 v2, v2, 10
	v_sub_u32_e32 v2, v8, v2
	v_add_u32_e32 v2, v6, v2
	v_lshl_add_u64 v[4:5], v[2:3], 0, -10
	v_cmp_gt_u32_e32 vcc, 10, v2
	s_nop 1
	v_cndmask_b32_e32 v7, v4, v2, vcc
	v_cndmask_b32_e64 v6, v5, 0, vcc
	v_mul_hi_u32 v2, v7, s4
	v_mad_u64_u32 v[4:5], s[6:7], v6, s4, v[2:3]
	v_mov_b32_e32 v2, v5
	v_mov_b32_e32 v5, v3
	v_mad_u64_u32 v[4:5], s[6:7], v7, s1, v[4:5]
	v_mov_b32_e32 v4, v5
	v_mov_b32_e32 v5, v3
	v_lshl_add_u64 v[4:5], v[2:3], 0, v[4:5]
	v_mad_u64_u32 v[4:5], s[6:7], v6, s1, v[4:5]
	v_alignbit_b32 v2, v5, v4, 3
	v_mov_b32_dpp v8, v7 row_ror:4 row_mask:0xf bank_mask:0xf bound_ctrl:1
	v_mul_lo_u32 v2, v2, 10
	v_mov_b32_dpp v9, v6 row_ror:4 row_mask:0xf bank_mask:0xf bound_ctrl:1
	v_sub_u32_e32 v6, v7, v2
	v_mul_hi_u32 v2, v8, s4
	v_mad_u64_u32 v[4:5], s[6:7], v9, s4, v[2:3]
	v_mov_b32_e32 v2, v5
	v_mov_b32_e32 v5, v3
	v_mad_u64_u32 v[4:5], s[6:7], v8, s1, v[4:5]
	v_mov_b32_e32 v4, v5
	v_mov_b32_e32 v5, v3
	v_lshl_add_u64 v[4:5], v[2:3], 0, v[4:5]
	v_mad_u64_u32 v[4:5], s[6:7], v9, s1, v[4:5]
	v_alignbit_b32 v2, v5, v4, 3
	v_mul_lo_u32 v2, v2, 10
	v_sub_u32_e32 v2, v8, v2
	v_add_u32_e32 v2, v6, v2
	v_lshl_add_u64 v[4:5], v[2:3], 0, -10
	v_cmp_gt_u32_e32 vcc, 10, v2
	s_nop 1
	v_cndmask_b32_e32 v7, v4, v2, vcc
	v_cndmask_b32_e64 v6, v5, 0, vcc
	v_mul_hi_u32 v2, v7, s4
	v_mad_u64_u32 v[4:5], s[6:7], v6, s4, v[2:3]
	v_mov_b32_e32 v2, v5
	v_mov_b32_e32 v5, v3
	v_mad_u64_u32 v[4:5], s[6:7], v7, s1, v[4:5]
	v_mov_b32_e32 v4, v5
	v_mov_b32_e32 v5, v3
	v_lshl_add_u64 v[4:5], v[2:3], 0, v[4:5]
	v_mad_u64_u32 v[4:5], s[6:7], v6, s1, v[4:5]
	v_alignbit_b32 v2, v5, v4, 3
	v_mov_b32_dpp v8, v7 row_ror:8 row_mask:0xf bank_mask:0xf bound_ctrl:1
	v_mul_lo_u32 v2, v2, 10
	v_mov_b32_dpp v9, v6 row_ror:8 row_mask:0xf bank_mask:0xf bound_ctrl:1
	v_sub_u32_e32 v6, v7, v2
	v_mul_hi_u32 v2, v8, s4
	v_mad_u64_u32 v[4:5], s[6:7], v9, s4, v[2:3]
	v_mov_b32_e32 v2, v5
	v_mov_b32_e32 v5, v3
	v_mad_u64_u32 v[4:5], s[6:7], v8, s1, v[4:5]
	v_mov_b32_e32 v4, v5
	v_mov_b32_e32 v5, v3
	v_lshl_add_u64 v[4:5], v[2:3], 0, v[4:5]
	v_mad_u64_u32 v[4:5], s[6:7], v9, s1, v[4:5]
	v_alignbit_b32 v2, v5, v4, 3
	v_mul_lo_u32 v2, v2, 10
	v_sub_u32_e32 v2, v8, v2
	v_add_u32_e32 v2, v6, v2
	v_lshl_add_u64 v[4:5], v[2:3], 0, -10
	v_cmp_gt_u32_e32 vcc, 10, v2
	s_nop 1
	v_cndmask_b32_e32 v7, v4, v2, vcc
	v_cndmask_b32_e64 v6, v5, 0, vcc
	v_mul_hi_u32 v2, v7, s4
	v_mad_u64_u32 v[4:5], s[6:7], v6, s4, v[2:3]
	v_mov_b32_e32 v2, v5
	v_mov_b32_e32 v5, v3
	v_mad_u64_u32 v[4:5], s[6:7], v7, s1, v[4:5]
	v_mov_b32_e32 v4, v5
	v_mov_b32_e32 v5, v3
	v_lshl_add_u64 v[4:5], v[2:3], 0, v[4:5]
	v_mad_u64_u32 v[4:5], s[6:7], v6, s1, v[4:5]
	v_alignbit_b32 v2, v5, v4, 3
	v_mov_b32_dpp v8, v7 row_bcast:15 row_mask:0xf bank_mask:0xf bound_ctrl:1
	v_mul_lo_u32 v2, v2, 10
	v_mov_b32_dpp v9, v6 row_bcast:15 row_mask:0xf bank_mask:0xf bound_ctrl:1
	v_sub_u32_e32 v6, v7, v2
	v_mul_hi_u32 v2, v8, s4
	v_mad_u64_u32 v[4:5], s[6:7], v9, s4, v[2:3]
	v_mov_b32_e32 v2, v5
	v_mov_b32_e32 v5, v3
	v_mad_u64_u32 v[4:5], s[6:7], v8, s1, v[4:5]
	v_mov_b32_e32 v4, v5
	v_mov_b32_e32 v5, v3
	v_lshl_add_u64 v[4:5], v[2:3], 0, v[4:5]
	v_mad_u64_u32 v[4:5], s[6:7], v9, s1, v[4:5]
	v_alignbit_b32 v2, v5, v4, 3
	v_mul_lo_u32 v2, v2, 10
	v_sub_u32_e32 v2, v8, v2
	v_add_u32_e32 v2, v6, v2
	v_lshl_add_u64 v[4:5], v[2:3], 0, -10
	v_cmp_gt_u32_e32 vcc, 10, v2
	s_nop 1
	v_cndmask_b32_e32 v7, v4, v2, vcc
	v_cndmask_b32_e64 v6, v5, 0, vcc
	v_mul_hi_u32 v2, v7, s4
	v_mad_u64_u32 v[4:5], s[6:7], v6, s4, v[2:3]
	v_mov_b32_e32 v2, v5
	v_mov_b32_e32 v5, v3
	v_mad_u64_u32 v[4:5], s[6:7], v7, s1, v[4:5]
	v_mov_b32_e32 v4, v5
	v_mov_b32_e32 v5, v3
	v_lshl_add_u64 v[4:5], v[2:3], 0, v[4:5]
	v_mad_u64_u32 v[4:5], s[6:7], v6, s1, v[4:5]
	v_alignbit_b32 v2, v5, v4, 3
	v_mov_b32_dpp v8, v7 row_bcast:31 row_mask:0xf bank_mask:0xf bound_ctrl:1
	v_mul_lo_u32 v2, v2, 10
	v_mov_b32_dpp v9, v6 row_bcast:31 row_mask:0xf bank_mask:0xf bound_ctrl:1
	v_sub_u32_e32 v6, v7, v2
	v_mul_hi_u32 v2, v8, s4
	v_mad_u64_u32 v[4:5], s[4:5], v9, s4, v[2:3]
	v_mov_b32_e32 v2, v5
	v_mov_b32_e32 v5, v3
	v_mad_u64_u32 v[4:5], s[4:5], v8, s1, v[4:5]
	v_mov_b32_e32 v4, v5
	v_mov_b32_e32 v5, v3
	v_lshl_add_u64 v[4:5], v[2:3], 0, v[4:5]
	v_mad_u64_u32 v[4:5], s[4:5], v9, s1, v[4:5]
	v_alignbit_b32 v2, v5, v4, 3
	v_mul_lo_u32 v2, v2, 10
	v_sub_u32_e32 v2, v8, v2
	v_add_u32_e32 v2, v6, v2
	v_lshl_add_u64 v[4:5], v[2:3], 0, -10
	v_cmp_gt_u32_e32 vcc, 10, v2
	s_nop 1
	v_cndmask_b32_e32 v2, v4, v2, vcc
	v_lshlrev_b32_e32 v4, 2, v1
	v_cndmask_b32_e64 v3, v5, 0, vcc
	v_or_b32_e32 v5, 0xfc, v4
	ds_bpermute_b32 v2, v5, v2
	ds_bpermute_b32 v3, v5, v3
	v_cmp_eq_u32_e32 vcc, 0, v1
	s_and_saveexec_b64 s[4:5], vcc
	s_cbranch_execz .LBB576_18
; %bb.17:
	v_lshrrev_b32_e32 v5, 3, v0
	v_and_b32_e32 v5, 24, v5
	s_waitcnt lgkmcnt(0)
	ds_write_b64 v5, v[2:3] offset:160
.LBB576_18:
	s_or_b64 exec, exec, s[4:5]
	v_cmp_gt_u32_e32 vcc, 64, v0
	s_waitcnt lgkmcnt(0)
	s_barrier
	s_and_saveexec_b64 s[4:5], vcc
	s_cbranch_execz .LBB576_20
; %bb.19:
	v_and_b32_e32 v5, 3, v1
	v_lshlrev_b32_e32 v2, 3, v5
	ds_read_b64 v[2:3], v2 offset:160
	v_cmp_ne_u32_e32 vcc, 3, v5
	s_mov_b32 s1, 0xcccccccd
	v_mov_b32_e32 v7, 0
	v_addc_co_u32_e32 v1, vcc, 0, v1, vcc
	v_lshlrev_b32_e32 v1, 2, v1
	s_waitcnt lgkmcnt(0)
	ds_bpermute_b32 v5, v1, v2
	ds_bpermute_b32 v1, v1, v3
	s_mov_b32 s8, 0xcccccccc
	s_waitcnt lgkmcnt(1)
	v_mul_hi_u32 v6, v5, s1
	s_waitcnt lgkmcnt(0)
	v_mad_u64_u32 v[8:9], s[6:7], v1, s1, v[6:7]
	v_mov_b32_e32 v6, v9
	v_mov_b32_e32 v9, v7
	v_mad_u64_u32 v[8:9], s[6:7], v5, s8, v[8:9]
	v_mov_b32_e32 v8, v9
	v_mov_b32_e32 v9, v7
	v_lshl_add_u64 v[8:9], v[6:7], 0, v[8:9]
	v_mad_u64_u32 v[8:9], s[6:7], v1, s8, v[8:9]
	v_mul_hi_u32 v6, v2, s1
	v_alignbit_b32 v1, v9, v8, 3
	v_mad_u64_u32 v[8:9], s[6:7], v3, s1, v[6:7]
	v_mov_b32_e32 v6, v9
	v_mov_b32_e32 v9, v7
	v_mad_u64_u32 v[8:9], s[6:7], v2, s8, v[8:9]
	v_mov_b32_e32 v8, v9
	v_mov_b32_e32 v9, v7
	v_lshl_add_u64 v[8:9], v[6:7], 0, v[8:9]
	v_mad_u64_u32 v[8:9], s[6:7], v3, s8, v[8:9]
	v_alignbit_b32 v3, v9, v8, 3
	v_mul_lo_u32 v1, v1, 10
	v_mul_lo_u32 v3, v3, 10
	v_sub_u32_e32 v1, v5, v1
	v_sub_u32_e32 v2, v2, v3
	v_add_u32_e32 v6, v1, v2
	v_lshl_add_u64 v[2:3], v[6:7], 0, -10
	v_cmp_gt_u32_e32 vcc, 10, v6
	s_nop 1
	v_cndmask_b32_e32 v5, v2, v6, vcc
	v_or_b32_e32 v2, 8, v4
	v_cndmask_b32_e64 v1, v3, 0, vcc
	ds_bpermute_b32 v4, v2, v5
	ds_bpermute_b32 v8, v2, v1
	s_waitcnt lgkmcnt(1)
	v_mul_hi_u32 v6, v4, s1
	s_waitcnt lgkmcnt(0)
	v_mad_u64_u32 v[2:3], s[6:7], v8, s1, v[6:7]
	v_mov_b32_e32 v6, v3
	v_mov_b32_e32 v3, v7
	v_mad_u64_u32 v[2:3], s[6:7], v4, s8, v[2:3]
	v_mov_b32_e32 v2, v3
	v_mov_b32_e32 v3, v7
	v_lshl_add_u64 v[2:3], v[6:7], 0, v[2:3]
	v_mad_u64_u32 v[2:3], s[6:7], v8, s8, v[2:3]
	v_alignbit_b32 v2, v3, v2, 3
	v_mul_lo_u32 v2, v2, 10
	v_mul_hi_u32 v6, v5, s1
	v_sub_u32_e32 v4, v4, v2
	v_mad_u64_u32 v[2:3], s[6:7], v1, s1, v[6:7]
	v_mov_b32_e32 v6, v3
	v_mov_b32_e32 v3, v7
	v_mad_u64_u32 v[2:3], s[6:7], v5, s8, v[2:3]
	v_mov_b32_e32 v2, v3
	v_mov_b32_e32 v3, v7
	v_lshl_add_u64 v[2:3], v[6:7], 0, v[2:3]
	v_mad_u64_u32 v[2:3], s[6:7], v1, s8, v[2:3]
	v_alignbit_b32 v1, v3, v2, 3
	v_mul_lo_u32 v1, v1, 10
	v_sub_u32_e32 v1, v5, v1
	v_add_u32_e32 v6, v1, v4
	v_lshl_add_u64 v[2:3], v[6:7], 0, -10
	v_cmp_gt_u32_e32 vcc, 10, v6
	s_nop 1
	v_cndmask_b32_e64 v3, v3, 0, vcc
	v_cndmask_b32_e32 v2, v2, v6, vcc
.LBB576_20:
	s_or_b64 exec, exec, s[4:5]
	s_mov_b64 s[4:5], 0
	s_branch .LBB576_99
.LBB576_21:
                                        ; implicit-def: $vgpr4_vgpr5
                                        ; implicit-def: $vgpr2_vgpr3
	s_branch .LBB576_157
.LBB576_22:
	s_mov_b64 s[4:5], -1
                                        ; implicit-def: $vgpr2_vgpr3
.LBB576_23:
	s_and_b64 vcc, exec, s[4:5]
	s_cbranch_vccz .LBB576_92
; %bb.24:
	s_sub_i32 s46, s38, s0
	v_mov_b32_e32 v2, 0
	v_cmp_gt_u32_e32 vcc, s46, v0
	v_mov_b32_e32 v3, v2
	v_mov_b32_e32 v4, v2
	;; [unrolled: 1-line block ×31, first 2 shown]
	s_and_saveexec_b64 s[0:1], vcc
	s_cbranch_execz .LBB576_26
; %bb.25:
	v_lshlrev_b32_e32 v1, 3, v0
	global_load_dwordx2 v[4:5], v1, s[34:35]
	v_mov_b32_e32 v6, v2
	v_mov_b32_e32 v7, v2
	;; [unrolled: 1-line block ×30, first 2 shown]
	s_waitcnt vmcnt(0)
	v_mov_b64_e32 v[2:3], v[4:5]
	v_mov_b64_e32 v[4:5], v[6:7]
	;; [unrolled: 1-line block ×16, first 2 shown]
.LBB576_26:
	s_or_b64 exec, exec, s[0:1]
	v_or_b32_e32 v1, 0x100, v0
	v_cmp_gt_u32_e64 s[28:29], s46, v1
	s_and_saveexec_b64 s[0:1], s[28:29]
	s_cbranch_execz .LBB576_28
; %bb.27:
	v_lshlrev_b32_e32 v1, 3, v0
	global_load_dwordx2 v[4:5], v1, s[34:35] offset:2048
.LBB576_28:
	s_or_b64 exec, exec, s[0:1]
	v_or_b32_e32 v1, 0x200, v0
	v_cmp_gt_u32_e64 s[26:27], s46, v1
	s_and_saveexec_b64 s[0:1], s[26:27]
	s_cbranch_execz .LBB576_30
; %bb.29:
	v_lshlrev_b32_e32 v1, 3, v1
	global_load_dwordx2 v[6:7], v1, s[34:35]
.LBB576_30:
	s_or_b64 exec, exec, s[0:1]
	v_or_b32_e32 v1, 0x300, v0
	v_cmp_gt_u32_e64 s[24:25], s46, v1
	s_and_saveexec_b64 s[0:1], s[24:25]
	s_cbranch_execz .LBB576_32
; %bb.31:
	v_lshlrev_b32_e32 v1, 3, v1
	global_load_dwordx2 v[8:9], v1, s[34:35]
.LBB576_32:
	;; [unrolled: 9-line block ×13, first 2 shown]
	s_or_b64 exec, exec, s[44:45]
	v_or_b32_e32 v1, 0xf00, v0
	v_cmp_gt_u32_e32 vcc, s46, v1
	s_and_saveexec_b64 s[44:45], vcc
	s_cbranch_execnz .LBB576_282
; %bb.55:
	s_or_b64 exec, exec, s[44:45]
	s_and_saveexec_b64 s[34:35], s[28:29]
	s_cbranch_execnz .LBB576_283
.LBB576_56:
	s_or_b64 exec, exec, s[34:35]
	s_and_saveexec_b64 s[28:29], s[26:27]
	s_cbranch_execnz .LBB576_284
.LBB576_57:
	s_or_b64 exec, exec, s[28:29]
	s_and_saveexec_b64 s[26:27], s[24:25]
	s_cbranch_execnz .LBB576_285
.LBB576_58:
	s_or_b64 exec, exec, s[26:27]
	s_and_saveexec_b64 s[24:25], s[22:23]
	s_cbranch_execnz .LBB576_286
.LBB576_59:
	s_or_b64 exec, exec, s[24:25]
	s_and_saveexec_b64 s[22:23], s[20:21]
	s_cbranch_execnz .LBB576_287
.LBB576_60:
	s_or_b64 exec, exec, s[22:23]
	s_and_saveexec_b64 s[20:21], s[18:19]
	s_cbranch_execnz .LBB576_288
.LBB576_61:
	s_or_b64 exec, exec, s[20:21]
	s_and_saveexec_b64 s[18:19], s[16:17]
	s_cbranch_execnz .LBB576_289
.LBB576_62:
	s_or_b64 exec, exec, s[18:19]
	s_and_saveexec_b64 s[16:17], s[14:15]
	s_cbranch_execnz .LBB576_290
.LBB576_63:
	s_or_b64 exec, exec, s[16:17]
	s_and_saveexec_b64 s[14:15], s[12:13]
	s_cbranch_execnz .LBB576_291
.LBB576_64:
	s_or_b64 exec, exec, s[14:15]
	s_and_saveexec_b64 s[12:13], s[10:11]
	s_cbranch_execnz .LBB576_292
.LBB576_65:
	s_or_b64 exec, exec, s[12:13]
	s_and_saveexec_b64 s[10:11], s[8:9]
	s_cbranch_execnz .LBB576_293
.LBB576_66:
	s_or_b64 exec, exec, s[10:11]
	s_and_saveexec_b64 s[8:9], s[6:7]
	s_cbranch_execnz .LBB576_294
.LBB576_67:
	s_or_b64 exec, exec, s[8:9]
	s_and_saveexec_b64 s[6:7], s[4:5]
	s_cbranch_execnz .LBB576_295
.LBB576_68:
	s_or_b64 exec, exec, s[6:7]
	s_and_saveexec_b64 s[4:5], s[0:1]
	s_cbranch_execnz .LBB576_296
.LBB576_69:
	s_or_b64 exec, exec, s[4:5]
	s_and_saveexec_b64 s[0:1], vcc
	s_cbranch_execz .LBB576_71
.LBB576_70:
	s_mov_b32 s6, 0xcccccccd
	s_waitcnt vmcnt(0)
	v_mul_hi_u32 v4, v32, s6
	v_mov_b32_e32 v5, 0
	v_mad_u64_u32 v[6:7], s[4:5], v33, s6, v[4:5]
	v_mov_b32_e32 v4, v7
	v_mov_b32_e32 v7, v5
	s_mov_b32 s7, 0xcccccccc
	v_mad_u64_u32 v[6:7], s[4:5], v32, s7, v[6:7]
	v_mov_b32_e32 v6, v7
	v_mov_b32_e32 v7, v5
	v_lshl_add_u64 v[6:7], v[4:5], 0, v[6:7]
	v_mad_u64_u32 v[6:7], s[4:5], v33, s7, v[6:7]
	v_mul_hi_u32 v4, v2, s6
	v_alignbit_b32 v1, v7, v6, 3
	v_mad_u64_u32 v[6:7], s[4:5], v3, s6, v[4:5]
	v_mov_b32_e32 v4, v7
	v_mov_b32_e32 v7, v5
	v_mad_u64_u32 v[6:7], s[4:5], v2, s7, v[6:7]
	v_mov_b32_e32 v6, v7
	v_mov_b32_e32 v7, v5
	v_lshl_add_u64 v[6:7], v[4:5], 0, v[6:7]
	v_mad_u64_u32 v[6:7], s[4:5], v3, s7, v[6:7]
	v_alignbit_b32 v3, v7, v6, 3
	v_mul_lo_u32 v1, v1, 10
	v_mul_lo_u32 v3, v3, 10
	v_sub_u32_e32 v1, v32, v1
	v_sub_u32_e32 v2, v2, v3
	v_add_u32_e32 v4, v2, v1
	v_lshl_add_u64 v[2:3], v[4:5], 0, -10
	v_cmp_gt_u32_e32 vcc, 10, v4
	s_nop 1
	v_cndmask_b32_e64 v3, v3, 0, vcc
	v_cndmask_b32_e32 v2, v2, v4, vcc
.LBB576_71:
	s_or_b64 exec, exec, s[0:1]
	v_mbcnt_lo_u32_b32 v1, -1, 0
	v_mbcnt_hi_u32_b32 v1, -1, v1
	s_waitcnt vmcnt(0)
	v_and_b32_e32 v4, 63, v1
	v_cmp_ne_u32_e32 vcc, 63, v4
	s_min_u32 s4, s46, 0x100
	v_add_u32_e32 v8, 1, v4
	v_addc_co_u32_e32 v5, vcc, 0, v1, vcc
	v_lshlrev_b32_e32 v5, 2, v5
	ds_bpermute_b32 v6, v5, v2
	ds_bpermute_b32 v7, v5, v3
	v_and_b32_e32 v5, 0xc0, v0
	v_sub_u32_e64 v5, s4, v5 clamp
	v_cmp_lt_u32_e32 vcc, v8, v5
	s_and_saveexec_b64 s[0:1], vcc
	s_xor_b64 s[0:1], exec, s[0:1]
	s_cbranch_execz .LBB576_73
; %bb.72:
	s_mov_b32 s5, 0xcccccccd
	s_waitcnt lgkmcnt(1)
	v_mul_hi_u32 v8, v6, s5
	v_mov_b32_e32 v9, 0
	s_waitcnt lgkmcnt(0)
	v_mad_u64_u32 v[10:11], s[6:7], v7, s5, v[8:9]
	v_mov_b32_e32 v8, v11
	v_mov_b32_e32 v11, v9
	s_mov_b32 s8, 0xcccccccc
	v_mad_u64_u32 v[10:11], s[6:7], v6, s8, v[10:11]
	v_mov_b32_e32 v10, v11
	v_mov_b32_e32 v11, v9
	v_lshl_add_u64 v[10:11], v[8:9], 0, v[10:11]
	v_mad_u64_u32 v[10:11], s[6:7], v7, s8, v[10:11]
	v_alignbit_b32 v7, v11, v10, 3
	v_mul_lo_u32 v7, v7, 10
	v_mul_hi_u32 v8, v2, s5
	v_sub_u32_e32 v10, v6, v7
	v_mad_u64_u32 v[6:7], s[6:7], v3, s5, v[8:9]
	v_mov_b32_e32 v8, v7
	v_mov_b32_e32 v7, v9
	v_mad_u64_u32 v[6:7], s[6:7], v2, s8, v[6:7]
	v_mov_b32_e32 v6, v7
	v_mov_b32_e32 v7, v9
	v_lshl_add_u64 v[6:7], v[8:9], 0, v[6:7]
	v_mad_u64_u32 v[6:7], s[6:7], v3, s8, v[6:7]
	v_alignbit_b32 v3, v7, v6, 3
	v_mul_lo_u32 v3, v3, 10
	v_sub_u32_e32 v2, v2, v3
	v_add_u32_e32 v8, v10, v2
	v_lshl_add_u64 v[2:3], v[8:9], 0, -10
	v_cmp_gt_u32_e32 vcc, 10, v8
	s_nop 1
	v_cndmask_b32_e64 v3, v3, 0, vcc
	v_cndmask_b32_e32 v2, v2, v8, vcc
.LBB576_73:
	s_or_b64 exec, exec, s[0:1]
	v_cmp_gt_u32_e32 vcc, 62, v4
	v_add_u32_e32 v8, 2, v4
	s_waitcnt lgkmcnt(1)
	v_cndmask_b32_e64 v6, 0, 2, vcc
	s_waitcnt lgkmcnt(0)
	v_add_lshl_u32 v7, v6, v1, 2
	ds_bpermute_b32 v6, v7, v2
	ds_bpermute_b32 v7, v7, v3
	v_cmp_lt_u32_e32 vcc, v8, v5
	s_and_saveexec_b64 s[0:1], vcc
	s_cbranch_execz .LBB576_75
; %bb.74:
	s_mov_b32 s5, 0xcccccccd
	s_waitcnt lgkmcnt(1)
	v_mul_hi_u32 v8, v6, s5
	v_mov_b32_e32 v9, 0
	s_waitcnt lgkmcnt(0)
	v_mad_u64_u32 v[10:11], s[6:7], v7, s5, v[8:9]
	v_mov_b32_e32 v8, v11
	v_mov_b32_e32 v11, v9
	s_mov_b32 s8, 0xcccccccc
	v_mad_u64_u32 v[10:11], s[6:7], v6, s8, v[10:11]
	v_mov_b32_e32 v10, v11
	v_mov_b32_e32 v11, v9
	v_lshl_add_u64 v[10:11], v[8:9], 0, v[10:11]
	v_mad_u64_u32 v[10:11], s[6:7], v7, s8, v[10:11]
	v_alignbit_b32 v7, v11, v10, 3
	v_mul_lo_u32 v7, v7, 10
	v_mul_hi_u32 v8, v2, s5
	v_sub_u32_e32 v10, v6, v7
	v_mad_u64_u32 v[6:7], s[6:7], v3, s5, v[8:9]
	v_mov_b32_e32 v8, v7
	v_mov_b32_e32 v7, v9
	v_mad_u64_u32 v[6:7], s[6:7], v2, s8, v[6:7]
	v_mov_b32_e32 v6, v7
	v_mov_b32_e32 v7, v9
	v_lshl_add_u64 v[6:7], v[8:9], 0, v[6:7]
	v_mad_u64_u32 v[6:7], s[6:7], v3, s8, v[6:7]
	v_alignbit_b32 v3, v7, v6, 3
	v_mul_lo_u32 v3, v3, 10
	v_sub_u32_e32 v2, v2, v3
	v_add_u32_e32 v8, v10, v2
	v_lshl_add_u64 v[2:3], v[8:9], 0, -10
	v_cmp_gt_u32_e32 vcc, 10, v8
	s_nop 1
	v_cndmask_b32_e64 v3, v3, 0, vcc
	v_cndmask_b32_e32 v2, v2, v8, vcc
.LBB576_75:
	s_or_b64 exec, exec, s[0:1]
	v_cmp_gt_u32_e32 vcc, 60, v4
	v_add_u32_e32 v8, 4, v4
	s_waitcnt lgkmcnt(1)
	v_cndmask_b32_e64 v6, 0, 4, vcc
	s_waitcnt lgkmcnt(0)
	v_add_lshl_u32 v7, v6, v1, 2
	ds_bpermute_b32 v6, v7, v2
	ds_bpermute_b32 v7, v7, v3
	v_cmp_lt_u32_e32 vcc, v8, v5
	s_and_saveexec_b64 s[0:1], vcc
	s_cbranch_execz .LBB576_77
; %bb.76:
	s_mov_b32 s5, 0xcccccccd
	s_waitcnt lgkmcnt(1)
	v_mul_hi_u32 v8, v6, s5
	v_mov_b32_e32 v9, 0
	s_waitcnt lgkmcnt(0)
	v_mad_u64_u32 v[10:11], s[6:7], v7, s5, v[8:9]
	v_mov_b32_e32 v8, v11
	v_mov_b32_e32 v11, v9
	s_mov_b32 s8, 0xcccccccc
	v_mad_u64_u32 v[10:11], s[6:7], v6, s8, v[10:11]
	v_mov_b32_e32 v10, v11
	v_mov_b32_e32 v11, v9
	v_lshl_add_u64 v[10:11], v[8:9], 0, v[10:11]
	v_mad_u64_u32 v[10:11], s[6:7], v7, s8, v[10:11]
	v_alignbit_b32 v7, v11, v10, 3
	v_mul_lo_u32 v7, v7, 10
	v_mul_hi_u32 v8, v2, s5
	v_sub_u32_e32 v10, v6, v7
	v_mad_u64_u32 v[6:7], s[6:7], v3, s5, v[8:9]
	v_mov_b32_e32 v8, v7
	v_mov_b32_e32 v7, v9
	v_mad_u64_u32 v[6:7], s[6:7], v2, s8, v[6:7]
	v_mov_b32_e32 v6, v7
	v_mov_b32_e32 v7, v9
	v_lshl_add_u64 v[6:7], v[8:9], 0, v[6:7]
	v_mad_u64_u32 v[6:7], s[6:7], v3, s8, v[6:7]
	v_alignbit_b32 v3, v7, v6, 3
	v_mul_lo_u32 v3, v3, 10
	v_sub_u32_e32 v2, v2, v3
	v_add_u32_e32 v8, v10, v2
	v_lshl_add_u64 v[2:3], v[8:9], 0, -10
	v_cmp_gt_u32_e32 vcc, 10, v8
	s_nop 1
	v_cndmask_b32_e64 v3, v3, 0, vcc
	v_cndmask_b32_e32 v2, v2, v8, vcc
.LBB576_77:
	s_or_b64 exec, exec, s[0:1]
	v_cmp_gt_u32_e32 vcc, 56, v4
	v_add_u32_e32 v8, 8, v4
	s_waitcnt lgkmcnt(1)
	v_cndmask_b32_e64 v6, 0, 8, vcc
	s_waitcnt lgkmcnt(0)
	v_add_lshl_u32 v7, v6, v1, 2
	ds_bpermute_b32 v6, v7, v2
	ds_bpermute_b32 v7, v7, v3
	v_cmp_lt_u32_e32 vcc, v8, v5
	s_and_saveexec_b64 s[0:1], vcc
	s_cbranch_execz .LBB576_79
; %bb.78:
	s_mov_b32 s5, 0xcccccccd
	s_waitcnt lgkmcnt(1)
	v_mul_hi_u32 v8, v6, s5
	v_mov_b32_e32 v9, 0
	s_waitcnt lgkmcnt(0)
	v_mad_u64_u32 v[10:11], s[6:7], v7, s5, v[8:9]
	v_mov_b32_e32 v8, v11
	v_mov_b32_e32 v11, v9
	s_mov_b32 s8, 0xcccccccc
	v_mad_u64_u32 v[10:11], s[6:7], v6, s8, v[10:11]
	v_mov_b32_e32 v10, v11
	v_mov_b32_e32 v11, v9
	v_lshl_add_u64 v[10:11], v[8:9], 0, v[10:11]
	v_mad_u64_u32 v[10:11], s[6:7], v7, s8, v[10:11]
	v_alignbit_b32 v7, v11, v10, 3
	v_mul_lo_u32 v7, v7, 10
	v_mul_hi_u32 v8, v2, s5
	v_sub_u32_e32 v10, v6, v7
	v_mad_u64_u32 v[6:7], s[6:7], v3, s5, v[8:9]
	v_mov_b32_e32 v8, v7
	v_mov_b32_e32 v7, v9
	v_mad_u64_u32 v[6:7], s[6:7], v2, s8, v[6:7]
	v_mov_b32_e32 v6, v7
	v_mov_b32_e32 v7, v9
	v_lshl_add_u64 v[6:7], v[8:9], 0, v[6:7]
	v_mad_u64_u32 v[6:7], s[6:7], v3, s8, v[6:7]
	v_alignbit_b32 v3, v7, v6, 3
	v_mul_lo_u32 v3, v3, 10
	v_sub_u32_e32 v2, v2, v3
	v_add_u32_e32 v8, v10, v2
	v_lshl_add_u64 v[2:3], v[8:9], 0, -10
	v_cmp_gt_u32_e32 vcc, 10, v8
	s_nop 1
	v_cndmask_b32_e64 v3, v3, 0, vcc
	v_cndmask_b32_e32 v2, v2, v8, vcc
.LBB576_79:
	s_or_b64 exec, exec, s[0:1]
	v_cmp_gt_u32_e32 vcc, 48, v4
	v_add_u32_e32 v8, 16, v4
	s_waitcnt lgkmcnt(1)
	v_cndmask_b32_e64 v6, 0, 16, vcc
	s_waitcnt lgkmcnt(0)
	v_add_lshl_u32 v7, v6, v1, 2
	ds_bpermute_b32 v6, v7, v2
	ds_bpermute_b32 v7, v7, v3
	v_cmp_lt_u32_e32 vcc, v8, v5
	s_and_saveexec_b64 s[0:1], vcc
	s_cbranch_execz .LBB576_81
; %bb.80:
	s_mov_b32 s5, 0xcccccccd
	s_waitcnt lgkmcnt(1)
	v_mul_hi_u32 v8, v6, s5
	v_mov_b32_e32 v9, 0
	s_waitcnt lgkmcnt(0)
	v_mad_u64_u32 v[10:11], s[6:7], v7, s5, v[8:9]
	v_mov_b32_e32 v8, v11
	v_mov_b32_e32 v11, v9
	s_mov_b32 s8, 0xcccccccc
	v_mad_u64_u32 v[10:11], s[6:7], v6, s8, v[10:11]
	v_mov_b32_e32 v10, v11
	v_mov_b32_e32 v11, v9
	v_lshl_add_u64 v[10:11], v[8:9], 0, v[10:11]
	v_mad_u64_u32 v[10:11], s[6:7], v7, s8, v[10:11]
	v_alignbit_b32 v7, v11, v10, 3
	v_mul_lo_u32 v7, v7, 10
	v_mul_hi_u32 v8, v2, s5
	v_sub_u32_e32 v10, v6, v7
	v_mad_u64_u32 v[6:7], s[6:7], v3, s5, v[8:9]
	v_mov_b32_e32 v8, v7
	v_mov_b32_e32 v7, v9
	v_mad_u64_u32 v[6:7], s[6:7], v2, s8, v[6:7]
	v_mov_b32_e32 v6, v7
	v_mov_b32_e32 v7, v9
	v_lshl_add_u64 v[6:7], v[8:9], 0, v[6:7]
	v_mad_u64_u32 v[6:7], s[6:7], v3, s8, v[6:7]
	v_alignbit_b32 v3, v7, v6, 3
	v_mul_lo_u32 v3, v3, 10
	v_sub_u32_e32 v2, v2, v3
	v_add_u32_e32 v8, v10, v2
	v_lshl_add_u64 v[2:3], v[8:9], 0, -10
	v_cmp_gt_u32_e32 vcc, 10, v8
	s_nop 1
	v_cndmask_b32_e64 v3, v3, 0, vcc
	v_cndmask_b32_e32 v2, v2, v8, vcc
.LBB576_81:
	s_or_b64 exec, exec, s[0:1]
	s_waitcnt lgkmcnt(1)
	v_lshlrev_b32_e32 v6, 2, v1
	v_or_b32_e32 v8, 0x80, v6
	s_waitcnt lgkmcnt(0)
	ds_bpermute_b32 v7, v8, v2
	ds_bpermute_b32 v8, v8, v3
	v_add_u32_e32 v4, 32, v4
	v_cmp_lt_u32_e32 vcc, v4, v5
	s_and_saveexec_b64 s[0:1], vcc
	s_cbranch_execz .LBB576_83
; %bb.82:
	s_mov_b32 s5, 0xcccccccd
	s_waitcnt lgkmcnt(1)
	v_mul_hi_u32 v4, v7, s5
	v_mov_b32_e32 v5, 0
	s_waitcnt lgkmcnt(0)
	v_mad_u64_u32 v[10:11], s[6:7], v8, s5, v[4:5]
	v_mov_b32_e32 v4, v11
	v_mov_b32_e32 v11, v5
	s_mov_b32 s8, 0xcccccccc
	v_mad_u64_u32 v[10:11], s[6:7], v7, s8, v[10:11]
	v_mov_b32_e32 v10, v11
	v_mov_b32_e32 v11, v5
	v_lshl_add_u64 v[10:11], v[4:5], 0, v[10:11]
	v_mad_u64_u32 v[8:9], s[6:7], v8, s8, v[10:11]
	v_alignbit_b32 v4, v9, v8, 3
	v_mul_lo_u32 v4, v4, 10
	v_sub_u32_e32 v7, v7, v4
	v_mul_hi_u32 v4, v2, s5
	v_mad_u64_u32 v[8:9], s[6:7], v3, s5, v[4:5]
	v_mov_b32_e32 v4, v9
	v_mov_b32_e32 v9, v5
	v_mad_u64_u32 v[8:9], s[6:7], v2, s8, v[8:9]
	v_mov_b32_e32 v8, v9
	v_mov_b32_e32 v9, v5
	v_lshl_add_u64 v[8:9], v[4:5], 0, v[8:9]
	v_mad_u64_u32 v[8:9], s[6:7], v3, s8, v[8:9]
	v_alignbit_b32 v3, v9, v8, 3
	v_mul_lo_u32 v3, v3, 10
	v_sub_u32_e32 v2, v2, v3
	v_add_u32_e32 v4, v7, v2
	v_lshl_add_u64 v[2:3], v[4:5], 0, -10
	v_cmp_gt_u32_e32 vcc, 10, v4
	s_nop 1
	v_cndmask_b32_e64 v3, v3, 0, vcc
	v_cndmask_b32_e32 v2, v2, v4, vcc
.LBB576_83:
	s_or_b64 exec, exec, s[0:1]
	v_cmp_eq_u32_e32 vcc, 0, v1
	s_and_saveexec_b64 s[0:1], vcc
; %bb.84:
	v_lshrrev_b32_e32 v4, 3, v0
	v_and_b32_e32 v4, 24, v4
	ds_write_b64 v4, v[2:3]
; %bb.85:
	s_or_b64 exec, exec, s[0:1]
	v_cmp_gt_u32_e32 vcc, 4, v0
	s_waitcnt lgkmcnt(0)
	s_barrier
	s_and_saveexec_b64 s[0:1], vcc
	s_cbranch_execz .LBB576_91
; %bb.86:
	v_lshlrev_b32_e32 v2, 3, v1
	ds_read_b64 v[2:3], v2
	v_and_b32_e32 v4, 3, v1
	v_cmp_ne_u32_e32 vcc, 3, v4
	s_add_i32 s4, s4, 63
	s_lshr_b32 s6, s4, 6
	v_addc_co_u32_e32 v1, vcc, 0, v1, vcc
	v_lshlrev_b32_e32 v5, 2, v1
	s_waitcnt lgkmcnt(0)
	ds_bpermute_b32 v1, v5, v2
	ds_bpermute_b32 v5, v5, v3
	v_add_u32_e32 v7, 1, v4
	v_cmp_gt_u32_e32 vcc, s6, v7
	s_and_saveexec_b64 s[4:5], vcc
	s_cbranch_execz .LBB576_88
; %bb.87:
	s_mov_b32 s7, 0xcccccccd
	s_waitcnt lgkmcnt(1)
	v_mul_hi_u32 v8, v1, s7
	v_mov_b32_e32 v9, 0
	s_waitcnt lgkmcnt(0)
	v_mad_u64_u32 v[10:11], s[8:9], v5, s7, v[8:9]
	v_mov_b32_e32 v8, v11
	v_mov_b32_e32 v11, v9
	s_mov_b32 s10, 0xcccccccc
	v_mad_u64_u32 v[10:11], s[8:9], v1, s10, v[10:11]
	v_mov_b32_e32 v10, v11
	v_mov_b32_e32 v11, v9
	v_lshl_add_u64 v[10:11], v[8:9], 0, v[10:11]
	v_mad_u64_u32 v[10:11], s[8:9], v5, s10, v[10:11]
	v_mul_hi_u32 v8, v2, s7
	v_alignbit_b32 v5, v11, v10, 3
	v_mad_u64_u32 v[10:11], s[8:9], v3, s7, v[8:9]
	v_mov_b32_e32 v8, v11
	v_mov_b32_e32 v11, v9
	v_mad_u64_u32 v[10:11], s[8:9], v2, s10, v[10:11]
	v_mov_b32_e32 v10, v11
	v_mov_b32_e32 v11, v9
	v_lshl_add_u64 v[10:11], v[8:9], 0, v[10:11]
	v_mad_u64_u32 v[10:11], s[8:9], v3, s10, v[10:11]
	v_alignbit_b32 v3, v11, v10, 3
	v_mul_lo_u32 v5, v5, 10
	v_mul_lo_u32 v3, v3, 10
	v_sub_u32_e32 v1, v1, v5
	v_sub_u32_e32 v2, v2, v3
	v_add_u32_e32 v8, v1, v2
	v_lshl_add_u64 v[2:3], v[8:9], 0, -10
	v_cmp_gt_u32_e32 vcc, 10, v8
	s_nop 1
	v_cndmask_b32_e64 v3, v3, 0, vcc
	v_cndmask_b32_e32 v2, v2, v8, vcc
.LBB576_88:
	s_or_b64 exec, exec, s[4:5]
	s_waitcnt lgkmcnt(0)
	v_or_b32_e32 v5, 8, v6
	ds_bpermute_b32 v1, v5, v2
	ds_bpermute_b32 v5, v5, v3
	v_add_u32_e32 v4, 2, v4
	v_cmp_gt_u32_e32 vcc, s6, v4
	s_and_saveexec_b64 s[4:5], vcc
	s_cbranch_execz .LBB576_90
; %bb.89:
	s_mov_b32 s8, 0xcccccccd
	s_waitcnt lgkmcnt(1)
	v_mul_hi_u32 v6, v1, s8
	v_mov_b32_e32 v7, 0
	s_waitcnt lgkmcnt(0)
	v_mad_u64_u32 v[8:9], s[6:7], v5, s8, v[6:7]
	v_mov_b32_e32 v6, v9
	v_mov_b32_e32 v9, v7
	s_mov_b32 s9, 0xcccccccc
	v_mad_u64_u32 v[8:9], s[6:7], v1, s9, v[8:9]
	v_mov_b32_e32 v8, v9
	v_mov_b32_e32 v9, v7
	v_lshl_add_u64 v[8:9], v[6:7], 0, v[8:9]
	v_mad_u64_u32 v[4:5], s[6:7], v5, s9, v[8:9]
	v_alignbit_b32 v4, v5, v4, 3
	v_mul_lo_u32 v4, v4, 10
	v_mul_hi_u32 v6, v2, s8
	v_sub_u32_e32 v1, v1, v4
	v_mad_u64_u32 v[4:5], s[6:7], v3, s8, v[6:7]
	v_mov_b32_e32 v6, v5
	v_mov_b32_e32 v5, v7
	v_mad_u64_u32 v[4:5], s[6:7], v2, s9, v[4:5]
	v_mov_b32_e32 v4, v5
	v_mov_b32_e32 v5, v7
	v_lshl_add_u64 v[4:5], v[6:7], 0, v[4:5]
	v_mad_u64_u32 v[4:5], s[6:7], v3, s9, v[4:5]
	v_alignbit_b32 v3, v5, v4, 3
	v_mul_lo_u32 v3, v3, 10
	v_sub_u32_e32 v2, v2, v3
	v_add_u32_e32 v6, v1, v2
	v_lshl_add_u64 v[2:3], v[6:7], 0, -10
	v_cmp_gt_u32_e32 vcc, 10, v6
	s_nop 1
	v_cndmask_b32_e64 v3, v3, 0, vcc
	v_cndmask_b32_e32 v2, v2, v6, vcc
.LBB576_90:
	s_or_b64 exec, exec, s[4:5]
.LBB576_91:
	s_or_b64 exec, exec, s[0:1]
.LBB576_92:
	v_cmp_eq_u32_e32 vcc, 0, v0
	s_mov_b64 s[14:15], 0
                                        ; implicit-def: $vgpr4_vgpr5
	s_and_saveexec_b64 s[0:1], vcc
	s_xor_b64 s[0:1], exec, s[0:1]
	s_cbranch_execz .LBB576_96
; %bb.93:
	s_cmp_eq_u64 s[38:39], 0
	s_waitcnt lgkmcnt(0)
	v_mov_b64_e32 v[4:5], s[42:43]
	s_cbranch_scc1 .LBB576_95
; %bb.94:
	s_mov_b32 s4, 0xcccccccd
	v_mul_hi_u32 v4, v2, s4
	v_mov_b32_e32 v5, 0
	v_mad_u64_u32 v[6:7], s[4:5], v3, s4, v[4:5]
	v_mov_b32_e32 v4, v7
	v_mov_b32_e32 v7, v5
	s_mov_b32 s6, 0xcccccccc
	v_mad_u64_u32 v[6:7], s[4:5], v2, s6, v[6:7]
	v_mov_b32_e32 v6, v7
	v_mov_b32_e32 v7, v5
	v_lshl_add_u64 v[6:7], v[4:5], 0, v[6:7]
	s_mul_i32 s7, s43, 0xcccccccd
	s_mul_hi_u32 s8, s42, 0xcccccccd
	v_mad_u64_u32 v[6:7], s[4:5], v3, s6, v[6:7]
	s_mul_hi_u32 s6, s43, 0xcccccccd
	s_add_u32 s7, s7, s8
	s_mul_i32 s5, s42, 0xcccccccc
	s_addc_u32 s6, s6, 0
	s_mul_hi_u32 s4, s42, 0xcccccccc
	s_add_u32 s5, s5, s7
	s_addc_u32 s4, s4, 0
	s_add_u32 s4, s6, s4
	s_addc_u32 s5, 0, 0
	s_mul_i32 s7, s43, 0xcccccccc
	s_mul_hi_u32 s6, s43, 0xcccccccc
	s_add_u32 s4, s7, s4
	s_addc_u32 s5, s6, s5
	v_alignbit_b32 v1, v7, v6, 3
	s_lshr_b64 s[4:5], s[4:5], 3
	v_mul_lo_u32 v1, v1, 10
	s_mul_i32 s4, s4, 10
	v_sub_u32_e32 v1, v2, v1
	s_sub_i32 s4, s42, s4
	v_add_u32_e32 v4, s4, v1
	v_lshl_add_u64 v[2:3], v[4:5], 0, -10
	v_cmp_gt_u32_e32 vcc, 10, v4
	s_nop 1
	v_cndmask_b32_e64 v5, v3, 0, vcc
	v_cndmask_b32_e32 v4, v2, v4, vcc
.LBB576_95:
	s_mov_b64 s[14:15], exec
.LBB576_96:
	s_or_b64 exec, exec, s[0:1]
	v_mov_b64_e32 v[2:3], s[2:3]
	s_and_b64 vcc, exec, s[30:31]
	s_cbranch_vccnz .LBB576_14
.LBB576_97:
	s_branch .LBB576_157
.LBB576_98:
	s_mov_b64 s[4:5], -1
                                        ; implicit-def: $vgpr2_vgpr3
.LBB576_99:
	s_and_b64 vcc, exec, s[4:5]
	s_cbranch_vccz .LBB576_144
; %bb.100:
	s_sub_i32 s20, s38, s0
	v_mov_b32_e32 v2, 0
	v_cmp_gt_u32_e32 vcc, s20, v0
	v_mov_b32_e32 v3, v2
	v_mov_b32_e32 v4, v2
	s_waitcnt lgkmcnt(0)
	v_mov_b32_e32 v5, v2
	v_mov_b32_e32 v6, v2
	;; [unrolled: 1-line block ×13, first 2 shown]
	s_and_saveexec_b64 s[0:1], vcc
	s_cbranch_execz .LBB576_102
; %bb.101:
	v_lshlrev_b32_e32 v1, 3, v0
	global_load_dwordx2 v[4:5], v1, s[16:17]
	v_mov_b32_e32 v6, v2
	v_mov_b32_e32 v7, v2
	;; [unrolled: 1-line block ×14, first 2 shown]
	s_waitcnt vmcnt(0)
	v_mov_b64_e32 v[2:3], v[4:5]
	v_mov_b64_e32 v[4:5], v[6:7]
	v_mov_b64_e32 v[6:7], v[8:9]
	v_mov_b64_e32 v[8:9], v[10:11]
	v_mov_b64_e32 v[10:11], v[12:13]
	v_mov_b64_e32 v[12:13], v[14:15]
	v_mov_b64_e32 v[14:15], v[16:17]
	v_mov_b64_e32 v[16:17], v[18:19]
.LBB576_102:
	s_or_b64 exec, exec, s[0:1]
	v_or_b32_e32 v1, 0x100, v0
	v_cmp_gt_u32_e64 s[12:13], s20, v1
	s_and_saveexec_b64 s[0:1], s[12:13]
	s_cbranch_execz .LBB576_104
; %bb.103:
	v_lshlrev_b32_e32 v1, 3, v0
	global_load_dwordx2 v[4:5], v1, s[16:17] offset:2048
.LBB576_104:
	s_or_b64 exec, exec, s[0:1]
	v_or_b32_e32 v1, 0x200, v0
	v_cmp_gt_u32_e64 s[10:11], s20, v1
	s_and_saveexec_b64 s[0:1], s[10:11]
	s_cbranch_execz .LBB576_106
; %bb.105:
	v_lshlrev_b32_e32 v1, 3, v1
	global_load_dwordx2 v[6:7], v1, s[16:17]
.LBB576_106:
	s_or_b64 exec, exec, s[0:1]
	v_or_b32_e32 v1, 0x300, v0
	v_cmp_gt_u32_e64 s[8:9], s20, v1
	s_and_saveexec_b64 s[0:1], s[8:9]
	s_cbranch_execz .LBB576_108
; %bb.107:
	v_lshlrev_b32_e32 v1, 3, v1
	global_load_dwordx2 v[8:9], v1, s[16:17]
.LBB576_108:
	;; [unrolled: 9-line block ×5, first 2 shown]
	s_or_b64 exec, exec, s[18:19]
	v_or_b32_e32 v1, 0x700, v0
	v_cmp_gt_u32_e32 vcc, s20, v1
	s_and_saveexec_b64 s[18:19], vcc
	s_cbranch_execnz .LBB576_297
; %bb.115:
	s_or_b64 exec, exec, s[18:19]
	s_and_saveexec_b64 s[16:17], s[12:13]
	s_cbranch_execnz .LBB576_298
.LBB576_116:
	s_or_b64 exec, exec, s[16:17]
	s_and_saveexec_b64 s[12:13], s[10:11]
	s_cbranch_execnz .LBB576_299
.LBB576_117:
	s_or_b64 exec, exec, s[12:13]
	s_and_saveexec_b64 s[10:11], s[8:9]
	s_cbranch_execnz .LBB576_300
.LBB576_118:
	s_or_b64 exec, exec, s[10:11]
	s_and_saveexec_b64 s[8:9], s[6:7]
	s_cbranch_execnz .LBB576_301
.LBB576_119:
	s_or_b64 exec, exec, s[8:9]
	s_and_saveexec_b64 s[6:7], s[4:5]
	s_cbranch_execnz .LBB576_302
.LBB576_120:
	s_or_b64 exec, exec, s[6:7]
	s_and_saveexec_b64 s[4:5], s[0:1]
	s_cbranch_execnz .LBB576_303
.LBB576_121:
	s_or_b64 exec, exec, s[4:5]
	s_and_saveexec_b64 s[0:1], vcc
	s_cbranch_execz .LBB576_123
.LBB576_122:
	s_mov_b32 s6, 0xcccccccd
	s_waitcnt vmcnt(0)
	v_mul_hi_u32 v4, v16, s6
	v_mov_b32_e32 v5, 0
	v_mad_u64_u32 v[6:7], s[4:5], v17, s6, v[4:5]
	v_mov_b32_e32 v4, v7
	v_mov_b32_e32 v7, v5
	s_mov_b32 s7, 0xcccccccc
	v_mad_u64_u32 v[6:7], s[4:5], v16, s7, v[6:7]
	v_mov_b32_e32 v6, v7
	v_mov_b32_e32 v7, v5
	v_lshl_add_u64 v[6:7], v[4:5], 0, v[6:7]
	v_mad_u64_u32 v[6:7], s[4:5], v17, s7, v[6:7]
	v_mul_hi_u32 v4, v2, s6
	v_alignbit_b32 v1, v7, v6, 3
	v_mad_u64_u32 v[6:7], s[4:5], v3, s6, v[4:5]
	v_mov_b32_e32 v4, v7
	v_mov_b32_e32 v7, v5
	v_mad_u64_u32 v[6:7], s[4:5], v2, s7, v[6:7]
	v_mov_b32_e32 v6, v7
	v_mov_b32_e32 v7, v5
	v_lshl_add_u64 v[6:7], v[4:5], 0, v[6:7]
	v_mad_u64_u32 v[6:7], s[4:5], v3, s7, v[6:7]
	v_alignbit_b32 v3, v7, v6, 3
	v_mul_lo_u32 v1, v1, 10
	v_mul_lo_u32 v3, v3, 10
	v_sub_u32_e32 v1, v16, v1
	v_sub_u32_e32 v2, v2, v3
	v_add_u32_e32 v4, v2, v1
	v_lshl_add_u64 v[2:3], v[4:5], 0, -10
	v_cmp_gt_u32_e32 vcc, 10, v4
	s_nop 1
	v_cndmask_b32_e64 v3, v3, 0, vcc
	v_cndmask_b32_e32 v2, v2, v4, vcc
.LBB576_123:
	s_or_b64 exec, exec, s[0:1]
	v_mbcnt_lo_u32_b32 v1, -1, 0
	v_mbcnt_hi_u32_b32 v1, -1, v1
	s_waitcnt vmcnt(0)
	v_and_b32_e32 v4, 63, v1
	v_cmp_ne_u32_e32 vcc, 63, v4
	s_min_u32 s4, s20, 0x100
	v_add_u32_e32 v8, 1, v4
	v_addc_co_u32_e32 v5, vcc, 0, v1, vcc
	v_lshlrev_b32_e32 v5, 2, v5
	ds_bpermute_b32 v6, v5, v2
	ds_bpermute_b32 v7, v5, v3
	v_and_b32_e32 v5, 0xc0, v0
	v_sub_u32_e64 v5, s4, v5 clamp
	v_cmp_lt_u32_e32 vcc, v8, v5
	s_and_saveexec_b64 s[0:1], vcc
	s_xor_b64 s[0:1], exec, s[0:1]
	s_cbranch_execz .LBB576_125
; %bb.124:
	s_mov_b32 s5, 0xcccccccd
	s_waitcnt lgkmcnt(1)
	v_mul_hi_u32 v8, v6, s5
	v_mov_b32_e32 v9, 0
	s_waitcnt lgkmcnt(0)
	v_mad_u64_u32 v[10:11], s[6:7], v7, s5, v[8:9]
	v_mov_b32_e32 v8, v11
	v_mov_b32_e32 v11, v9
	s_mov_b32 s8, 0xcccccccc
	v_mad_u64_u32 v[10:11], s[6:7], v6, s8, v[10:11]
	v_mov_b32_e32 v10, v11
	v_mov_b32_e32 v11, v9
	v_lshl_add_u64 v[10:11], v[8:9], 0, v[10:11]
	v_mad_u64_u32 v[10:11], s[6:7], v7, s8, v[10:11]
	v_alignbit_b32 v7, v11, v10, 3
	v_mul_lo_u32 v7, v7, 10
	v_mul_hi_u32 v8, v2, s5
	v_sub_u32_e32 v10, v6, v7
	v_mad_u64_u32 v[6:7], s[6:7], v3, s5, v[8:9]
	v_mov_b32_e32 v8, v7
	v_mov_b32_e32 v7, v9
	v_mad_u64_u32 v[6:7], s[6:7], v2, s8, v[6:7]
	v_mov_b32_e32 v6, v7
	v_mov_b32_e32 v7, v9
	v_lshl_add_u64 v[6:7], v[8:9], 0, v[6:7]
	v_mad_u64_u32 v[6:7], s[6:7], v3, s8, v[6:7]
	v_alignbit_b32 v3, v7, v6, 3
	v_mul_lo_u32 v3, v3, 10
	v_sub_u32_e32 v2, v2, v3
	v_add_u32_e32 v8, v10, v2
	v_lshl_add_u64 v[2:3], v[8:9], 0, -10
	v_cmp_gt_u32_e32 vcc, 10, v8
	s_nop 1
	v_cndmask_b32_e64 v3, v3, 0, vcc
	v_cndmask_b32_e32 v2, v2, v8, vcc
.LBB576_125:
	s_or_b64 exec, exec, s[0:1]
	v_cmp_gt_u32_e32 vcc, 62, v4
	v_add_u32_e32 v8, 2, v4
	s_waitcnt lgkmcnt(1)
	v_cndmask_b32_e64 v6, 0, 2, vcc
	s_waitcnt lgkmcnt(0)
	v_add_lshl_u32 v7, v6, v1, 2
	ds_bpermute_b32 v6, v7, v2
	ds_bpermute_b32 v7, v7, v3
	v_cmp_lt_u32_e32 vcc, v8, v5
	s_and_saveexec_b64 s[0:1], vcc
	s_cbranch_execz .LBB576_127
; %bb.126:
	s_mov_b32 s5, 0xcccccccd
	s_waitcnt lgkmcnt(1)
	v_mul_hi_u32 v8, v6, s5
	v_mov_b32_e32 v9, 0
	s_waitcnt lgkmcnt(0)
	v_mad_u64_u32 v[10:11], s[6:7], v7, s5, v[8:9]
	v_mov_b32_e32 v8, v11
	v_mov_b32_e32 v11, v9
	s_mov_b32 s8, 0xcccccccc
	v_mad_u64_u32 v[10:11], s[6:7], v6, s8, v[10:11]
	v_mov_b32_e32 v10, v11
	v_mov_b32_e32 v11, v9
	v_lshl_add_u64 v[10:11], v[8:9], 0, v[10:11]
	v_mad_u64_u32 v[10:11], s[6:7], v7, s8, v[10:11]
	v_alignbit_b32 v7, v11, v10, 3
	v_mul_lo_u32 v7, v7, 10
	v_mul_hi_u32 v8, v2, s5
	v_sub_u32_e32 v10, v6, v7
	v_mad_u64_u32 v[6:7], s[6:7], v3, s5, v[8:9]
	v_mov_b32_e32 v8, v7
	v_mov_b32_e32 v7, v9
	v_mad_u64_u32 v[6:7], s[6:7], v2, s8, v[6:7]
	v_mov_b32_e32 v6, v7
	v_mov_b32_e32 v7, v9
	v_lshl_add_u64 v[6:7], v[8:9], 0, v[6:7]
	v_mad_u64_u32 v[6:7], s[6:7], v3, s8, v[6:7]
	v_alignbit_b32 v3, v7, v6, 3
	v_mul_lo_u32 v3, v3, 10
	v_sub_u32_e32 v2, v2, v3
	v_add_u32_e32 v8, v10, v2
	v_lshl_add_u64 v[2:3], v[8:9], 0, -10
	v_cmp_gt_u32_e32 vcc, 10, v8
	s_nop 1
	v_cndmask_b32_e64 v3, v3, 0, vcc
	v_cndmask_b32_e32 v2, v2, v8, vcc
.LBB576_127:
	s_or_b64 exec, exec, s[0:1]
	v_cmp_gt_u32_e32 vcc, 60, v4
	v_add_u32_e32 v8, 4, v4
	s_waitcnt lgkmcnt(1)
	v_cndmask_b32_e64 v6, 0, 4, vcc
	s_waitcnt lgkmcnt(0)
	v_add_lshl_u32 v7, v6, v1, 2
	ds_bpermute_b32 v6, v7, v2
	ds_bpermute_b32 v7, v7, v3
	v_cmp_lt_u32_e32 vcc, v8, v5
	s_and_saveexec_b64 s[0:1], vcc
	;; [unrolled: 49-line block ×4, first 2 shown]
	s_cbranch_execz .LBB576_133
; %bb.132:
	s_mov_b32 s5, 0xcccccccd
	s_waitcnt lgkmcnt(1)
	v_mul_hi_u32 v8, v6, s5
	v_mov_b32_e32 v9, 0
	s_waitcnt lgkmcnt(0)
	v_mad_u64_u32 v[10:11], s[6:7], v7, s5, v[8:9]
	v_mov_b32_e32 v8, v11
	v_mov_b32_e32 v11, v9
	s_mov_b32 s8, 0xcccccccc
	v_mad_u64_u32 v[10:11], s[6:7], v6, s8, v[10:11]
	v_mov_b32_e32 v10, v11
	v_mov_b32_e32 v11, v9
	v_lshl_add_u64 v[10:11], v[8:9], 0, v[10:11]
	v_mad_u64_u32 v[10:11], s[6:7], v7, s8, v[10:11]
	v_alignbit_b32 v7, v11, v10, 3
	v_mul_lo_u32 v7, v7, 10
	v_mul_hi_u32 v8, v2, s5
	v_sub_u32_e32 v10, v6, v7
	v_mad_u64_u32 v[6:7], s[6:7], v3, s5, v[8:9]
	v_mov_b32_e32 v8, v7
	v_mov_b32_e32 v7, v9
	v_mad_u64_u32 v[6:7], s[6:7], v2, s8, v[6:7]
	v_mov_b32_e32 v6, v7
	v_mov_b32_e32 v7, v9
	v_lshl_add_u64 v[6:7], v[8:9], 0, v[6:7]
	v_mad_u64_u32 v[6:7], s[6:7], v3, s8, v[6:7]
	v_alignbit_b32 v3, v7, v6, 3
	v_mul_lo_u32 v3, v3, 10
	v_sub_u32_e32 v2, v2, v3
	v_add_u32_e32 v8, v10, v2
	v_lshl_add_u64 v[2:3], v[8:9], 0, -10
	v_cmp_gt_u32_e32 vcc, 10, v8
	s_nop 1
	v_cndmask_b32_e64 v3, v3, 0, vcc
	v_cndmask_b32_e32 v2, v2, v8, vcc
.LBB576_133:
	s_or_b64 exec, exec, s[0:1]
	s_waitcnt lgkmcnt(1)
	v_lshlrev_b32_e32 v6, 2, v1
	v_or_b32_e32 v8, 0x80, v6
	s_waitcnt lgkmcnt(0)
	ds_bpermute_b32 v7, v8, v2
	ds_bpermute_b32 v8, v8, v3
	v_add_u32_e32 v4, 32, v4
	v_cmp_lt_u32_e32 vcc, v4, v5
	s_and_saveexec_b64 s[0:1], vcc
	s_cbranch_execz .LBB576_135
; %bb.134:
	s_mov_b32 s5, 0xcccccccd
	s_waitcnt lgkmcnt(1)
	v_mul_hi_u32 v4, v7, s5
	v_mov_b32_e32 v5, 0
	s_waitcnt lgkmcnt(0)
	v_mad_u64_u32 v[10:11], s[6:7], v8, s5, v[4:5]
	v_mov_b32_e32 v4, v11
	v_mov_b32_e32 v11, v5
	s_mov_b32 s8, 0xcccccccc
	v_mad_u64_u32 v[10:11], s[6:7], v7, s8, v[10:11]
	v_mov_b32_e32 v10, v11
	v_mov_b32_e32 v11, v5
	v_lshl_add_u64 v[10:11], v[4:5], 0, v[10:11]
	v_mad_u64_u32 v[8:9], s[6:7], v8, s8, v[10:11]
	v_alignbit_b32 v4, v9, v8, 3
	v_mul_lo_u32 v4, v4, 10
	v_sub_u32_e32 v7, v7, v4
	v_mul_hi_u32 v4, v2, s5
	v_mad_u64_u32 v[8:9], s[6:7], v3, s5, v[4:5]
	v_mov_b32_e32 v4, v9
	v_mov_b32_e32 v9, v5
	v_mad_u64_u32 v[8:9], s[6:7], v2, s8, v[8:9]
	v_mov_b32_e32 v8, v9
	v_mov_b32_e32 v9, v5
	v_lshl_add_u64 v[8:9], v[4:5], 0, v[8:9]
	v_mad_u64_u32 v[8:9], s[6:7], v3, s8, v[8:9]
	v_alignbit_b32 v3, v9, v8, 3
	v_mul_lo_u32 v3, v3, 10
	v_sub_u32_e32 v2, v2, v3
	v_add_u32_e32 v4, v7, v2
	v_lshl_add_u64 v[2:3], v[4:5], 0, -10
	v_cmp_gt_u32_e32 vcc, 10, v4
	s_nop 1
	v_cndmask_b32_e64 v3, v3, 0, vcc
	v_cndmask_b32_e32 v2, v2, v4, vcc
.LBB576_135:
	s_or_b64 exec, exec, s[0:1]
	v_cmp_eq_u32_e32 vcc, 0, v1
	s_and_saveexec_b64 s[0:1], vcc
; %bb.136:
	v_lshrrev_b32_e32 v4, 3, v0
	v_and_b32_e32 v4, 24, v4
	ds_write_b64 v4, v[2:3]
; %bb.137:
	s_or_b64 exec, exec, s[0:1]
	v_cmp_gt_u32_e32 vcc, 4, v0
	s_waitcnt lgkmcnt(0)
	s_barrier
	s_and_saveexec_b64 s[0:1], vcc
	s_cbranch_execz .LBB576_143
; %bb.138:
	v_lshlrev_b32_e32 v2, 3, v1
	ds_read_b64 v[2:3], v2
	v_and_b32_e32 v4, 3, v1
	v_cmp_ne_u32_e32 vcc, 3, v4
	s_add_i32 s4, s4, 63
	s_lshr_b32 s6, s4, 6
	v_addc_co_u32_e32 v1, vcc, 0, v1, vcc
	v_lshlrev_b32_e32 v5, 2, v1
	s_waitcnt lgkmcnt(0)
	ds_bpermute_b32 v1, v5, v2
	ds_bpermute_b32 v5, v5, v3
	v_add_u32_e32 v7, 1, v4
	v_cmp_gt_u32_e32 vcc, s6, v7
	s_and_saveexec_b64 s[4:5], vcc
	s_cbranch_execz .LBB576_140
; %bb.139:
	s_mov_b32 s7, 0xcccccccd
	s_waitcnt lgkmcnt(1)
	v_mul_hi_u32 v8, v1, s7
	v_mov_b32_e32 v9, 0
	s_waitcnt lgkmcnt(0)
	v_mad_u64_u32 v[10:11], s[8:9], v5, s7, v[8:9]
	v_mov_b32_e32 v8, v11
	v_mov_b32_e32 v11, v9
	s_mov_b32 s10, 0xcccccccc
	v_mad_u64_u32 v[10:11], s[8:9], v1, s10, v[10:11]
	v_mov_b32_e32 v10, v11
	v_mov_b32_e32 v11, v9
	v_lshl_add_u64 v[10:11], v[8:9], 0, v[10:11]
	v_mad_u64_u32 v[10:11], s[8:9], v5, s10, v[10:11]
	v_mul_hi_u32 v8, v2, s7
	v_alignbit_b32 v5, v11, v10, 3
	v_mad_u64_u32 v[10:11], s[8:9], v3, s7, v[8:9]
	v_mov_b32_e32 v8, v11
	v_mov_b32_e32 v11, v9
	v_mad_u64_u32 v[10:11], s[8:9], v2, s10, v[10:11]
	v_mov_b32_e32 v10, v11
	v_mov_b32_e32 v11, v9
	v_lshl_add_u64 v[10:11], v[8:9], 0, v[10:11]
	v_mad_u64_u32 v[10:11], s[8:9], v3, s10, v[10:11]
	v_alignbit_b32 v3, v11, v10, 3
	v_mul_lo_u32 v5, v5, 10
	v_mul_lo_u32 v3, v3, 10
	v_sub_u32_e32 v1, v1, v5
	v_sub_u32_e32 v2, v2, v3
	v_add_u32_e32 v8, v1, v2
	v_lshl_add_u64 v[2:3], v[8:9], 0, -10
	v_cmp_gt_u32_e32 vcc, 10, v8
	s_nop 1
	v_cndmask_b32_e64 v3, v3, 0, vcc
	v_cndmask_b32_e32 v2, v2, v8, vcc
.LBB576_140:
	s_or_b64 exec, exec, s[4:5]
	s_waitcnt lgkmcnt(0)
	v_or_b32_e32 v5, 8, v6
	ds_bpermute_b32 v1, v5, v2
	ds_bpermute_b32 v5, v5, v3
	v_add_u32_e32 v4, 2, v4
	v_cmp_gt_u32_e32 vcc, s6, v4
	s_and_saveexec_b64 s[4:5], vcc
	s_cbranch_execz .LBB576_142
; %bb.141:
	s_mov_b32 s8, 0xcccccccd
	s_waitcnt lgkmcnt(1)
	v_mul_hi_u32 v6, v1, s8
	v_mov_b32_e32 v7, 0
	s_waitcnt lgkmcnt(0)
	v_mad_u64_u32 v[8:9], s[6:7], v5, s8, v[6:7]
	v_mov_b32_e32 v6, v9
	v_mov_b32_e32 v9, v7
	s_mov_b32 s9, 0xcccccccc
	v_mad_u64_u32 v[8:9], s[6:7], v1, s9, v[8:9]
	v_mov_b32_e32 v8, v9
	v_mov_b32_e32 v9, v7
	v_lshl_add_u64 v[8:9], v[6:7], 0, v[8:9]
	v_mad_u64_u32 v[4:5], s[6:7], v5, s9, v[8:9]
	v_alignbit_b32 v4, v5, v4, 3
	v_mul_lo_u32 v4, v4, 10
	v_mul_hi_u32 v6, v2, s8
	v_sub_u32_e32 v1, v1, v4
	v_mad_u64_u32 v[4:5], s[6:7], v3, s8, v[6:7]
	v_mov_b32_e32 v6, v5
	v_mov_b32_e32 v5, v7
	v_mad_u64_u32 v[4:5], s[6:7], v2, s9, v[4:5]
	v_mov_b32_e32 v4, v5
	v_mov_b32_e32 v5, v7
	v_lshl_add_u64 v[4:5], v[6:7], 0, v[4:5]
	v_mad_u64_u32 v[4:5], s[6:7], v3, s9, v[4:5]
	v_alignbit_b32 v3, v5, v4, 3
	v_mul_lo_u32 v3, v3, 10
	v_sub_u32_e32 v2, v2, v3
	v_add_u32_e32 v6, v1, v2
	v_lshl_add_u64 v[2:3], v[6:7], 0, -10
	v_cmp_gt_u32_e32 vcc, 10, v6
	s_nop 1
	v_cndmask_b32_e64 v3, v3, 0, vcc
	v_cndmask_b32_e32 v2, v2, v6, vcc
.LBB576_142:
	s_or_b64 exec, exec, s[4:5]
.LBB576_143:
	s_or_b64 exec, exec, s[0:1]
.LBB576_144:
	v_cmp_eq_u32_e32 vcc, 0, v0
                                        ; implicit-def: $vgpr4_vgpr5
	s_and_saveexec_b64 s[0:1], vcc
	s_xor_b64 s[0:1], exec, s[0:1]
	s_cbranch_execz .LBB576_148
; %bb.145:
	s_cmp_eq_u64 s[38:39], 0
	s_waitcnt lgkmcnt(0)
	v_mov_b64_e32 v[4:5], s[42:43]
	s_cbranch_scc1 .LBB576_147
; %bb.146:
	s_mov_b32 s4, 0xcccccccd
	v_mul_hi_u32 v4, v2, s4
	v_mov_b32_e32 v5, 0
	v_mad_u64_u32 v[6:7], s[4:5], v3, s4, v[4:5]
	v_mov_b32_e32 v4, v7
	v_mov_b32_e32 v7, v5
	s_mov_b32 s6, 0xcccccccc
	v_mad_u64_u32 v[6:7], s[4:5], v2, s6, v[6:7]
	v_mov_b32_e32 v6, v7
	v_mov_b32_e32 v7, v5
	v_lshl_add_u64 v[6:7], v[4:5], 0, v[6:7]
	s_mul_i32 s7, s43, 0xcccccccd
	s_mul_hi_u32 s8, s42, 0xcccccccd
	v_mad_u64_u32 v[6:7], s[4:5], v3, s6, v[6:7]
	s_mul_hi_u32 s6, s43, 0xcccccccd
	s_add_u32 s7, s7, s8
	s_mul_i32 s5, s42, 0xcccccccc
	s_addc_u32 s6, s6, 0
	s_mul_hi_u32 s4, s42, 0xcccccccc
	s_add_u32 s5, s5, s7
	s_addc_u32 s4, s4, 0
	s_add_u32 s4, s6, s4
	s_addc_u32 s5, 0, 0
	s_mul_i32 s7, s43, 0xcccccccc
	s_mul_hi_u32 s6, s43, 0xcccccccc
	s_add_u32 s4, s7, s4
	s_addc_u32 s5, s6, s5
	v_alignbit_b32 v1, v7, v6, 3
	s_lshr_b64 s[4:5], s[4:5], 3
	v_mul_lo_u32 v1, v1, 10
	s_mul_i32 s4, s4, 10
	v_sub_u32_e32 v1, v2, v1
	s_sub_i32 s4, s42, s4
	v_add_u32_e32 v4, s4, v1
	v_lshl_add_u64 v[2:3], v[4:5], 0, -10
	v_cmp_gt_u32_e32 vcc, 10, v4
	s_nop 1
	v_cndmask_b32_e64 v5, v3, 0, vcc
	v_cndmask_b32_e32 v4, v2, v4, vcc
.LBB576_147:
	s_or_b64 s[14:15], s[14:15], exec
.LBB576_148:
	s_or_b64 exec, exec, s[0:1]
	v_mov_b64_e32 v[2:3], s[2:3]
	s_branch .LBB576_157
.LBB576_149:
	s_cmp_eq_u32 s33, 4
	s_cbranch_scc0 .LBB576_156
; %bb.150:
	s_mov_b32 s3, 0
	s_lshl_b32 s0, s2, 10
	s_mov_b32 s1, s3
	s_lshr_b64 s[4:5], s[38:39], 10
	s_lshl_b64 s[6:7], s[0:1], 3
	s_add_u32 s6, s36, s6
	s_addc_u32 s7, s37, s7
	s_cmp_lg_u64 s[4:5], s[2:3]
	s_cbranch_scc0 .LBB576_158
; %bb.151:
	v_lshlrev_b32_e32 v2, 3, v0
	s_waitcnt lgkmcnt(0)
	global_load_dwordx2 v[4:5], v2, s[6:7] offset:2048
	global_load_dwordx2 v[6:7], v2, s[6:7]
	v_mov_b32_e32 v3, 0
	v_lshl_add_u64 v[8:9], s[6:7], 0, v[2:3]
	v_add_co_u32_e32 v8, vcc, 0x1000, v8
	s_mov_b32 s4, 0xcccccccd
	s_nop 0
	v_addc_co_u32_e32 v9, vcc, 0, v9, vcc
	global_load_dwordx2 v[10:11], v[8:9], off
	global_load_dwordx2 v[12:13], v[8:9], off offset:2048
	s_mov_b32 s1, 0xcccccccc
	v_mov_b32_e32 v9, v3
	v_mov_b32_e32 v15, v3
	;; [unrolled: 1-line block ×7, first 2 shown]
	v_mbcnt_lo_u32_b32 v1, -1, 0
	v_mbcnt_hi_u32_b32 v1, -1, v1
	s_waitcnt vmcnt(3)
	v_mul_hi_u32 v2, v4, s4
	v_mad_u64_u32 v[26:27], s[8:9], v5, s4, v[2:3]
	v_mov_b32_e32 v2, v27
	v_mov_b32_e32 v27, v3
	v_mad_u64_u32 v[26:27], s[8:9], v4, s1, v[26:27]
	v_mov_b32_e32 v8, v27
	v_lshl_add_u64 v[8:9], v[2:3], 0, v[8:9]
	s_waitcnt vmcnt(2)
	v_mul_hi_u32 v2, v6, s4
	v_mad_u64_u32 v[26:27], s[8:9], v7, s4, v[2:3]
	v_mad_u64_u32 v[8:9], s[8:9], v5, s1, v[8:9]
	v_mov_b32_e32 v2, v27
	v_mov_b32_e32 v27, v3
	v_alignbit_b32 v5, v9, v8, 3
	v_mad_u64_u32 v[8:9], s[8:9], v6, s1, v[26:27]
	v_mul_lo_u32 v5, v5, 10
	v_mov_b32_e32 v14, v9
	v_sub_u32_e32 v8, v4, v5
	v_lshl_add_u64 v[4:5], v[2:3], 0, v[14:15]
	v_mad_u64_u32 v[4:5], s[8:9], v7, s1, v[4:5]
	v_alignbit_b32 v2, v5, v4, 3
	v_mul_lo_u32 v2, v2, 10
	v_sub_u32_e32 v2, v6, v2
	v_add_u32_e32 v2, v8, v2
	v_lshl_add_u64 v[4:5], v[2:3], 0, -10
	v_cmp_gt_u32_e32 vcc, 10, v2
	s_nop 1
	v_cndmask_b32_e32 v9, v4, v2, vcc
	s_waitcnt vmcnt(1)
	v_mul_hi_u32 v2, v10, s4
	v_cndmask_b32_e64 v8, v5, 0, vcc
	v_mad_u64_u32 v[4:5], s[8:9], v11, s4, v[2:3]
	v_mov_b32_e32 v2, v5
	v_mov_b32_e32 v5, v3
	v_mad_u64_u32 v[4:5], s[8:9], v10, s1, v[4:5]
	v_mov_b32_e32 v16, v5
	v_lshl_add_u64 v[4:5], v[2:3], 0, v[16:17]
	v_mul_hi_u32 v2, v9, s4
	v_mad_u64_u32 v[4:5], s[8:9], v11, s1, v[4:5]
	v_mad_u64_u32 v[6:7], s[8:9], v8, s4, v[2:3]
	v_alignbit_b32 v4, v5, v4, 3
	v_mov_b32_e32 v2, v7
	v_mov_b32_e32 v7, v3
	v_mul_lo_u32 v11, v4, 10
	v_mad_u64_u32 v[4:5], s[8:9], v9, s1, v[6:7]
	v_mov_b32_e32 v18, v5
	v_lshl_add_u64 v[4:5], v[2:3], 0, v[18:19]
	v_mad_u64_u32 v[4:5], s[8:9], v8, s1, v[4:5]
	v_alignbit_b32 v2, v5, v4, 3
	v_mul_lo_u32 v2, v2, 10
	v_sub_u32_e32 v6, v10, v11
	v_sub_u32_e32 v2, v9, v2
	v_add_u32_e32 v2, v2, v6
	v_lshl_add_u64 v[4:5], v[2:3], 0, -10
	v_cmp_gt_u32_e32 vcc, 10, v2
	s_nop 1
	v_cndmask_b32_e32 v9, v4, v2, vcc
	s_waitcnt vmcnt(0)
	v_mul_hi_u32 v2, v12, s4
	v_cndmask_b32_e64 v8, v5, 0, vcc
	v_mad_u64_u32 v[4:5], s[8:9], v13, s4, v[2:3]
	v_mov_b32_e32 v2, v5
	v_mov_b32_e32 v5, v3
	v_mad_u64_u32 v[4:5], s[8:9], v12, s1, v[4:5]
	v_mov_b32_e32 v20, v5
	v_lshl_add_u64 v[4:5], v[2:3], 0, v[20:21]
	v_mul_hi_u32 v2, v9, s4
	v_mad_u64_u32 v[4:5], s[8:9], v13, s1, v[4:5]
	v_mad_u64_u32 v[6:7], s[8:9], v8, s4, v[2:3]
	v_alignbit_b32 v4, v5, v4, 3
	v_mov_b32_e32 v2, v7
	v_mov_b32_e32 v7, v3
	v_mul_lo_u32 v10, v4, 10
	v_mad_u64_u32 v[4:5], s[8:9], v9, s1, v[6:7]
	v_mov_b32_e32 v22, v5
	v_lshl_add_u64 v[4:5], v[2:3], 0, v[22:23]
	v_mad_u64_u32 v[4:5], s[8:9], v8, s1, v[4:5]
	v_alignbit_b32 v2, v5, v4, 3
	v_mul_lo_u32 v2, v2, 10
	v_sub_u32_e32 v6, v12, v10
	v_sub_u32_e32 v2, v9, v2
	v_add_u32_e32 v2, v2, v6
	v_lshl_add_u64 v[4:5], v[2:3], 0, -10
	v_cmp_gt_u32_e32 vcc, 10, v2
	s_nop 1
	v_cndmask_b32_e32 v8, v4, v2, vcc
	v_cndmask_b32_e64 v6, v5, 0, vcc
	v_mul_hi_u32 v2, v8, s4
	v_mad_u64_u32 v[4:5], s[8:9], v6, s4, v[2:3]
	v_mov_b32_e32 v2, v5
	v_mov_b32_e32 v5, v3
	v_mad_u64_u32 v[4:5], s[8:9], v8, s1, v[4:5]
	v_mov_b32_e32 v24, v5
	v_mov_b32_dpp v9, v8 quad_perm:[1,0,3,2] row_mask:0xf bank_mask:0xf bound_ctrl:1
	v_lshl_add_u64 v[4:5], v[2:3], 0, v[24:25]
	v_mov_b32_dpp v10, v6 quad_perm:[1,0,3,2] row_mask:0xf bank_mask:0xf bound_ctrl:1
	v_mul_hi_u32 v2, v9, s4
	v_mad_u64_u32 v[4:5], s[8:9], v6, s1, v[4:5]
	v_mad_u64_u32 v[6:7], s[8:9], v10, s4, v[2:3]
	v_alignbit_b32 v4, v5, v4, 3
	v_mov_b32_e32 v2, v7
	v_mov_b32_e32 v7, v3
	v_mul_lo_u32 v4, v4, 10
	v_sub_u32_e32 v8, v8, v4
	v_mad_u64_u32 v[4:5], s[8:9], v9, s1, v[6:7]
	v_mov_b32_e32 v4, v5
	v_mov_b32_e32 v5, v3
	v_lshl_add_u64 v[4:5], v[2:3], 0, v[4:5]
	v_mad_u64_u32 v[4:5], s[8:9], v10, s1, v[4:5]
	v_alignbit_b32 v2, v5, v4, 3
	v_mul_lo_u32 v2, v2, 10
	v_sub_u32_e32 v2, v9, v2
	v_add_u32_e32 v2, v8, v2
	v_lshl_add_u64 v[4:5], v[2:3], 0, -10
	v_cmp_gt_u32_e32 vcc, 10, v2
	s_nop 1
	v_cndmask_b32_e32 v7, v4, v2, vcc
	v_cndmask_b32_e64 v6, v5, 0, vcc
	v_mul_hi_u32 v2, v7, s4
	v_mad_u64_u32 v[4:5], s[8:9], v6, s4, v[2:3]
	v_mov_b32_e32 v2, v5
	v_mov_b32_e32 v5, v3
	v_mad_u64_u32 v[4:5], s[8:9], v7, s1, v[4:5]
	v_mov_b32_e32 v4, v5
	v_mov_b32_e32 v5, v3
	v_lshl_add_u64 v[4:5], v[2:3], 0, v[4:5]
	v_mad_u64_u32 v[4:5], s[8:9], v6, s1, v[4:5]
	v_alignbit_b32 v2, v5, v4, 3
	v_mov_b32_dpp v8, v7 quad_perm:[2,3,0,1] row_mask:0xf bank_mask:0xf bound_ctrl:1
	v_mul_lo_u32 v2, v2, 10
	v_mov_b32_dpp v9, v6 quad_perm:[2,3,0,1] row_mask:0xf bank_mask:0xf bound_ctrl:1
	v_sub_u32_e32 v6, v7, v2
	v_mul_hi_u32 v2, v8, s4
	v_mad_u64_u32 v[4:5], s[8:9], v9, s4, v[2:3]
	v_mov_b32_e32 v2, v5
	v_mov_b32_e32 v5, v3
	v_mad_u64_u32 v[4:5], s[8:9], v8, s1, v[4:5]
	v_mov_b32_e32 v4, v5
	v_mov_b32_e32 v5, v3
	v_lshl_add_u64 v[4:5], v[2:3], 0, v[4:5]
	v_mad_u64_u32 v[4:5], s[8:9], v9, s1, v[4:5]
	v_alignbit_b32 v2, v5, v4, 3
	v_mul_lo_u32 v2, v2, 10
	v_sub_u32_e32 v2, v8, v2
	v_add_u32_e32 v2, v6, v2
	v_lshl_add_u64 v[4:5], v[2:3], 0, -10
	v_cmp_gt_u32_e32 vcc, 10, v2
	s_nop 1
	v_cndmask_b32_e32 v7, v4, v2, vcc
	v_cndmask_b32_e64 v6, v5, 0, vcc
	v_mul_hi_u32 v2, v7, s4
	v_mad_u64_u32 v[4:5], s[8:9], v6, s4, v[2:3]
	v_mov_b32_e32 v2, v5
	v_mov_b32_e32 v5, v3
	v_mad_u64_u32 v[4:5], s[8:9], v7, s1, v[4:5]
	v_mov_b32_e32 v4, v5
	v_mov_b32_e32 v5, v3
	v_lshl_add_u64 v[4:5], v[2:3], 0, v[4:5]
	v_mad_u64_u32 v[4:5], s[8:9], v6, s1, v[4:5]
	v_alignbit_b32 v2, v5, v4, 3
	v_mov_b32_dpp v8, v7 row_ror:4 row_mask:0xf bank_mask:0xf bound_ctrl:1
	v_mul_lo_u32 v2, v2, 10
	v_mov_b32_dpp v9, v6 row_ror:4 row_mask:0xf bank_mask:0xf bound_ctrl:1
	v_sub_u32_e32 v6, v7, v2
	v_mul_hi_u32 v2, v8, s4
	v_mad_u64_u32 v[4:5], s[8:9], v9, s4, v[2:3]
	v_mov_b32_e32 v2, v5
	v_mov_b32_e32 v5, v3
	v_mad_u64_u32 v[4:5], s[8:9], v8, s1, v[4:5]
	v_mov_b32_e32 v4, v5
	v_mov_b32_e32 v5, v3
	v_lshl_add_u64 v[4:5], v[2:3], 0, v[4:5]
	v_mad_u64_u32 v[4:5], s[8:9], v9, s1, v[4:5]
	v_alignbit_b32 v2, v5, v4, 3
	v_mul_lo_u32 v2, v2, 10
	v_sub_u32_e32 v2, v8, v2
	v_add_u32_e32 v2, v6, v2
	v_lshl_add_u64 v[4:5], v[2:3], 0, -10
	v_cmp_gt_u32_e32 vcc, 10, v2
	s_nop 1
	v_cndmask_b32_e32 v7, v4, v2, vcc
	v_cndmask_b32_e64 v6, v5, 0, vcc
	v_mul_hi_u32 v2, v7, s4
	v_mad_u64_u32 v[4:5], s[8:9], v6, s4, v[2:3]
	v_mov_b32_e32 v2, v5
	v_mov_b32_e32 v5, v3
	v_mad_u64_u32 v[4:5], s[8:9], v7, s1, v[4:5]
	v_mov_b32_e32 v4, v5
	v_mov_b32_e32 v5, v3
	v_lshl_add_u64 v[4:5], v[2:3], 0, v[4:5]
	v_mad_u64_u32 v[4:5], s[8:9], v6, s1, v[4:5]
	v_alignbit_b32 v2, v5, v4, 3
	v_mov_b32_dpp v8, v7 row_ror:8 row_mask:0xf bank_mask:0xf bound_ctrl:1
	v_mul_lo_u32 v2, v2, 10
	v_mov_b32_dpp v9, v6 row_ror:8 row_mask:0xf bank_mask:0xf bound_ctrl:1
	v_sub_u32_e32 v6, v7, v2
	v_mul_hi_u32 v2, v8, s4
	v_mad_u64_u32 v[4:5], s[8:9], v9, s4, v[2:3]
	v_mov_b32_e32 v2, v5
	v_mov_b32_e32 v5, v3
	v_mad_u64_u32 v[4:5], s[8:9], v8, s1, v[4:5]
	v_mov_b32_e32 v4, v5
	v_mov_b32_e32 v5, v3
	v_lshl_add_u64 v[4:5], v[2:3], 0, v[4:5]
	v_mad_u64_u32 v[4:5], s[8:9], v9, s1, v[4:5]
	v_alignbit_b32 v2, v5, v4, 3
	v_mul_lo_u32 v2, v2, 10
	v_sub_u32_e32 v2, v8, v2
	v_add_u32_e32 v2, v6, v2
	v_lshl_add_u64 v[4:5], v[2:3], 0, -10
	v_cmp_gt_u32_e32 vcc, 10, v2
	s_nop 1
	v_cndmask_b32_e32 v7, v4, v2, vcc
	v_cndmask_b32_e64 v6, v5, 0, vcc
	v_mul_hi_u32 v2, v7, s4
	v_mad_u64_u32 v[4:5], s[8:9], v6, s4, v[2:3]
	v_mov_b32_e32 v2, v5
	v_mov_b32_e32 v5, v3
	v_mad_u64_u32 v[4:5], s[8:9], v7, s1, v[4:5]
	v_mov_b32_e32 v4, v5
	v_mov_b32_e32 v5, v3
	v_lshl_add_u64 v[4:5], v[2:3], 0, v[4:5]
	v_mad_u64_u32 v[4:5], s[8:9], v6, s1, v[4:5]
	v_alignbit_b32 v2, v5, v4, 3
	v_mov_b32_dpp v8, v7 row_bcast:15 row_mask:0xf bank_mask:0xf bound_ctrl:1
	v_mul_lo_u32 v2, v2, 10
	v_mov_b32_dpp v9, v6 row_bcast:15 row_mask:0xf bank_mask:0xf bound_ctrl:1
	v_sub_u32_e32 v6, v7, v2
	v_mul_hi_u32 v2, v8, s4
	v_mad_u64_u32 v[4:5], s[8:9], v9, s4, v[2:3]
	v_mov_b32_e32 v2, v5
	v_mov_b32_e32 v5, v3
	v_mad_u64_u32 v[4:5], s[8:9], v8, s1, v[4:5]
	v_mov_b32_e32 v4, v5
	v_mov_b32_e32 v5, v3
	v_lshl_add_u64 v[4:5], v[2:3], 0, v[4:5]
	v_mad_u64_u32 v[4:5], s[8:9], v9, s1, v[4:5]
	v_alignbit_b32 v2, v5, v4, 3
	v_mul_lo_u32 v2, v2, 10
	v_sub_u32_e32 v2, v8, v2
	v_add_u32_e32 v2, v6, v2
	v_lshl_add_u64 v[4:5], v[2:3], 0, -10
	v_cmp_gt_u32_e32 vcc, 10, v2
	s_nop 1
	v_cndmask_b32_e32 v7, v4, v2, vcc
	v_cndmask_b32_e64 v6, v5, 0, vcc
	v_mul_hi_u32 v2, v7, s4
	v_mad_u64_u32 v[4:5], s[8:9], v6, s4, v[2:3]
	v_mov_b32_e32 v2, v5
	v_mov_b32_e32 v5, v3
	v_mad_u64_u32 v[4:5], s[8:9], v7, s1, v[4:5]
	v_mov_b32_e32 v4, v5
	v_mov_b32_e32 v5, v3
	v_lshl_add_u64 v[4:5], v[2:3], 0, v[4:5]
	v_mad_u64_u32 v[4:5], s[8:9], v6, s1, v[4:5]
	v_alignbit_b32 v2, v5, v4, 3
	v_mov_b32_dpp v8, v7 row_bcast:31 row_mask:0xf bank_mask:0xf bound_ctrl:1
	v_mul_lo_u32 v2, v2, 10
	v_mov_b32_dpp v9, v6 row_bcast:31 row_mask:0xf bank_mask:0xf bound_ctrl:1
	v_sub_u32_e32 v6, v7, v2
	v_mul_hi_u32 v2, v8, s4
	v_mad_u64_u32 v[4:5], s[4:5], v9, s4, v[2:3]
	v_mov_b32_e32 v2, v5
	v_mov_b32_e32 v5, v3
	v_mad_u64_u32 v[4:5], s[4:5], v8, s1, v[4:5]
	v_mov_b32_e32 v4, v5
	v_mov_b32_e32 v5, v3
	v_lshl_add_u64 v[4:5], v[2:3], 0, v[4:5]
	v_mad_u64_u32 v[4:5], s[4:5], v9, s1, v[4:5]
	v_alignbit_b32 v2, v5, v4, 3
	v_mul_lo_u32 v2, v2, 10
	v_sub_u32_e32 v2, v8, v2
	v_add_u32_e32 v2, v6, v2
	v_lshl_add_u64 v[4:5], v[2:3], 0, -10
	v_cmp_gt_u32_e32 vcc, 10, v2
	s_nop 1
	v_cndmask_b32_e32 v2, v4, v2, vcc
	v_lshlrev_b32_e32 v4, 2, v1
	v_cndmask_b32_e64 v3, v5, 0, vcc
	v_or_b32_e32 v5, 0xfc, v4
	ds_bpermute_b32 v2, v5, v2
	ds_bpermute_b32 v3, v5, v3
	v_cmp_eq_u32_e32 vcc, 0, v1
	s_and_saveexec_b64 s[4:5], vcc
	s_cbranch_execz .LBB576_153
; %bb.152:
	v_lshrrev_b32_e32 v5, 3, v0
	v_and_b32_e32 v5, 24, v5
	s_waitcnt lgkmcnt(0)
	ds_write_b64 v5, v[2:3] offset:128
.LBB576_153:
	s_or_b64 exec, exec, s[4:5]
	v_cmp_gt_u32_e32 vcc, 64, v0
	s_waitcnt lgkmcnt(0)
	s_barrier
	s_and_saveexec_b64 s[4:5], vcc
	s_cbranch_execz .LBB576_155
; %bb.154:
	v_and_b32_e32 v5, 3, v1
	v_lshlrev_b32_e32 v2, 3, v5
	ds_read_b64 v[2:3], v2 offset:128
	v_cmp_ne_u32_e32 vcc, 3, v5
	s_mov_b32 s1, 0xcccccccd
	v_mov_b32_e32 v7, 0
	v_addc_co_u32_e32 v1, vcc, 0, v1, vcc
	v_lshlrev_b32_e32 v1, 2, v1
	s_waitcnt lgkmcnt(0)
	ds_bpermute_b32 v5, v1, v2
	ds_bpermute_b32 v1, v1, v3
	s_mov_b32 s10, 0xcccccccc
	s_waitcnt lgkmcnt(1)
	v_mul_hi_u32 v6, v5, s1
	s_waitcnt lgkmcnt(0)
	v_mad_u64_u32 v[8:9], s[8:9], v1, s1, v[6:7]
	v_mov_b32_e32 v6, v9
	v_mov_b32_e32 v9, v7
	v_mad_u64_u32 v[8:9], s[8:9], v5, s10, v[8:9]
	v_mov_b32_e32 v8, v9
	v_mov_b32_e32 v9, v7
	v_lshl_add_u64 v[8:9], v[6:7], 0, v[8:9]
	v_mad_u64_u32 v[8:9], s[8:9], v1, s10, v[8:9]
	v_mul_hi_u32 v6, v2, s1
	v_alignbit_b32 v1, v9, v8, 3
	v_mad_u64_u32 v[8:9], s[8:9], v3, s1, v[6:7]
	v_mov_b32_e32 v6, v9
	v_mov_b32_e32 v9, v7
	v_mad_u64_u32 v[8:9], s[8:9], v2, s10, v[8:9]
	v_mov_b32_e32 v8, v9
	v_mov_b32_e32 v9, v7
	v_lshl_add_u64 v[8:9], v[6:7], 0, v[8:9]
	v_mad_u64_u32 v[8:9], s[8:9], v3, s10, v[8:9]
	v_alignbit_b32 v3, v9, v8, 3
	v_mul_lo_u32 v1, v1, 10
	v_mul_lo_u32 v3, v3, 10
	v_sub_u32_e32 v1, v5, v1
	v_sub_u32_e32 v2, v2, v3
	v_add_u32_e32 v6, v1, v2
	v_lshl_add_u64 v[2:3], v[6:7], 0, -10
	v_cmp_gt_u32_e32 vcc, 10, v6
	s_nop 1
	v_cndmask_b32_e32 v5, v2, v6, vcc
	v_or_b32_e32 v2, 8, v4
	v_cndmask_b32_e64 v1, v3, 0, vcc
	ds_bpermute_b32 v4, v2, v5
	ds_bpermute_b32 v8, v2, v1
	s_waitcnt lgkmcnt(1)
	v_mul_hi_u32 v6, v4, s1
	s_waitcnt lgkmcnt(0)
	v_mad_u64_u32 v[2:3], s[8:9], v8, s1, v[6:7]
	v_mov_b32_e32 v6, v3
	v_mov_b32_e32 v3, v7
	v_mad_u64_u32 v[2:3], s[8:9], v4, s10, v[2:3]
	v_mov_b32_e32 v2, v3
	v_mov_b32_e32 v3, v7
	v_lshl_add_u64 v[2:3], v[6:7], 0, v[2:3]
	v_mad_u64_u32 v[2:3], s[8:9], v8, s10, v[2:3]
	v_alignbit_b32 v2, v3, v2, 3
	v_mul_lo_u32 v2, v2, 10
	v_mul_hi_u32 v6, v5, s1
	v_sub_u32_e32 v4, v4, v2
	v_mad_u64_u32 v[2:3], s[8:9], v1, s1, v[6:7]
	v_mov_b32_e32 v6, v3
	v_mov_b32_e32 v3, v7
	v_mad_u64_u32 v[2:3], s[8:9], v5, s10, v[2:3]
	v_mov_b32_e32 v2, v3
	v_mov_b32_e32 v3, v7
	v_lshl_add_u64 v[2:3], v[6:7], 0, v[2:3]
	v_mad_u64_u32 v[2:3], s[8:9], v1, s10, v[2:3]
	v_alignbit_b32 v1, v3, v2, 3
	v_mul_lo_u32 v1, v1, 10
	v_sub_u32_e32 v1, v5, v1
	v_add_u32_e32 v6, v1, v4
	v_lshl_add_u64 v[2:3], v[6:7], 0, -10
	v_cmp_gt_u32_e32 vcc, 10, v6
	s_nop 1
	v_cndmask_b32_e64 v3, v3, 0, vcc
	v_cndmask_b32_e32 v2, v2, v6, vcc
.LBB576_155:
	s_or_b64 exec, exec, s[4:5]
	s_branch .LBB576_191
.LBB576_156:
                                        ; implicit-def: $vgpr4_vgpr5
                                        ; implicit-def: $vgpr2_vgpr3
.LBB576_157:
	s_branch .LBB576_247
.LBB576_158:
                                        ; implicit-def: $vgpr2_vgpr3
	s_cbranch_execz .LBB576_191
; %bb.159:
	s_sub_i32 s10, s38, s0
	v_mov_b32_e32 v2, 0
	v_cmp_gt_u32_e32 vcc, s10, v0
	v_mov_b32_e32 v3, v2
	v_mov_b32_e32 v4, v2
	s_waitcnt lgkmcnt(0)
	v_mov_b32_e32 v5, v2
	v_mov_b32_e32 v6, v2
	;; [unrolled: 1-line block ×5, first 2 shown]
	s_and_saveexec_b64 s[0:1], vcc
	s_cbranch_execz .LBB576_161
; %bb.160:
	v_lshlrev_b32_e32 v1, 3, v0
	global_load_dwordx2 v[4:5], v1, s[6:7]
	v_mov_b32_e32 v6, v2
	v_mov_b32_e32 v7, v2
	;; [unrolled: 1-line block ×6, first 2 shown]
	s_waitcnt vmcnt(0)
	v_mov_b64_e32 v[2:3], v[4:5]
	v_mov_b64_e32 v[4:5], v[6:7]
	;; [unrolled: 1-line block ×4, first 2 shown]
.LBB576_161:
	s_or_b64 exec, exec, s[0:1]
	v_or_b32_e32 v1, 0x100, v0
	v_cmp_gt_u32_e64 s[4:5], s10, v1
	s_and_saveexec_b64 s[0:1], s[4:5]
	s_cbranch_execz .LBB576_163
; %bb.162:
	v_lshlrev_b32_e32 v1, 3, v0
	global_load_dwordx2 v[4:5], v1, s[6:7] offset:2048
.LBB576_163:
	s_or_b64 exec, exec, s[0:1]
	v_or_b32_e32 v1, 0x200, v0
	v_cmp_gt_u32_e64 s[0:1], s10, v1
	s_and_saveexec_b64 s[8:9], s[0:1]
	s_cbranch_execz .LBB576_165
; %bb.164:
	v_lshlrev_b32_e32 v1, 3, v1
	global_load_dwordx2 v[6:7], v1, s[6:7]
.LBB576_165:
	s_or_b64 exec, exec, s[8:9]
	v_or_b32_e32 v1, 0x300, v0
	v_cmp_gt_u32_e32 vcc, s10, v1
	s_and_saveexec_b64 s[8:9], vcc
	s_cbranch_execnz .LBB576_279
; %bb.166:
	s_or_b64 exec, exec, s[8:9]
	s_and_saveexec_b64 s[6:7], s[4:5]
	s_cbranch_execnz .LBB576_280
.LBB576_167:
	s_or_b64 exec, exec, s[6:7]
	s_and_saveexec_b64 s[4:5], s[0:1]
	s_cbranch_execnz .LBB576_281
.LBB576_168:
	s_or_b64 exec, exec, s[4:5]
	s_and_saveexec_b64 s[0:1], vcc
	s_cbranch_execz .LBB576_170
.LBB576_169:
	s_mov_b32 s6, 0xcccccccd
	s_waitcnt vmcnt(0)
	v_mul_hi_u32 v4, v8, s6
	v_mov_b32_e32 v5, 0
	v_mad_u64_u32 v[6:7], s[4:5], v9, s6, v[4:5]
	v_mov_b32_e32 v4, v7
	v_mov_b32_e32 v7, v5
	s_mov_b32 s7, 0xcccccccc
	v_mad_u64_u32 v[6:7], s[4:5], v8, s7, v[6:7]
	v_mov_b32_e32 v6, v7
	v_mov_b32_e32 v7, v5
	v_lshl_add_u64 v[6:7], v[4:5], 0, v[6:7]
	v_mad_u64_u32 v[6:7], s[4:5], v9, s7, v[6:7]
	v_mul_hi_u32 v4, v2, s6
	v_alignbit_b32 v1, v7, v6, 3
	v_mad_u64_u32 v[6:7], s[4:5], v3, s6, v[4:5]
	v_mov_b32_e32 v4, v7
	v_mov_b32_e32 v7, v5
	v_mad_u64_u32 v[6:7], s[4:5], v2, s7, v[6:7]
	v_mov_b32_e32 v6, v7
	v_mov_b32_e32 v7, v5
	v_lshl_add_u64 v[6:7], v[4:5], 0, v[6:7]
	v_mad_u64_u32 v[6:7], s[4:5], v3, s7, v[6:7]
	v_alignbit_b32 v3, v7, v6, 3
	v_mul_lo_u32 v1, v1, 10
	v_mul_lo_u32 v3, v3, 10
	v_sub_u32_e32 v1, v8, v1
	v_sub_u32_e32 v2, v2, v3
	v_add_u32_e32 v4, v2, v1
	v_lshl_add_u64 v[2:3], v[4:5], 0, -10
	v_cmp_gt_u32_e32 vcc, 10, v4
	s_nop 1
	v_cndmask_b32_e64 v3, v3, 0, vcc
	v_cndmask_b32_e32 v2, v2, v4, vcc
.LBB576_170:
	s_or_b64 exec, exec, s[0:1]
	v_mbcnt_lo_u32_b32 v1, -1, 0
	v_mbcnt_hi_u32_b32 v1, -1, v1
	s_waitcnt vmcnt(0)
	v_and_b32_e32 v4, 63, v1
	v_cmp_ne_u32_e32 vcc, 63, v4
	s_min_u32 s4, s10, 0x100
	v_add_u32_e32 v8, 1, v4
	v_addc_co_u32_e32 v5, vcc, 0, v1, vcc
	v_lshlrev_b32_e32 v5, 2, v5
	ds_bpermute_b32 v6, v5, v2
	ds_bpermute_b32 v7, v5, v3
	v_and_b32_e32 v5, 0xc0, v0
	v_sub_u32_e64 v5, s4, v5 clamp
	v_cmp_lt_u32_e32 vcc, v8, v5
	s_and_saveexec_b64 s[0:1], vcc
	s_xor_b64 s[0:1], exec, s[0:1]
	s_cbranch_execz .LBB576_172
; %bb.171:
	s_mov_b32 s5, 0xcccccccd
	s_waitcnt lgkmcnt(1)
	v_mul_hi_u32 v8, v6, s5
	v_mov_b32_e32 v9, 0
	s_waitcnt lgkmcnt(0)
	v_mad_u64_u32 v[10:11], s[6:7], v7, s5, v[8:9]
	v_mov_b32_e32 v8, v11
	v_mov_b32_e32 v11, v9
	s_mov_b32 s8, 0xcccccccc
	v_mad_u64_u32 v[10:11], s[6:7], v6, s8, v[10:11]
	v_mov_b32_e32 v10, v11
	v_mov_b32_e32 v11, v9
	v_lshl_add_u64 v[10:11], v[8:9], 0, v[10:11]
	v_mad_u64_u32 v[10:11], s[6:7], v7, s8, v[10:11]
	v_alignbit_b32 v7, v11, v10, 3
	v_mul_lo_u32 v7, v7, 10
	v_mul_hi_u32 v8, v2, s5
	v_sub_u32_e32 v10, v6, v7
	v_mad_u64_u32 v[6:7], s[6:7], v3, s5, v[8:9]
	v_mov_b32_e32 v8, v7
	v_mov_b32_e32 v7, v9
	v_mad_u64_u32 v[6:7], s[6:7], v2, s8, v[6:7]
	v_mov_b32_e32 v6, v7
	v_mov_b32_e32 v7, v9
	v_lshl_add_u64 v[6:7], v[8:9], 0, v[6:7]
	v_mad_u64_u32 v[6:7], s[6:7], v3, s8, v[6:7]
	v_alignbit_b32 v3, v7, v6, 3
	v_mul_lo_u32 v3, v3, 10
	v_sub_u32_e32 v2, v2, v3
	v_add_u32_e32 v8, v10, v2
	v_lshl_add_u64 v[2:3], v[8:9], 0, -10
	v_cmp_gt_u32_e32 vcc, 10, v8
	s_nop 1
	v_cndmask_b32_e64 v3, v3, 0, vcc
	v_cndmask_b32_e32 v2, v2, v8, vcc
.LBB576_172:
	s_or_b64 exec, exec, s[0:1]
	v_cmp_gt_u32_e32 vcc, 62, v4
	v_add_u32_e32 v8, 2, v4
	s_waitcnt lgkmcnt(1)
	v_cndmask_b32_e64 v6, 0, 2, vcc
	s_waitcnt lgkmcnt(0)
	v_add_lshl_u32 v7, v6, v1, 2
	ds_bpermute_b32 v6, v7, v2
	ds_bpermute_b32 v7, v7, v3
	v_cmp_lt_u32_e32 vcc, v8, v5
	s_and_saveexec_b64 s[0:1], vcc
	s_cbranch_execz .LBB576_174
; %bb.173:
	s_mov_b32 s5, 0xcccccccd
	s_waitcnt lgkmcnt(1)
	v_mul_hi_u32 v8, v6, s5
	v_mov_b32_e32 v9, 0
	s_waitcnt lgkmcnt(0)
	v_mad_u64_u32 v[10:11], s[6:7], v7, s5, v[8:9]
	v_mov_b32_e32 v8, v11
	v_mov_b32_e32 v11, v9
	s_mov_b32 s8, 0xcccccccc
	v_mad_u64_u32 v[10:11], s[6:7], v6, s8, v[10:11]
	v_mov_b32_e32 v10, v11
	v_mov_b32_e32 v11, v9
	v_lshl_add_u64 v[10:11], v[8:9], 0, v[10:11]
	v_mad_u64_u32 v[10:11], s[6:7], v7, s8, v[10:11]
	v_alignbit_b32 v7, v11, v10, 3
	v_mul_lo_u32 v7, v7, 10
	v_mul_hi_u32 v8, v2, s5
	v_sub_u32_e32 v10, v6, v7
	v_mad_u64_u32 v[6:7], s[6:7], v3, s5, v[8:9]
	v_mov_b32_e32 v8, v7
	v_mov_b32_e32 v7, v9
	v_mad_u64_u32 v[6:7], s[6:7], v2, s8, v[6:7]
	v_mov_b32_e32 v6, v7
	v_mov_b32_e32 v7, v9
	v_lshl_add_u64 v[6:7], v[8:9], 0, v[6:7]
	v_mad_u64_u32 v[6:7], s[6:7], v3, s8, v[6:7]
	v_alignbit_b32 v3, v7, v6, 3
	v_mul_lo_u32 v3, v3, 10
	v_sub_u32_e32 v2, v2, v3
	v_add_u32_e32 v8, v10, v2
	v_lshl_add_u64 v[2:3], v[8:9], 0, -10
	v_cmp_gt_u32_e32 vcc, 10, v8
	s_nop 1
	v_cndmask_b32_e64 v3, v3, 0, vcc
	v_cndmask_b32_e32 v2, v2, v8, vcc
.LBB576_174:
	s_or_b64 exec, exec, s[0:1]
	v_cmp_gt_u32_e32 vcc, 60, v4
	v_add_u32_e32 v8, 4, v4
	s_waitcnt lgkmcnt(1)
	v_cndmask_b32_e64 v6, 0, 4, vcc
	s_waitcnt lgkmcnt(0)
	v_add_lshl_u32 v7, v6, v1, 2
	ds_bpermute_b32 v6, v7, v2
	ds_bpermute_b32 v7, v7, v3
	v_cmp_lt_u32_e32 vcc, v8, v5
	s_and_saveexec_b64 s[0:1], vcc
	;; [unrolled: 49-line block ×4, first 2 shown]
	s_cbranch_execz .LBB576_180
; %bb.179:
	s_mov_b32 s5, 0xcccccccd
	s_waitcnt lgkmcnt(1)
	v_mul_hi_u32 v8, v6, s5
	v_mov_b32_e32 v9, 0
	s_waitcnt lgkmcnt(0)
	v_mad_u64_u32 v[10:11], s[6:7], v7, s5, v[8:9]
	v_mov_b32_e32 v8, v11
	v_mov_b32_e32 v11, v9
	s_mov_b32 s8, 0xcccccccc
	v_mad_u64_u32 v[10:11], s[6:7], v6, s8, v[10:11]
	v_mov_b32_e32 v10, v11
	v_mov_b32_e32 v11, v9
	v_lshl_add_u64 v[10:11], v[8:9], 0, v[10:11]
	v_mad_u64_u32 v[10:11], s[6:7], v7, s8, v[10:11]
	v_alignbit_b32 v7, v11, v10, 3
	v_mul_lo_u32 v7, v7, 10
	v_mul_hi_u32 v8, v2, s5
	v_sub_u32_e32 v10, v6, v7
	v_mad_u64_u32 v[6:7], s[6:7], v3, s5, v[8:9]
	v_mov_b32_e32 v8, v7
	v_mov_b32_e32 v7, v9
	v_mad_u64_u32 v[6:7], s[6:7], v2, s8, v[6:7]
	v_mov_b32_e32 v6, v7
	v_mov_b32_e32 v7, v9
	v_lshl_add_u64 v[6:7], v[8:9], 0, v[6:7]
	v_mad_u64_u32 v[6:7], s[6:7], v3, s8, v[6:7]
	v_alignbit_b32 v3, v7, v6, 3
	v_mul_lo_u32 v3, v3, 10
	v_sub_u32_e32 v2, v2, v3
	v_add_u32_e32 v8, v10, v2
	v_lshl_add_u64 v[2:3], v[8:9], 0, -10
	v_cmp_gt_u32_e32 vcc, 10, v8
	s_nop 1
	v_cndmask_b32_e64 v3, v3, 0, vcc
	v_cndmask_b32_e32 v2, v2, v8, vcc
.LBB576_180:
	s_or_b64 exec, exec, s[0:1]
	s_waitcnt lgkmcnt(1)
	v_lshlrev_b32_e32 v6, 2, v1
	v_or_b32_e32 v8, 0x80, v6
	s_waitcnt lgkmcnt(0)
	ds_bpermute_b32 v7, v8, v2
	ds_bpermute_b32 v8, v8, v3
	v_add_u32_e32 v4, 32, v4
	v_cmp_lt_u32_e32 vcc, v4, v5
	s_and_saveexec_b64 s[0:1], vcc
	s_cbranch_execz .LBB576_182
; %bb.181:
	s_mov_b32 s5, 0xcccccccd
	s_waitcnt lgkmcnt(1)
	v_mul_hi_u32 v4, v7, s5
	v_mov_b32_e32 v5, 0
	s_waitcnt lgkmcnt(0)
	v_mad_u64_u32 v[10:11], s[6:7], v8, s5, v[4:5]
	v_mov_b32_e32 v4, v11
	v_mov_b32_e32 v11, v5
	s_mov_b32 s8, 0xcccccccc
	v_mad_u64_u32 v[10:11], s[6:7], v7, s8, v[10:11]
	v_mov_b32_e32 v10, v11
	v_mov_b32_e32 v11, v5
	v_lshl_add_u64 v[10:11], v[4:5], 0, v[10:11]
	v_mad_u64_u32 v[8:9], s[6:7], v8, s8, v[10:11]
	v_alignbit_b32 v4, v9, v8, 3
	v_mul_lo_u32 v4, v4, 10
	v_sub_u32_e32 v7, v7, v4
	v_mul_hi_u32 v4, v2, s5
	v_mad_u64_u32 v[8:9], s[6:7], v3, s5, v[4:5]
	v_mov_b32_e32 v4, v9
	v_mov_b32_e32 v9, v5
	v_mad_u64_u32 v[8:9], s[6:7], v2, s8, v[8:9]
	v_mov_b32_e32 v8, v9
	v_mov_b32_e32 v9, v5
	v_lshl_add_u64 v[8:9], v[4:5], 0, v[8:9]
	v_mad_u64_u32 v[8:9], s[6:7], v3, s8, v[8:9]
	v_alignbit_b32 v3, v9, v8, 3
	v_mul_lo_u32 v3, v3, 10
	v_sub_u32_e32 v2, v2, v3
	v_add_u32_e32 v4, v7, v2
	v_lshl_add_u64 v[2:3], v[4:5], 0, -10
	v_cmp_gt_u32_e32 vcc, 10, v4
	s_nop 1
	v_cndmask_b32_e64 v3, v3, 0, vcc
	v_cndmask_b32_e32 v2, v2, v4, vcc
.LBB576_182:
	s_or_b64 exec, exec, s[0:1]
	v_cmp_eq_u32_e32 vcc, 0, v1
	s_and_saveexec_b64 s[0:1], vcc
; %bb.183:
	v_lshrrev_b32_e32 v4, 3, v0
	v_and_b32_e32 v4, 24, v4
	ds_write_b64 v4, v[2:3]
; %bb.184:
	s_or_b64 exec, exec, s[0:1]
	v_cmp_gt_u32_e32 vcc, 4, v0
	s_waitcnt lgkmcnt(0)
	s_barrier
	s_and_saveexec_b64 s[0:1], vcc
	s_cbranch_execz .LBB576_190
; %bb.185:
	v_lshlrev_b32_e32 v2, 3, v1
	ds_read_b64 v[2:3], v2
	v_and_b32_e32 v4, 3, v1
	v_cmp_ne_u32_e32 vcc, 3, v4
	s_add_i32 s4, s4, 63
	s_lshr_b32 s6, s4, 6
	v_addc_co_u32_e32 v1, vcc, 0, v1, vcc
	v_lshlrev_b32_e32 v5, 2, v1
	s_waitcnt lgkmcnt(0)
	ds_bpermute_b32 v1, v5, v2
	ds_bpermute_b32 v5, v5, v3
	v_add_u32_e32 v7, 1, v4
	v_cmp_gt_u32_e32 vcc, s6, v7
	s_and_saveexec_b64 s[4:5], vcc
	s_cbranch_execz .LBB576_187
; %bb.186:
	s_mov_b32 s7, 0xcccccccd
	s_waitcnt lgkmcnt(1)
	v_mul_hi_u32 v8, v1, s7
	v_mov_b32_e32 v9, 0
	s_waitcnt lgkmcnt(0)
	v_mad_u64_u32 v[10:11], s[8:9], v5, s7, v[8:9]
	v_mov_b32_e32 v8, v11
	v_mov_b32_e32 v11, v9
	s_mov_b32 s10, 0xcccccccc
	v_mad_u64_u32 v[10:11], s[8:9], v1, s10, v[10:11]
	v_mov_b32_e32 v10, v11
	v_mov_b32_e32 v11, v9
	v_lshl_add_u64 v[10:11], v[8:9], 0, v[10:11]
	v_mad_u64_u32 v[10:11], s[8:9], v5, s10, v[10:11]
	v_mul_hi_u32 v8, v2, s7
	v_alignbit_b32 v5, v11, v10, 3
	v_mad_u64_u32 v[10:11], s[8:9], v3, s7, v[8:9]
	v_mov_b32_e32 v8, v11
	v_mov_b32_e32 v11, v9
	v_mad_u64_u32 v[10:11], s[8:9], v2, s10, v[10:11]
	v_mov_b32_e32 v10, v11
	v_mov_b32_e32 v11, v9
	v_lshl_add_u64 v[10:11], v[8:9], 0, v[10:11]
	v_mad_u64_u32 v[10:11], s[8:9], v3, s10, v[10:11]
	v_alignbit_b32 v3, v11, v10, 3
	v_mul_lo_u32 v5, v5, 10
	v_mul_lo_u32 v3, v3, 10
	v_sub_u32_e32 v1, v1, v5
	v_sub_u32_e32 v2, v2, v3
	v_add_u32_e32 v8, v1, v2
	v_lshl_add_u64 v[2:3], v[8:9], 0, -10
	v_cmp_gt_u32_e32 vcc, 10, v8
	s_nop 1
	v_cndmask_b32_e64 v3, v3, 0, vcc
	v_cndmask_b32_e32 v2, v2, v8, vcc
.LBB576_187:
	s_or_b64 exec, exec, s[4:5]
	s_waitcnt lgkmcnt(0)
	v_or_b32_e32 v5, 8, v6
	ds_bpermute_b32 v1, v5, v2
	ds_bpermute_b32 v5, v5, v3
	v_add_u32_e32 v4, 2, v4
	v_cmp_gt_u32_e32 vcc, s6, v4
	s_and_saveexec_b64 s[4:5], vcc
	s_cbranch_execz .LBB576_189
; %bb.188:
	s_mov_b32 s8, 0xcccccccd
	s_waitcnt lgkmcnt(1)
	v_mul_hi_u32 v6, v1, s8
	v_mov_b32_e32 v7, 0
	s_waitcnt lgkmcnt(0)
	v_mad_u64_u32 v[8:9], s[6:7], v5, s8, v[6:7]
	v_mov_b32_e32 v6, v9
	v_mov_b32_e32 v9, v7
	s_mov_b32 s9, 0xcccccccc
	v_mad_u64_u32 v[8:9], s[6:7], v1, s9, v[8:9]
	v_mov_b32_e32 v8, v9
	v_mov_b32_e32 v9, v7
	v_lshl_add_u64 v[8:9], v[6:7], 0, v[8:9]
	v_mad_u64_u32 v[4:5], s[6:7], v5, s9, v[8:9]
	v_alignbit_b32 v4, v5, v4, 3
	v_mul_lo_u32 v4, v4, 10
	v_mul_hi_u32 v6, v2, s8
	v_sub_u32_e32 v1, v1, v4
	v_mad_u64_u32 v[4:5], s[6:7], v3, s8, v[6:7]
	v_mov_b32_e32 v6, v5
	v_mov_b32_e32 v5, v7
	v_mad_u64_u32 v[4:5], s[6:7], v2, s9, v[4:5]
	v_mov_b32_e32 v4, v5
	v_mov_b32_e32 v5, v7
	v_lshl_add_u64 v[4:5], v[6:7], 0, v[4:5]
	v_mad_u64_u32 v[4:5], s[6:7], v3, s9, v[4:5]
	v_alignbit_b32 v3, v5, v4, 3
	v_mul_lo_u32 v3, v3, 10
	v_sub_u32_e32 v2, v2, v3
	v_add_u32_e32 v6, v1, v2
	v_lshl_add_u64 v[2:3], v[6:7], 0, -10
	v_cmp_gt_u32_e32 vcc, 10, v6
	s_nop 1
	v_cndmask_b32_e64 v3, v3, 0, vcc
	v_cndmask_b32_e32 v2, v2, v6, vcc
.LBB576_189:
	s_or_b64 exec, exec, s[4:5]
.LBB576_190:
	s_or_b64 exec, exec, s[0:1]
.LBB576_191:
	v_cmp_eq_u32_e32 vcc, 0, v0
                                        ; implicit-def: $vgpr4_vgpr5
	s_and_saveexec_b64 s[0:1], vcc
	s_xor_b64 s[0:1], exec, s[0:1]
	s_cbranch_execz .LBB576_195
; %bb.192:
	s_cmp_eq_u64 s[38:39], 0
	s_waitcnt lgkmcnt(0)
	v_mov_b64_e32 v[4:5], s[42:43]
	s_cbranch_scc1 .LBB576_194
; %bb.193:
	s_mov_b32 s4, 0xcccccccd
	v_mul_hi_u32 v4, v2, s4
	v_mov_b32_e32 v5, 0
	v_mad_u64_u32 v[6:7], s[4:5], v3, s4, v[4:5]
	v_mov_b32_e32 v4, v7
	v_mov_b32_e32 v7, v5
	s_mov_b32 s6, 0xcccccccc
	v_mad_u64_u32 v[6:7], s[4:5], v2, s6, v[6:7]
	v_mov_b32_e32 v6, v7
	v_mov_b32_e32 v7, v5
	v_lshl_add_u64 v[6:7], v[4:5], 0, v[6:7]
	s_mul_i32 s7, s43, 0xcccccccd
	s_mul_hi_u32 s8, s42, 0xcccccccd
	v_mad_u64_u32 v[6:7], s[4:5], v3, s6, v[6:7]
	s_mul_hi_u32 s6, s43, 0xcccccccd
	s_add_u32 s7, s7, s8
	s_mul_i32 s5, s42, 0xcccccccc
	s_addc_u32 s6, s6, 0
	s_mul_hi_u32 s4, s42, 0xcccccccc
	s_add_u32 s5, s5, s7
	s_addc_u32 s4, s4, 0
	s_add_u32 s4, s6, s4
	s_addc_u32 s5, 0, 0
	s_mul_i32 s7, s43, 0xcccccccc
	s_mul_hi_u32 s6, s43, 0xcccccccc
	s_add_u32 s4, s7, s4
	s_addc_u32 s5, s6, s5
	v_alignbit_b32 v1, v7, v6, 3
	s_lshr_b64 s[4:5], s[4:5], 3
	v_mul_lo_u32 v1, v1, 10
	s_mul_i32 s4, s4, 10
	v_sub_u32_e32 v1, v2, v1
	s_sub_i32 s4, s42, s4
	v_add_u32_e32 v4, s4, v1
	v_lshl_add_u64 v[2:3], v[4:5], 0, -10
	v_cmp_gt_u32_e32 vcc, 10, v4
	s_nop 1
	v_cndmask_b32_e64 v5, v3, 0, vcc
	v_cndmask_b32_e32 v4, v2, v4, vcc
.LBB576_194:
	s_or_b64 s[14:15], s[14:15], exec
.LBB576_195:
	s_or_b64 exec, exec, s[0:1]
	v_mov_b64_e32 v[2:3], s[2:3]
	s_branch .LBB576_247
.LBB576_196:
	s_cmp_gt_i32 s33, 1
	s_cbranch_scc0 .LBB576_204
; %bb.197:
	s_cmp_eq_u32 s33, 2
	s_cbranch_scc0 .LBB576_205
; %bb.198:
	s_mov_b32 s3, 0
	s_lshl_b32 s4, s2, 9
	s_mov_b32 s5, s3
	s_lshr_b64 s[6:7], s[38:39], 9
	s_lshl_b64 s[0:1], s[4:5], 3
	s_add_u32 s0, s36, s0
	s_addc_u32 s1, s37, s1
	s_cmp_lg_u64 s[6:7], s[2:3]
	s_cbranch_scc0 .LBB576_206
; %bb.199:
	s_waitcnt lgkmcnt(1)
	v_lshlrev_b32_e32 v1, 3, v0
	s_waitcnt lgkmcnt(0)
	global_load_dwordx2 v[4:5], v1, s[0:1] offset:2048
	global_load_dwordx2 v[6:7], v1, s[0:1]
	s_mov_b32 s5, 0xcccccccd
	v_mov_b32_e32 v3, 0
	s_mov_b32 s6, 0xcccccccc
	v_mov_b32_e32 v9, v3
	v_mov_b32_e32 v11, v3
	v_mov_b32_e32 v13, v3
	v_mov_b32_e32 v15, v3
	v_mov_b32_e32 v17, v3
	v_mov_b32_e32 v19, v3
	v_mov_b32_e32 v21, v3
	v_mov_b32_e32 v23, v3
	v_mbcnt_lo_u32_b32 v1, -1, 0
	v_mbcnt_hi_u32_b32 v1, -1, v1
	s_waitcnt vmcnt(1)
	v_mul_hi_u32 v2, v4, s5
	v_mad_u64_u32 v[24:25], s[8:9], v5, s5, v[2:3]
	v_mov_b32_e32 v2, v25
	v_mov_b32_e32 v25, v3
	v_mad_u64_u32 v[24:25], s[8:9], v4, s6, v[24:25]
	v_mov_b32_e32 v8, v25
	v_lshl_add_u64 v[8:9], v[2:3], 0, v[8:9]
	s_waitcnt vmcnt(0)
	v_mul_hi_u32 v2, v6, s5
	v_mad_u64_u32 v[24:25], s[8:9], v7, s5, v[2:3]
	v_mad_u64_u32 v[8:9], s[8:9], v5, s6, v[8:9]
	v_mov_b32_e32 v2, v25
	v_mov_b32_e32 v25, v3
	v_alignbit_b32 v5, v9, v8, 3
	v_mad_u64_u32 v[8:9], s[8:9], v6, s6, v[24:25]
	v_mul_lo_u32 v5, v5, 10
	v_mov_b32_e32 v10, v9
	v_sub_u32_e32 v8, v4, v5
	v_lshl_add_u64 v[4:5], v[2:3], 0, v[10:11]
	v_mad_u64_u32 v[4:5], s[8:9], v7, s6, v[4:5]
	v_alignbit_b32 v2, v5, v4, 3
	v_mul_lo_u32 v2, v2, 10
	v_sub_u32_e32 v2, v6, v2
	v_add_u32_e32 v2, v8, v2
	v_lshl_add_u64 v[4:5], v[2:3], 0, -10
	v_cmp_gt_u32_e32 vcc, 10, v2
	s_nop 1
	v_cndmask_b32_e32 v8, v4, v2, vcc
	v_cndmask_b32_e64 v6, v5, 0, vcc
	v_mul_hi_u32 v2, v8, s5
	v_mad_u64_u32 v[4:5], s[8:9], v6, s5, v[2:3]
	v_mov_b32_e32 v2, v5
	v_mov_b32_e32 v5, v3
	v_mad_u64_u32 v[4:5], s[8:9], v8, s6, v[4:5]
	v_mov_b32_dpp v9, v8 quad_perm:[1,0,3,2] row_mask:0xf bank_mask:0xf bound_ctrl:1
	v_mov_b32_e32 v12, v5
	v_mov_b32_dpp v10, v6 quad_perm:[1,0,3,2] row_mask:0xf bank_mask:0xf bound_ctrl:1
	v_lshl_add_u64 v[4:5], v[2:3], 0, v[12:13]
	v_mul_hi_u32 v2, v9, s5
	v_mad_u64_u32 v[4:5], s[8:9], v6, s6, v[4:5]
	v_mad_u64_u32 v[6:7], s[8:9], v10, s5, v[2:3]
	v_alignbit_b32 v4, v5, v4, 3
	v_mov_b32_e32 v2, v7
	v_mov_b32_e32 v7, v3
	v_mul_lo_u32 v11, v4, 10
	v_mad_u64_u32 v[4:5], s[8:9], v9, s6, v[6:7]
	v_mov_b32_e32 v14, v5
	v_lshl_add_u64 v[4:5], v[2:3], 0, v[14:15]
	v_mad_u64_u32 v[4:5], s[8:9], v10, s6, v[4:5]
	v_alignbit_b32 v2, v5, v4, 3
	v_mul_lo_u32 v2, v2, 10
	v_sub_u32_e32 v6, v8, v11
	v_sub_u32_e32 v2, v9, v2
	v_add_u32_e32 v2, v2, v6
	v_lshl_add_u64 v[4:5], v[2:3], 0, -10
	v_cmp_gt_u32_e32 vcc, 10, v2
	s_nop 1
	v_cndmask_b32_e32 v8, v4, v2, vcc
	v_cndmask_b32_e64 v6, v5, 0, vcc
	v_mul_hi_u32 v2, v8, s5
	v_mad_u64_u32 v[4:5], s[8:9], v6, s5, v[2:3]
	v_mov_b32_e32 v2, v5
	v_mov_b32_e32 v5, v3
	v_mad_u64_u32 v[4:5], s[8:9], v8, s6, v[4:5]
	v_mov_b32_dpp v9, v8 quad_perm:[2,3,0,1] row_mask:0xf bank_mask:0xf bound_ctrl:1
	v_mov_b32_e32 v16, v5
	v_mov_b32_dpp v10, v6 quad_perm:[2,3,0,1] row_mask:0xf bank_mask:0xf bound_ctrl:1
	v_lshl_add_u64 v[4:5], v[2:3], 0, v[16:17]
	v_mul_hi_u32 v2, v9, s5
	v_mad_u64_u32 v[4:5], s[8:9], v6, s6, v[4:5]
	v_mad_u64_u32 v[6:7], s[8:9], v10, s5, v[2:3]
	v_alignbit_b32 v4, v5, v4, 3
	v_mov_b32_e32 v2, v7
	v_mov_b32_e32 v7, v3
	v_mul_lo_u32 v11, v4, 10
	v_mad_u64_u32 v[4:5], s[8:9], v9, s6, v[6:7]
	v_mov_b32_e32 v18, v5
	v_lshl_add_u64 v[4:5], v[2:3], 0, v[18:19]
	v_mad_u64_u32 v[4:5], s[8:9], v10, s6, v[4:5]
	v_alignbit_b32 v2, v5, v4, 3
	v_mul_lo_u32 v2, v2, 10
	v_sub_u32_e32 v6, v8, v11
	v_sub_u32_e32 v2, v9, v2
	v_add_u32_e32 v2, v6, v2
	v_lshl_add_u64 v[4:5], v[2:3], 0, -10
	v_cmp_gt_u32_e32 vcc, 10, v2
	s_nop 1
	v_cndmask_b32_e32 v8, v4, v2, vcc
	v_cndmask_b32_e64 v6, v5, 0, vcc
	v_mul_hi_u32 v2, v8, s5
	v_mad_u64_u32 v[4:5], s[8:9], v6, s5, v[2:3]
	v_mov_b32_e32 v2, v5
	v_mov_b32_e32 v5, v3
	v_mad_u64_u32 v[4:5], s[8:9], v8, s6, v[4:5]
	v_mov_b32_dpp v9, v8 row_ror:4 row_mask:0xf bank_mask:0xf bound_ctrl:1
	v_mov_b32_e32 v20, v5
	v_mov_b32_dpp v10, v6 row_ror:4 row_mask:0xf bank_mask:0xf bound_ctrl:1
	v_lshl_add_u64 v[4:5], v[2:3], 0, v[20:21]
	v_mul_hi_u32 v2, v9, s5
	v_mad_u64_u32 v[4:5], s[8:9], v6, s6, v[4:5]
	v_mad_u64_u32 v[6:7], s[8:9], v10, s5, v[2:3]
	v_alignbit_b32 v4, v5, v4, 3
	v_mov_b32_e32 v2, v7
	v_mov_b32_e32 v7, v3
	v_mul_lo_u32 v11, v4, 10
	v_mad_u64_u32 v[4:5], s[8:9], v9, s6, v[6:7]
	v_mov_b32_e32 v22, v5
	v_lshl_add_u64 v[4:5], v[2:3], 0, v[22:23]
	v_mad_u64_u32 v[4:5], s[8:9], v10, s6, v[4:5]
	v_alignbit_b32 v2, v5, v4, 3
	v_mul_lo_u32 v2, v2, 10
	v_sub_u32_e32 v6, v8, v11
	v_sub_u32_e32 v2, v9, v2
	v_add_u32_e32 v2, v6, v2
	v_lshl_add_u64 v[4:5], v[2:3], 0, -10
	v_cmp_gt_u32_e32 vcc, 10, v2
	s_nop 1
	v_cndmask_b32_e32 v7, v4, v2, vcc
	v_cndmask_b32_e64 v6, v5, 0, vcc
	v_mul_hi_u32 v2, v7, s5
	v_mad_u64_u32 v[4:5], s[8:9], v6, s5, v[2:3]
	v_mov_b32_e32 v2, v5
	v_mov_b32_e32 v5, v3
	v_mad_u64_u32 v[4:5], s[8:9], v7, s6, v[4:5]
	v_mov_b32_e32 v4, v5
	v_mov_b32_e32 v5, v3
	v_lshl_add_u64 v[4:5], v[2:3], 0, v[4:5]
	v_mad_u64_u32 v[4:5], s[8:9], v6, s6, v[4:5]
	v_alignbit_b32 v2, v5, v4, 3
	v_mov_b32_dpp v8, v7 row_ror:8 row_mask:0xf bank_mask:0xf bound_ctrl:1
	v_mul_lo_u32 v2, v2, 10
	v_mov_b32_dpp v9, v6 row_ror:8 row_mask:0xf bank_mask:0xf bound_ctrl:1
	v_sub_u32_e32 v6, v7, v2
	v_mul_hi_u32 v2, v8, s5
	v_mad_u64_u32 v[4:5], s[8:9], v9, s5, v[2:3]
	v_mov_b32_e32 v2, v5
	v_mov_b32_e32 v5, v3
	v_mad_u64_u32 v[4:5], s[8:9], v8, s6, v[4:5]
	v_mov_b32_e32 v4, v5
	v_mov_b32_e32 v5, v3
	v_lshl_add_u64 v[4:5], v[2:3], 0, v[4:5]
	v_mad_u64_u32 v[4:5], s[8:9], v9, s6, v[4:5]
	v_alignbit_b32 v2, v5, v4, 3
	v_mul_lo_u32 v2, v2, 10
	v_sub_u32_e32 v2, v8, v2
	v_add_u32_e32 v2, v6, v2
	v_lshl_add_u64 v[4:5], v[2:3], 0, -10
	v_cmp_gt_u32_e32 vcc, 10, v2
	s_nop 1
	v_cndmask_b32_e32 v7, v4, v2, vcc
	v_cndmask_b32_e64 v6, v5, 0, vcc
	v_mul_hi_u32 v2, v7, s5
	v_mad_u64_u32 v[4:5], s[8:9], v6, s5, v[2:3]
	v_mov_b32_e32 v2, v5
	v_mov_b32_e32 v5, v3
	v_mad_u64_u32 v[4:5], s[8:9], v7, s6, v[4:5]
	v_mov_b32_e32 v4, v5
	v_mov_b32_e32 v5, v3
	v_lshl_add_u64 v[4:5], v[2:3], 0, v[4:5]
	v_mad_u64_u32 v[4:5], s[8:9], v6, s6, v[4:5]
	v_alignbit_b32 v2, v5, v4, 3
	v_mov_b32_dpp v8, v7 row_bcast:15 row_mask:0xf bank_mask:0xf bound_ctrl:1
	v_mul_lo_u32 v2, v2, 10
	v_mov_b32_dpp v9, v6 row_bcast:15 row_mask:0xf bank_mask:0xf bound_ctrl:1
	v_sub_u32_e32 v6, v7, v2
	v_mul_hi_u32 v2, v8, s5
	v_mad_u64_u32 v[4:5], s[8:9], v9, s5, v[2:3]
	v_mov_b32_e32 v2, v5
	v_mov_b32_e32 v5, v3
	v_mad_u64_u32 v[4:5], s[8:9], v8, s6, v[4:5]
	v_mov_b32_e32 v4, v5
	v_mov_b32_e32 v5, v3
	v_lshl_add_u64 v[4:5], v[2:3], 0, v[4:5]
	v_mad_u64_u32 v[4:5], s[8:9], v9, s6, v[4:5]
	v_alignbit_b32 v2, v5, v4, 3
	v_mul_lo_u32 v2, v2, 10
	v_sub_u32_e32 v2, v8, v2
	v_add_u32_e32 v2, v6, v2
	v_lshl_add_u64 v[4:5], v[2:3], 0, -10
	v_cmp_gt_u32_e32 vcc, 10, v2
	s_nop 1
	v_cndmask_b32_e32 v7, v4, v2, vcc
	v_cndmask_b32_e64 v6, v5, 0, vcc
	v_mul_hi_u32 v2, v7, s5
	v_mad_u64_u32 v[4:5], s[8:9], v6, s5, v[2:3]
	v_mov_b32_e32 v2, v5
	v_mov_b32_e32 v5, v3
	v_mad_u64_u32 v[4:5], s[8:9], v7, s6, v[4:5]
	v_mov_b32_e32 v4, v5
	v_mov_b32_e32 v5, v3
	v_lshl_add_u64 v[4:5], v[2:3], 0, v[4:5]
	v_mad_u64_u32 v[4:5], s[8:9], v6, s6, v[4:5]
	v_alignbit_b32 v2, v5, v4, 3
	v_mov_b32_dpp v8, v7 row_bcast:31 row_mask:0xf bank_mask:0xf bound_ctrl:1
	v_mul_lo_u32 v2, v2, 10
	v_mov_b32_dpp v9, v6 row_bcast:31 row_mask:0xf bank_mask:0xf bound_ctrl:1
	v_sub_u32_e32 v6, v7, v2
	v_mul_hi_u32 v2, v8, s5
	v_mad_u64_u32 v[4:5], s[8:9], v9, s5, v[2:3]
	v_mov_b32_e32 v2, v5
	v_mov_b32_e32 v5, v3
	v_mad_u64_u32 v[4:5], s[8:9], v8, s6, v[4:5]
	v_mov_b32_e32 v4, v5
	v_mov_b32_e32 v5, v3
	v_lshl_add_u64 v[4:5], v[2:3], 0, v[4:5]
	v_mad_u64_u32 v[4:5], s[6:7], v9, s6, v[4:5]
	v_alignbit_b32 v2, v5, v4, 3
	v_mul_lo_u32 v2, v2, 10
	v_sub_u32_e32 v2, v8, v2
	v_add_u32_e32 v2, v6, v2
	v_lshl_add_u64 v[4:5], v[2:3], 0, -10
	v_cmp_gt_u32_e32 vcc, 10, v2
	s_nop 1
	v_cndmask_b32_e32 v2, v4, v2, vcc
	v_lshlrev_b32_e32 v4, 2, v1
	v_cndmask_b32_e64 v3, v5, 0, vcc
	v_or_b32_e32 v5, 0xfc, v4
	ds_bpermute_b32 v2, v5, v2
	ds_bpermute_b32 v3, v5, v3
	v_cmp_eq_u32_e32 vcc, 0, v1
	s_and_saveexec_b64 s[6:7], vcc
	s_cbranch_execz .LBB576_201
; %bb.200:
	v_lshrrev_b32_e32 v5, 3, v0
	v_and_b32_e32 v5, 24, v5
	s_waitcnt lgkmcnt(0)
	ds_write_b64 v5, v[2:3] offset:96
.LBB576_201:
	s_or_b64 exec, exec, s[6:7]
	v_cmp_gt_u32_e32 vcc, 64, v0
	s_waitcnt lgkmcnt(0)
	s_barrier
	s_and_saveexec_b64 s[6:7], vcc
	s_cbranch_execz .LBB576_203
; %bb.202:
	v_and_b32_e32 v5, 3, v1
	v_lshlrev_b32_e32 v2, 3, v5
	ds_read_b64 v[2:3], v2 offset:96
	v_cmp_ne_u32_e32 vcc, 3, v5
	v_mov_b32_e32 v7, 0
	s_mov_b32 s10, 0xcccccccc
	v_addc_co_u32_e32 v1, vcc, 0, v1, vcc
	v_lshlrev_b32_e32 v1, 2, v1
	s_waitcnt lgkmcnt(0)
	ds_bpermute_b32 v5, v1, v2
	ds_bpermute_b32 v1, v1, v3
	s_waitcnt lgkmcnt(1)
	v_mul_hi_u32 v6, v5, s5
	s_waitcnt lgkmcnt(0)
	v_mad_u64_u32 v[8:9], s[8:9], v1, s5, v[6:7]
	v_mov_b32_e32 v6, v9
	v_mov_b32_e32 v9, v7
	v_mad_u64_u32 v[8:9], s[8:9], v5, s10, v[8:9]
	v_mov_b32_e32 v8, v9
	v_mov_b32_e32 v9, v7
	v_lshl_add_u64 v[8:9], v[6:7], 0, v[8:9]
	v_mad_u64_u32 v[8:9], s[8:9], v1, s10, v[8:9]
	v_mul_hi_u32 v6, v2, s5
	v_alignbit_b32 v1, v9, v8, 3
	v_mad_u64_u32 v[8:9], s[8:9], v3, s5, v[6:7]
	v_mov_b32_e32 v6, v9
	v_mov_b32_e32 v9, v7
	v_mad_u64_u32 v[8:9], s[8:9], v2, s10, v[8:9]
	v_mov_b32_e32 v8, v9
	v_mov_b32_e32 v9, v7
	v_lshl_add_u64 v[8:9], v[6:7], 0, v[8:9]
	v_mad_u64_u32 v[8:9], s[8:9], v3, s10, v[8:9]
	v_alignbit_b32 v3, v9, v8, 3
	v_mul_lo_u32 v1, v1, 10
	v_mul_lo_u32 v3, v3, 10
	v_sub_u32_e32 v1, v5, v1
	v_sub_u32_e32 v2, v2, v3
	v_add_u32_e32 v6, v1, v2
	v_lshl_add_u64 v[2:3], v[6:7], 0, -10
	v_cmp_gt_u32_e32 vcc, 10, v6
	s_nop 1
	v_cndmask_b32_e32 v5, v2, v6, vcc
	v_or_b32_e32 v2, 8, v4
	v_cndmask_b32_e64 v1, v3, 0, vcc
	ds_bpermute_b32 v4, v2, v5
	ds_bpermute_b32 v8, v2, v1
	s_waitcnt lgkmcnt(1)
	v_mul_hi_u32 v6, v4, s5
	s_waitcnt lgkmcnt(0)
	v_mad_u64_u32 v[2:3], s[8:9], v8, s5, v[6:7]
	v_mov_b32_e32 v6, v3
	v_mov_b32_e32 v3, v7
	v_mad_u64_u32 v[2:3], s[8:9], v4, s10, v[2:3]
	v_mov_b32_e32 v2, v3
	v_mov_b32_e32 v3, v7
	v_lshl_add_u64 v[2:3], v[6:7], 0, v[2:3]
	v_mad_u64_u32 v[2:3], s[8:9], v8, s10, v[2:3]
	v_alignbit_b32 v2, v3, v2, 3
	v_mul_lo_u32 v2, v2, 10
	v_mul_hi_u32 v6, v5, s5
	v_sub_u32_e32 v4, v4, v2
	v_mad_u64_u32 v[2:3], s[8:9], v1, s5, v[6:7]
	v_mov_b32_e32 v6, v3
	v_mov_b32_e32 v3, v7
	v_mad_u64_u32 v[2:3], s[8:9], v5, s10, v[2:3]
	v_mov_b32_e32 v2, v3
	v_mov_b32_e32 v3, v7
	v_lshl_add_u64 v[2:3], v[6:7], 0, v[2:3]
	v_mad_u64_u32 v[2:3], s[8:9], v1, s10, v[2:3]
	v_alignbit_b32 v1, v3, v2, 3
	v_mul_lo_u32 v1, v1, 10
	v_sub_u32_e32 v1, v5, v1
	v_add_u32_e32 v6, v1, v4
	v_lshl_add_u64 v[2:3], v[6:7], 0, -10
	v_cmp_gt_u32_e32 vcc, 10, v6
	s_nop 1
	v_cndmask_b32_e64 v3, v3, 0, vcc
	v_cndmask_b32_e32 v2, v2, v6, vcc
.LBB576_203:
	s_or_b64 exec, exec, s[6:7]
	s_branch .LBB576_234
.LBB576_204:
                                        ; implicit-def: $vgpr4_vgpr5
                                        ; implicit-def: $vgpr2_vgpr3
	s_cbranch_execnz .LBB576_239
	s_branch .LBB576_247
.LBB576_205:
                                        ; implicit-def: $vgpr4_vgpr5
                                        ; implicit-def: $vgpr2_vgpr3
	s_branch .LBB576_247
.LBB576_206:
                                        ; implicit-def: $vgpr2_vgpr3
	s_cbranch_execz .LBB576_234
; %bb.207:
	s_sub_i32 s6, s38, s4
	v_mov_b32_e32 v2, 0
	v_cmp_gt_u32_e32 vcc, s6, v0
	v_mov_b32_e32 v3, v2
	v_mov_b32_e32 v4, v2
	s_waitcnt lgkmcnt(0)
	v_mov_b32_e32 v5, v2
	s_and_saveexec_b64 s[4:5], vcc
	s_cbranch_execz .LBB576_209
; %bb.208:
	v_lshlrev_b32_e32 v1, 3, v0
	global_load_dwordx2 v[4:5], v1, s[0:1]
	v_mov_b32_e32 v6, v2
	v_mov_b32_e32 v7, v2
	s_waitcnt vmcnt(0)
	v_mov_b64_e32 v[2:3], v[4:5]
	v_mov_b64_e32 v[4:5], v[6:7]
.LBB576_209:
	s_or_b64 exec, exec, s[4:5]
	v_or_b32_e32 v1, 0x100, v0
	v_cmp_gt_u32_e32 vcc, s6, v1
	s_and_saveexec_b64 s[4:5], vcc
	s_cbranch_execz .LBB576_211
; %bb.210:
	v_lshlrev_b32_e32 v1, 3, v0
	global_load_dwordx2 v[4:5], v1, s[0:1] offset:2048
.LBB576_211:
	s_or_b64 exec, exec, s[4:5]
	s_and_saveexec_b64 s[0:1], vcc
	s_cbranch_execz .LBB576_213
; %bb.212:
	s_mov_b32 s7, 0xcccccccd
	s_waitcnt vmcnt(0)
	v_mul_hi_u32 v6, v4, s7
	v_mov_b32_e32 v7, 0
	v_mad_u64_u32 v[8:9], s[4:5], v5, s7, v[6:7]
	v_mov_b32_e32 v6, v9
	v_mov_b32_e32 v9, v7
	s_mov_b32 s8, 0xcccccccc
	v_mad_u64_u32 v[8:9], s[4:5], v4, s8, v[8:9]
	v_mov_b32_e32 v8, v9
	v_mov_b32_e32 v9, v7
	v_lshl_add_u64 v[8:9], v[6:7], 0, v[8:9]
	v_mad_u64_u32 v[8:9], s[4:5], v5, s8, v[8:9]
	v_alignbit_b32 v1, v9, v8, 3
	v_mul_lo_u32 v1, v1, 10
	v_mul_hi_u32 v6, v2, s7
	v_sub_u32_e32 v1, v4, v1
	v_mad_u64_u32 v[4:5], s[4:5], v3, s7, v[6:7]
	v_mov_b32_e32 v6, v5
	v_mov_b32_e32 v5, v7
	v_mad_u64_u32 v[4:5], s[4:5], v2, s8, v[4:5]
	v_mov_b32_e32 v4, v5
	v_mov_b32_e32 v5, v7
	v_lshl_add_u64 v[4:5], v[6:7], 0, v[4:5]
	v_mad_u64_u32 v[4:5], s[4:5], v3, s8, v[4:5]
	v_alignbit_b32 v3, v5, v4, 3
	v_mul_lo_u32 v3, v3, 10
	v_sub_u32_e32 v2, v2, v3
	v_add_u32_e32 v6, v2, v1
	v_lshl_add_u64 v[2:3], v[6:7], 0, -10
	v_cmp_gt_u32_e32 vcc, 10, v6
	s_nop 1
	v_cndmask_b32_e64 v3, v3, 0, vcc
	v_cndmask_b32_e32 v2, v2, v6, vcc
.LBB576_213:
	s_or_b64 exec, exec, s[0:1]
	v_mbcnt_lo_u32_b32 v1, -1, 0
	v_mbcnt_hi_u32_b32 v1, -1, v1
	s_waitcnt vmcnt(0)
	v_and_b32_e32 v4, 63, v1
	v_cmp_ne_u32_e32 vcc, 63, v4
	s_min_u32 s4, s6, 0x100
	v_add_u32_e32 v8, 1, v4
	v_addc_co_u32_e32 v5, vcc, 0, v1, vcc
	v_lshlrev_b32_e32 v5, 2, v5
	ds_bpermute_b32 v6, v5, v2
	ds_bpermute_b32 v7, v5, v3
	v_and_b32_e32 v5, 0xc0, v0
	v_sub_u32_e64 v5, s4, v5 clamp
	v_cmp_lt_u32_e32 vcc, v8, v5
	s_and_saveexec_b64 s[0:1], vcc
	s_xor_b64 s[0:1], exec, s[0:1]
	s_cbranch_execz .LBB576_215
; %bb.214:
	s_mov_b32 s5, 0xcccccccd
	s_waitcnt lgkmcnt(1)
	v_mul_hi_u32 v8, v6, s5
	v_mov_b32_e32 v9, 0
	s_waitcnt lgkmcnt(0)
	v_mad_u64_u32 v[10:11], s[6:7], v7, s5, v[8:9]
	v_mov_b32_e32 v8, v11
	v_mov_b32_e32 v11, v9
	s_mov_b32 s8, 0xcccccccc
	v_mad_u64_u32 v[10:11], s[6:7], v6, s8, v[10:11]
	v_mov_b32_e32 v10, v11
	v_mov_b32_e32 v11, v9
	v_lshl_add_u64 v[10:11], v[8:9], 0, v[10:11]
	v_mad_u64_u32 v[10:11], s[6:7], v7, s8, v[10:11]
	v_alignbit_b32 v7, v11, v10, 3
	v_mul_lo_u32 v7, v7, 10
	v_mul_hi_u32 v8, v2, s5
	v_sub_u32_e32 v10, v6, v7
	v_mad_u64_u32 v[6:7], s[6:7], v3, s5, v[8:9]
	v_mov_b32_e32 v8, v7
	v_mov_b32_e32 v7, v9
	v_mad_u64_u32 v[6:7], s[6:7], v2, s8, v[6:7]
	v_mov_b32_e32 v6, v7
	v_mov_b32_e32 v7, v9
	v_lshl_add_u64 v[6:7], v[8:9], 0, v[6:7]
	v_mad_u64_u32 v[6:7], s[6:7], v3, s8, v[6:7]
	v_alignbit_b32 v3, v7, v6, 3
	v_mul_lo_u32 v3, v3, 10
	v_sub_u32_e32 v2, v2, v3
	v_add_u32_e32 v8, v10, v2
	v_lshl_add_u64 v[2:3], v[8:9], 0, -10
	v_cmp_gt_u32_e32 vcc, 10, v8
	s_nop 1
	v_cndmask_b32_e64 v3, v3, 0, vcc
	v_cndmask_b32_e32 v2, v2, v8, vcc
.LBB576_215:
	s_or_b64 exec, exec, s[0:1]
	v_cmp_gt_u32_e32 vcc, 62, v4
	v_add_u32_e32 v8, 2, v4
	s_waitcnt lgkmcnt(1)
	v_cndmask_b32_e64 v6, 0, 2, vcc
	s_waitcnt lgkmcnt(0)
	v_add_lshl_u32 v7, v6, v1, 2
	ds_bpermute_b32 v6, v7, v2
	ds_bpermute_b32 v7, v7, v3
	v_cmp_lt_u32_e32 vcc, v8, v5
	s_and_saveexec_b64 s[0:1], vcc
	s_cbranch_execz .LBB576_217
; %bb.216:
	s_mov_b32 s5, 0xcccccccd
	s_waitcnt lgkmcnt(1)
	v_mul_hi_u32 v8, v6, s5
	v_mov_b32_e32 v9, 0
	s_waitcnt lgkmcnt(0)
	v_mad_u64_u32 v[10:11], s[6:7], v7, s5, v[8:9]
	v_mov_b32_e32 v8, v11
	v_mov_b32_e32 v11, v9
	s_mov_b32 s8, 0xcccccccc
	v_mad_u64_u32 v[10:11], s[6:7], v6, s8, v[10:11]
	v_mov_b32_e32 v10, v11
	v_mov_b32_e32 v11, v9
	v_lshl_add_u64 v[10:11], v[8:9], 0, v[10:11]
	v_mad_u64_u32 v[10:11], s[6:7], v7, s8, v[10:11]
	v_alignbit_b32 v7, v11, v10, 3
	v_mul_lo_u32 v7, v7, 10
	v_mul_hi_u32 v8, v2, s5
	v_sub_u32_e32 v10, v6, v7
	v_mad_u64_u32 v[6:7], s[6:7], v3, s5, v[8:9]
	v_mov_b32_e32 v8, v7
	v_mov_b32_e32 v7, v9
	v_mad_u64_u32 v[6:7], s[6:7], v2, s8, v[6:7]
	v_mov_b32_e32 v6, v7
	v_mov_b32_e32 v7, v9
	v_lshl_add_u64 v[6:7], v[8:9], 0, v[6:7]
	v_mad_u64_u32 v[6:7], s[6:7], v3, s8, v[6:7]
	v_alignbit_b32 v3, v7, v6, 3
	v_mul_lo_u32 v3, v3, 10
	v_sub_u32_e32 v2, v2, v3
	v_add_u32_e32 v8, v10, v2
	v_lshl_add_u64 v[2:3], v[8:9], 0, -10
	v_cmp_gt_u32_e32 vcc, 10, v8
	s_nop 1
	v_cndmask_b32_e64 v3, v3, 0, vcc
	v_cndmask_b32_e32 v2, v2, v8, vcc
.LBB576_217:
	s_or_b64 exec, exec, s[0:1]
	v_cmp_gt_u32_e32 vcc, 60, v4
	v_add_u32_e32 v8, 4, v4
	s_waitcnt lgkmcnt(1)
	v_cndmask_b32_e64 v6, 0, 4, vcc
	s_waitcnt lgkmcnt(0)
	v_add_lshl_u32 v7, v6, v1, 2
	ds_bpermute_b32 v6, v7, v2
	ds_bpermute_b32 v7, v7, v3
	v_cmp_lt_u32_e32 vcc, v8, v5
	s_and_saveexec_b64 s[0:1], vcc
	;; [unrolled: 49-line block ×4, first 2 shown]
	s_cbranch_execz .LBB576_223
; %bb.222:
	s_mov_b32 s5, 0xcccccccd
	s_waitcnt lgkmcnt(1)
	v_mul_hi_u32 v8, v6, s5
	v_mov_b32_e32 v9, 0
	s_waitcnt lgkmcnt(0)
	v_mad_u64_u32 v[10:11], s[6:7], v7, s5, v[8:9]
	v_mov_b32_e32 v8, v11
	v_mov_b32_e32 v11, v9
	s_mov_b32 s8, 0xcccccccc
	v_mad_u64_u32 v[10:11], s[6:7], v6, s8, v[10:11]
	v_mov_b32_e32 v10, v11
	v_mov_b32_e32 v11, v9
	v_lshl_add_u64 v[10:11], v[8:9], 0, v[10:11]
	v_mad_u64_u32 v[10:11], s[6:7], v7, s8, v[10:11]
	v_alignbit_b32 v7, v11, v10, 3
	v_mul_lo_u32 v7, v7, 10
	v_mul_hi_u32 v8, v2, s5
	v_sub_u32_e32 v10, v6, v7
	v_mad_u64_u32 v[6:7], s[6:7], v3, s5, v[8:9]
	v_mov_b32_e32 v8, v7
	v_mov_b32_e32 v7, v9
	v_mad_u64_u32 v[6:7], s[6:7], v2, s8, v[6:7]
	v_mov_b32_e32 v6, v7
	v_mov_b32_e32 v7, v9
	v_lshl_add_u64 v[6:7], v[8:9], 0, v[6:7]
	v_mad_u64_u32 v[6:7], s[6:7], v3, s8, v[6:7]
	v_alignbit_b32 v3, v7, v6, 3
	v_mul_lo_u32 v3, v3, 10
	v_sub_u32_e32 v2, v2, v3
	v_add_u32_e32 v8, v10, v2
	v_lshl_add_u64 v[2:3], v[8:9], 0, -10
	v_cmp_gt_u32_e32 vcc, 10, v8
	s_nop 1
	v_cndmask_b32_e64 v3, v3, 0, vcc
	v_cndmask_b32_e32 v2, v2, v8, vcc
.LBB576_223:
	s_or_b64 exec, exec, s[0:1]
	s_waitcnt lgkmcnt(1)
	v_lshlrev_b32_e32 v6, 2, v1
	v_or_b32_e32 v8, 0x80, v6
	s_waitcnt lgkmcnt(0)
	ds_bpermute_b32 v7, v8, v2
	ds_bpermute_b32 v8, v8, v3
	v_add_u32_e32 v4, 32, v4
	v_cmp_lt_u32_e32 vcc, v4, v5
	s_and_saveexec_b64 s[0:1], vcc
	s_cbranch_execz .LBB576_225
; %bb.224:
	s_mov_b32 s5, 0xcccccccd
	s_waitcnt lgkmcnt(1)
	v_mul_hi_u32 v4, v7, s5
	v_mov_b32_e32 v5, 0
	s_waitcnt lgkmcnt(0)
	v_mad_u64_u32 v[10:11], s[6:7], v8, s5, v[4:5]
	v_mov_b32_e32 v4, v11
	v_mov_b32_e32 v11, v5
	s_mov_b32 s8, 0xcccccccc
	v_mad_u64_u32 v[10:11], s[6:7], v7, s8, v[10:11]
	v_mov_b32_e32 v10, v11
	v_mov_b32_e32 v11, v5
	v_lshl_add_u64 v[10:11], v[4:5], 0, v[10:11]
	v_mad_u64_u32 v[8:9], s[6:7], v8, s8, v[10:11]
	v_alignbit_b32 v4, v9, v8, 3
	v_mul_lo_u32 v4, v4, 10
	v_sub_u32_e32 v7, v7, v4
	v_mul_hi_u32 v4, v2, s5
	v_mad_u64_u32 v[8:9], s[6:7], v3, s5, v[4:5]
	v_mov_b32_e32 v4, v9
	v_mov_b32_e32 v9, v5
	v_mad_u64_u32 v[8:9], s[6:7], v2, s8, v[8:9]
	v_mov_b32_e32 v8, v9
	v_mov_b32_e32 v9, v5
	v_lshl_add_u64 v[8:9], v[4:5], 0, v[8:9]
	v_mad_u64_u32 v[8:9], s[6:7], v3, s8, v[8:9]
	v_alignbit_b32 v3, v9, v8, 3
	v_mul_lo_u32 v3, v3, 10
	v_sub_u32_e32 v2, v2, v3
	v_add_u32_e32 v4, v7, v2
	v_lshl_add_u64 v[2:3], v[4:5], 0, -10
	v_cmp_gt_u32_e32 vcc, 10, v4
	s_nop 1
	v_cndmask_b32_e64 v3, v3, 0, vcc
	v_cndmask_b32_e32 v2, v2, v4, vcc
.LBB576_225:
	s_or_b64 exec, exec, s[0:1]
	v_cmp_eq_u32_e32 vcc, 0, v1
	s_and_saveexec_b64 s[0:1], vcc
; %bb.226:
	v_lshrrev_b32_e32 v4, 3, v0
	v_and_b32_e32 v4, 24, v4
	ds_write_b64 v4, v[2:3]
; %bb.227:
	s_or_b64 exec, exec, s[0:1]
	v_cmp_gt_u32_e32 vcc, 4, v0
	s_waitcnt lgkmcnt(0)
	s_barrier
	s_and_saveexec_b64 s[0:1], vcc
	s_cbranch_execz .LBB576_233
; %bb.228:
	v_lshlrev_b32_e32 v2, 3, v1
	ds_read_b64 v[2:3], v2
	v_and_b32_e32 v4, 3, v1
	v_cmp_ne_u32_e32 vcc, 3, v4
	s_add_i32 s4, s4, 63
	s_lshr_b32 s6, s4, 6
	v_addc_co_u32_e32 v1, vcc, 0, v1, vcc
	v_lshlrev_b32_e32 v5, 2, v1
	s_waitcnt lgkmcnt(0)
	ds_bpermute_b32 v1, v5, v2
	ds_bpermute_b32 v5, v5, v3
	v_add_u32_e32 v7, 1, v4
	v_cmp_gt_u32_e32 vcc, s6, v7
	s_and_saveexec_b64 s[4:5], vcc
	s_cbranch_execz .LBB576_230
; %bb.229:
	s_mov_b32 s7, 0xcccccccd
	s_waitcnt lgkmcnt(1)
	v_mul_hi_u32 v8, v1, s7
	v_mov_b32_e32 v9, 0
	s_waitcnt lgkmcnt(0)
	v_mad_u64_u32 v[10:11], s[8:9], v5, s7, v[8:9]
	v_mov_b32_e32 v8, v11
	v_mov_b32_e32 v11, v9
	s_mov_b32 s10, 0xcccccccc
	v_mad_u64_u32 v[10:11], s[8:9], v1, s10, v[10:11]
	v_mov_b32_e32 v10, v11
	v_mov_b32_e32 v11, v9
	v_lshl_add_u64 v[10:11], v[8:9], 0, v[10:11]
	v_mad_u64_u32 v[10:11], s[8:9], v5, s10, v[10:11]
	v_mul_hi_u32 v8, v2, s7
	v_alignbit_b32 v5, v11, v10, 3
	v_mad_u64_u32 v[10:11], s[8:9], v3, s7, v[8:9]
	v_mov_b32_e32 v8, v11
	v_mov_b32_e32 v11, v9
	v_mad_u64_u32 v[10:11], s[8:9], v2, s10, v[10:11]
	v_mov_b32_e32 v10, v11
	v_mov_b32_e32 v11, v9
	v_lshl_add_u64 v[10:11], v[8:9], 0, v[10:11]
	v_mad_u64_u32 v[10:11], s[8:9], v3, s10, v[10:11]
	v_alignbit_b32 v3, v11, v10, 3
	v_mul_lo_u32 v5, v5, 10
	v_mul_lo_u32 v3, v3, 10
	v_sub_u32_e32 v1, v1, v5
	v_sub_u32_e32 v2, v2, v3
	v_add_u32_e32 v8, v1, v2
	v_lshl_add_u64 v[2:3], v[8:9], 0, -10
	v_cmp_gt_u32_e32 vcc, 10, v8
	s_nop 1
	v_cndmask_b32_e64 v3, v3, 0, vcc
	v_cndmask_b32_e32 v2, v2, v8, vcc
.LBB576_230:
	s_or_b64 exec, exec, s[4:5]
	s_waitcnt lgkmcnt(0)
	v_or_b32_e32 v5, 8, v6
	ds_bpermute_b32 v1, v5, v2
	ds_bpermute_b32 v5, v5, v3
	v_add_u32_e32 v4, 2, v4
	v_cmp_gt_u32_e32 vcc, s6, v4
	s_and_saveexec_b64 s[4:5], vcc
	s_cbranch_execz .LBB576_232
; %bb.231:
	s_mov_b32 s8, 0xcccccccd
	s_waitcnt lgkmcnt(1)
	v_mul_hi_u32 v6, v1, s8
	v_mov_b32_e32 v7, 0
	s_waitcnt lgkmcnt(0)
	v_mad_u64_u32 v[8:9], s[6:7], v5, s8, v[6:7]
	v_mov_b32_e32 v6, v9
	v_mov_b32_e32 v9, v7
	s_mov_b32 s9, 0xcccccccc
	v_mad_u64_u32 v[8:9], s[6:7], v1, s9, v[8:9]
	v_mov_b32_e32 v8, v9
	v_mov_b32_e32 v9, v7
	v_lshl_add_u64 v[8:9], v[6:7], 0, v[8:9]
	v_mad_u64_u32 v[4:5], s[6:7], v5, s9, v[8:9]
	v_alignbit_b32 v4, v5, v4, 3
	v_mul_lo_u32 v4, v4, 10
	v_mul_hi_u32 v6, v2, s8
	v_sub_u32_e32 v1, v1, v4
	v_mad_u64_u32 v[4:5], s[6:7], v3, s8, v[6:7]
	v_mov_b32_e32 v6, v5
	v_mov_b32_e32 v5, v7
	v_mad_u64_u32 v[4:5], s[6:7], v2, s9, v[4:5]
	v_mov_b32_e32 v4, v5
	v_mov_b32_e32 v5, v7
	v_lshl_add_u64 v[4:5], v[6:7], 0, v[4:5]
	v_mad_u64_u32 v[4:5], s[6:7], v3, s9, v[4:5]
	v_alignbit_b32 v3, v5, v4, 3
	v_mul_lo_u32 v3, v3, 10
	v_sub_u32_e32 v2, v2, v3
	v_add_u32_e32 v6, v1, v2
	v_lshl_add_u64 v[2:3], v[6:7], 0, -10
	v_cmp_gt_u32_e32 vcc, 10, v6
	s_nop 1
	v_cndmask_b32_e64 v3, v3, 0, vcc
	v_cndmask_b32_e32 v2, v2, v6, vcc
.LBB576_232:
	s_or_b64 exec, exec, s[4:5]
.LBB576_233:
	s_or_b64 exec, exec, s[0:1]
.LBB576_234:
	v_cmp_eq_u32_e32 vcc, 0, v0
                                        ; implicit-def: $vgpr4_vgpr5
	s_and_saveexec_b64 s[0:1], vcc
	s_xor_b64 s[0:1], exec, s[0:1]
	s_cbranch_execz .LBB576_238
; %bb.235:
	s_cmp_eq_u64 s[38:39], 0
	s_waitcnt lgkmcnt(0)
	v_mov_b64_e32 v[4:5], s[42:43]
	s_cbranch_scc1 .LBB576_237
; %bb.236:
	s_mov_b32 s4, 0xcccccccd
	v_mul_hi_u32 v4, v2, s4
	v_mov_b32_e32 v5, 0
	v_mad_u64_u32 v[6:7], s[4:5], v3, s4, v[4:5]
	v_mov_b32_e32 v4, v7
	v_mov_b32_e32 v7, v5
	s_mov_b32 s6, 0xcccccccc
	v_mad_u64_u32 v[6:7], s[4:5], v2, s6, v[6:7]
	v_mov_b32_e32 v6, v7
	v_mov_b32_e32 v7, v5
	v_lshl_add_u64 v[6:7], v[4:5], 0, v[6:7]
	s_mul_i32 s7, s43, 0xcccccccd
	s_mul_hi_u32 s8, s42, 0xcccccccd
	v_mad_u64_u32 v[6:7], s[4:5], v3, s6, v[6:7]
	s_mul_hi_u32 s6, s43, 0xcccccccd
	s_add_u32 s7, s7, s8
	s_mul_i32 s5, s42, 0xcccccccc
	s_addc_u32 s6, s6, 0
	s_mul_hi_u32 s4, s42, 0xcccccccc
	s_add_u32 s5, s5, s7
	s_addc_u32 s4, s4, 0
	s_add_u32 s4, s6, s4
	s_addc_u32 s5, 0, 0
	s_mul_i32 s7, s43, 0xcccccccc
	s_mul_hi_u32 s6, s43, 0xcccccccc
	s_add_u32 s4, s7, s4
	s_addc_u32 s5, s6, s5
	v_alignbit_b32 v1, v7, v6, 3
	s_lshr_b64 s[4:5], s[4:5], 3
	v_mul_lo_u32 v1, v1, 10
	s_mul_i32 s4, s4, 10
	v_sub_u32_e32 v1, v2, v1
	s_sub_i32 s4, s42, s4
	v_add_u32_e32 v4, s4, v1
	v_lshl_add_u64 v[2:3], v[4:5], 0, -10
	v_cmp_gt_u32_e32 vcc, 10, v4
	s_nop 1
	v_cndmask_b32_e64 v5, v3, 0, vcc
	v_cndmask_b32_e32 v4, v2, v4, vcc
.LBB576_237:
	s_or_b64 s[14:15], s[14:15], exec
.LBB576_238:
	s_or_b64 exec, exec, s[0:1]
	v_mov_b64_e32 v[2:3], s[2:3]
	s_branch .LBB576_247
.LBB576_239:
	s_cmp_eq_u32 s33, 1
	s_cbranch_scc0 .LBB576_246
; %bb.240:
	s_mov_b32 s1, 0
	s_lshl_b32 s0, s2, 8
	s_mov_b32 s3, s1
	s_lshr_b64 s[4:5], s[38:39], 8
	s_cmp_lg_u64 s[4:5], s[2:3]
	s_waitcnt lgkmcnt(1)
	v_mbcnt_lo_u32_b32 v1, -1, 0
	s_cbranch_scc0 .LBB576_250
; %bb.241:
	s_lshl_b64 s[4:5], s[0:1], 3
	s_add_u32 s4, s36, s4
	s_addc_u32 s5, s37, s5
	v_lshlrev_b32_e32 v2, 3, v0
	global_load_dwordx2 v[6:7], v2, s[4:5]
	s_mov_b32 s4, 0xcccccccd
	v_mov_b32_e32 v3, 0
	s_mov_b32 s5, 0xcccccccc
	v_mov_b32_e32 v9, v3
	v_mov_b32_e32 v11, v3
	;; [unrolled: 1-line block ×8, first 2 shown]
	v_mbcnt_hi_u32_b32 v4, -1, v1
	s_waitcnt vmcnt(0)
	v_mul_hi_u32 v2, v6, s4
	v_mad_u64_u32 v[24:25], s[6:7], v7, s4, v[2:3]
	v_mov_b32_e32 v2, v25
	v_mov_b32_e32 v25, v3
	v_mad_u64_u32 v[24:25], s[6:7], v6, s5, v[24:25]
	s_waitcnt lgkmcnt(0)
	v_mov_b32_dpp v5, v6 quad_perm:[1,0,3,2] row_mask:0xf bank_mask:0xf bound_ctrl:1
	v_mov_b32_e32 v8, v25
	v_mov_b32_dpp v12, v7 quad_perm:[1,0,3,2] row_mask:0xf bank_mask:0xf bound_ctrl:1
	v_lshl_add_u64 v[8:9], v[2:3], 0, v[8:9]
	v_mul_hi_u32 v2, v5, s4
	v_mad_u64_u32 v[24:25], s[6:7], v12, s4, v[2:3]
	v_mad_u64_u32 v[8:9], s[6:7], v7, s5, v[8:9]
	v_mov_b32_e32 v2, v25
	v_mov_b32_e32 v25, v3
	v_alignbit_b32 v7, v9, v8, 3
	v_mad_u64_u32 v[8:9], s[6:7], v5, s5, v[24:25]
	v_mul_lo_u32 v7, v7, 10
	v_mov_b32_e32 v10, v9
	v_sub_u32_e32 v8, v6, v7
	v_lshl_add_u64 v[6:7], v[2:3], 0, v[10:11]
	v_mad_u64_u32 v[6:7], s[6:7], v12, s5, v[6:7]
	v_alignbit_b32 v2, v7, v6, 3
	v_mul_lo_u32 v2, v2, 10
	v_sub_u32_e32 v2, v5, v2
	v_add_u32_e32 v2, v2, v8
	v_lshl_add_u64 v[6:7], v[2:3], 0, -10
	v_cmp_gt_u32_e32 vcc, 10, v2
	s_nop 1
	v_cndmask_b32_e32 v10, v6, v2, vcc
	v_cndmask_b32_e64 v5, v7, 0, vcc
	v_mul_hi_u32 v2, v10, s4
	v_mad_u64_u32 v[6:7], s[6:7], v5, s4, v[2:3]
	v_mov_b32_e32 v2, v7
	v_mov_b32_e32 v7, v3
	v_mad_u64_u32 v[6:7], s[6:7], v10, s5, v[6:7]
	v_mov_b32_dpp v11, v10 quad_perm:[2,3,0,1] row_mask:0xf bank_mask:0xf bound_ctrl:1
	v_mov_b32_e32 v12, v7
	v_mov_b32_dpp v16, v5 quad_perm:[2,3,0,1] row_mask:0xf bank_mask:0xf bound_ctrl:1
	v_lshl_add_u64 v[6:7], v[2:3], 0, v[12:13]
	v_mul_hi_u32 v2, v11, s4
	v_mad_u64_u32 v[8:9], s[6:7], v16, s4, v[2:3]
	v_mad_u64_u32 v[6:7], s[6:7], v5, s5, v[6:7]
	v_mov_b32_e32 v2, v9
	v_mov_b32_e32 v9, v3
	v_alignbit_b32 v5, v7, v6, 3
	v_mad_u64_u32 v[6:7], s[6:7], v11, s5, v[8:9]
	v_mov_b32_e32 v14, v7
	v_lshl_add_u64 v[6:7], v[2:3], 0, v[14:15]
	v_mad_u64_u32 v[6:7], s[6:7], v16, s5, v[6:7]
	v_alignbit_b32 v2, v7, v6, 3
	v_mul_lo_u32 v5, v5, 10
	v_mul_lo_u32 v2, v2, 10
	v_sub_u32_e32 v5, v10, v5
	v_sub_u32_e32 v2, v11, v2
	v_add_u32_e32 v2, v5, v2
	v_lshl_add_u64 v[6:7], v[2:3], 0, -10
	v_cmp_gt_u32_e32 vcc, 10, v2
	s_nop 1
	v_cndmask_b32_e32 v10, v6, v2, vcc
	v_cndmask_b32_e64 v5, v7, 0, vcc
	v_mul_hi_u32 v2, v10, s4
	v_mad_u64_u32 v[6:7], s[6:7], v5, s4, v[2:3]
	v_mov_b32_e32 v2, v7
	v_mov_b32_e32 v7, v3
	v_mad_u64_u32 v[6:7], s[6:7], v10, s5, v[6:7]
	v_mov_b32_dpp v11, v10 row_ror:4 row_mask:0xf bank_mask:0xf bound_ctrl:1
	v_mov_b32_e32 v16, v7
	v_mov_b32_dpp v12, v5 row_ror:4 row_mask:0xf bank_mask:0xf bound_ctrl:1
	v_lshl_add_u64 v[6:7], v[2:3], 0, v[16:17]
	v_mul_hi_u32 v2, v11, s4
	v_mad_u64_u32 v[8:9], s[6:7], v12, s4, v[2:3]
	v_mad_u64_u32 v[6:7], s[6:7], v5, s5, v[6:7]
	v_mov_b32_e32 v2, v9
	v_mov_b32_e32 v9, v3
	v_alignbit_b32 v5, v7, v6, 3
	v_mad_u64_u32 v[6:7], s[6:7], v11, s5, v[8:9]
	v_mov_b32_e32 v18, v7
	v_lshl_add_u64 v[6:7], v[2:3], 0, v[18:19]
	v_mad_u64_u32 v[6:7], s[6:7], v12, s5, v[6:7]
	v_alignbit_b32 v2, v7, v6, 3
	v_mul_lo_u32 v5, v5, 10
	v_mul_lo_u32 v2, v2, 10
	v_sub_u32_e32 v5, v10, v5
	v_sub_u32_e32 v2, v11, v2
	v_add_u32_e32 v2, v5, v2
	v_lshl_add_u64 v[6:7], v[2:3], 0, -10
	v_cmp_gt_u32_e32 vcc, 10, v2
	s_nop 1
	v_cndmask_b32_e32 v10, v6, v2, vcc
	v_cndmask_b32_e64 v5, v7, 0, vcc
	v_mul_hi_u32 v2, v10, s4
	v_mad_u64_u32 v[6:7], s[6:7], v5, s4, v[2:3]
	v_mov_b32_e32 v2, v7
	v_mov_b32_e32 v7, v3
	v_mad_u64_u32 v[6:7], s[6:7], v10, s5, v[6:7]
	v_mov_b32_dpp v11, v10 row_ror:8 row_mask:0xf bank_mask:0xf bound_ctrl:1
	v_mov_b32_e32 v20, v7
	v_mov_b32_dpp v12, v5 row_ror:8 row_mask:0xf bank_mask:0xf bound_ctrl:1
	v_lshl_add_u64 v[6:7], v[2:3], 0, v[20:21]
	v_mul_hi_u32 v2, v11, s4
	v_mad_u64_u32 v[8:9], s[6:7], v12, s4, v[2:3]
	v_mad_u64_u32 v[6:7], s[6:7], v5, s5, v[6:7]
	v_mov_b32_e32 v2, v9
	v_mov_b32_e32 v9, v3
	v_alignbit_b32 v5, v7, v6, 3
	v_mad_u64_u32 v[6:7], s[6:7], v11, s5, v[8:9]
	v_mov_b32_e32 v22, v7
	v_lshl_add_u64 v[6:7], v[2:3], 0, v[22:23]
	v_mad_u64_u32 v[6:7], s[6:7], v12, s5, v[6:7]
	v_alignbit_b32 v2, v7, v6, 3
	v_mul_lo_u32 v5, v5, 10
	v_mul_lo_u32 v2, v2, 10
	v_sub_u32_e32 v5, v10, v5
	v_sub_u32_e32 v2, v11, v2
	v_add_u32_e32 v2, v5, v2
	v_lshl_add_u64 v[6:7], v[2:3], 0, -10
	v_cmp_gt_u32_e32 vcc, 10, v2
	s_nop 1
	v_cndmask_b32_e32 v8, v6, v2, vcc
	v_cndmask_b32_e64 v5, v7, 0, vcc
	v_mul_hi_u32 v2, v8, s4
	v_mad_u64_u32 v[6:7], s[6:7], v5, s4, v[2:3]
	v_mov_b32_e32 v2, v7
	v_mov_b32_e32 v7, v3
	v_mad_u64_u32 v[6:7], s[6:7], v8, s5, v[6:7]
	v_mov_b32_e32 v6, v7
	v_mov_b32_e32 v7, v3
	v_lshl_add_u64 v[6:7], v[2:3], 0, v[6:7]
	v_mad_u64_u32 v[6:7], s[6:7], v5, s5, v[6:7]
	v_alignbit_b32 v2, v7, v6, 3
	v_mov_b32_dpp v9, v8 row_bcast:15 row_mask:0xf bank_mask:0xf bound_ctrl:1
	v_mul_lo_u32 v2, v2, 10
	v_mov_b32_dpp v10, v5 row_bcast:15 row_mask:0xf bank_mask:0xf bound_ctrl:1
	v_sub_u32_e32 v5, v8, v2
	v_mul_hi_u32 v2, v9, s4
	v_mad_u64_u32 v[6:7], s[6:7], v10, s4, v[2:3]
	v_mov_b32_e32 v2, v7
	v_mov_b32_e32 v7, v3
	v_mad_u64_u32 v[6:7], s[6:7], v9, s5, v[6:7]
	v_mov_b32_e32 v6, v7
	v_mov_b32_e32 v7, v3
	v_lshl_add_u64 v[6:7], v[2:3], 0, v[6:7]
	v_mad_u64_u32 v[6:7], s[6:7], v10, s5, v[6:7]
	v_alignbit_b32 v2, v7, v6, 3
	v_mul_lo_u32 v2, v2, 10
	v_sub_u32_e32 v2, v9, v2
	v_add_u32_e32 v2, v5, v2
	v_lshl_add_u64 v[6:7], v[2:3], 0, -10
	v_cmp_gt_u32_e32 vcc, 10, v2
	s_nop 1
	v_cndmask_b32_e32 v8, v6, v2, vcc
	v_cndmask_b32_e64 v5, v7, 0, vcc
	v_mul_hi_u32 v2, v8, s4
	v_mad_u64_u32 v[6:7], s[6:7], v5, s4, v[2:3]
	v_mov_b32_e32 v2, v7
	v_mov_b32_e32 v7, v3
	v_mad_u64_u32 v[6:7], s[6:7], v8, s5, v[6:7]
	v_mov_b32_e32 v6, v7
	v_mov_b32_e32 v7, v3
	v_lshl_add_u64 v[6:7], v[2:3], 0, v[6:7]
	v_mad_u64_u32 v[6:7], s[6:7], v5, s5, v[6:7]
	v_alignbit_b32 v2, v7, v6, 3
	v_mov_b32_dpp v9, v8 row_bcast:31 row_mask:0xf bank_mask:0xf bound_ctrl:1
	v_mul_lo_u32 v2, v2, 10
	v_mov_b32_dpp v10, v5 row_bcast:31 row_mask:0xf bank_mask:0xf bound_ctrl:1
	v_sub_u32_e32 v5, v8, v2
	v_mul_hi_u32 v2, v9, s4
	v_mad_u64_u32 v[6:7], s[6:7], v10, s4, v[2:3]
	v_mov_b32_e32 v2, v7
	v_mov_b32_e32 v7, v3
	v_mad_u64_u32 v[6:7], s[6:7], v9, s5, v[6:7]
	v_mov_b32_e32 v6, v7
	v_mov_b32_e32 v7, v3
	v_lshl_add_u64 v[6:7], v[2:3], 0, v[6:7]
	v_mad_u64_u32 v[6:7], s[4:5], v10, s5, v[6:7]
	v_alignbit_b32 v2, v7, v6, 3
	v_mul_lo_u32 v2, v2, 10
	v_sub_u32_e32 v2, v9, v2
	v_add_u32_e32 v2, v5, v2
	v_lshl_add_u64 v[6:7], v[2:3], 0, -10
	v_cmp_gt_u32_e32 vcc, 10, v2
	v_lshlrev_b32_e32 v5, 2, v4
	s_nop 0
	v_cndmask_b32_e64 v3, v7, 0, vcc
	v_cndmask_b32_e32 v2, v6, v2, vcc
	v_or_b32_e32 v6, 0xfc, v5
	ds_bpermute_b32 v2, v6, v2
	ds_bpermute_b32 v3, v6, v3
	v_cmp_eq_u32_e32 vcc, 0, v4
	s_and_saveexec_b64 s[4:5], vcc
	s_cbranch_execz .LBB576_243
; %bb.242:
	v_lshrrev_b32_e32 v6, 3, v0
	v_and_b32_e32 v6, 24, v6
	s_waitcnt lgkmcnt(0)
	ds_write_b64 v6, v[2:3] offset:64
.LBB576_243:
	s_or_b64 exec, exec, s[4:5]
	v_cmp_gt_u32_e32 vcc, 64, v0
	s_waitcnt lgkmcnt(0)
	s_barrier
	s_and_saveexec_b64 s[4:5], vcc
	s_cbranch_execz .LBB576_245
; %bb.244:
	v_and_b32_e32 v6, 3, v4
	v_lshlrev_b32_e32 v2, 3, v6
	ds_read_b64 v[2:3], v2 offset:64
	v_cmp_ne_u32_e32 vcc, 3, v6
	s_mov_b32 s8, 0xcccccccd
	v_mov_b32_e32 v7, 0
	v_addc_co_u32_e32 v4, vcc, 0, v4, vcc
	v_lshlrev_b32_e32 v4, 2, v4
	s_waitcnt lgkmcnt(0)
	ds_bpermute_b32 v10, v4, v2
	ds_bpermute_b32 v4, v4, v3
	s_mov_b32 s9, 0xcccccccc
	s_waitcnt lgkmcnt(1)
	v_mul_hi_u32 v6, v10, s8
	s_waitcnt lgkmcnt(0)
	v_mad_u64_u32 v[8:9], s[6:7], v4, s8, v[6:7]
	v_mov_b32_e32 v6, v9
	v_mov_b32_e32 v9, v7
	v_mad_u64_u32 v[8:9], s[6:7], v10, s9, v[8:9]
	v_mov_b32_e32 v8, v9
	v_mov_b32_e32 v9, v7
	v_lshl_add_u64 v[8:9], v[6:7], 0, v[8:9]
	v_mad_u64_u32 v[8:9], s[6:7], v4, s9, v[8:9]
	v_mul_hi_u32 v6, v2, s8
	v_alignbit_b32 v4, v9, v8, 3
	v_mad_u64_u32 v[8:9], s[6:7], v3, s8, v[6:7]
	v_mov_b32_e32 v6, v9
	v_mov_b32_e32 v9, v7
	v_mad_u64_u32 v[8:9], s[6:7], v2, s9, v[8:9]
	v_mov_b32_e32 v8, v9
	v_mov_b32_e32 v9, v7
	v_lshl_add_u64 v[8:9], v[6:7], 0, v[8:9]
	v_mad_u64_u32 v[8:9], s[6:7], v3, s9, v[8:9]
	v_alignbit_b32 v3, v9, v8, 3
	v_mul_lo_u32 v4, v4, 10
	v_mul_lo_u32 v3, v3, 10
	v_sub_u32_e32 v4, v10, v4
	v_sub_u32_e32 v2, v2, v3
	v_add_u32_e32 v6, v4, v2
	v_lshl_add_u64 v[2:3], v[6:7], 0, -10
	v_cmp_gt_u32_e32 vcc, 10, v6
	s_nop 1
	v_cndmask_b32_e32 v8, v2, v6, vcc
	v_or_b32_e32 v2, 8, v5
	v_cndmask_b32_e64 v4, v3, 0, vcc
	ds_bpermute_b32 v5, v2, v8
	ds_bpermute_b32 v9, v2, v4
	s_waitcnt lgkmcnt(1)
	v_mul_hi_u32 v6, v5, s8
	s_waitcnt lgkmcnt(0)
	v_mad_u64_u32 v[2:3], s[6:7], v9, s8, v[6:7]
	v_mov_b32_e32 v6, v3
	v_mov_b32_e32 v3, v7
	v_mad_u64_u32 v[2:3], s[6:7], v5, s9, v[2:3]
	v_mov_b32_e32 v2, v3
	v_mov_b32_e32 v3, v7
	v_lshl_add_u64 v[2:3], v[6:7], 0, v[2:3]
	v_mad_u64_u32 v[2:3], s[6:7], v9, s9, v[2:3]
	v_alignbit_b32 v2, v3, v2, 3
	v_mul_lo_u32 v2, v2, 10
	v_mul_hi_u32 v6, v8, s8
	v_sub_u32_e32 v5, v5, v2
	v_mad_u64_u32 v[2:3], s[6:7], v4, s8, v[6:7]
	v_mov_b32_e32 v6, v3
	v_mov_b32_e32 v3, v7
	v_mad_u64_u32 v[2:3], s[6:7], v8, s9, v[2:3]
	v_mov_b32_e32 v2, v3
	v_mov_b32_e32 v3, v7
	v_lshl_add_u64 v[2:3], v[6:7], 0, v[2:3]
	v_mad_u64_u32 v[2:3], s[6:7], v4, s9, v[2:3]
	v_alignbit_b32 v2, v3, v2, 3
	v_mul_lo_u32 v2, v2, 10
	v_sub_u32_e32 v2, v8, v2
	v_add_u32_e32 v6, v2, v5
	v_lshl_add_u64 v[2:3], v[6:7], 0, -10
	v_cmp_gt_u32_e32 vcc, 10, v6
	s_nop 1
	v_cndmask_b32_e64 v3, v3, 0, vcc
	v_cndmask_b32_e32 v2, v2, v6, vcc
.LBB576_245:
	s_or_b64 exec, exec, s[4:5]
	s_branch .LBB576_274
.LBB576_246:
                                        ; implicit-def: $vgpr4_vgpr5
                                        ; implicit-def: $vgpr2_vgpr3
.LBB576_247:
	s_and_saveexec_b64 s[0:1], s[14:15]
	s_cbranch_execz .LBB576_249
.LBB576_248:
	s_waitcnt lgkmcnt(1)
	v_lshlrev_b64 v[0:1], 3, v[2:3]
	v_lshl_add_u64 v[0:1], s[40:41], 0, v[0:1]
	s_waitcnt lgkmcnt(0)
	global_store_dwordx2 v[0:1], v[4:5], off
.LBB576_249:
	s_endpgm
.LBB576_250:
                                        ; implicit-def: $vgpr2_vgpr3
	s_cbranch_execz .LBB576_274
; %bb.251:
	s_sub_i32 s6, s38, s0
	v_cmp_gt_u32_e32 vcc, s6, v0
                                        ; implicit-def: $vgpr2_vgpr3
	s_and_saveexec_b64 s[4:5], vcc
	s_cbranch_execz .LBB576_253
; %bb.252:
	s_lshl_b64 s[0:1], s[0:1], 3
	s_add_u32 s0, s36, s0
	s_addc_u32 s1, s37, s1
	v_lshlrev_b32_e32 v2, 3, v0
	global_load_dwordx2 v[2:3], v2, s[0:1]
.LBB576_253:
	s_or_b64 exec, exec, s[4:5]
	v_mbcnt_hi_u32_b32 v1, -1, v1
	v_and_b32_e32 v4, 63, v1
	v_cmp_ne_u32_e32 vcc, 63, v4
	s_min_u32 s4, s6, 0x100
	v_add_u32_e32 v8, 1, v4
	s_waitcnt lgkmcnt(0)
	v_addc_co_u32_e32 v5, vcc, 0, v1, vcc
	v_lshlrev_b32_e32 v5, 2, v5
	s_waitcnt vmcnt(0)
	ds_bpermute_b32 v6, v5, v2
	ds_bpermute_b32 v7, v5, v3
	v_and_b32_e32 v5, 0xc0, v0
	v_sub_u32_e64 v5, s4, v5 clamp
	v_cmp_lt_u32_e32 vcc, v8, v5
	s_and_saveexec_b64 s[0:1], vcc
	s_cbranch_execz .LBB576_255
; %bb.254:
	s_mov_b32 s5, 0xcccccccd
	s_waitcnt lgkmcnt(1)
	v_mul_hi_u32 v8, v6, s5
	v_mov_b32_e32 v9, 0
	s_waitcnt lgkmcnt(0)
	v_mad_u64_u32 v[10:11], s[6:7], v7, s5, v[8:9]
	v_mov_b32_e32 v8, v11
	v_mov_b32_e32 v11, v9
	s_mov_b32 s8, 0xcccccccc
	v_mad_u64_u32 v[10:11], s[6:7], v6, s8, v[10:11]
	v_mov_b32_e32 v10, v11
	v_mov_b32_e32 v11, v9
	v_lshl_add_u64 v[10:11], v[8:9], 0, v[10:11]
	v_mad_u64_u32 v[10:11], s[6:7], v7, s8, v[10:11]
	v_alignbit_b32 v7, v11, v10, 3
	v_mul_lo_u32 v7, v7, 10
	v_mul_hi_u32 v8, v2, s5
	v_sub_u32_e32 v10, v6, v7
	v_mad_u64_u32 v[6:7], s[6:7], v3, s5, v[8:9]
	v_mov_b32_e32 v8, v7
	v_mov_b32_e32 v7, v9
	v_mad_u64_u32 v[6:7], s[6:7], v2, s8, v[6:7]
	v_mov_b32_e32 v6, v7
	v_mov_b32_e32 v7, v9
	v_lshl_add_u64 v[6:7], v[8:9], 0, v[6:7]
	v_mad_u64_u32 v[6:7], s[6:7], v3, s8, v[6:7]
	v_alignbit_b32 v3, v7, v6, 3
	v_mul_lo_u32 v3, v3, 10
	v_sub_u32_e32 v2, v2, v3
	v_add_u32_e32 v8, v10, v2
	v_lshl_add_u64 v[2:3], v[8:9], 0, -10
	v_cmp_gt_u32_e32 vcc, 10, v8
	s_nop 1
	v_cndmask_b32_e64 v3, v3, 0, vcc
	v_cndmask_b32_e32 v2, v2, v8, vcc
.LBB576_255:
	s_or_b64 exec, exec, s[0:1]
	v_cmp_gt_u32_e32 vcc, 62, v4
	v_add_u32_e32 v8, 2, v4
	s_waitcnt lgkmcnt(1)
	v_cndmask_b32_e64 v6, 0, 2, vcc
	s_waitcnt lgkmcnt(0)
	v_add_lshl_u32 v7, v6, v1, 2
	ds_bpermute_b32 v6, v7, v2
	ds_bpermute_b32 v7, v7, v3
	v_cmp_lt_u32_e32 vcc, v8, v5
	s_and_saveexec_b64 s[0:1], vcc
	s_cbranch_execz .LBB576_257
; %bb.256:
	s_mov_b32 s5, 0xcccccccd
	s_waitcnt lgkmcnt(1)
	v_mul_hi_u32 v8, v6, s5
	v_mov_b32_e32 v9, 0
	s_waitcnt lgkmcnt(0)
	v_mad_u64_u32 v[10:11], s[6:7], v7, s5, v[8:9]
	v_mov_b32_e32 v8, v11
	v_mov_b32_e32 v11, v9
	s_mov_b32 s8, 0xcccccccc
	v_mad_u64_u32 v[10:11], s[6:7], v6, s8, v[10:11]
	v_mov_b32_e32 v10, v11
	v_mov_b32_e32 v11, v9
	v_lshl_add_u64 v[10:11], v[8:9], 0, v[10:11]
	v_mad_u64_u32 v[10:11], s[6:7], v7, s8, v[10:11]
	v_alignbit_b32 v7, v11, v10, 3
	v_mul_lo_u32 v7, v7, 10
	v_mul_hi_u32 v8, v2, s5
	v_sub_u32_e32 v10, v6, v7
	v_mad_u64_u32 v[6:7], s[6:7], v3, s5, v[8:9]
	v_mov_b32_e32 v8, v7
	v_mov_b32_e32 v7, v9
	v_mad_u64_u32 v[6:7], s[6:7], v2, s8, v[6:7]
	v_mov_b32_e32 v6, v7
	v_mov_b32_e32 v7, v9
	v_lshl_add_u64 v[6:7], v[8:9], 0, v[6:7]
	v_mad_u64_u32 v[6:7], s[6:7], v3, s8, v[6:7]
	v_alignbit_b32 v3, v7, v6, 3
	v_mul_lo_u32 v3, v3, 10
	v_sub_u32_e32 v2, v2, v3
	v_add_u32_e32 v8, v10, v2
	v_lshl_add_u64 v[2:3], v[8:9], 0, -10
	v_cmp_gt_u32_e32 vcc, 10, v8
	s_nop 1
	v_cndmask_b32_e64 v3, v3, 0, vcc
	v_cndmask_b32_e32 v2, v2, v8, vcc
.LBB576_257:
	s_or_b64 exec, exec, s[0:1]
	v_cmp_gt_u32_e32 vcc, 60, v4
	v_add_u32_e32 v8, 4, v4
	s_waitcnt lgkmcnt(1)
	v_cndmask_b32_e64 v6, 0, 4, vcc
	s_waitcnt lgkmcnt(0)
	v_add_lshl_u32 v7, v6, v1, 2
	ds_bpermute_b32 v6, v7, v2
	ds_bpermute_b32 v7, v7, v3
	v_cmp_lt_u32_e32 vcc, v8, v5
	s_and_saveexec_b64 s[0:1], vcc
	s_cbranch_execz .LBB576_259
; %bb.258:
	s_mov_b32 s5, 0xcccccccd
	s_waitcnt lgkmcnt(1)
	v_mul_hi_u32 v8, v6, s5
	v_mov_b32_e32 v9, 0
	s_waitcnt lgkmcnt(0)
	v_mad_u64_u32 v[10:11], s[6:7], v7, s5, v[8:9]
	v_mov_b32_e32 v8, v11
	v_mov_b32_e32 v11, v9
	s_mov_b32 s8, 0xcccccccc
	v_mad_u64_u32 v[10:11], s[6:7], v6, s8, v[10:11]
	v_mov_b32_e32 v10, v11
	v_mov_b32_e32 v11, v9
	v_lshl_add_u64 v[10:11], v[8:9], 0, v[10:11]
	v_mad_u64_u32 v[10:11], s[6:7], v7, s8, v[10:11]
	v_alignbit_b32 v7, v11, v10, 3
	v_mul_lo_u32 v7, v7, 10
	v_mul_hi_u32 v8, v2, s5
	v_sub_u32_e32 v10, v6, v7
	v_mad_u64_u32 v[6:7], s[6:7], v3, s5, v[8:9]
	v_mov_b32_e32 v8, v7
	v_mov_b32_e32 v7, v9
	v_mad_u64_u32 v[6:7], s[6:7], v2, s8, v[6:7]
	v_mov_b32_e32 v6, v7
	v_mov_b32_e32 v7, v9
	v_lshl_add_u64 v[6:7], v[8:9], 0, v[6:7]
	v_mad_u64_u32 v[6:7], s[6:7], v3, s8, v[6:7]
	v_alignbit_b32 v3, v7, v6, 3
	v_mul_lo_u32 v3, v3, 10
	v_sub_u32_e32 v2, v2, v3
	v_add_u32_e32 v8, v10, v2
	v_lshl_add_u64 v[2:3], v[8:9], 0, -10
	v_cmp_gt_u32_e32 vcc, 10, v8
	s_nop 1
	v_cndmask_b32_e64 v3, v3, 0, vcc
	v_cndmask_b32_e32 v2, v2, v8, vcc
.LBB576_259:
	s_or_b64 exec, exec, s[0:1]
	v_cmp_gt_u32_e32 vcc, 56, v4
	v_add_u32_e32 v8, 8, v4
	s_waitcnt lgkmcnt(1)
	v_cndmask_b32_e64 v6, 0, 8, vcc
	s_waitcnt lgkmcnt(0)
	v_add_lshl_u32 v7, v6, v1, 2
	ds_bpermute_b32 v6, v7, v2
	ds_bpermute_b32 v7, v7, v3
	v_cmp_lt_u32_e32 vcc, v8, v5
	s_and_saveexec_b64 s[0:1], vcc
	s_cbranch_execz .LBB576_261
; %bb.260:
	s_mov_b32 s5, 0xcccccccd
	s_waitcnt lgkmcnt(1)
	v_mul_hi_u32 v8, v6, s5
	v_mov_b32_e32 v9, 0
	s_waitcnt lgkmcnt(0)
	v_mad_u64_u32 v[10:11], s[6:7], v7, s5, v[8:9]
	v_mov_b32_e32 v8, v11
	v_mov_b32_e32 v11, v9
	s_mov_b32 s8, 0xcccccccc
	v_mad_u64_u32 v[10:11], s[6:7], v6, s8, v[10:11]
	v_mov_b32_e32 v10, v11
	v_mov_b32_e32 v11, v9
	v_lshl_add_u64 v[10:11], v[8:9], 0, v[10:11]
	v_mad_u64_u32 v[10:11], s[6:7], v7, s8, v[10:11]
	v_alignbit_b32 v7, v11, v10, 3
	v_mul_lo_u32 v7, v7, 10
	v_mul_hi_u32 v8, v2, s5
	v_sub_u32_e32 v10, v6, v7
	v_mad_u64_u32 v[6:7], s[6:7], v3, s5, v[8:9]
	v_mov_b32_e32 v8, v7
	v_mov_b32_e32 v7, v9
	v_mad_u64_u32 v[6:7], s[6:7], v2, s8, v[6:7]
	v_mov_b32_e32 v6, v7
	v_mov_b32_e32 v7, v9
	v_lshl_add_u64 v[6:7], v[8:9], 0, v[6:7]
	v_mad_u64_u32 v[6:7], s[6:7], v3, s8, v[6:7]
	v_alignbit_b32 v3, v7, v6, 3
	v_mul_lo_u32 v3, v3, 10
	v_sub_u32_e32 v2, v2, v3
	v_add_u32_e32 v8, v10, v2
	v_lshl_add_u64 v[2:3], v[8:9], 0, -10
	v_cmp_gt_u32_e32 vcc, 10, v8
	s_nop 1
	v_cndmask_b32_e64 v3, v3, 0, vcc
	v_cndmask_b32_e32 v2, v2, v8, vcc
.LBB576_261:
	s_or_b64 exec, exec, s[0:1]
	v_cmp_gt_u32_e32 vcc, 48, v4
	v_add_u32_e32 v8, 16, v4
	s_waitcnt lgkmcnt(1)
	v_cndmask_b32_e64 v6, 0, 16, vcc
	s_waitcnt lgkmcnt(0)
	v_add_lshl_u32 v7, v6, v1, 2
	ds_bpermute_b32 v6, v7, v2
	ds_bpermute_b32 v7, v7, v3
	v_cmp_lt_u32_e32 vcc, v8, v5
	s_and_saveexec_b64 s[0:1], vcc
	s_cbranch_execz .LBB576_263
; %bb.262:
	s_mov_b32 s5, 0xcccccccd
	s_waitcnt lgkmcnt(1)
	v_mul_hi_u32 v8, v6, s5
	v_mov_b32_e32 v9, 0
	s_waitcnt lgkmcnt(0)
	v_mad_u64_u32 v[10:11], s[6:7], v7, s5, v[8:9]
	v_mov_b32_e32 v8, v11
	v_mov_b32_e32 v11, v9
	s_mov_b32 s8, 0xcccccccc
	v_mad_u64_u32 v[10:11], s[6:7], v6, s8, v[10:11]
	v_mov_b32_e32 v10, v11
	v_mov_b32_e32 v11, v9
	v_lshl_add_u64 v[10:11], v[8:9], 0, v[10:11]
	v_mad_u64_u32 v[10:11], s[6:7], v7, s8, v[10:11]
	v_alignbit_b32 v7, v11, v10, 3
	v_mul_lo_u32 v7, v7, 10
	v_mul_hi_u32 v8, v2, s5
	v_sub_u32_e32 v10, v6, v7
	v_mad_u64_u32 v[6:7], s[6:7], v3, s5, v[8:9]
	v_mov_b32_e32 v8, v7
	v_mov_b32_e32 v7, v9
	v_mad_u64_u32 v[6:7], s[6:7], v2, s8, v[6:7]
	v_mov_b32_e32 v6, v7
	v_mov_b32_e32 v7, v9
	v_lshl_add_u64 v[6:7], v[8:9], 0, v[6:7]
	v_mad_u64_u32 v[6:7], s[6:7], v3, s8, v[6:7]
	v_alignbit_b32 v3, v7, v6, 3
	v_mul_lo_u32 v3, v3, 10
	v_sub_u32_e32 v2, v2, v3
	v_add_u32_e32 v8, v10, v2
	v_lshl_add_u64 v[2:3], v[8:9], 0, -10
	v_cmp_gt_u32_e32 vcc, 10, v8
	s_nop 1
	v_cndmask_b32_e64 v3, v3, 0, vcc
	v_cndmask_b32_e32 v2, v2, v8, vcc
.LBB576_263:
	s_or_b64 exec, exec, s[0:1]
	s_waitcnt lgkmcnt(1)
	v_lshlrev_b32_e32 v6, 2, v1
	v_or_b32_e32 v8, 0x80, v6
	s_waitcnt lgkmcnt(0)
	ds_bpermute_b32 v7, v8, v2
	ds_bpermute_b32 v8, v8, v3
	v_add_u32_e32 v4, 32, v4
	v_cmp_lt_u32_e32 vcc, v4, v5
	s_and_saveexec_b64 s[0:1], vcc
	s_cbranch_execz .LBB576_265
; %bb.264:
	s_mov_b32 s5, 0xcccccccd
	s_waitcnt lgkmcnt(1)
	v_mul_hi_u32 v4, v7, s5
	v_mov_b32_e32 v5, 0
	s_waitcnt lgkmcnt(0)
	v_mad_u64_u32 v[10:11], s[6:7], v8, s5, v[4:5]
	v_mov_b32_e32 v4, v11
	v_mov_b32_e32 v11, v5
	s_mov_b32 s8, 0xcccccccc
	v_mad_u64_u32 v[10:11], s[6:7], v7, s8, v[10:11]
	v_mov_b32_e32 v10, v11
	v_mov_b32_e32 v11, v5
	v_lshl_add_u64 v[10:11], v[4:5], 0, v[10:11]
	v_mad_u64_u32 v[8:9], s[6:7], v8, s8, v[10:11]
	v_alignbit_b32 v4, v9, v8, 3
	v_mul_lo_u32 v4, v4, 10
	v_sub_u32_e32 v7, v7, v4
	v_mul_hi_u32 v4, v2, s5
	v_mad_u64_u32 v[8:9], s[6:7], v3, s5, v[4:5]
	v_mov_b32_e32 v4, v9
	v_mov_b32_e32 v9, v5
	v_mad_u64_u32 v[8:9], s[6:7], v2, s8, v[8:9]
	v_mov_b32_e32 v8, v9
	v_mov_b32_e32 v9, v5
	v_lshl_add_u64 v[8:9], v[4:5], 0, v[8:9]
	v_mad_u64_u32 v[8:9], s[6:7], v3, s8, v[8:9]
	v_alignbit_b32 v3, v9, v8, 3
	v_mul_lo_u32 v3, v3, 10
	v_sub_u32_e32 v2, v2, v3
	v_add_u32_e32 v4, v7, v2
	v_lshl_add_u64 v[2:3], v[4:5], 0, -10
	v_cmp_gt_u32_e32 vcc, 10, v4
	s_nop 1
	v_cndmask_b32_e64 v3, v3, 0, vcc
	v_cndmask_b32_e32 v2, v2, v4, vcc
.LBB576_265:
	s_or_b64 exec, exec, s[0:1]
	v_cmp_eq_u32_e32 vcc, 0, v1
	s_and_saveexec_b64 s[0:1], vcc
; %bb.266:
	v_lshrrev_b32_e32 v4, 3, v0
	v_and_b32_e32 v4, 24, v4
	ds_write_b64 v4, v[2:3]
; %bb.267:
	s_or_b64 exec, exec, s[0:1]
	v_cmp_gt_u32_e32 vcc, 4, v0
	s_waitcnt lgkmcnt(0)
	s_barrier
	s_and_saveexec_b64 s[0:1], vcc
	s_cbranch_execz .LBB576_273
; %bb.268:
	v_lshlrev_b32_e32 v2, 3, v1
	ds_read_b64 v[2:3], v2
	v_and_b32_e32 v4, 3, v1
	v_cmp_ne_u32_e32 vcc, 3, v4
	s_add_i32 s4, s4, 63
	s_lshr_b32 s6, s4, 6
	v_addc_co_u32_e32 v1, vcc, 0, v1, vcc
	v_lshlrev_b32_e32 v5, 2, v1
	s_waitcnt lgkmcnt(0)
	ds_bpermute_b32 v1, v5, v2
	ds_bpermute_b32 v5, v5, v3
	v_add_u32_e32 v7, 1, v4
	v_cmp_gt_u32_e32 vcc, s6, v7
	s_and_saveexec_b64 s[4:5], vcc
	s_cbranch_execz .LBB576_270
; %bb.269:
	s_mov_b32 s7, 0xcccccccd
	s_waitcnt lgkmcnt(1)
	v_mul_hi_u32 v8, v1, s7
	v_mov_b32_e32 v9, 0
	s_waitcnt lgkmcnt(0)
	v_mad_u64_u32 v[10:11], s[8:9], v5, s7, v[8:9]
	v_mov_b32_e32 v8, v11
	v_mov_b32_e32 v11, v9
	s_mov_b32 s10, 0xcccccccc
	v_mad_u64_u32 v[10:11], s[8:9], v1, s10, v[10:11]
	v_mov_b32_e32 v10, v11
	v_mov_b32_e32 v11, v9
	v_lshl_add_u64 v[10:11], v[8:9], 0, v[10:11]
	v_mad_u64_u32 v[10:11], s[8:9], v5, s10, v[10:11]
	v_mul_hi_u32 v8, v2, s7
	v_alignbit_b32 v5, v11, v10, 3
	v_mad_u64_u32 v[10:11], s[8:9], v3, s7, v[8:9]
	v_mov_b32_e32 v8, v11
	v_mov_b32_e32 v11, v9
	v_mad_u64_u32 v[10:11], s[8:9], v2, s10, v[10:11]
	v_mov_b32_e32 v10, v11
	v_mov_b32_e32 v11, v9
	v_lshl_add_u64 v[10:11], v[8:9], 0, v[10:11]
	v_mad_u64_u32 v[10:11], s[8:9], v3, s10, v[10:11]
	v_alignbit_b32 v3, v11, v10, 3
	v_mul_lo_u32 v5, v5, 10
	v_mul_lo_u32 v3, v3, 10
	v_sub_u32_e32 v1, v1, v5
	v_sub_u32_e32 v2, v2, v3
	v_add_u32_e32 v8, v1, v2
	v_lshl_add_u64 v[2:3], v[8:9], 0, -10
	v_cmp_gt_u32_e32 vcc, 10, v8
	s_nop 1
	v_cndmask_b32_e64 v3, v3, 0, vcc
	v_cndmask_b32_e32 v2, v2, v8, vcc
.LBB576_270:
	s_or_b64 exec, exec, s[4:5]
	s_waitcnt lgkmcnt(0)
	v_or_b32_e32 v5, 8, v6
	ds_bpermute_b32 v1, v5, v2
	ds_bpermute_b32 v5, v5, v3
	v_add_u32_e32 v4, 2, v4
	v_cmp_gt_u32_e32 vcc, s6, v4
	s_and_saveexec_b64 s[4:5], vcc
	s_cbranch_execz .LBB576_272
; %bb.271:
	s_mov_b32 s8, 0xcccccccd
	s_waitcnt lgkmcnt(1)
	v_mul_hi_u32 v6, v1, s8
	v_mov_b32_e32 v7, 0
	s_waitcnt lgkmcnt(0)
	v_mad_u64_u32 v[8:9], s[6:7], v5, s8, v[6:7]
	v_mov_b32_e32 v6, v9
	v_mov_b32_e32 v9, v7
	s_mov_b32 s9, 0xcccccccc
	v_mad_u64_u32 v[8:9], s[6:7], v1, s9, v[8:9]
	v_mov_b32_e32 v8, v9
	v_mov_b32_e32 v9, v7
	v_lshl_add_u64 v[8:9], v[6:7], 0, v[8:9]
	v_mad_u64_u32 v[4:5], s[6:7], v5, s9, v[8:9]
	v_alignbit_b32 v4, v5, v4, 3
	v_mul_lo_u32 v4, v4, 10
	v_mul_hi_u32 v6, v2, s8
	v_sub_u32_e32 v1, v1, v4
	v_mad_u64_u32 v[4:5], s[6:7], v3, s8, v[6:7]
	v_mov_b32_e32 v6, v5
	v_mov_b32_e32 v5, v7
	v_mad_u64_u32 v[4:5], s[6:7], v2, s9, v[4:5]
	v_mov_b32_e32 v4, v5
	v_mov_b32_e32 v5, v7
	v_lshl_add_u64 v[4:5], v[6:7], 0, v[4:5]
	v_mad_u64_u32 v[4:5], s[6:7], v3, s9, v[4:5]
	v_alignbit_b32 v3, v5, v4, 3
	v_mul_lo_u32 v3, v3, 10
	v_sub_u32_e32 v2, v2, v3
	v_add_u32_e32 v6, v1, v2
	v_lshl_add_u64 v[2:3], v[6:7], 0, -10
	v_cmp_gt_u32_e32 vcc, 10, v6
	s_nop 1
	v_cndmask_b32_e64 v3, v3, 0, vcc
	v_cndmask_b32_e32 v2, v2, v6, vcc
.LBB576_272:
	s_or_b64 exec, exec, s[4:5]
.LBB576_273:
	s_or_b64 exec, exec, s[0:1]
.LBB576_274:
	v_cmp_eq_u32_e32 vcc, 0, v0
                                        ; implicit-def: $vgpr4_vgpr5
	s_and_saveexec_b64 s[0:1], vcc
	s_cbranch_execz .LBB576_278
; %bb.275:
	s_cmp_eq_u64 s[38:39], 0
	s_waitcnt lgkmcnt(0)
	v_mov_b64_e32 v[4:5], s[42:43]
	s_cbranch_scc1 .LBB576_277
; %bb.276:
	s_mov_b32 s4, 0xcccccccd
	v_mul_hi_u32 v0, v2, s4
	v_mov_b32_e32 v1, 0
	v_mad_u64_u32 v[4:5], s[4:5], v3, s4, v[0:1]
	v_mov_b32_e32 v0, v5
	v_mov_b32_e32 v5, v1
	s_mov_b32 s6, 0xcccccccc
	v_mad_u64_u32 v[4:5], s[4:5], v2, s6, v[4:5]
	v_mov_b32_e32 v4, v5
	v_mov_b32_e32 v5, v1
	v_lshl_add_u64 v[4:5], v[0:1], 0, v[4:5]
	s_mul_i32 s7, s43, 0xcccccccd
	s_mul_hi_u32 s8, s42, 0xcccccccd
	v_mad_u64_u32 v[4:5], s[4:5], v3, s6, v[4:5]
	s_mul_hi_u32 s6, s43, 0xcccccccd
	s_add_u32 s7, s7, s8
	s_mul_i32 s5, s42, 0xcccccccc
	s_addc_u32 s6, s6, 0
	s_mul_hi_u32 s4, s42, 0xcccccccc
	s_add_u32 s5, s5, s7
	s_addc_u32 s4, s4, 0
	s_add_u32 s4, s6, s4
	s_addc_u32 s5, 0, 0
	s_mul_i32 s7, s43, 0xcccccccc
	s_mul_hi_u32 s6, s43, 0xcccccccc
	s_add_u32 s4, s7, s4
	s_addc_u32 s5, s6, s5
	v_alignbit_b32 v0, v5, v4, 3
	s_lshr_b64 s[4:5], s[4:5], 3
	v_mul_lo_u32 v0, v0, 10
	s_mul_i32 s4, s4, 10
	v_sub_u32_e32 v0, v2, v0
	s_sub_i32 s4, s42, s4
	v_add_u32_e32 v0, s4, v0
	v_lshl_add_u64 v[2:3], v[0:1], 0, -10
	v_cmp_gt_u32_e32 vcc, 10, v0
	s_nop 1
	v_cndmask_b32_e64 v5, v3, 0, vcc
	v_cndmask_b32_e32 v4, v2, v0, vcc
.LBB576_277:
	s_or_b64 s[14:15], s[14:15], exec
.LBB576_278:
	s_or_b64 exec, exec, s[0:1]
	v_mov_b64_e32 v[2:3], s[2:3]
	s_and_saveexec_b64 s[0:1], s[14:15]
	s_cbranch_execnz .LBB576_248
	s_branch .LBB576_249
.LBB576_279:
	v_lshlrev_b32_e32 v1, 3, v1
	global_load_dwordx2 v[8:9], v1, s[6:7]
	s_or_b64 exec, exec, s[8:9]
	s_and_saveexec_b64 s[6:7], s[4:5]
	s_cbranch_execz .LBB576_167
.LBB576_280:
	s_mov_b32 s8, 0xcccccccd
	s_waitcnt vmcnt(0)
	v_mul_hi_u32 v10, v4, s8
	v_mov_b32_e32 v11, 0
	v_mad_u64_u32 v[12:13], s[4:5], v5, s8, v[10:11]
	v_mov_b32_e32 v10, v13
	v_mov_b32_e32 v13, v11
	s_mov_b32 s9, 0xcccccccc
	v_mad_u64_u32 v[12:13], s[4:5], v4, s9, v[12:13]
	v_mov_b32_e32 v12, v13
	v_mov_b32_e32 v13, v11
	v_lshl_add_u64 v[12:13], v[10:11], 0, v[12:13]
	v_mad_u64_u32 v[12:13], s[4:5], v5, s9, v[12:13]
	v_alignbit_b32 v1, v13, v12, 3
	v_mul_lo_u32 v1, v1, 10
	v_mul_hi_u32 v10, v2, s8
	v_sub_u32_e32 v1, v4, v1
	v_mad_u64_u32 v[4:5], s[4:5], v3, s8, v[10:11]
	v_mov_b32_e32 v10, v5
	v_mov_b32_e32 v5, v11
	v_mad_u64_u32 v[4:5], s[4:5], v2, s9, v[4:5]
	v_mov_b32_e32 v4, v5
	v_mov_b32_e32 v5, v11
	v_lshl_add_u64 v[4:5], v[10:11], 0, v[4:5]
	v_mad_u64_u32 v[4:5], s[4:5], v3, s9, v[4:5]
	v_alignbit_b32 v3, v5, v4, 3
	v_mul_lo_u32 v3, v3, 10
	v_sub_u32_e32 v2, v2, v3
	v_add_u32_e32 v10, v1, v2
	v_lshl_add_u64 v[2:3], v[10:11], 0, -10
	v_cmp_gt_u32_e64 s[4:5], 10, v10
	s_nop 1
	v_cndmask_b32_e64 v3, v3, 0, s[4:5]
	v_cndmask_b32_e64 v2, v2, v10, s[4:5]
	s_or_b64 exec, exec, s[6:7]
	s_and_saveexec_b64 s[4:5], s[0:1]
	s_cbranch_execz .LBB576_168
.LBB576_281:
	s_mov_b32 s6, 0xcccccccd
	s_waitcnt vmcnt(0)
	v_mul_hi_u32 v4, v6, s6
	v_mov_b32_e32 v5, 0
	v_mad_u64_u32 v[10:11], s[0:1], v7, s6, v[4:5]
	v_mov_b32_e32 v4, v11
	v_mov_b32_e32 v11, v5
	s_mov_b32 s7, 0xcccccccc
	v_mad_u64_u32 v[10:11], s[0:1], v6, s7, v[10:11]
	v_mov_b32_e32 v10, v11
	v_mov_b32_e32 v11, v5
	v_lshl_add_u64 v[10:11], v[4:5], 0, v[10:11]
	v_mad_u64_u32 v[10:11], s[0:1], v7, s7, v[10:11]
	v_alignbit_b32 v1, v11, v10, 3
	v_mul_lo_u32 v1, v1, 10
	v_mul_hi_u32 v4, v2, s6
	v_sub_u32_e32 v1, v6, v1
	v_mad_u64_u32 v[6:7], s[0:1], v3, s6, v[4:5]
	v_mov_b32_e32 v4, v7
	v_mov_b32_e32 v7, v5
	v_mad_u64_u32 v[6:7], s[0:1], v2, s7, v[6:7]
	v_mov_b32_e32 v6, v7
	v_mov_b32_e32 v7, v5
	v_lshl_add_u64 v[6:7], v[4:5], 0, v[6:7]
	v_mad_u64_u32 v[6:7], s[0:1], v3, s7, v[6:7]
	v_alignbit_b32 v3, v7, v6, 3
	v_mul_lo_u32 v3, v3, 10
	v_sub_u32_e32 v2, v2, v3
	v_add_u32_e32 v4, v2, v1
	v_lshl_add_u64 v[2:3], v[4:5], 0, -10
	v_cmp_gt_u32_e64 s[0:1], 10, v4
	s_nop 1
	v_cndmask_b32_e64 v3, v3, 0, s[0:1]
	v_cndmask_b32_e64 v2, v2, v4, s[0:1]
	s_or_b64 exec, exec, s[4:5]
	s_and_saveexec_b64 s[0:1], vcc
	s_cbranch_execnz .LBB576_169
	s_branch .LBB576_170
.LBB576_282:
	v_lshlrev_b32_e32 v1, 3, v1
	global_load_dwordx2 v[32:33], v1, s[34:35]
	s_or_b64 exec, exec, s[44:45]
	s_and_saveexec_b64 s[34:35], s[28:29]
	s_cbranch_execz .LBB576_56
.LBB576_283:
	s_mov_b32 s44, 0xcccccccd
	s_waitcnt vmcnt(0)
	v_mul_hi_u32 v34, v4, s44
	v_mov_b32_e32 v35, 0
	v_mad_u64_u32 v[36:37], s[28:29], v5, s44, v[34:35]
	v_mov_b32_e32 v34, v37
	v_mov_b32_e32 v37, v35
	s_mov_b32 s45, 0xcccccccc
	v_mad_u64_u32 v[36:37], s[28:29], v4, s45, v[36:37]
	v_mov_b32_e32 v36, v37
	v_mov_b32_e32 v37, v35
	v_lshl_add_u64 v[36:37], v[34:35], 0, v[36:37]
	v_mad_u64_u32 v[36:37], s[28:29], v5, s45, v[36:37]
	v_alignbit_b32 v1, v37, v36, 3
	v_mul_lo_u32 v1, v1, 10
	v_mul_hi_u32 v34, v2, s44
	v_sub_u32_e32 v1, v4, v1
	v_mad_u64_u32 v[4:5], s[28:29], v3, s44, v[34:35]
	v_mov_b32_e32 v34, v5
	v_mov_b32_e32 v5, v35
	v_mad_u64_u32 v[4:5], s[28:29], v2, s45, v[4:5]
	v_mov_b32_e32 v4, v5
	v_mov_b32_e32 v5, v35
	v_lshl_add_u64 v[4:5], v[34:35], 0, v[4:5]
	v_mad_u64_u32 v[4:5], s[28:29], v3, s45, v[4:5]
	v_alignbit_b32 v3, v5, v4, 3
	v_mul_lo_u32 v3, v3, 10
	v_sub_u32_e32 v2, v2, v3
	v_add_u32_e32 v34, v1, v2
	v_lshl_add_u64 v[2:3], v[34:35], 0, -10
	v_cmp_gt_u32_e64 s[28:29], 10, v34
	s_nop 1
	v_cndmask_b32_e64 v3, v3, 0, s[28:29]
	v_cndmask_b32_e64 v2, v2, v34, s[28:29]
	s_or_b64 exec, exec, s[34:35]
	s_and_saveexec_b64 s[28:29], s[26:27]
	s_cbranch_execz .LBB576_57
.LBB576_284:
	s_mov_b32 s34, 0xcccccccd
	s_waitcnt vmcnt(0)
	v_mul_hi_u32 v4, v6, s34
	v_mov_b32_e32 v5, 0
	v_mad_u64_u32 v[34:35], s[26:27], v7, s34, v[4:5]
	v_mov_b32_e32 v4, v35
	v_mov_b32_e32 v35, v5
	s_mov_b32 s35, 0xcccccccc
	v_mad_u64_u32 v[34:35], s[26:27], v6, s35, v[34:35]
	v_mov_b32_e32 v34, v35
	v_mov_b32_e32 v35, v5
	v_lshl_add_u64 v[34:35], v[4:5], 0, v[34:35]
	v_mad_u64_u32 v[34:35], s[26:27], v7, s35, v[34:35]
	v_alignbit_b32 v1, v35, v34, 3
	v_mul_lo_u32 v1, v1, 10
	v_mul_hi_u32 v4, v2, s34
	v_sub_u32_e32 v1, v6, v1
	v_mad_u64_u32 v[6:7], s[26:27], v3, s34, v[4:5]
	v_mov_b32_e32 v4, v7
	v_mov_b32_e32 v7, v5
	v_mad_u64_u32 v[6:7], s[26:27], v2, s35, v[6:7]
	v_mov_b32_e32 v6, v7
	v_mov_b32_e32 v7, v5
	v_lshl_add_u64 v[6:7], v[4:5], 0, v[6:7]
	v_mad_u64_u32 v[6:7], s[26:27], v3, s35, v[6:7]
	v_alignbit_b32 v3, v7, v6, 3
	v_mul_lo_u32 v3, v3, 10
	v_sub_u32_e32 v2, v2, v3
	v_add_u32_e32 v4, v2, v1
	v_lshl_add_u64 v[2:3], v[4:5], 0, -10
	v_cmp_gt_u32_e64 s[26:27], 10, v4
	s_nop 1
	v_cndmask_b32_e64 v3, v3, 0, s[26:27]
	v_cndmask_b32_e64 v2, v2, v4, s[26:27]
	s_or_b64 exec, exec, s[28:29]
	s_and_saveexec_b64 s[26:27], s[24:25]
	s_cbranch_execz .LBB576_58
.LBB576_285:
	s_mov_b32 s28, 0xcccccccd
	s_waitcnt vmcnt(0)
	v_mul_hi_u32 v4, v8, s28
	v_mov_b32_e32 v5, 0
	v_mad_u64_u32 v[6:7], s[24:25], v9, s28, v[4:5]
	v_mov_b32_e32 v4, v7
	v_mov_b32_e32 v7, v5
	s_mov_b32 s29, 0xcccccccc
	v_mad_u64_u32 v[6:7], s[24:25], v8, s29, v[6:7]
	v_mov_b32_e32 v6, v7
	v_mov_b32_e32 v7, v5
	v_lshl_add_u64 v[6:7], v[4:5], 0, v[6:7]
	v_mad_u64_u32 v[6:7], s[24:25], v9, s29, v[6:7]
	v_mul_hi_u32 v4, v2, s28
	v_alignbit_b32 v1, v7, v6, 3
	v_mad_u64_u32 v[6:7], s[24:25], v3, s28, v[4:5]
	v_mov_b32_e32 v4, v7
	v_mov_b32_e32 v7, v5
	v_mad_u64_u32 v[6:7], s[24:25], v2, s29, v[6:7]
	v_mov_b32_e32 v6, v7
	v_mov_b32_e32 v7, v5
	v_lshl_add_u64 v[6:7], v[4:5], 0, v[6:7]
	v_mad_u64_u32 v[6:7], s[24:25], v3, s29, v[6:7]
	v_alignbit_b32 v3, v7, v6, 3
	v_mul_lo_u32 v1, v1, 10
	v_mul_lo_u32 v3, v3, 10
	v_sub_u32_e32 v1, v8, v1
	v_sub_u32_e32 v2, v2, v3
	v_add_u32_e32 v4, v2, v1
	v_lshl_add_u64 v[2:3], v[4:5], 0, -10
	v_cmp_gt_u32_e64 s[24:25], 10, v4
	s_nop 1
	v_cndmask_b32_e64 v3, v3, 0, s[24:25]
	v_cndmask_b32_e64 v2, v2, v4, s[24:25]
	s_or_b64 exec, exec, s[26:27]
	s_and_saveexec_b64 s[24:25], s[22:23]
	s_cbranch_execz .LBB576_59
.LBB576_286:
	s_mov_b32 s26, 0xcccccccd
	s_waitcnt vmcnt(0)
	v_mul_hi_u32 v4, v10, s26
	v_mov_b32_e32 v5, 0
	v_mad_u64_u32 v[6:7], s[22:23], v11, s26, v[4:5]
	v_mov_b32_e32 v4, v7
	v_mov_b32_e32 v7, v5
	s_mov_b32 s27, 0xcccccccc
	v_mad_u64_u32 v[6:7], s[22:23], v10, s27, v[6:7]
	v_mov_b32_e32 v6, v7
	v_mov_b32_e32 v7, v5
	v_lshl_add_u64 v[6:7], v[4:5], 0, v[6:7]
	v_mad_u64_u32 v[6:7], s[22:23], v11, s27, v[6:7]
	v_mul_hi_u32 v4, v2, s26
	v_alignbit_b32 v1, v7, v6, 3
	v_mad_u64_u32 v[6:7], s[22:23], v3, s26, v[4:5]
	v_mov_b32_e32 v4, v7
	v_mov_b32_e32 v7, v5
	v_mad_u64_u32 v[6:7], s[22:23], v2, s27, v[6:7]
	v_mov_b32_e32 v6, v7
	v_mov_b32_e32 v7, v5
	v_lshl_add_u64 v[6:7], v[4:5], 0, v[6:7]
	v_mad_u64_u32 v[6:7], s[22:23], v3, s27, v[6:7]
	v_alignbit_b32 v3, v7, v6, 3
	v_mul_lo_u32 v1, v1, 10
	v_mul_lo_u32 v3, v3, 10
	v_sub_u32_e32 v1, v10, v1
	v_sub_u32_e32 v2, v2, v3
	v_add_u32_e32 v4, v2, v1
	v_lshl_add_u64 v[2:3], v[4:5], 0, -10
	v_cmp_gt_u32_e64 s[22:23], 10, v4
	s_nop 1
	v_cndmask_b32_e64 v3, v3, 0, s[22:23]
	v_cndmask_b32_e64 v2, v2, v4, s[22:23]
	s_or_b64 exec, exec, s[24:25]
	s_and_saveexec_b64 s[22:23], s[20:21]
	s_cbranch_execz .LBB576_60
.LBB576_287:
	s_mov_b32 s24, 0xcccccccd
	s_waitcnt vmcnt(0)
	v_mul_hi_u32 v4, v12, s24
	v_mov_b32_e32 v5, 0
	v_mad_u64_u32 v[6:7], s[20:21], v13, s24, v[4:5]
	v_mov_b32_e32 v4, v7
	v_mov_b32_e32 v7, v5
	s_mov_b32 s25, 0xcccccccc
	v_mad_u64_u32 v[6:7], s[20:21], v12, s25, v[6:7]
	v_mov_b32_e32 v6, v7
	v_mov_b32_e32 v7, v5
	v_lshl_add_u64 v[6:7], v[4:5], 0, v[6:7]
	v_mad_u64_u32 v[6:7], s[20:21], v13, s25, v[6:7]
	v_mul_hi_u32 v4, v2, s24
	v_alignbit_b32 v1, v7, v6, 3
	v_mad_u64_u32 v[6:7], s[20:21], v3, s24, v[4:5]
	v_mov_b32_e32 v4, v7
	v_mov_b32_e32 v7, v5
	v_mad_u64_u32 v[6:7], s[20:21], v2, s25, v[6:7]
	v_mov_b32_e32 v6, v7
	v_mov_b32_e32 v7, v5
	v_lshl_add_u64 v[6:7], v[4:5], 0, v[6:7]
	v_mad_u64_u32 v[6:7], s[20:21], v3, s25, v[6:7]
	v_alignbit_b32 v3, v7, v6, 3
	v_mul_lo_u32 v1, v1, 10
	v_mul_lo_u32 v3, v3, 10
	v_sub_u32_e32 v1, v12, v1
	v_sub_u32_e32 v2, v2, v3
	v_add_u32_e32 v4, v2, v1
	v_lshl_add_u64 v[2:3], v[4:5], 0, -10
	v_cmp_gt_u32_e64 s[20:21], 10, v4
	s_nop 1
	v_cndmask_b32_e64 v3, v3, 0, s[20:21]
	v_cndmask_b32_e64 v2, v2, v4, s[20:21]
	s_or_b64 exec, exec, s[22:23]
	s_and_saveexec_b64 s[20:21], s[18:19]
	s_cbranch_execz .LBB576_61
.LBB576_288:
	s_mov_b32 s22, 0xcccccccd
	s_waitcnt vmcnt(0)
	v_mul_hi_u32 v4, v14, s22
	v_mov_b32_e32 v5, 0
	v_mad_u64_u32 v[6:7], s[18:19], v15, s22, v[4:5]
	v_mov_b32_e32 v4, v7
	v_mov_b32_e32 v7, v5
	s_mov_b32 s23, 0xcccccccc
	v_mad_u64_u32 v[6:7], s[18:19], v14, s23, v[6:7]
	v_mov_b32_e32 v6, v7
	v_mov_b32_e32 v7, v5
	v_lshl_add_u64 v[6:7], v[4:5], 0, v[6:7]
	v_mad_u64_u32 v[6:7], s[18:19], v15, s23, v[6:7]
	v_mul_hi_u32 v4, v2, s22
	v_alignbit_b32 v1, v7, v6, 3
	v_mad_u64_u32 v[6:7], s[18:19], v3, s22, v[4:5]
	v_mov_b32_e32 v4, v7
	v_mov_b32_e32 v7, v5
	v_mad_u64_u32 v[6:7], s[18:19], v2, s23, v[6:7]
	v_mov_b32_e32 v6, v7
	v_mov_b32_e32 v7, v5
	v_lshl_add_u64 v[6:7], v[4:5], 0, v[6:7]
	v_mad_u64_u32 v[6:7], s[18:19], v3, s23, v[6:7]
	v_alignbit_b32 v3, v7, v6, 3
	v_mul_lo_u32 v1, v1, 10
	v_mul_lo_u32 v3, v3, 10
	v_sub_u32_e32 v1, v14, v1
	v_sub_u32_e32 v2, v2, v3
	v_add_u32_e32 v4, v2, v1
	v_lshl_add_u64 v[2:3], v[4:5], 0, -10
	v_cmp_gt_u32_e64 s[18:19], 10, v4
	s_nop 1
	v_cndmask_b32_e64 v3, v3, 0, s[18:19]
	v_cndmask_b32_e64 v2, v2, v4, s[18:19]
	s_or_b64 exec, exec, s[20:21]
	s_and_saveexec_b64 s[18:19], s[16:17]
	s_cbranch_execz .LBB576_62
.LBB576_289:
	s_mov_b32 s20, 0xcccccccd
	s_waitcnt vmcnt(0)
	v_mul_hi_u32 v4, v16, s20
	v_mov_b32_e32 v5, 0
	v_mad_u64_u32 v[6:7], s[16:17], v17, s20, v[4:5]
	v_mov_b32_e32 v4, v7
	v_mov_b32_e32 v7, v5
	s_mov_b32 s21, 0xcccccccc
	v_mad_u64_u32 v[6:7], s[16:17], v16, s21, v[6:7]
	v_mov_b32_e32 v6, v7
	v_mov_b32_e32 v7, v5
	v_lshl_add_u64 v[6:7], v[4:5], 0, v[6:7]
	v_mad_u64_u32 v[6:7], s[16:17], v17, s21, v[6:7]
	v_mul_hi_u32 v4, v2, s20
	v_alignbit_b32 v1, v7, v6, 3
	v_mad_u64_u32 v[6:7], s[16:17], v3, s20, v[4:5]
	v_mov_b32_e32 v4, v7
	v_mov_b32_e32 v7, v5
	v_mad_u64_u32 v[6:7], s[16:17], v2, s21, v[6:7]
	v_mov_b32_e32 v6, v7
	v_mov_b32_e32 v7, v5
	v_lshl_add_u64 v[6:7], v[4:5], 0, v[6:7]
	v_mad_u64_u32 v[6:7], s[16:17], v3, s21, v[6:7]
	v_alignbit_b32 v3, v7, v6, 3
	v_mul_lo_u32 v1, v1, 10
	v_mul_lo_u32 v3, v3, 10
	v_sub_u32_e32 v1, v16, v1
	v_sub_u32_e32 v2, v2, v3
	v_add_u32_e32 v4, v2, v1
	v_lshl_add_u64 v[2:3], v[4:5], 0, -10
	v_cmp_gt_u32_e64 s[16:17], 10, v4
	s_nop 1
	v_cndmask_b32_e64 v3, v3, 0, s[16:17]
	v_cndmask_b32_e64 v2, v2, v4, s[16:17]
	s_or_b64 exec, exec, s[18:19]
	s_and_saveexec_b64 s[16:17], s[14:15]
	s_cbranch_execz .LBB576_63
.LBB576_290:
	s_mov_b32 s18, 0xcccccccd
	s_waitcnt vmcnt(0)
	v_mul_hi_u32 v4, v18, s18
	v_mov_b32_e32 v5, 0
	v_mad_u64_u32 v[6:7], s[14:15], v19, s18, v[4:5]
	v_mov_b32_e32 v4, v7
	v_mov_b32_e32 v7, v5
	s_mov_b32 s19, 0xcccccccc
	v_mad_u64_u32 v[6:7], s[14:15], v18, s19, v[6:7]
	v_mov_b32_e32 v6, v7
	v_mov_b32_e32 v7, v5
	v_lshl_add_u64 v[6:7], v[4:5], 0, v[6:7]
	v_mad_u64_u32 v[6:7], s[14:15], v19, s19, v[6:7]
	v_mul_hi_u32 v4, v2, s18
	v_alignbit_b32 v1, v7, v6, 3
	v_mad_u64_u32 v[6:7], s[14:15], v3, s18, v[4:5]
	v_mov_b32_e32 v4, v7
	v_mov_b32_e32 v7, v5
	v_mad_u64_u32 v[6:7], s[14:15], v2, s19, v[6:7]
	v_mov_b32_e32 v6, v7
	v_mov_b32_e32 v7, v5
	v_lshl_add_u64 v[6:7], v[4:5], 0, v[6:7]
	v_mad_u64_u32 v[6:7], s[14:15], v3, s19, v[6:7]
	v_alignbit_b32 v3, v7, v6, 3
	v_mul_lo_u32 v1, v1, 10
	v_mul_lo_u32 v3, v3, 10
	v_sub_u32_e32 v1, v18, v1
	v_sub_u32_e32 v2, v2, v3
	v_add_u32_e32 v4, v2, v1
	v_lshl_add_u64 v[2:3], v[4:5], 0, -10
	v_cmp_gt_u32_e64 s[14:15], 10, v4
	s_nop 1
	v_cndmask_b32_e64 v3, v3, 0, s[14:15]
	v_cndmask_b32_e64 v2, v2, v4, s[14:15]
	s_or_b64 exec, exec, s[16:17]
	s_and_saveexec_b64 s[14:15], s[12:13]
	s_cbranch_execz .LBB576_64
.LBB576_291:
	s_mov_b32 s16, 0xcccccccd
	s_waitcnt vmcnt(0)
	v_mul_hi_u32 v4, v20, s16
	v_mov_b32_e32 v5, 0
	v_mad_u64_u32 v[6:7], s[12:13], v21, s16, v[4:5]
	v_mov_b32_e32 v4, v7
	v_mov_b32_e32 v7, v5
	s_mov_b32 s17, 0xcccccccc
	v_mad_u64_u32 v[6:7], s[12:13], v20, s17, v[6:7]
	v_mov_b32_e32 v6, v7
	v_mov_b32_e32 v7, v5
	v_lshl_add_u64 v[6:7], v[4:5], 0, v[6:7]
	v_mad_u64_u32 v[6:7], s[12:13], v21, s17, v[6:7]
	v_mul_hi_u32 v4, v2, s16
	v_alignbit_b32 v1, v7, v6, 3
	v_mad_u64_u32 v[6:7], s[12:13], v3, s16, v[4:5]
	v_mov_b32_e32 v4, v7
	v_mov_b32_e32 v7, v5
	v_mad_u64_u32 v[6:7], s[12:13], v2, s17, v[6:7]
	v_mov_b32_e32 v6, v7
	v_mov_b32_e32 v7, v5
	v_lshl_add_u64 v[6:7], v[4:5], 0, v[6:7]
	v_mad_u64_u32 v[6:7], s[12:13], v3, s17, v[6:7]
	v_alignbit_b32 v3, v7, v6, 3
	v_mul_lo_u32 v1, v1, 10
	v_mul_lo_u32 v3, v3, 10
	v_sub_u32_e32 v1, v20, v1
	v_sub_u32_e32 v2, v2, v3
	v_add_u32_e32 v4, v2, v1
	v_lshl_add_u64 v[2:3], v[4:5], 0, -10
	v_cmp_gt_u32_e64 s[12:13], 10, v4
	s_nop 1
	v_cndmask_b32_e64 v3, v3, 0, s[12:13]
	v_cndmask_b32_e64 v2, v2, v4, s[12:13]
	s_or_b64 exec, exec, s[14:15]
	s_and_saveexec_b64 s[12:13], s[10:11]
	s_cbranch_execz .LBB576_65
.LBB576_292:
	s_mov_b32 s14, 0xcccccccd
	s_waitcnt vmcnt(0)
	v_mul_hi_u32 v4, v22, s14
	v_mov_b32_e32 v5, 0
	v_mad_u64_u32 v[6:7], s[10:11], v23, s14, v[4:5]
	v_mov_b32_e32 v4, v7
	v_mov_b32_e32 v7, v5
	s_mov_b32 s15, 0xcccccccc
	v_mad_u64_u32 v[6:7], s[10:11], v22, s15, v[6:7]
	v_mov_b32_e32 v6, v7
	v_mov_b32_e32 v7, v5
	v_lshl_add_u64 v[6:7], v[4:5], 0, v[6:7]
	v_mad_u64_u32 v[6:7], s[10:11], v23, s15, v[6:7]
	v_mul_hi_u32 v4, v2, s14
	v_alignbit_b32 v1, v7, v6, 3
	v_mad_u64_u32 v[6:7], s[10:11], v3, s14, v[4:5]
	v_mov_b32_e32 v4, v7
	v_mov_b32_e32 v7, v5
	v_mad_u64_u32 v[6:7], s[10:11], v2, s15, v[6:7]
	v_mov_b32_e32 v6, v7
	v_mov_b32_e32 v7, v5
	v_lshl_add_u64 v[6:7], v[4:5], 0, v[6:7]
	v_mad_u64_u32 v[6:7], s[10:11], v3, s15, v[6:7]
	v_alignbit_b32 v3, v7, v6, 3
	v_mul_lo_u32 v1, v1, 10
	v_mul_lo_u32 v3, v3, 10
	v_sub_u32_e32 v1, v22, v1
	v_sub_u32_e32 v2, v2, v3
	v_add_u32_e32 v4, v2, v1
	v_lshl_add_u64 v[2:3], v[4:5], 0, -10
	v_cmp_gt_u32_e64 s[10:11], 10, v4
	s_nop 1
	v_cndmask_b32_e64 v3, v3, 0, s[10:11]
	v_cndmask_b32_e64 v2, v2, v4, s[10:11]
	s_or_b64 exec, exec, s[12:13]
	s_and_saveexec_b64 s[10:11], s[8:9]
	s_cbranch_execz .LBB576_66
.LBB576_293:
	s_mov_b32 s12, 0xcccccccd
	s_waitcnt vmcnt(0)
	v_mul_hi_u32 v4, v24, s12
	v_mov_b32_e32 v5, 0
	v_mad_u64_u32 v[6:7], s[8:9], v25, s12, v[4:5]
	v_mov_b32_e32 v4, v7
	v_mov_b32_e32 v7, v5
	s_mov_b32 s13, 0xcccccccc
	v_mad_u64_u32 v[6:7], s[8:9], v24, s13, v[6:7]
	v_mov_b32_e32 v6, v7
	v_mov_b32_e32 v7, v5
	v_lshl_add_u64 v[6:7], v[4:5], 0, v[6:7]
	v_mad_u64_u32 v[6:7], s[8:9], v25, s13, v[6:7]
	v_mul_hi_u32 v4, v2, s12
	v_alignbit_b32 v1, v7, v6, 3
	v_mad_u64_u32 v[6:7], s[8:9], v3, s12, v[4:5]
	v_mov_b32_e32 v4, v7
	v_mov_b32_e32 v7, v5
	v_mad_u64_u32 v[6:7], s[8:9], v2, s13, v[6:7]
	v_mov_b32_e32 v6, v7
	v_mov_b32_e32 v7, v5
	v_lshl_add_u64 v[6:7], v[4:5], 0, v[6:7]
	v_mad_u64_u32 v[6:7], s[8:9], v3, s13, v[6:7]
	v_alignbit_b32 v3, v7, v6, 3
	v_mul_lo_u32 v1, v1, 10
	v_mul_lo_u32 v3, v3, 10
	v_sub_u32_e32 v1, v24, v1
	v_sub_u32_e32 v2, v2, v3
	v_add_u32_e32 v4, v2, v1
	v_lshl_add_u64 v[2:3], v[4:5], 0, -10
	v_cmp_gt_u32_e64 s[8:9], 10, v4
	s_nop 1
	v_cndmask_b32_e64 v3, v3, 0, s[8:9]
	v_cndmask_b32_e64 v2, v2, v4, s[8:9]
	s_or_b64 exec, exec, s[10:11]
	s_and_saveexec_b64 s[8:9], s[6:7]
	s_cbranch_execz .LBB576_67
.LBB576_294:
	s_mov_b32 s10, 0xcccccccd
	s_waitcnt vmcnt(0)
	v_mul_hi_u32 v4, v26, s10
	v_mov_b32_e32 v5, 0
	v_mad_u64_u32 v[6:7], s[6:7], v27, s10, v[4:5]
	v_mov_b32_e32 v4, v7
	v_mov_b32_e32 v7, v5
	s_mov_b32 s11, 0xcccccccc
	v_mad_u64_u32 v[6:7], s[6:7], v26, s11, v[6:7]
	v_mov_b32_e32 v6, v7
	v_mov_b32_e32 v7, v5
	v_lshl_add_u64 v[6:7], v[4:5], 0, v[6:7]
	v_mad_u64_u32 v[6:7], s[6:7], v27, s11, v[6:7]
	v_mul_hi_u32 v4, v2, s10
	v_alignbit_b32 v1, v7, v6, 3
	v_mad_u64_u32 v[6:7], s[6:7], v3, s10, v[4:5]
	v_mov_b32_e32 v4, v7
	v_mov_b32_e32 v7, v5
	v_mad_u64_u32 v[6:7], s[6:7], v2, s11, v[6:7]
	v_mov_b32_e32 v6, v7
	v_mov_b32_e32 v7, v5
	v_lshl_add_u64 v[6:7], v[4:5], 0, v[6:7]
	v_mad_u64_u32 v[6:7], s[6:7], v3, s11, v[6:7]
	v_alignbit_b32 v3, v7, v6, 3
	v_mul_lo_u32 v1, v1, 10
	v_mul_lo_u32 v3, v3, 10
	v_sub_u32_e32 v1, v26, v1
	v_sub_u32_e32 v2, v2, v3
	v_add_u32_e32 v4, v2, v1
	v_lshl_add_u64 v[2:3], v[4:5], 0, -10
	v_cmp_gt_u32_e64 s[6:7], 10, v4
	s_nop 1
	v_cndmask_b32_e64 v3, v3, 0, s[6:7]
	v_cndmask_b32_e64 v2, v2, v4, s[6:7]
	s_or_b64 exec, exec, s[8:9]
	s_and_saveexec_b64 s[6:7], s[4:5]
	s_cbranch_execz .LBB576_68
.LBB576_295:
	s_mov_b32 s8, 0xcccccccd
	s_waitcnt vmcnt(0)
	v_mul_hi_u32 v4, v28, s8
	v_mov_b32_e32 v5, 0
	v_mad_u64_u32 v[6:7], s[4:5], v29, s8, v[4:5]
	v_mov_b32_e32 v4, v7
	v_mov_b32_e32 v7, v5
	s_mov_b32 s9, 0xcccccccc
	v_mad_u64_u32 v[6:7], s[4:5], v28, s9, v[6:7]
	v_mov_b32_e32 v6, v7
	v_mov_b32_e32 v7, v5
	v_lshl_add_u64 v[6:7], v[4:5], 0, v[6:7]
	v_mad_u64_u32 v[6:7], s[4:5], v29, s9, v[6:7]
	v_mul_hi_u32 v4, v2, s8
	v_alignbit_b32 v1, v7, v6, 3
	v_mad_u64_u32 v[6:7], s[4:5], v3, s8, v[4:5]
	v_mov_b32_e32 v4, v7
	v_mov_b32_e32 v7, v5
	v_mad_u64_u32 v[6:7], s[4:5], v2, s9, v[6:7]
	v_mov_b32_e32 v6, v7
	v_mov_b32_e32 v7, v5
	v_lshl_add_u64 v[6:7], v[4:5], 0, v[6:7]
	v_mad_u64_u32 v[6:7], s[4:5], v3, s9, v[6:7]
	v_alignbit_b32 v3, v7, v6, 3
	v_mul_lo_u32 v1, v1, 10
	v_mul_lo_u32 v3, v3, 10
	v_sub_u32_e32 v1, v28, v1
	v_sub_u32_e32 v2, v2, v3
	v_add_u32_e32 v4, v2, v1
	v_lshl_add_u64 v[2:3], v[4:5], 0, -10
	v_cmp_gt_u32_e64 s[4:5], 10, v4
	s_nop 1
	v_cndmask_b32_e64 v3, v3, 0, s[4:5]
	v_cndmask_b32_e64 v2, v2, v4, s[4:5]
	s_or_b64 exec, exec, s[6:7]
	s_and_saveexec_b64 s[4:5], s[0:1]
	s_cbranch_execz .LBB576_69
.LBB576_296:
	s_mov_b32 s6, 0xcccccccd
	s_waitcnt vmcnt(0)
	v_mul_hi_u32 v4, v30, s6
	v_mov_b32_e32 v5, 0
	v_mad_u64_u32 v[6:7], s[0:1], v31, s6, v[4:5]
	v_mov_b32_e32 v4, v7
	v_mov_b32_e32 v7, v5
	s_mov_b32 s7, 0xcccccccc
	v_mad_u64_u32 v[6:7], s[0:1], v30, s7, v[6:7]
	v_mov_b32_e32 v6, v7
	v_mov_b32_e32 v7, v5
	v_lshl_add_u64 v[6:7], v[4:5], 0, v[6:7]
	v_mad_u64_u32 v[6:7], s[0:1], v31, s7, v[6:7]
	v_mul_hi_u32 v4, v2, s6
	v_alignbit_b32 v1, v7, v6, 3
	v_mad_u64_u32 v[6:7], s[0:1], v3, s6, v[4:5]
	v_mov_b32_e32 v4, v7
	v_mov_b32_e32 v7, v5
	v_mad_u64_u32 v[6:7], s[0:1], v2, s7, v[6:7]
	v_mov_b32_e32 v6, v7
	v_mov_b32_e32 v7, v5
	v_lshl_add_u64 v[6:7], v[4:5], 0, v[6:7]
	v_mad_u64_u32 v[6:7], s[0:1], v3, s7, v[6:7]
	v_alignbit_b32 v3, v7, v6, 3
	v_mul_lo_u32 v1, v1, 10
	v_mul_lo_u32 v3, v3, 10
	v_sub_u32_e32 v1, v30, v1
	v_sub_u32_e32 v2, v2, v3
	v_add_u32_e32 v4, v2, v1
	v_lshl_add_u64 v[2:3], v[4:5], 0, -10
	v_cmp_gt_u32_e64 s[0:1], 10, v4
	s_nop 1
	v_cndmask_b32_e64 v3, v3, 0, s[0:1]
	v_cndmask_b32_e64 v2, v2, v4, s[0:1]
	s_or_b64 exec, exec, s[4:5]
	s_and_saveexec_b64 s[0:1], vcc
	s_cbranch_execnz .LBB576_70
	s_branch .LBB576_71
.LBB576_297:
	v_lshlrev_b32_e32 v1, 3, v1
	global_load_dwordx2 v[16:17], v1, s[16:17]
	s_or_b64 exec, exec, s[18:19]
	s_and_saveexec_b64 s[16:17], s[12:13]
	s_cbranch_execz .LBB576_116
.LBB576_298:
	s_mov_b32 s18, 0xcccccccd
	s_waitcnt vmcnt(0)
	v_mul_hi_u32 v18, v4, s18
	v_mov_b32_e32 v19, 0
	v_mad_u64_u32 v[20:21], s[12:13], v5, s18, v[18:19]
	v_mov_b32_e32 v18, v21
	v_mov_b32_e32 v21, v19
	s_mov_b32 s19, 0xcccccccc
	v_mad_u64_u32 v[20:21], s[12:13], v4, s19, v[20:21]
	v_mov_b32_e32 v20, v21
	v_mov_b32_e32 v21, v19
	v_lshl_add_u64 v[20:21], v[18:19], 0, v[20:21]
	v_mad_u64_u32 v[20:21], s[12:13], v5, s19, v[20:21]
	v_alignbit_b32 v1, v21, v20, 3
	v_mul_lo_u32 v1, v1, 10
	v_mul_hi_u32 v18, v2, s18
	v_sub_u32_e32 v1, v4, v1
	v_mad_u64_u32 v[4:5], s[12:13], v3, s18, v[18:19]
	v_mov_b32_e32 v18, v5
	v_mov_b32_e32 v5, v19
	v_mad_u64_u32 v[4:5], s[12:13], v2, s19, v[4:5]
	v_mov_b32_e32 v4, v5
	v_mov_b32_e32 v5, v19
	v_lshl_add_u64 v[4:5], v[18:19], 0, v[4:5]
	v_mad_u64_u32 v[4:5], s[12:13], v3, s19, v[4:5]
	v_alignbit_b32 v3, v5, v4, 3
	v_mul_lo_u32 v3, v3, 10
	v_sub_u32_e32 v2, v2, v3
	v_add_u32_e32 v18, v1, v2
	v_lshl_add_u64 v[2:3], v[18:19], 0, -10
	v_cmp_gt_u32_e64 s[12:13], 10, v18
	s_nop 1
	v_cndmask_b32_e64 v3, v3, 0, s[12:13]
	v_cndmask_b32_e64 v2, v2, v18, s[12:13]
	s_or_b64 exec, exec, s[16:17]
	s_and_saveexec_b64 s[12:13], s[10:11]
	s_cbranch_execz .LBB576_117
.LBB576_299:
	s_mov_b32 s16, 0xcccccccd
	s_waitcnt vmcnt(0)
	v_mul_hi_u32 v4, v6, s16
	v_mov_b32_e32 v5, 0
	v_mad_u64_u32 v[18:19], s[10:11], v7, s16, v[4:5]
	v_mov_b32_e32 v4, v19
	v_mov_b32_e32 v19, v5
	s_mov_b32 s17, 0xcccccccc
	v_mad_u64_u32 v[18:19], s[10:11], v6, s17, v[18:19]
	v_mov_b32_e32 v18, v19
	v_mov_b32_e32 v19, v5
	v_lshl_add_u64 v[18:19], v[4:5], 0, v[18:19]
	v_mad_u64_u32 v[18:19], s[10:11], v7, s17, v[18:19]
	v_alignbit_b32 v1, v19, v18, 3
	v_mul_lo_u32 v1, v1, 10
	v_mul_hi_u32 v4, v2, s16
	v_sub_u32_e32 v1, v6, v1
	v_mad_u64_u32 v[6:7], s[10:11], v3, s16, v[4:5]
	v_mov_b32_e32 v4, v7
	v_mov_b32_e32 v7, v5
	v_mad_u64_u32 v[6:7], s[10:11], v2, s17, v[6:7]
	v_mov_b32_e32 v6, v7
	v_mov_b32_e32 v7, v5
	v_lshl_add_u64 v[6:7], v[4:5], 0, v[6:7]
	v_mad_u64_u32 v[6:7], s[10:11], v3, s17, v[6:7]
	v_alignbit_b32 v3, v7, v6, 3
	v_mul_lo_u32 v3, v3, 10
	v_sub_u32_e32 v2, v2, v3
	v_add_u32_e32 v4, v2, v1
	v_lshl_add_u64 v[2:3], v[4:5], 0, -10
	v_cmp_gt_u32_e64 s[10:11], 10, v4
	s_nop 1
	v_cndmask_b32_e64 v3, v3, 0, s[10:11]
	v_cndmask_b32_e64 v2, v2, v4, s[10:11]
	s_or_b64 exec, exec, s[12:13]
	s_and_saveexec_b64 s[10:11], s[8:9]
	s_cbranch_execz .LBB576_118
.LBB576_300:
	s_mov_b32 s12, 0xcccccccd
	s_waitcnt vmcnt(0)
	v_mul_hi_u32 v4, v8, s12
	v_mov_b32_e32 v5, 0
	v_mad_u64_u32 v[6:7], s[8:9], v9, s12, v[4:5]
	v_mov_b32_e32 v4, v7
	v_mov_b32_e32 v7, v5
	s_mov_b32 s13, 0xcccccccc
	v_mad_u64_u32 v[6:7], s[8:9], v8, s13, v[6:7]
	v_mov_b32_e32 v6, v7
	v_mov_b32_e32 v7, v5
	v_lshl_add_u64 v[6:7], v[4:5], 0, v[6:7]
	v_mad_u64_u32 v[6:7], s[8:9], v9, s13, v[6:7]
	v_mul_hi_u32 v4, v2, s12
	v_alignbit_b32 v1, v7, v6, 3
	v_mad_u64_u32 v[6:7], s[8:9], v3, s12, v[4:5]
	v_mov_b32_e32 v4, v7
	v_mov_b32_e32 v7, v5
	v_mad_u64_u32 v[6:7], s[8:9], v2, s13, v[6:7]
	v_mov_b32_e32 v6, v7
	v_mov_b32_e32 v7, v5
	v_lshl_add_u64 v[6:7], v[4:5], 0, v[6:7]
	v_mad_u64_u32 v[6:7], s[8:9], v3, s13, v[6:7]
	v_alignbit_b32 v3, v7, v6, 3
	v_mul_lo_u32 v1, v1, 10
	v_mul_lo_u32 v3, v3, 10
	v_sub_u32_e32 v1, v8, v1
	v_sub_u32_e32 v2, v2, v3
	v_add_u32_e32 v4, v2, v1
	v_lshl_add_u64 v[2:3], v[4:5], 0, -10
	v_cmp_gt_u32_e64 s[8:9], 10, v4
	s_nop 1
	v_cndmask_b32_e64 v3, v3, 0, s[8:9]
	v_cndmask_b32_e64 v2, v2, v4, s[8:9]
	s_or_b64 exec, exec, s[10:11]
	s_and_saveexec_b64 s[8:9], s[6:7]
	s_cbranch_execz .LBB576_119
.LBB576_301:
	s_mov_b32 s10, 0xcccccccd
	s_waitcnt vmcnt(0)
	v_mul_hi_u32 v4, v10, s10
	v_mov_b32_e32 v5, 0
	v_mad_u64_u32 v[6:7], s[6:7], v11, s10, v[4:5]
	v_mov_b32_e32 v4, v7
	v_mov_b32_e32 v7, v5
	s_mov_b32 s11, 0xcccccccc
	v_mad_u64_u32 v[6:7], s[6:7], v10, s11, v[6:7]
	v_mov_b32_e32 v6, v7
	v_mov_b32_e32 v7, v5
	v_lshl_add_u64 v[6:7], v[4:5], 0, v[6:7]
	v_mad_u64_u32 v[6:7], s[6:7], v11, s11, v[6:7]
	v_mul_hi_u32 v4, v2, s10
	v_alignbit_b32 v1, v7, v6, 3
	v_mad_u64_u32 v[6:7], s[6:7], v3, s10, v[4:5]
	v_mov_b32_e32 v4, v7
	v_mov_b32_e32 v7, v5
	v_mad_u64_u32 v[6:7], s[6:7], v2, s11, v[6:7]
	v_mov_b32_e32 v6, v7
	v_mov_b32_e32 v7, v5
	v_lshl_add_u64 v[6:7], v[4:5], 0, v[6:7]
	v_mad_u64_u32 v[6:7], s[6:7], v3, s11, v[6:7]
	v_alignbit_b32 v3, v7, v6, 3
	v_mul_lo_u32 v1, v1, 10
	v_mul_lo_u32 v3, v3, 10
	v_sub_u32_e32 v1, v10, v1
	v_sub_u32_e32 v2, v2, v3
	v_add_u32_e32 v4, v2, v1
	v_lshl_add_u64 v[2:3], v[4:5], 0, -10
	v_cmp_gt_u32_e64 s[6:7], 10, v4
	s_nop 1
	v_cndmask_b32_e64 v3, v3, 0, s[6:7]
	v_cndmask_b32_e64 v2, v2, v4, s[6:7]
	s_or_b64 exec, exec, s[8:9]
	s_and_saveexec_b64 s[6:7], s[4:5]
	s_cbranch_execz .LBB576_120
.LBB576_302:
	s_mov_b32 s8, 0xcccccccd
	s_waitcnt vmcnt(0)
	v_mul_hi_u32 v4, v12, s8
	v_mov_b32_e32 v5, 0
	v_mad_u64_u32 v[6:7], s[4:5], v13, s8, v[4:5]
	v_mov_b32_e32 v4, v7
	v_mov_b32_e32 v7, v5
	s_mov_b32 s9, 0xcccccccc
	v_mad_u64_u32 v[6:7], s[4:5], v12, s9, v[6:7]
	v_mov_b32_e32 v6, v7
	v_mov_b32_e32 v7, v5
	v_lshl_add_u64 v[6:7], v[4:5], 0, v[6:7]
	v_mad_u64_u32 v[6:7], s[4:5], v13, s9, v[6:7]
	v_mul_hi_u32 v4, v2, s8
	v_alignbit_b32 v1, v7, v6, 3
	v_mad_u64_u32 v[6:7], s[4:5], v3, s8, v[4:5]
	v_mov_b32_e32 v4, v7
	v_mov_b32_e32 v7, v5
	v_mad_u64_u32 v[6:7], s[4:5], v2, s9, v[6:7]
	v_mov_b32_e32 v6, v7
	v_mov_b32_e32 v7, v5
	v_lshl_add_u64 v[6:7], v[4:5], 0, v[6:7]
	v_mad_u64_u32 v[6:7], s[4:5], v3, s9, v[6:7]
	v_alignbit_b32 v3, v7, v6, 3
	v_mul_lo_u32 v1, v1, 10
	v_mul_lo_u32 v3, v3, 10
	v_sub_u32_e32 v1, v12, v1
	v_sub_u32_e32 v2, v2, v3
	v_add_u32_e32 v4, v2, v1
	v_lshl_add_u64 v[2:3], v[4:5], 0, -10
	v_cmp_gt_u32_e64 s[4:5], 10, v4
	s_nop 1
	v_cndmask_b32_e64 v3, v3, 0, s[4:5]
	v_cndmask_b32_e64 v2, v2, v4, s[4:5]
	s_or_b64 exec, exec, s[6:7]
	s_and_saveexec_b64 s[4:5], s[0:1]
	s_cbranch_execz .LBB576_121
.LBB576_303:
	s_mov_b32 s6, 0xcccccccd
	s_waitcnt vmcnt(0)
	v_mul_hi_u32 v4, v14, s6
	v_mov_b32_e32 v5, 0
	v_mad_u64_u32 v[6:7], s[0:1], v15, s6, v[4:5]
	v_mov_b32_e32 v4, v7
	v_mov_b32_e32 v7, v5
	s_mov_b32 s7, 0xcccccccc
	v_mad_u64_u32 v[6:7], s[0:1], v14, s7, v[6:7]
	v_mov_b32_e32 v6, v7
	v_mov_b32_e32 v7, v5
	v_lshl_add_u64 v[6:7], v[4:5], 0, v[6:7]
	v_mad_u64_u32 v[6:7], s[0:1], v15, s7, v[6:7]
	v_mul_hi_u32 v4, v2, s6
	v_alignbit_b32 v1, v7, v6, 3
	v_mad_u64_u32 v[6:7], s[0:1], v3, s6, v[4:5]
	v_mov_b32_e32 v4, v7
	v_mov_b32_e32 v7, v5
	v_mad_u64_u32 v[6:7], s[0:1], v2, s7, v[6:7]
	v_mov_b32_e32 v6, v7
	v_mov_b32_e32 v7, v5
	v_lshl_add_u64 v[6:7], v[4:5], 0, v[6:7]
	v_mad_u64_u32 v[6:7], s[0:1], v3, s7, v[6:7]
	v_alignbit_b32 v3, v7, v6, 3
	v_mul_lo_u32 v1, v1, 10
	v_mul_lo_u32 v3, v3, 10
	v_sub_u32_e32 v1, v14, v1
	v_sub_u32_e32 v2, v2, v3
	v_add_u32_e32 v4, v2, v1
	v_lshl_add_u64 v[2:3], v[4:5], 0, -10
	v_cmp_gt_u32_e64 s[0:1], 10, v4
	s_nop 1
	v_cndmask_b32_e64 v3, v3, 0, s[0:1]
	v_cndmask_b32_e64 v2, v2, v4, s[0:1]
	s_or_b64 exec, exec, s[4:5]
	s_and_saveexec_b64 s[0:1], vcc
	s_cbranch_execnz .LBB576_122
	s_branch .LBB576_123
	.section	.rodata,"a",@progbits
	.p2align	6, 0x0
	.amdhsa_kernel _ZN7rocprim17ROCPRIM_400000_NS6detail17trampoline_kernelINS0_14default_configENS1_22reduce_config_selectorImEEZNS1_11reduce_implILb1ES3_N6thrust23THRUST_200600_302600_NS6detail15normal_iteratorINS8_10device_ptrImEEEEPmm11plus_mod_10ImEEE10hipError_tPvRmT1_T2_T3_mT4_P12ihipStream_tbEUlT_E1_NS1_11comp_targetILNS1_3genE0ELNS1_11target_archE4294967295ELNS1_3gpuE0ELNS1_3repE0EEENS1_30default_config_static_selectorELNS0_4arch9wavefront6targetE1EEEvSK_
		.amdhsa_group_segment_fixed_size 192
		.amdhsa_private_segment_fixed_size 0
		.amdhsa_kernarg_size 48
		.amdhsa_user_sgpr_count 2
		.amdhsa_user_sgpr_dispatch_ptr 0
		.amdhsa_user_sgpr_queue_ptr 0
		.amdhsa_user_sgpr_kernarg_segment_ptr 1
		.amdhsa_user_sgpr_dispatch_id 0
		.amdhsa_user_sgpr_kernarg_preload_length 0
		.amdhsa_user_sgpr_kernarg_preload_offset 0
		.amdhsa_user_sgpr_private_segment_size 0
		.amdhsa_uses_dynamic_stack 0
		.amdhsa_enable_private_segment 0
		.amdhsa_system_sgpr_workgroup_id_x 1
		.amdhsa_system_sgpr_workgroup_id_y 0
		.amdhsa_system_sgpr_workgroup_id_z 0
		.amdhsa_system_sgpr_workgroup_info 0
		.amdhsa_system_vgpr_workitem_id 0
		.amdhsa_next_free_vgpr 46
		.amdhsa_next_free_sgpr 47
		.amdhsa_accum_offset 48
		.amdhsa_reserve_vcc 1
		.amdhsa_float_round_mode_32 0
		.amdhsa_float_round_mode_16_64 0
		.amdhsa_float_denorm_mode_32 3
		.amdhsa_float_denorm_mode_16_64 3
		.amdhsa_dx10_clamp 1
		.amdhsa_ieee_mode 1
		.amdhsa_fp16_overflow 0
		.amdhsa_tg_split 0
		.amdhsa_exception_fp_ieee_invalid_op 0
		.amdhsa_exception_fp_denorm_src 0
		.amdhsa_exception_fp_ieee_div_zero 0
		.amdhsa_exception_fp_ieee_overflow 0
		.amdhsa_exception_fp_ieee_underflow 0
		.amdhsa_exception_fp_ieee_inexact 0
		.amdhsa_exception_int_div_zero 0
	.end_amdhsa_kernel
	.section	.text._ZN7rocprim17ROCPRIM_400000_NS6detail17trampoline_kernelINS0_14default_configENS1_22reduce_config_selectorImEEZNS1_11reduce_implILb1ES3_N6thrust23THRUST_200600_302600_NS6detail15normal_iteratorINS8_10device_ptrImEEEEPmm11plus_mod_10ImEEE10hipError_tPvRmT1_T2_T3_mT4_P12ihipStream_tbEUlT_E1_NS1_11comp_targetILNS1_3genE0ELNS1_11target_archE4294967295ELNS1_3gpuE0ELNS1_3repE0EEENS1_30default_config_static_selectorELNS0_4arch9wavefront6targetE1EEEvSK_,"axG",@progbits,_ZN7rocprim17ROCPRIM_400000_NS6detail17trampoline_kernelINS0_14default_configENS1_22reduce_config_selectorImEEZNS1_11reduce_implILb1ES3_N6thrust23THRUST_200600_302600_NS6detail15normal_iteratorINS8_10device_ptrImEEEEPmm11plus_mod_10ImEEE10hipError_tPvRmT1_T2_T3_mT4_P12ihipStream_tbEUlT_E1_NS1_11comp_targetILNS1_3genE0ELNS1_11target_archE4294967295ELNS1_3gpuE0ELNS1_3repE0EEENS1_30default_config_static_selectorELNS0_4arch9wavefront6targetE1EEEvSK_,comdat
.Lfunc_end576:
	.size	_ZN7rocprim17ROCPRIM_400000_NS6detail17trampoline_kernelINS0_14default_configENS1_22reduce_config_selectorImEEZNS1_11reduce_implILb1ES3_N6thrust23THRUST_200600_302600_NS6detail15normal_iteratorINS8_10device_ptrImEEEEPmm11plus_mod_10ImEEE10hipError_tPvRmT1_T2_T3_mT4_P12ihipStream_tbEUlT_E1_NS1_11comp_targetILNS1_3genE0ELNS1_11target_archE4294967295ELNS1_3gpuE0ELNS1_3repE0EEENS1_30default_config_static_selectorELNS0_4arch9wavefront6targetE1EEEvSK_, .Lfunc_end576-_ZN7rocprim17ROCPRIM_400000_NS6detail17trampoline_kernelINS0_14default_configENS1_22reduce_config_selectorImEEZNS1_11reduce_implILb1ES3_N6thrust23THRUST_200600_302600_NS6detail15normal_iteratorINS8_10device_ptrImEEEEPmm11plus_mod_10ImEEE10hipError_tPvRmT1_T2_T3_mT4_P12ihipStream_tbEUlT_E1_NS1_11comp_targetILNS1_3genE0ELNS1_11target_archE4294967295ELNS1_3gpuE0ELNS1_3repE0EEENS1_30default_config_static_selectorELNS0_4arch9wavefront6targetE1EEEvSK_
                                        ; -- End function
	.set _ZN7rocprim17ROCPRIM_400000_NS6detail17trampoline_kernelINS0_14default_configENS1_22reduce_config_selectorImEEZNS1_11reduce_implILb1ES3_N6thrust23THRUST_200600_302600_NS6detail15normal_iteratorINS8_10device_ptrImEEEEPmm11plus_mod_10ImEEE10hipError_tPvRmT1_T2_T3_mT4_P12ihipStream_tbEUlT_E1_NS1_11comp_targetILNS1_3genE0ELNS1_11target_archE4294967295ELNS1_3gpuE0ELNS1_3repE0EEENS1_30default_config_static_selectorELNS0_4arch9wavefront6targetE1EEEvSK_.num_vgpr, 46
	.set _ZN7rocprim17ROCPRIM_400000_NS6detail17trampoline_kernelINS0_14default_configENS1_22reduce_config_selectorImEEZNS1_11reduce_implILb1ES3_N6thrust23THRUST_200600_302600_NS6detail15normal_iteratorINS8_10device_ptrImEEEEPmm11plus_mod_10ImEEE10hipError_tPvRmT1_T2_T3_mT4_P12ihipStream_tbEUlT_E1_NS1_11comp_targetILNS1_3genE0ELNS1_11target_archE4294967295ELNS1_3gpuE0ELNS1_3repE0EEENS1_30default_config_static_selectorELNS0_4arch9wavefront6targetE1EEEvSK_.num_agpr, 0
	.set _ZN7rocprim17ROCPRIM_400000_NS6detail17trampoline_kernelINS0_14default_configENS1_22reduce_config_selectorImEEZNS1_11reduce_implILb1ES3_N6thrust23THRUST_200600_302600_NS6detail15normal_iteratorINS8_10device_ptrImEEEEPmm11plus_mod_10ImEEE10hipError_tPvRmT1_T2_T3_mT4_P12ihipStream_tbEUlT_E1_NS1_11comp_targetILNS1_3genE0ELNS1_11target_archE4294967295ELNS1_3gpuE0ELNS1_3repE0EEENS1_30default_config_static_selectorELNS0_4arch9wavefront6targetE1EEEvSK_.numbered_sgpr, 47
	.set _ZN7rocprim17ROCPRIM_400000_NS6detail17trampoline_kernelINS0_14default_configENS1_22reduce_config_selectorImEEZNS1_11reduce_implILb1ES3_N6thrust23THRUST_200600_302600_NS6detail15normal_iteratorINS8_10device_ptrImEEEEPmm11plus_mod_10ImEEE10hipError_tPvRmT1_T2_T3_mT4_P12ihipStream_tbEUlT_E1_NS1_11comp_targetILNS1_3genE0ELNS1_11target_archE4294967295ELNS1_3gpuE0ELNS1_3repE0EEENS1_30default_config_static_selectorELNS0_4arch9wavefront6targetE1EEEvSK_.num_named_barrier, 0
	.set _ZN7rocprim17ROCPRIM_400000_NS6detail17trampoline_kernelINS0_14default_configENS1_22reduce_config_selectorImEEZNS1_11reduce_implILb1ES3_N6thrust23THRUST_200600_302600_NS6detail15normal_iteratorINS8_10device_ptrImEEEEPmm11plus_mod_10ImEEE10hipError_tPvRmT1_T2_T3_mT4_P12ihipStream_tbEUlT_E1_NS1_11comp_targetILNS1_3genE0ELNS1_11target_archE4294967295ELNS1_3gpuE0ELNS1_3repE0EEENS1_30default_config_static_selectorELNS0_4arch9wavefront6targetE1EEEvSK_.private_seg_size, 0
	.set _ZN7rocprim17ROCPRIM_400000_NS6detail17trampoline_kernelINS0_14default_configENS1_22reduce_config_selectorImEEZNS1_11reduce_implILb1ES3_N6thrust23THRUST_200600_302600_NS6detail15normal_iteratorINS8_10device_ptrImEEEEPmm11plus_mod_10ImEEE10hipError_tPvRmT1_T2_T3_mT4_P12ihipStream_tbEUlT_E1_NS1_11comp_targetILNS1_3genE0ELNS1_11target_archE4294967295ELNS1_3gpuE0ELNS1_3repE0EEENS1_30default_config_static_selectorELNS0_4arch9wavefront6targetE1EEEvSK_.uses_vcc, 1
	.set _ZN7rocprim17ROCPRIM_400000_NS6detail17trampoline_kernelINS0_14default_configENS1_22reduce_config_selectorImEEZNS1_11reduce_implILb1ES3_N6thrust23THRUST_200600_302600_NS6detail15normal_iteratorINS8_10device_ptrImEEEEPmm11plus_mod_10ImEEE10hipError_tPvRmT1_T2_T3_mT4_P12ihipStream_tbEUlT_E1_NS1_11comp_targetILNS1_3genE0ELNS1_11target_archE4294967295ELNS1_3gpuE0ELNS1_3repE0EEENS1_30default_config_static_selectorELNS0_4arch9wavefront6targetE1EEEvSK_.uses_flat_scratch, 0
	.set _ZN7rocprim17ROCPRIM_400000_NS6detail17trampoline_kernelINS0_14default_configENS1_22reduce_config_selectorImEEZNS1_11reduce_implILb1ES3_N6thrust23THRUST_200600_302600_NS6detail15normal_iteratorINS8_10device_ptrImEEEEPmm11plus_mod_10ImEEE10hipError_tPvRmT1_T2_T3_mT4_P12ihipStream_tbEUlT_E1_NS1_11comp_targetILNS1_3genE0ELNS1_11target_archE4294967295ELNS1_3gpuE0ELNS1_3repE0EEENS1_30default_config_static_selectorELNS0_4arch9wavefront6targetE1EEEvSK_.has_dyn_sized_stack, 0
	.set _ZN7rocprim17ROCPRIM_400000_NS6detail17trampoline_kernelINS0_14default_configENS1_22reduce_config_selectorImEEZNS1_11reduce_implILb1ES3_N6thrust23THRUST_200600_302600_NS6detail15normal_iteratorINS8_10device_ptrImEEEEPmm11plus_mod_10ImEEE10hipError_tPvRmT1_T2_T3_mT4_P12ihipStream_tbEUlT_E1_NS1_11comp_targetILNS1_3genE0ELNS1_11target_archE4294967295ELNS1_3gpuE0ELNS1_3repE0EEENS1_30default_config_static_selectorELNS0_4arch9wavefront6targetE1EEEvSK_.has_recursion, 0
	.set _ZN7rocprim17ROCPRIM_400000_NS6detail17trampoline_kernelINS0_14default_configENS1_22reduce_config_selectorImEEZNS1_11reduce_implILb1ES3_N6thrust23THRUST_200600_302600_NS6detail15normal_iteratorINS8_10device_ptrImEEEEPmm11plus_mod_10ImEEE10hipError_tPvRmT1_T2_T3_mT4_P12ihipStream_tbEUlT_E1_NS1_11comp_targetILNS1_3genE0ELNS1_11target_archE4294967295ELNS1_3gpuE0ELNS1_3repE0EEENS1_30default_config_static_selectorELNS0_4arch9wavefront6targetE1EEEvSK_.has_indirect_call, 0
	.section	.AMDGPU.csdata,"",@progbits
; Kernel info:
; codeLenInByte = 35588
; TotalNumSgprs: 53
; NumVgprs: 46
; NumAgprs: 0
; TotalNumVgprs: 46
; ScratchSize: 0
; MemoryBound: 0
; FloatMode: 240
; IeeeMode: 1
; LDSByteSize: 192 bytes/workgroup (compile time only)
; SGPRBlocks: 6
; VGPRBlocks: 5
; NumSGPRsForWavesPerEU: 53
; NumVGPRsForWavesPerEU: 46
; AccumOffset: 48
; Occupancy: 8
; WaveLimiterHint : 1
; COMPUTE_PGM_RSRC2:SCRATCH_EN: 0
; COMPUTE_PGM_RSRC2:USER_SGPR: 2
; COMPUTE_PGM_RSRC2:TRAP_HANDLER: 0
; COMPUTE_PGM_RSRC2:TGID_X_EN: 1
; COMPUTE_PGM_RSRC2:TGID_Y_EN: 0
; COMPUTE_PGM_RSRC2:TGID_Z_EN: 0
; COMPUTE_PGM_RSRC2:TIDIG_COMP_CNT: 0
; COMPUTE_PGM_RSRC3_GFX90A:ACCUM_OFFSET: 11
; COMPUTE_PGM_RSRC3_GFX90A:TG_SPLIT: 0
	.section	.text._ZN7rocprim17ROCPRIM_400000_NS6detail17trampoline_kernelINS0_14default_configENS1_22reduce_config_selectorImEEZNS1_11reduce_implILb1ES3_N6thrust23THRUST_200600_302600_NS6detail15normal_iteratorINS8_10device_ptrImEEEEPmm11plus_mod_10ImEEE10hipError_tPvRmT1_T2_T3_mT4_P12ihipStream_tbEUlT_E1_NS1_11comp_targetILNS1_3genE5ELNS1_11target_archE942ELNS1_3gpuE9ELNS1_3repE0EEENS1_30default_config_static_selectorELNS0_4arch9wavefront6targetE1EEEvSK_,"axG",@progbits,_ZN7rocprim17ROCPRIM_400000_NS6detail17trampoline_kernelINS0_14default_configENS1_22reduce_config_selectorImEEZNS1_11reduce_implILb1ES3_N6thrust23THRUST_200600_302600_NS6detail15normal_iteratorINS8_10device_ptrImEEEEPmm11plus_mod_10ImEEE10hipError_tPvRmT1_T2_T3_mT4_P12ihipStream_tbEUlT_E1_NS1_11comp_targetILNS1_3genE5ELNS1_11target_archE942ELNS1_3gpuE9ELNS1_3repE0EEENS1_30default_config_static_selectorELNS0_4arch9wavefront6targetE1EEEvSK_,comdat
	.protected	_ZN7rocprim17ROCPRIM_400000_NS6detail17trampoline_kernelINS0_14default_configENS1_22reduce_config_selectorImEEZNS1_11reduce_implILb1ES3_N6thrust23THRUST_200600_302600_NS6detail15normal_iteratorINS8_10device_ptrImEEEEPmm11plus_mod_10ImEEE10hipError_tPvRmT1_T2_T3_mT4_P12ihipStream_tbEUlT_E1_NS1_11comp_targetILNS1_3genE5ELNS1_11target_archE942ELNS1_3gpuE9ELNS1_3repE0EEENS1_30default_config_static_selectorELNS0_4arch9wavefront6targetE1EEEvSK_ ; -- Begin function _ZN7rocprim17ROCPRIM_400000_NS6detail17trampoline_kernelINS0_14default_configENS1_22reduce_config_selectorImEEZNS1_11reduce_implILb1ES3_N6thrust23THRUST_200600_302600_NS6detail15normal_iteratorINS8_10device_ptrImEEEEPmm11plus_mod_10ImEEE10hipError_tPvRmT1_T2_T3_mT4_P12ihipStream_tbEUlT_E1_NS1_11comp_targetILNS1_3genE5ELNS1_11target_archE942ELNS1_3gpuE9ELNS1_3repE0EEENS1_30default_config_static_selectorELNS0_4arch9wavefront6targetE1EEEvSK_
	.globl	_ZN7rocprim17ROCPRIM_400000_NS6detail17trampoline_kernelINS0_14default_configENS1_22reduce_config_selectorImEEZNS1_11reduce_implILb1ES3_N6thrust23THRUST_200600_302600_NS6detail15normal_iteratorINS8_10device_ptrImEEEEPmm11plus_mod_10ImEEE10hipError_tPvRmT1_T2_T3_mT4_P12ihipStream_tbEUlT_E1_NS1_11comp_targetILNS1_3genE5ELNS1_11target_archE942ELNS1_3gpuE9ELNS1_3repE0EEENS1_30default_config_static_selectorELNS0_4arch9wavefront6targetE1EEEvSK_
	.p2align	8
	.type	_ZN7rocprim17ROCPRIM_400000_NS6detail17trampoline_kernelINS0_14default_configENS1_22reduce_config_selectorImEEZNS1_11reduce_implILb1ES3_N6thrust23THRUST_200600_302600_NS6detail15normal_iteratorINS8_10device_ptrImEEEEPmm11plus_mod_10ImEEE10hipError_tPvRmT1_T2_T3_mT4_P12ihipStream_tbEUlT_E1_NS1_11comp_targetILNS1_3genE5ELNS1_11target_archE942ELNS1_3gpuE9ELNS1_3repE0EEENS1_30default_config_static_selectorELNS0_4arch9wavefront6targetE1EEEvSK_,@function
_ZN7rocprim17ROCPRIM_400000_NS6detail17trampoline_kernelINS0_14default_configENS1_22reduce_config_selectorImEEZNS1_11reduce_implILb1ES3_N6thrust23THRUST_200600_302600_NS6detail15normal_iteratorINS8_10device_ptrImEEEEPmm11plus_mod_10ImEEE10hipError_tPvRmT1_T2_T3_mT4_P12ihipStream_tbEUlT_E1_NS1_11comp_targetILNS1_3genE5ELNS1_11target_archE942ELNS1_3gpuE9ELNS1_3repE0EEENS1_30default_config_static_selectorELNS0_4arch9wavefront6targetE1EEEvSK_: ; @_ZN7rocprim17ROCPRIM_400000_NS6detail17trampoline_kernelINS0_14default_configENS1_22reduce_config_selectorImEEZNS1_11reduce_implILb1ES3_N6thrust23THRUST_200600_302600_NS6detail15normal_iteratorINS8_10device_ptrImEEEEPmm11plus_mod_10ImEEE10hipError_tPvRmT1_T2_T3_mT4_P12ihipStream_tbEUlT_E1_NS1_11comp_targetILNS1_3genE5ELNS1_11target_archE942ELNS1_3gpuE9ELNS1_3repE0EEENS1_30default_config_static_selectorELNS0_4arch9wavefront6targetE1EEEvSK_
; %bb.0:
	.section	.rodata,"a",@progbits
	.p2align	6, 0x0
	.amdhsa_kernel _ZN7rocprim17ROCPRIM_400000_NS6detail17trampoline_kernelINS0_14default_configENS1_22reduce_config_selectorImEEZNS1_11reduce_implILb1ES3_N6thrust23THRUST_200600_302600_NS6detail15normal_iteratorINS8_10device_ptrImEEEEPmm11plus_mod_10ImEEE10hipError_tPvRmT1_T2_T3_mT4_P12ihipStream_tbEUlT_E1_NS1_11comp_targetILNS1_3genE5ELNS1_11target_archE942ELNS1_3gpuE9ELNS1_3repE0EEENS1_30default_config_static_selectorELNS0_4arch9wavefront6targetE1EEEvSK_
		.amdhsa_group_segment_fixed_size 0
		.amdhsa_private_segment_fixed_size 0
		.amdhsa_kernarg_size 48
		.amdhsa_user_sgpr_count 2
		.amdhsa_user_sgpr_dispatch_ptr 0
		.amdhsa_user_sgpr_queue_ptr 0
		.amdhsa_user_sgpr_kernarg_segment_ptr 1
		.amdhsa_user_sgpr_dispatch_id 0
		.amdhsa_user_sgpr_kernarg_preload_length 0
		.amdhsa_user_sgpr_kernarg_preload_offset 0
		.amdhsa_user_sgpr_private_segment_size 0
		.amdhsa_uses_dynamic_stack 0
		.amdhsa_enable_private_segment 0
		.amdhsa_system_sgpr_workgroup_id_x 1
		.amdhsa_system_sgpr_workgroup_id_y 0
		.amdhsa_system_sgpr_workgroup_id_z 0
		.amdhsa_system_sgpr_workgroup_info 0
		.amdhsa_system_vgpr_workitem_id 0
		.amdhsa_next_free_vgpr 1
		.amdhsa_next_free_sgpr 0
		.amdhsa_accum_offset 4
		.amdhsa_reserve_vcc 0
		.amdhsa_float_round_mode_32 0
		.amdhsa_float_round_mode_16_64 0
		.amdhsa_float_denorm_mode_32 3
		.amdhsa_float_denorm_mode_16_64 3
		.amdhsa_dx10_clamp 1
		.amdhsa_ieee_mode 1
		.amdhsa_fp16_overflow 0
		.amdhsa_tg_split 0
		.amdhsa_exception_fp_ieee_invalid_op 0
		.amdhsa_exception_fp_denorm_src 0
		.amdhsa_exception_fp_ieee_div_zero 0
		.amdhsa_exception_fp_ieee_overflow 0
		.amdhsa_exception_fp_ieee_underflow 0
		.amdhsa_exception_fp_ieee_inexact 0
		.amdhsa_exception_int_div_zero 0
	.end_amdhsa_kernel
	.section	.text._ZN7rocprim17ROCPRIM_400000_NS6detail17trampoline_kernelINS0_14default_configENS1_22reduce_config_selectorImEEZNS1_11reduce_implILb1ES3_N6thrust23THRUST_200600_302600_NS6detail15normal_iteratorINS8_10device_ptrImEEEEPmm11plus_mod_10ImEEE10hipError_tPvRmT1_T2_T3_mT4_P12ihipStream_tbEUlT_E1_NS1_11comp_targetILNS1_3genE5ELNS1_11target_archE942ELNS1_3gpuE9ELNS1_3repE0EEENS1_30default_config_static_selectorELNS0_4arch9wavefront6targetE1EEEvSK_,"axG",@progbits,_ZN7rocprim17ROCPRIM_400000_NS6detail17trampoline_kernelINS0_14default_configENS1_22reduce_config_selectorImEEZNS1_11reduce_implILb1ES3_N6thrust23THRUST_200600_302600_NS6detail15normal_iteratorINS8_10device_ptrImEEEEPmm11plus_mod_10ImEEE10hipError_tPvRmT1_T2_T3_mT4_P12ihipStream_tbEUlT_E1_NS1_11comp_targetILNS1_3genE5ELNS1_11target_archE942ELNS1_3gpuE9ELNS1_3repE0EEENS1_30default_config_static_selectorELNS0_4arch9wavefront6targetE1EEEvSK_,comdat
.Lfunc_end577:
	.size	_ZN7rocprim17ROCPRIM_400000_NS6detail17trampoline_kernelINS0_14default_configENS1_22reduce_config_selectorImEEZNS1_11reduce_implILb1ES3_N6thrust23THRUST_200600_302600_NS6detail15normal_iteratorINS8_10device_ptrImEEEEPmm11plus_mod_10ImEEE10hipError_tPvRmT1_T2_T3_mT4_P12ihipStream_tbEUlT_E1_NS1_11comp_targetILNS1_3genE5ELNS1_11target_archE942ELNS1_3gpuE9ELNS1_3repE0EEENS1_30default_config_static_selectorELNS0_4arch9wavefront6targetE1EEEvSK_, .Lfunc_end577-_ZN7rocprim17ROCPRIM_400000_NS6detail17trampoline_kernelINS0_14default_configENS1_22reduce_config_selectorImEEZNS1_11reduce_implILb1ES3_N6thrust23THRUST_200600_302600_NS6detail15normal_iteratorINS8_10device_ptrImEEEEPmm11plus_mod_10ImEEE10hipError_tPvRmT1_T2_T3_mT4_P12ihipStream_tbEUlT_E1_NS1_11comp_targetILNS1_3genE5ELNS1_11target_archE942ELNS1_3gpuE9ELNS1_3repE0EEENS1_30default_config_static_selectorELNS0_4arch9wavefront6targetE1EEEvSK_
                                        ; -- End function
	.set _ZN7rocprim17ROCPRIM_400000_NS6detail17trampoline_kernelINS0_14default_configENS1_22reduce_config_selectorImEEZNS1_11reduce_implILb1ES3_N6thrust23THRUST_200600_302600_NS6detail15normal_iteratorINS8_10device_ptrImEEEEPmm11plus_mod_10ImEEE10hipError_tPvRmT1_T2_T3_mT4_P12ihipStream_tbEUlT_E1_NS1_11comp_targetILNS1_3genE5ELNS1_11target_archE942ELNS1_3gpuE9ELNS1_3repE0EEENS1_30default_config_static_selectorELNS0_4arch9wavefront6targetE1EEEvSK_.num_vgpr, 0
	.set _ZN7rocprim17ROCPRIM_400000_NS6detail17trampoline_kernelINS0_14default_configENS1_22reduce_config_selectorImEEZNS1_11reduce_implILb1ES3_N6thrust23THRUST_200600_302600_NS6detail15normal_iteratorINS8_10device_ptrImEEEEPmm11plus_mod_10ImEEE10hipError_tPvRmT1_T2_T3_mT4_P12ihipStream_tbEUlT_E1_NS1_11comp_targetILNS1_3genE5ELNS1_11target_archE942ELNS1_3gpuE9ELNS1_3repE0EEENS1_30default_config_static_selectorELNS0_4arch9wavefront6targetE1EEEvSK_.num_agpr, 0
	.set _ZN7rocprim17ROCPRIM_400000_NS6detail17trampoline_kernelINS0_14default_configENS1_22reduce_config_selectorImEEZNS1_11reduce_implILb1ES3_N6thrust23THRUST_200600_302600_NS6detail15normal_iteratorINS8_10device_ptrImEEEEPmm11plus_mod_10ImEEE10hipError_tPvRmT1_T2_T3_mT4_P12ihipStream_tbEUlT_E1_NS1_11comp_targetILNS1_3genE5ELNS1_11target_archE942ELNS1_3gpuE9ELNS1_3repE0EEENS1_30default_config_static_selectorELNS0_4arch9wavefront6targetE1EEEvSK_.numbered_sgpr, 0
	.set _ZN7rocprim17ROCPRIM_400000_NS6detail17trampoline_kernelINS0_14default_configENS1_22reduce_config_selectorImEEZNS1_11reduce_implILb1ES3_N6thrust23THRUST_200600_302600_NS6detail15normal_iteratorINS8_10device_ptrImEEEEPmm11plus_mod_10ImEEE10hipError_tPvRmT1_T2_T3_mT4_P12ihipStream_tbEUlT_E1_NS1_11comp_targetILNS1_3genE5ELNS1_11target_archE942ELNS1_3gpuE9ELNS1_3repE0EEENS1_30default_config_static_selectorELNS0_4arch9wavefront6targetE1EEEvSK_.num_named_barrier, 0
	.set _ZN7rocprim17ROCPRIM_400000_NS6detail17trampoline_kernelINS0_14default_configENS1_22reduce_config_selectorImEEZNS1_11reduce_implILb1ES3_N6thrust23THRUST_200600_302600_NS6detail15normal_iteratorINS8_10device_ptrImEEEEPmm11plus_mod_10ImEEE10hipError_tPvRmT1_T2_T3_mT4_P12ihipStream_tbEUlT_E1_NS1_11comp_targetILNS1_3genE5ELNS1_11target_archE942ELNS1_3gpuE9ELNS1_3repE0EEENS1_30default_config_static_selectorELNS0_4arch9wavefront6targetE1EEEvSK_.private_seg_size, 0
	.set _ZN7rocprim17ROCPRIM_400000_NS6detail17trampoline_kernelINS0_14default_configENS1_22reduce_config_selectorImEEZNS1_11reduce_implILb1ES3_N6thrust23THRUST_200600_302600_NS6detail15normal_iteratorINS8_10device_ptrImEEEEPmm11plus_mod_10ImEEE10hipError_tPvRmT1_T2_T3_mT4_P12ihipStream_tbEUlT_E1_NS1_11comp_targetILNS1_3genE5ELNS1_11target_archE942ELNS1_3gpuE9ELNS1_3repE0EEENS1_30default_config_static_selectorELNS0_4arch9wavefront6targetE1EEEvSK_.uses_vcc, 0
	.set _ZN7rocprim17ROCPRIM_400000_NS6detail17trampoline_kernelINS0_14default_configENS1_22reduce_config_selectorImEEZNS1_11reduce_implILb1ES3_N6thrust23THRUST_200600_302600_NS6detail15normal_iteratorINS8_10device_ptrImEEEEPmm11plus_mod_10ImEEE10hipError_tPvRmT1_T2_T3_mT4_P12ihipStream_tbEUlT_E1_NS1_11comp_targetILNS1_3genE5ELNS1_11target_archE942ELNS1_3gpuE9ELNS1_3repE0EEENS1_30default_config_static_selectorELNS0_4arch9wavefront6targetE1EEEvSK_.uses_flat_scratch, 0
	.set _ZN7rocprim17ROCPRIM_400000_NS6detail17trampoline_kernelINS0_14default_configENS1_22reduce_config_selectorImEEZNS1_11reduce_implILb1ES3_N6thrust23THRUST_200600_302600_NS6detail15normal_iteratorINS8_10device_ptrImEEEEPmm11plus_mod_10ImEEE10hipError_tPvRmT1_T2_T3_mT4_P12ihipStream_tbEUlT_E1_NS1_11comp_targetILNS1_3genE5ELNS1_11target_archE942ELNS1_3gpuE9ELNS1_3repE0EEENS1_30default_config_static_selectorELNS0_4arch9wavefront6targetE1EEEvSK_.has_dyn_sized_stack, 0
	.set _ZN7rocprim17ROCPRIM_400000_NS6detail17trampoline_kernelINS0_14default_configENS1_22reduce_config_selectorImEEZNS1_11reduce_implILb1ES3_N6thrust23THRUST_200600_302600_NS6detail15normal_iteratorINS8_10device_ptrImEEEEPmm11plus_mod_10ImEEE10hipError_tPvRmT1_T2_T3_mT4_P12ihipStream_tbEUlT_E1_NS1_11comp_targetILNS1_3genE5ELNS1_11target_archE942ELNS1_3gpuE9ELNS1_3repE0EEENS1_30default_config_static_selectorELNS0_4arch9wavefront6targetE1EEEvSK_.has_recursion, 0
	.set _ZN7rocprim17ROCPRIM_400000_NS6detail17trampoline_kernelINS0_14default_configENS1_22reduce_config_selectorImEEZNS1_11reduce_implILb1ES3_N6thrust23THRUST_200600_302600_NS6detail15normal_iteratorINS8_10device_ptrImEEEEPmm11plus_mod_10ImEEE10hipError_tPvRmT1_T2_T3_mT4_P12ihipStream_tbEUlT_E1_NS1_11comp_targetILNS1_3genE5ELNS1_11target_archE942ELNS1_3gpuE9ELNS1_3repE0EEENS1_30default_config_static_selectorELNS0_4arch9wavefront6targetE1EEEvSK_.has_indirect_call, 0
	.section	.AMDGPU.csdata,"",@progbits
; Kernel info:
; codeLenInByte = 0
; TotalNumSgprs: 6
; NumVgprs: 0
; NumAgprs: 0
; TotalNumVgprs: 0
; ScratchSize: 0
; MemoryBound: 0
; FloatMode: 240
; IeeeMode: 1
; LDSByteSize: 0 bytes/workgroup (compile time only)
; SGPRBlocks: 0
; VGPRBlocks: 0
; NumSGPRsForWavesPerEU: 6
; NumVGPRsForWavesPerEU: 1
; AccumOffset: 4
; Occupancy: 8
; WaveLimiterHint : 0
; COMPUTE_PGM_RSRC2:SCRATCH_EN: 0
; COMPUTE_PGM_RSRC2:USER_SGPR: 2
; COMPUTE_PGM_RSRC2:TRAP_HANDLER: 0
; COMPUTE_PGM_RSRC2:TGID_X_EN: 1
; COMPUTE_PGM_RSRC2:TGID_Y_EN: 0
; COMPUTE_PGM_RSRC2:TGID_Z_EN: 0
; COMPUTE_PGM_RSRC2:TIDIG_COMP_CNT: 0
; COMPUTE_PGM_RSRC3_GFX90A:ACCUM_OFFSET: 0
; COMPUTE_PGM_RSRC3_GFX90A:TG_SPLIT: 0
	.section	.text._ZN7rocprim17ROCPRIM_400000_NS6detail17trampoline_kernelINS0_14default_configENS1_22reduce_config_selectorImEEZNS1_11reduce_implILb1ES3_N6thrust23THRUST_200600_302600_NS6detail15normal_iteratorINS8_10device_ptrImEEEEPmm11plus_mod_10ImEEE10hipError_tPvRmT1_T2_T3_mT4_P12ihipStream_tbEUlT_E1_NS1_11comp_targetILNS1_3genE4ELNS1_11target_archE910ELNS1_3gpuE8ELNS1_3repE0EEENS1_30default_config_static_selectorELNS0_4arch9wavefront6targetE1EEEvSK_,"axG",@progbits,_ZN7rocprim17ROCPRIM_400000_NS6detail17trampoline_kernelINS0_14default_configENS1_22reduce_config_selectorImEEZNS1_11reduce_implILb1ES3_N6thrust23THRUST_200600_302600_NS6detail15normal_iteratorINS8_10device_ptrImEEEEPmm11plus_mod_10ImEEE10hipError_tPvRmT1_T2_T3_mT4_P12ihipStream_tbEUlT_E1_NS1_11comp_targetILNS1_3genE4ELNS1_11target_archE910ELNS1_3gpuE8ELNS1_3repE0EEENS1_30default_config_static_selectorELNS0_4arch9wavefront6targetE1EEEvSK_,comdat
	.protected	_ZN7rocprim17ROCPRIM_400000_NS6detail17trampoline_kernelINS0_14default_configENS1_22reduce_config_selectorImEEZNS1_11reduce_implILb1ES3_N6thrust23THRUST_200600_302600_NS6detail15normal_iteratorINS8_10device_ptrImEEEEPmm11plus_mod_10ImEEE10hipError_tPvRmT1_T2_T3_mT4_P12ihipStream_tbEUlT_E1_NS1_11comp_targetILNS1_3genE4ELNS1_11target_archE910ELNS1_3gpuE8ELNS1_3repE0EEENS1_30default_config_static_selectorELNS0_4arch9wavefront6targetE1EEEvSK_ ; -- Begin function _ZN7rocprim17ROCPRIM_400000_NS6detail17trampoline_kernelINS0_14default_configENS1_22reduce_config_selectorImEEZNS1_11reduce_implILb1ES3_N6thrust23THRUST_200600_302600_NS6detail15normal_iteratorINS8_10device_ptrImEEEEPmm11plus_mod_10ImEEE10hipError_tPvRmT1_T2_T3_mT4_P12ihipStream_tbEUlT_E1_NS1_11comp_targetILNS1_3genE4ELNS1_11target_archE910ELNS1_3gpuE8ELNS1_3repE0EEENS1_30default_config_static_selectorELNS0_4arch9wavefront6targetE1EEEvSK_
	.globl	_ZN7rocprim17ROCPRIM_400000_NS6detail17trampoline_kernelINS0_14default_configENS1_22reduce_config_selectorImEEZNS1_11reduce_implILb1ES3_N6thrust23THRUST_200600_302600_NS6detail15normal_iteratorINS8_10device_ptrImEEEEPmm11plus_mod_10ImEEE10hipError_tPvRmT1_T2_T3_mT4_P12ihipStream_tbEUlT_E1_NS1_11comp_targetILNS1_3genE4ELNS1_11target_archE910ELNS1_3gpuE8ELNS1_3repE0EEENS1_30default_config_static_selectorELNS0_4arch9wavefront6targetE1EEEvSK_
	.p2align	8
	.type	_ZN7rocprim17ROCPRIM_400000_NS6detail17trampoline_kernelINS0_14default_configENS1_22reduce_config_selectorImEEZNS1_11reduce_implILb1ES3_N6thrust23THRUST_200600_302600_NS6detail15normal_iteratorINS8_10device_ptrImEEEEPmm11plus_mod_10ImEEE10hipError_tPvRmT1_T2_T3_mT4_P12ihipStream_tbEUlT_E1_NS1_11comp_targetILNS1_3genE4ELNS1_11target_archE910ELNS1_3gpuE8ELNS1_3repE0EEENS1_30default_config_static_selectorELNS0_4arch9wavefront6targetE1EEEvSK_,@function
_ZN7rocprim17ROCPRIM_400000_NS6detail17trampoline_kernelINS0_14default_configENS1_22reduce_config_selectorImEEZNS1_11reduce_implILb1ES3_N6thrust23THRUST_200600_302600_NS6detail15normal_iteratorINS8_10device_ptrImEEEEPmm11plus_mod_10ImEEE10hipError_tPvRmT1_T2_T3_mT4_P12ihipStream_tbEUlT_E1_NS1_11comp_targetILNS1_3genE4ELNS1_11target_archE910ELNS1_3gpuE8ELNS1_3repE0EEENS1_30default_config_static_selectorELNS0_4arch9wavefront6targetE1EEEvSK_: ; @_ZN7rocprim17ROCPRIM_400000_NS6detail17trampoline_kernelINS0_14default_configENS1_22reduce_config_selectorImEEZNS1_11reduce_implILb1ES3_N6thrust23THRUST_200600_302600_NS6detail15normal_iteratorINS8_10device_ptrImEEEEPmm11plus_mod_10ImEEE10hipError_tPvRmT1_T2_T3_mT4_P12ihipStream_tbEUlT_E1_NS1_11comp_targetILNS1_3genE4ELNS1_11target_archE910ELNS1_3gpuE8ELNS1_3repE0EEENS1_30default_config_static_selectorELNS0_4arch9wavefront6targetE1EEEvSK_
; %bb.0:
	.section	.rodata,"a",@progbits
	.p2align	6, 0x0
	.amdhsa_kernel _ZN7rocprim17ROCPRIM_400000_NS6detail17trampoline_kernelINS0_14default_configENS1_22reduce_config_selectorImEEZNS1_11reduce_implILb1ES3_N6thrust23THRUST_200600_302600_NS6detail15normal_iteratorINS8_10device_ptrImEEEEPmm11plus_mod_10ImEEE10hipError_tPvRmT1_T2_T3_mT4_P12ihipStream_tbEUlT_E1_NS1_11comp_targetILNS1_3genE4ELNS1_11target_archE910ELNS1_3gpuE8ELNS1_3repE0EEENS1_30default_config_static_selectorELNS0_4arch9wavefront6targetE1EEEvSK_
		.amdhsa_group_segment_fixed_size 0
		.amdhsa_private_segment_fixed_size 0
		.amdhsa_kernarg_size 48
		.amdhsa_user_sgpr_count 2
		.amdhsa_user_sgpr_dispatch_ptr 0
		.amdhsa_user_sgpr_queue_ptr 0
		.amdhsa_user_sgpr_kernarg_segment_ptr 1
		.amdhsa_user_sgpr_dispatch_id 0
		.amdhsa_user_sgpr_kernarg_preload_length 0
		.amdhsa_user_sgpr_kernarg_preload_offset 0
		.amdhsa_user_sgpr_private_segment_size 0
		.amdhsa_uses_dynamic_stack 0
		.amdhsa_enable_private_segment 0
		.amdhsa_system_sgpr_workgroup_id_x 1
		.amdhsa_system_sgpr_workgroup_id_y 0
		.amdhsa_system_sgpr_workgroup_id_z 0
		.amdhsa_system_sgpr_workgroup_info 0
		.amdhsa_system_vgpr_workitem_id 0
		.amdhsa_next_free_vgpr 1
		.amdhsa_next_free_sgpr 0
		.amdhsa_accum_offset 4
		.amdhsa_reserve_vcc 0
		.amdhsa_float_round_mode_32 0
		.amdhsa_float_round_mode_16_64 0
		.amdhsa_float_denorm_mode_32 3
		.amdhsa_float_denorm_mode_16_64 3
		.amdhsa_dx10_clamp 1
		.amdhsa_ieee_mode 1
		.amdhsa_fp16_overflow 0
		.amdhsa_tg_split 0
		.amdhsa_exception_fp_ieee_invalid_op 0
		.amdhsa_exception_fp_denorm_src 0
		.amdhsa_exception_fp_ieee_div_zero 0
		.amdhsa_exception_fp_ieee_overflow 0
		.amdhsa_exception_fp_ieee_underflow 0
		.amdhsa_exception_fp_ieee_inexact 0
		.amdhsa_exception_int_div_zero 0
	.end_amdhsa_kernel
	.section	.text._ZN7rocprim17ROCPRIM_400000_NS6detail17trampoline_kernelINS0_14default_configENS1_22reduce_config_selectorImEEZNS1_11reduce_implILb1ES3_N6thrust23THRUST_200600_302600_NS6detail15normal_iteratorINS8_10device_ptrImEEEEPmm11plus_mod_10ImEEE10hipError_tPvRmT1_T2_T3_mT4_P12ihipStream_tbEUlT_E1_NS1_11comp_targetILNS1_3genE4ELNS1_11target_archE910ELNS1_3gpuE8ELNS1_3repE0EEENS1_30default_config_static_selectorELNS0_4arch9wavefront6targetE1EEEvSK_,"axG",@progbits,_ZN7rocprim17ROCPRIM_400000_NS6detail17trampoline_kernelINS0_14default_configENS1_22reduce_config_selectorImEEZNS1_11reduce_implILb1ES3_N6thrust23THRUST_200600_302600_NS6detail15normal_iteratorINS8_10device_ptrImEEEEPmm11plus_mod_10ImEEE10hipError_tPvRmT1_T2_T3_mT4_P12ihipStream_tbEUlT_E1_NS1_11comp_targetILNS1_3genE4ELNS1_11target_archE910ELNS1_3gpuE8ELNS1_3repE0EEENS1_30default_config_static_selectorELNS0_4arch9wavefront6targetE1EEEvSK_,comdat
.Lfunc_end578:
	.size	_ZN7rocprim17ROCPRIM_400000_NS6detail17trampoline_kernelINS0_14default_configENS1_22reduce_config_selectorImEEZNS1_11reduce_implILb1ES3_N6thrust23THRUST_200600_302600_NS6detail15normal_iteratorINS8_10device_ptrImEEEEPmm11plus_mod_10ImEEE10hipError_tPvRmT1_T2_T3_mT4_P12ihipStream_tbEUlT_E1_NS1_11comp_targetILNS1_3genE4ELNS1_11target_archE910ELNS1_3gpuE8ELNS1_3repE0EEENS1_30default_config_static_selectorELNS0_4arch9wavefront6targetE1EEEvSK_, .Lfunc_end578-_ZN7rocprim17ROCPRIM_400000_NS6detail17trampoline_kernelINS0_14default_configENS1_22reduce_config_selectorImEEZNS1_11reduce_implILb1ES3_N6thrust23THRUST_200600_302600_NS6detail15normal_iteratorINS8_10device_ptrImEEEEPmm11plus_mod_10ImEEE10hipError_tPvRmT1_T2_T3_mT4_P12ihipStream_tbEUlT_E1_NS1_11comp_targetILNS1_3genE4ELNS1_11target_archE910ELNS1_3gpuE8ELNS1_3repE0EEENS1_30default_config_static_selectorELNS0_4arch9wavefront6targetE1EEEvSK_
                                        ; -- End function
	.set _ZN7rocprim17ROCPRIM_400000_NS6detail17trampoline_kernelINS0_14default_configENS1_22reduce_config_selectorImEEZNS1_11reduce_implILb1ES3_N6thrust23THRUST_200600_302600_NS6detail15normal_iteratorINS8_10device_ptrImEEEEPmm11plus_mod_10ImEEE10hipError_tPvRmT1_T2_T3_mT4_P12ihipStream_tbEUlT_E1_NS1_11comp_targetILNS1_3genE4ELNS1_11target_archE910ELNS1_3gpuE8ELNS1_3repE0EEENS1_30default_config_static_selectorELNS0_4arch9wavefront6targetE1EEEvSK_.num_vgpr, 0
	.set _ZN7rocprim17ROCPRIM_400000_NS6detail17trampoline_kernelINS0_14default_configENS1_22reduce_config_selectorImEEZNS1_11reduce_implILb1ES3_N6thrust23THRUST_200600_302600_NS6detail15normal_iteratorINS8_10device_ptrImEEEEPmm11plus_mod_10ImEEE10hipError_tPvRmT1_T2_T3_mT4_P12ihipStream_tbEUlT_E1_NS1_11comp_targetILNS1_3genE4ELNS1_11target_archE910ELNS1_3gpuE8ELNS1_3repE0EEENS1_30default_config_static_selectorELNS0_4arch9wavefront6targetE1EEEvSK_.num_agpr, 0
	.set _ZN7rocprim17ROCPRIM_400000_NS6detail17trampoline_kernelINS0_14default_configENS1_22reduce_config_selectorImEEZNS1_11reduce_implILb1ES3_N6thrust23THRUST_200600_302600_NS6detail15normal_iteratorINS8_10device_ptrImEEEEPmm11plus_mod_10ImEEE10hipError_tPvRmT1_T2_T3_mT4_P12ihipStream_tbEUlT_E1_NS1_11comp_targetILNS1_3genE4ELNS1_11target_archE910ELNS1_3gpuE8ELNS1_3repE0EEENS1_30default_config_static_selectorELNS0_4arch9wavefront6targetE1EEEvSK_.numbered_sgpr, 0
	.set _ZN7rocprim17ROCPRIM_400000_NS6detail17trampoline_kernelINS0_14default_configENS1_22reduce_config_selectorImEEZNS1_11reduce_implILb1ES3_N6thrust23THRUST_200600_302600_NS6detail15normal_iteratorINS8_10device_ptrImEEEEPmm11plus_mod_10ImEEE10hipError_tPvRmT1_T2_T3_mT4_P12ihipStream_tbEUlT_E1_NS1_11comp_targetILNS1_3genE4ELNS1_11target_archE910ELNS1_3gpuE8ELNS1_3repE0EEENS1_30default_config_static_selectorELNS0_4arch9wavefront6targetE1EEEvSK_.num_named_barrier, 0
	.set _ZN7rocprim17ROCPRIM_400000_NS6detail17trampoline_kernelINS0_14default_configENS1_22reduce_config_selectorImEEZNS1_11reduce_implILb1ES3_N6thrust23THRUST_200600_302600_NS6detail15normal_iteratorINS8_10device_ptrImEEEEPmm11plus_mod_10ImEEE10hipError_tPvRmT1_T2_T3_mT4_P12ihipStream_tbEUlT_E1_NS1_11comp_targetILNS1_3genE4ELNS1_11target_archE910ELNS1_3gpuE8ELNS1_3repE0EEENS1_30default_config_static_selectorELNS0_4arch9wavefront6targetE1EEEvSK_.private_seg_size, 0
	.set _ZN7rocprim17ROCPRIM_400000_NS6detail17trampoline_kernelINS0_14default_configENS1_22reduce_config_selectorImEEZNS1_11reduce_implILb1ES3_N6thrust23THRUST_200600_302600_NS6detail15normal_iteratorINS8_10device_ptrImEEEEPmm11plus_mod_10ImEEE10hipError_tPvRmT1_T2_T3_mT4_P12ihipStream_tbEUlT_E1_NS1_11comp_targetILNS1_3genE4ELNS1_11target_archE910ELNS1_3gpuE8ELNS1_3repE0EEENS1_30default_config_static_selectorELNS0_4arch9wavefront6targetE1EEEvSK_.uses_vcc, 0
	.set _ZN7rocprim17ROCPRIM_400000_NS6detail17trampoline_kernelINS0_14default_configENS1_22reduce_config_selectorImEEZNS1_11reduce_implILb1ES3_N6thrust23THRUST_200600_302600_NS6detail15normal_iteratorINS8_10device_ptrImEEEEPmm11plus_mod_10ImEEE10hipError_tPvRmT1_T2_T3_mT4_P12ihipStream_tbEUlT_E1_NS1_11comp_targetILNS1_3genE4ELNS1_11target_archE910ELNS1_3gpuE8ELNS1_3repE0EEENS1_30default_config_static_selectorELNS0_4arch9wavefront6targetE1EEEvSK_.uses_flat_scratch, 0
	.set _ZN7rocprim17ROCPRIM_400000_NS6detail17trampoline_kernelINS0_14default_configENS1_22reduce_config_selectorImEEZNS1_11reduce_implILb1ES3_N6thrust23THRUST_200600_302600_NS6detail15normal_iteratorINS8_10device_ptrImEEEEPmm11plus_mod_10ImEEE10hipError_tPvRmT1_T2_T3_mT4_P12ihipStream_tbEUlT_E1_NS1_11comp_targetILNS1_3genE4ELNS1_11target_archE910ELNS1_3gpuE8ELNS1_3repE0EEENS1_30default_config_static_selectorELNS0_4arch9wavefront6targetE1EEEvSK_.has_dyn_sized_stack, 0
	.set _ZN7rocprim17ROCPRIM_400000_NS6detail17trampoline_kernelINS0_14default_configENS1_22reduce_config_selectorImEEZNS1_11reduce_implILb1ES3_N6thrust23THRUST_200600_302600_NS6detail15normal_iteratorINS8_10device_ptrImEEEEPmm11plus_mod_10ImEEE10hipError_tPvRmT1_T2_T3_mT4_P12ihipStream_tbEUlT_E1_NS1_11comp_targetILNS1_3genE4ELNS1_11target_archE910ELNS1_3gpuE8ELNS1_3repE0EEENS1_30default_config_static_selectorELNS0_4arch9wavefront6targetE1EEEvSK_.has_recursion, 0
	.set _ZN7rocprim17ROCPRIM_400000_NS6detail17trampoline_kernelINS0_14default_configENS1_22reduce_config_selectorImEEZNS1_11reduce_implILb1ES3_N6thrust23THRUST_200600_302600_NS6detail15normal_iteratorINS8_10device_ptrImEEEEPmm11plus_mod_10ImEEE10hipError_tPvRmT1_T2_T3_mT4_P12ihipStream_tbEUlT_E1_NS1_11comp_targetILNS1_3genE4ELNS1_11target_archE910ELNS1_3gpuE8ELNS1_3repE0EEENS1_30default_config_static_selectorELNS0_4arch9wavefront6targetE1EEEvSK_.has_indirect_call, 0
	.section	.AMDGPU.csdata,"",@progbits
; Kernel info:
; codeLenInByte = 0
; TotalNumSgprs: 6
; NumVgprs: 0
; NumAgprs: 0
; TotalNumVgprs: 0
; ScratchSize: 0
; MemoryBound: 0
; FloatMode: 240
; IeeeMode: 1
; LDSByteSize: 0 bytes/workgroup (compile time only)
; SGPRBlocks: 0
; VGPRBlocks: 0
; NumSGPRsForWavesPerEU: 6
; NumVGPRsForWavesPerEU: 1
; AccumOffset: 4
; Occupancy: 8
; WaveLimiterHint : 0
; COMPUTE_PGM_RSRC2:SCRATCH_EN: 0
; COMPUTE_PGM_RSRC2:USER_SGPR: 2
; COMPUTE_PGM_RSRC2:TRAP_HANDLER: 0
; COMPUTE_PGM_RSRC2:TGID_X_EN: 1
; COMPUTE_PGM_RSRC2:TGID_Y_EN: 0
; COMPUTE_PGM_RSRC2:TGID_Z_EN: 0
; COMPUTE_PGM_RSRC2:TIDIG_COMP_CNT: 0
; COMPUTE_PGM_RSRC3_GFX90A:ACCUM_OFFSET: 0
; COMPUTE_PGM_RSRC3_GFX90A:TG_SPLIT: 0
	.section	.text._ZN7rocprim17ROCPRIM_400000_NS6detail17trampoline_kernelINS0_14default_configENS1_22reduce_config_selectorImEEZNS1_11reduce_implILb1ES3_N6thrust23THRUST_200600_302600_NS6detail15normal_iteratorINS8_10device_ptrImEEEEPmm11plus_mod_10ImEEE10hipError_tPvRmT1_T2_T3_mT4_P12ihipStream_tbEUlT_E1_NS1_11comp_targetILNS1_3genE3ELNS1_11target_archE908ELNS1_3gpuE7ELNS1_3repE0EEENS1_30default_config_static_selectorELNS0_4arch9wavefront6targetE1EEEvSK_,"axG",@progbits,_ZN7rocprim17ROCPRIM_400000_NS6detail17trampoline_kernelINS0_14default_configENS1_22reduce_config_selectorImEEZNS1_11reduce_implILb1ES3_N6thrust23THRUST_200600_302600_NS6detail15normal_iteratorINS8_10device_ptrImEEEEPmm11plus_mod_10ImEEE10hipError_tPvRmT1_T2_T3_mT4_P12ihipStream_tbEUlT_E1_NS1_11comp_targetILNS1_3genE3ELNS1_11target_archE908ELNS1_3gpuE7ELNS1_3repE0EEENS1_30default_config_static_selectorELNS0_4arch9wavefront6targetE1EEEvSK_,comdat
	.protected	_ZN7rocprim17ROCPRIM_400000_NS6detail17trampoline_kernelINS0_14default_configENS1_22reduce_config_selectorImEEZNS1_11reduce_implILb1ES3_N6thrust23THRUST_200600_302600_NS6detail15normal_iteratorINS8_10device_ptrImEEEEPmm11plus_mod_10ImEEE10hipError_tPvRmT1_T2_T3_mT4_P12ihipStream_tbEUlT_E1_NS1_11comp_targetILNS1_3genE3ELNS1_11target_archE908ELNS1_3gpuE7ELNS1_3repE0EEENS1_30default_config_static_selectorELNS0_4arch9wavefront6targetE1EEEvSK_ ; -- Begin function _ZN7rocprim17ROCPRIM_400000_NS6detail17trampoline_kernelINS0_14default_configENS1_22reduce_config_selectorImEEZNS1_11reduce_implILb1ES3_N6thrust23THRUST_200600_302600_NS6detail15normal_iteratorINS8_10device_ptrImEEEEPmm11plus_mod_10ImEEE10hipError_tPvRmT1_T2_T3_mT4_P12ihipStream_tbEUlT_E1_NS1_11comp_targetILNS1_3genE3ELNS1_11target_archE908ELNS1_3gpuE7ELNS1_3repE0EEENS1_30default_config_static_selectorELNS0_4arch9wavefront6targetE1EEEvSK_
	.globl	_ZN7rocprim17ROCPRIM_400000_NS6detail17trampoline_kernelINS0_14default_configENS1_22reduce_config_selectorImEEZNS1_11reduce_implILb1ES3_N6thrust23THRUST_200600_302600_NS6detail15normal_iteratorINS8_10device_ptrImEEEEPmm11plus_mod_10ImEEE10hipError_tPvRmT1_T2_T3_mT4_P12ihipStream_tbEUlT_E1_NS1_11comp_targetILNS1_3genE3ELNS1_11target_archE908ELNS1_3gpuE7ELNS1_3repE0EEENS1_30default_config_static_selectorELNS0_4arch9wavefront6targetE1EEEvSK_
	.p2align	8
	.type	_ZN7rocprim17ROCPRIM_400000_NS6detail17trampoline_kernelINS0_14default_configENS1_22reduce_config_selectorImEEZNS1_11reduce_implILb1ES3_N6thrust23THRUST_200600_302600_NS6detail15normal_iteratorINS8_10device_ptrImEEEEPmm11plus_mod_10ImEEE10hipError_tPvRmT1_T2_T3_mT4_P12ihipStream_tbEUlT_E1_NS1_11comp_targetILNS1_3genE3ELNS1_11target_archE908ELNS1_3gpuE7ELNS1_3repE0EEENS1_30default_config_static_selectorELNS0_4arch9wavefront6targetE1EEEvSK_,@function
_ZN7rocprim17ROCPRIM_400000_NS6detail17trampoline_kernelINS0_14default_configENS1_22reduce_config_selectorImEEZNS1_11reduce_implILb1ES3_N6thrust23THRUST_200600_302600_NS6detail15normal_iteratorINS8_10device_ptrImEEEEPmm11plus_mod_10ImEEE10hipError_tPvRmT1_T2_T3_mT4_P12ihipStream_tbEUlT_E1_NS1_11comp_targetILNS1_3genE3ELNS1_11target_archE908ELNS1_3gpuE7ELNS1_3repE0EEENS1_30default_config_static_selectorELNS0_4arch9wavefront6targetE1EEEvSK_: ; @_ZN7rocprim17ROCPRIM_400000_NS6detail17trampoline_kernelINS0_14default_configENS1_22reduce_config_selectorImEEZNS1_11reduce_implILb1ES3_N6thrust23THRUST_200600_302600_NS6detail15normal_iteratorINS8_10device_ptrImEEEEPmm11plus_mod_10ImEEE10hipError_tPvRmT1_T2_T3_mT4_P12ihipStream_tbEUlT_E1_NS1_11comp_targetILNS1_3genE3ELNS1_11target_archE908ELNS1_3gpuE7ELNS1_3repE0EEENS1_30default_config_static_selectorELNS0_4arch9wavefront6targetE1EEEvSK_
; %bb.0:
	.section	.rodata,"a",@progbits
	.p2align	6, 0x0
	.amdhsa_kernel _ZN7rocprim17ROCPRIM_400000_NS6detail17trampoline_kernelINS0_14default_configENS1_22reduce_config_selectorImEEZNS1_11reduce_implILb1ES3_N6thrust23THRUST_200600_302600_NS6detail15normal_iteratorINS8_10device_ptrImEEEEPmm11plus_mod_10ImEEE10hipError_tPvRmT1_T2_T3_mT4_P12ihipStream_tbEUlT_E1_NS1_11comp_targetILNS1_3genE3ELNS1_11target_archE908ELNS1_3gpuE7ELNS1_3repE0EEENS1_30default_config_static_selectorELNS0_4arch9wavefront6targetE1EEEvSK_
		.amdhsa_group_segment_fixed_size 0
		.amdhsa_private_segment_fixed_size 0
		.amdhsa_kernarg_size 48
		.amdhsa_user_sgpr_count 2
		.amdhsa_user_sgpr_dispatch_ptr 0
		.amdhsa_user_sgpr_queue_ptr 0
		.amdhsa_user_sgpr_kernarg_segment_ptr 1
		.amdhsa_user_sgpr_dispatch_id 0
		.amdhsa_user_sgpr_kernarg_preload_length 0
		.amdhsa_user_sgpr_kernarg_preload_offset 0
		.amdhsa_user_sgpr_private_segment_size 0
		.amdhsa_uses_dynamic_stack 0
		.amdhsa_enable_private_segment 0
		.amdhsa_system_sgpr_workgroup_id_x 1
		.amdhsa_system_sgpr_workgroup_id_y 0
		.amdhsa_system_sgpr_workgroup_id_z 0
		.amdhsa_system_sgpr_workgroup_info 0
		.amdhsa_system_vgpr_workitem_id 0
		.amdhsa_next_free_vgpr 1
		.amdhsa_next_free_sgpr 0
		.amdhsa_accum_offset 4
		.amdhsa_reserve_vcc 0
		.amdhsa_float_round_mode_32 0
		.amdhsa_float_round_mode_16_64 0
		.amdhsa_float_denorm_mode_32 3
		.amdhsa_float_denorm_mode_16_64 3
		.amdhsa_dx10_clamp 1
		.amdhsa_ieee_mode 1
		.amdhsa_fp16_overflow 0
		.amdhsa_tg_split 0
		.amdhsa_exception_fp_ieee_invalid_op 0
		.amdhsa_exception_fp_denorm_src 0
		.amdhsa_exception_fp_ieee_div_zero 0
		.amdhsa_exception_fp_ieee_overflow 0
		.amdhsa_exception_fp_ieee_underflow 0
		.amdhsa_exception_fp_ieee_inexact 0
		.amdhsa_exception_int_div_zero 0
	.end_amdhsa_kernel
	.section	.text._ZN7rocprim17ROCPRIM_400000_NS6detail17trampoline_kernelINS0_14default_configENS1_22reduce_config_selectorImEEZNS1_11reduce_implILb1ES3_N6thrust23THRUST_200600_302600_NS6detail15normal_iteratorINS8_10device_ptrImEEEEPmm11plus_mod_10ImEEE10hipError_tPvRmT1_T2_T3_mT4_P12ihipStream_tbEUlT_E1_NS1_11comp_targetILNS1_3genE3ELNS1_11target_archE908ELNS1_3gpuE7ELNS1_3repE0EEENS1_30default_config_static_selectorELNS0_4arch9wavefront6targetE1EEEvSK_,"axG",@progbits,_ZN7rocprim17ROCPRIM_400000_NS6detail17trampoline_kernelINS0_14default_configENS1_22reduce_config_selectorImEEZNS1_11reduce_implILb1ES3_N6thrust23THRUST_200600_302600_NS6detail15normal_iteratorINS8_10device_ptrImEEEEPmm11plus_mod_10ImEEE10hipError_tPvRmT1_T2_T3_mT4_P12ihipStream_tbEUlT_E1_NS1_11comp_targetILNS1_3genE3ELNS1_11target_archE908ELNS1_3gpuE7ELNS1_3repE0EEENS1_30default_config_static_selectorELNS0_4arch9wavefront6targetE1EEEvSK_,comdat
.Lfunc_end579:
	.size	_ZN7rocprim17ROCPRIM_400000_NS6detail17trampoline_kernelINS0_14default_configENS1_22reduce_config_selectorImEEZNS1_11reduce_implILb1ES3_N6thrust23THRUST_200600_302600_NS6detail15normal_iteratorINS8_10device_ptrImEEEEPmm11plus_mod_10ImEEE10hipError_tPvRmT1_T2_T3_mT4_P12ihipStream_tbEUlT_E1_NS1_11comp_targetILNS1_3genE3ELNS1_11target_archE908ELNS1_3gpuE7ELNS1_3repE0EEENS1_30default_config_static_selectorELNS0_4arch9wavefront6targetE1EEEvSK_, .Lfunc_end579-_ZN7rocprim17ROCPRIM_400000_NS6detail17trampoline_kernelINS0_14default_configENS1_22reduce_config_selectorImEEZNS1_11reduce_implILb1ES3_N6thrust23THRUST_200600_302600_NS6detail15normal_iteratorINS8_10device_ptrImEEEEPmm11plus_mod_10ImEEE10hipError_tPvRmT1_T2_T3_mT4_P12ihipStream_tbEUlT_E1_NS1_11comp_targetILNS1_3genE3ELNS1_11target_archE908ELNS1_3gpuE7ELNS1_3repE0EEENS1_30default_config_static_selectorELNS0_4arch9wavefront6targetE1EEEvSK_
                                        ; -- End function
	.set _ZN7rocprim17ROCPRIM_400000_NS6detail17trampoline_kernelINS0_14default_configENS1_22reduce_config_selectorImEEZNS1_11reduce_implILb1ES3_N6thrust23THRUST_200600_302600_NS6detail15normal_iteratorINS8_10device_ptrImEEEEPmm11plus_mod_10ImEEE10hipError_tPvRmT1_T2_T3_mT4_P12ihipStream_tbEUlT_E1_NS1_11comp_targetILNS1_3genE3ELNS1_11target_archE908ELNS1_3gpuE7ELNS1_3repE0EEENS1_30default_config_static_selectorELNS0_4arch9wavefront6targetE1EEEvSK_.num_vgpr, 0
	.set _ZN7rocprim17ROCPRIM_400000_NS6detail17trampoline_kernelINS0_14default_configENS1_22reduce_config_selectorImEEZNS1_11reduce_implILb1ES3_N6thrust23THRUST_200600_302600_NS6detail15normal_iteratorINS8_10device_ptrImEEEEPmm11plus_mod_10ImEEE10hipError_tPvRmT1_T2_T3_mT4_P12ihipStream_tbEUlT_E1_NS1_11comp_targetILNS1_3genE3ELNS1_11target_archE908ELNS1_3gpuE7ELNS1_3repE0EEENS1_30default_config_static_selectorELNS0_4arch9wavefront6targetE1EEEvSK_.num_agpr, 0
	.set _ZN7rocprim17ROCPRIM_400000_NS6detail17trampoline_kernelINS0_14default_configENS1_22reduce_config_selectorImEEZNS1_11reduce_implILb1ES3_N6thrust23THRUST_200600_302600_NS6detail15normal_iteratorINS8_10device_ptrImEEEEPmm11plus_mod_10ImEEE10hipError_tPvRmT1_T2_T3_mT4_P12ihipStream_tbEUlT_E1_NS1_11comp_targetILNS1_3genE3ELNS1_11target_archE908ELNS1_3gpuE7ELNS1_3repE0EEENS1_30default_config_static_selectorELNS0_4arch9wavefront6targetE1EEEvSK_.numbered_sgpr, 0
	.set _ZN7rocprim17ROCPRIM_400000_NS6detail17trampoline_kernelINS0_14default_configENS1_22reduce_config_selectorImEEZNS1_11reduce_implILb1ES3_N6thrust23THRUST_200600_302600_NS6detail15normal_iteratorINS8_10device_ptrImEEEEPmm11plus_mod_10ImEEE10hipError_tPvRmT1_T2_T3_mT4_P12ihipStream_tbEUlT_E1_NS1_11comp_targetILNS1_3genE3ELNS1_11target_archE908ELNS1_3gpuE7ELNS1_3repE0EEENS1_30default_config_static_selectorELNS0_4arch9wavefront6targetE1EEEvSK_.num_named_barrier, 0
	.set _ZN7rocprim17ROCPRIM_400000_NS6detail17trampoline_kernelINS0_14default_configENS1_22reduce_config_selectorImEEZNS1_11reduce_implILb1ES3_N6thrust23THRUST_200600_302600_NS6detail15normal_iteratorINS8_10device_ptrImEEEEPmm11plus_mod_10ImEEE10hipError_tPvRmT1_T2_T3_mT4_P12ihipStream_tbEUlT_E1_NS1_11comp_targetILNS1_3genE3ELNS1_11target_archE908ELNS1_3gpuE7ELNS1_3repE0EEENS1_30default_config_static_selectorELNS0_4arch9wavefront6targetE1EEEvSK_.private_seg_size, 0
	.set _ZN7rocprim17ROCPRIM_400000_NS6detail17trampoline_kernelINS0_14default_configENS1_22reduce_config_selectorImEEZNS1_11reduce_implILb1ES3_N6thrust23THRUST_200600_302600_NS6detail15normal_iteratorINS8_10device_ptrImEEEEPmm11plus_mod_10ImEEE10hipError_tPvRmT1_T2_T3_mT4_P12ihipStream_tbEUlT_E1_NS1_11comp_targetILNS1_3genE3ELNS1_11target_archE908ELNS1_3gpuE7ELNS1_3repE0EEENS1_30default_config_static_selectorELNS0_4arch9wavefront6targetE1EEEvSK_.uses_vcc, 0
	.set _ZN7rocprim17ROCPRIM_400000_NS6detail17trampoline_kernelINS0_14default_configENS1_22reduce_config_selectorImEEZNS1_11reduce_implILb1ES3_N6thrust23THRUST_200600_302600_NS6detail15normal_iteratorINS8_10device_ptrImEEEEPmm11plus_mod_10ImEEE10hipError_tPvRmT1_T2_T3_mT4_P12ihipStream_tbEUlT_E1_NS1_11comp_targetILNS1_3genE3ELNS1_11target_archE908ELNS1_3gpuE7ELNS1_3repE0EEENS1_30default_config_static_selectorELNS0_4arch9wavefront6targetE1EEEvSK_.uses_flat_scratch, 0
	.set _ZN7rocprim17ROCPRIM_400000_NS6detail17trampoline_kernelINS0_14default_configENS1_22reduce_config_selectorImEEZNS1_11reduce_implILb1ES3_N6thrust23THRUST_200600_302600_NS6detail15normal_iteratorINS8_10device_ptrImEEEEPmm11plus_mod_10ImEEE10hipError_tPvRmT1_T2_T3_mT4_P12ihipStream_tbEUlT_E1_NS1_11comp_targetILNS1_3genE3ELNS1_11target_archE908ELNS1_3gpuE7ELNS1_3repE0EEENS1_30default_config_static_selectorELNS0_4arch9wavefront6targetE1EEEvSK_.has_dyn_sized_stack, 0
	.set _ZN7rocprim17ROCPRIM_400000_NS6detail17trampoline_kernelINS0_14default_configENS1_22reduce_config_selectorImEEZNS1_11reduce_implILb1ES3_N6thrust23THRUST_200600_302600_NS6detail15normal_iteratorINS8_10device_ptrImEEEEPmm11plus_mod_10ImEEE10hipError_tPvRmT1_T2_T3_mT4_P12ihipStream_tbEUlT_E1_NS1_11comp_targetILNS1_3genE3ELNS1_11target_archE908ELNS1_3gpuE7ELNS1_3repE0EEENS1_30default_config_static_selectorELNS0_4arch9wavefront6targetE1EEEvSK_.has_recursion, 0
	.set _ZN7rocprim17ROCPRIM_400000_NS6detail17trampoline_kernelINS0_14default_configENS1_22reduce_config_selectorImEEZNS1_11reduce_implILb1ES3_N6thrust23THRUST_200600_302600_NS6detail15normal_iteratorINS8_10device_ptrImEEEEPmm11plus_mod_10ImEEE10hipError_tPvRmT1_T2_T3_mT4_P12ihipStream_tbEUlT_E1_NS1_11comp_targetILNS1_3genE3ELNS1_11target_archE908ELNS1_3gpuE7ELNS1_3repE0EEENS1_30default_config_static_selectorELNS0_4arch9wavefront6targetE1EEEvSK_.has_indirect_call, 0
	.section	.AMDGPU.csdata,"",@progbits
; Kernel info:
; codeLenInByte = 0
; TotalNumSgprs: 6
; NumVgprs: 0
; NumAgprs: 0
; TotalNumVgprs: 0
; ScratchSize: 0
; MemoryBound: 0
; FloatMode: 240
; IeeeMode: 1
; LDSByteSize: 0 bytes/workgroup (compile time only)
; SGPRBlocks: 0
; VGPRBlocks: 0
; NumSGPRsForWavesPerEU: 6
; NumVGPRsForWavesPerEU: 1
; AccumOffset: 4
; Occupancy: 8
; WaveLimiterHint : 0
; COMPUTE_PGM_RSRC2:SCRATCH_EN: 0
; COMPUTE_PGM_RSRC2:USER_SGPR: 2
; COMPUTE_PGM_RSRC2:TRAP_HANDLER: 0
; COMPUTE_PGM_RSRC2:TGID_X_EN: 1
; COMPUTE_PGM_RSRC2:TGID_Y_EN: 0
; COMPUTE_PGM_RSRC2:TGID_Z_EN: 0
; COMPUTE_PGM_RSRC2:TIDIG_COMP_CNT: 0
; COMPUTE_PGM_RSRC3_GFX90A:ACCUM_OFFSET: 0
; COMPUTE_PGM_RSRC3_GFX90A:TG_SPLIT: 0
	.section	.text._ZN7rocprim17ROCPRIM_400000_NS6detail17trampoline_kernelINS0_14default_configENS1_22reduce_config_selectorImEEZNS1_11reduce_implILb1ES3_N6thrust23THRUST_200600_302600_NS6detail15normal_iteratorINS8_10device_ptrImEEEEPmm11plus_mod_10ImEEE10hipError_tPvRmT1_T2_T3_mT4_P12ihipStream_tbEUlT_E1_NS1_11comp_targetILNS1_3genE2ELNS1_11target_archE906ELNS1_3gpuE6ELNS1_3repE0EEENS1_30default_config_static_selectorELNS0_4arch9wavefront6targetE1EEEvSK_,"axG",@progbits,_ZN7rocprim17ROCPRIM_400000_NS6detail17trampoline_kernelINS0_14default_configENS1_22reduce_config_selectorImEEZNS1_11reduce_implILb1ES3_N6thrust23THRUST_200600_302600_NS6detail15normal_iteratorINS8_10device_ptrImEEEEPmm11plus_mod_10ImEEE10hipError_tPvRmT1_T2_T3_mT4_P12ihipStream_tbEUlT_E1_NS1_11comp_targetILNS1_3genE2ELNS1_11target_archE906ELNS1_3gpuE6ELNS1_3repE0EEENS1_30default_config_static_selectorELNS0_4arch9wavefront6targetE1EEEvSK_,comdat
	.protected	_ZN7rocprim17ROCPRIM_400000_NS6detail17trampoline_kernelINS0_14default_configENS1_22reduce_config_selectorImEEZNS1_11reduce_implILb1ES3_N6thrust23THRUST_200600_302600_NS6detail15normal_iteratorINS8_10device_ptrImEEEEPmm11plus_mod_10ImEEE10hipError_tPvRmT1_T2_T3_mT4_P12ihipStream_tbEUlT_E1_NS1_11comp_targetILNS1_3genE2ELNS1_11target_archE906ELNS1_3gpuE6ELNS1_3repE0EEENS1_30default_config_static_selectorELNS0_4arch9wavefront6targetE1EEEvSK_ ; -- Begin function _ZN7rocprim17ROCPRIM_400000_NS6detail17trampoline_kernelINS0_14default_configENS1_22reduce_config_selectorImEEZNS1_11reduce_implILb1ES3_N6thrust23THRUST_200600_302600_NS6detail15normal_iteratorINS8_10device_ptrImEEEEPmm11plus_mod_10ImEEE10hipError_tPvRmT1_T2_T3_mT4_P12ihipStream_tbEUlT_E1_NS1_11comp_targetILNS1_3genE2ELNS1_11target_archE906ELNS1_3gpuE6ELNS1_3repE0EEENS1_30default_config_static_selectorELNS0_4arch9wavefront6targetE1EEEvSK_
	.globl	_ZN7rocprim17ROCPRIM_400000_NS6detail17trampoline_kernelINS0_14default_configENS1_22reduce_config_selectorImEEZNS1_11reduce_implILb1ES3_N6thrust23THRUST_200600_302600_NS6detail15normal_iteratorINS8_10device_ptrImEEEEPmm11plus_mod_10ImEEE10hipError_tPvRmT1_T2_T3_mT4_P12ihipStream_tbEUlT_E1_NS1_11comp_targetILNS1_3genE2ELNS1_11target_archE906ELNS1_3gpuE6ELNS1_3repE0EEENS1_30default_config_static_selectorELNS0_4arch9wavefront6targetE1EEEvSK_
	.p2align	8
	.type	_ZN7rocprim17ROCPRIM_400000_NS6detail17trampoline_kernelINS0_14default_configENS1_22reduce_config_selectorImEEZNS1_11reduce_implILb1ES3_N6thrust23THRUST_200600_302600_NS6detail15normal_iteratorINS8_10device_ptrImEEEEPmm11plus_mod_10ImEEE10hipError_tPvRmT1_T2_T3_mT4_P12ihipStream_tbEUlT_E1_NS1_11comp_targetILNS1_3genE2ELNS1_11target_archE906ELNS1_3gpuE6ELNS1_3repE0EEENS1_30default_config_static_selectorELNS0_4arch9wavefront6targetE1EEEvSK_,@function
_ZN7rocprim17ROCPRIM_400000_NS6detail17trampoline_kernelINS0_14default_configENS1_22reduce_config_selectorImEEZNS1_11reduce_implILb1ES3_N6thrust23THRUST_200600_302600_NS6detail15normal_iteratorINS8_10device_ptrImEEEEPmm11plus_mod_10ImEEE10hipError_tPvRmT1_T2_T3_mT4_P12ihipStream_tbEUlT_E1_NS1_11comp_targetILNS1_3genE2ELNS1_11target_archE906ELNS1_3gpuE6ELNS1_3repE0EEENS1_30default_config_static_selectorELNS0_4arch9wavefront6targetE1EEEvSK_: ; @_ZN7rocprim17ROCPRIM_400000_NS6detail17trampoline_kernelINS0_14default_configENS1_22reduce_config_selectorImEEZNS1_11reduce_implILb1ES3_N6thrust23THRUST_200600_302600_NS6detail15normal_iteratorINS8_10device_ptrImEEEEPmm11plus_mod_10ImEEE10hipError_tPvRmT1_T2_T3_mT4_P12ihipStream_tbEUlT_E1_NS1_11comp_targetILNS1_3genE2ELNS1_11target_archE906ELNS1_3gpuE6ELNS1_3repE0EEENS1_30default_config_static_selectorELNS0_4arch9wavefront6targetE1EEEvSK_
; %bb.0:
	.section	.rodata,"a",@progbits
	.p2align	6, 0x0
	.amdhsa_kernel _ZN7rocprim17ROCPRIM_400000_NS6detail17trampoline_kernelINS0_14default_configENS1_22reduce_config_selectorImEEZNS1_11reduce_implILb1ES3_N6thrust23THRUST_200600_302600_NS6detail15normal_iteratorINS8_10device_ptrImEEEEPmm11plus_mod_10ImEEE10hipError_tPvRmT1_T2_T3_mT4_P12ihipStream_tbEUlT_E1_NS1_11comp_targetILNS1_3genE2ELNS1_11target_archE906ELNS1_3gpuE6ELNS1_3repE0EEENS1_30default_config_static_selectorELNS0_4arch9wavefront6targetE1EEEvSK_
		.amdhsa_group_segment_fixed_size 0
		.amdhsa_private_segment_fixed_size 0
		.amdhsa_kernarg_size 48
		.amdhsa_user_sgpr_count 2
		.amdhsa_user_sgpr_dispatch_ptr 0
		.amdhsa_user_sgpr_queue_ptr 0
		.amdhsa_user_sgpr_kernarg_segment_ptr 1
		.amdhsa_user_sgpr_dispatch_id 0
		.amdhsa_user_sgpr_kernarg_preload_length 0
		.amdhsa_user_sgpr_kernarg_preload_offset 0
		.amdhsa_user_sgpr_private_segment_size 0
		.amdhsa_uses_dynamic_stack 0
		.amdhsa_enable_private_segment 0
		.amdhsa_system_sgpr_workgroup_id_x 1
		.amdhsa_system_sgpr_workgroup_id_y 0
		.amdhsa_system_sgpr_workgroup_id_z 0
		.amdhsa_system_sgpr_workgroup_info 0
		.amdhsa_system_vgpr_workitem_id 0
		.amdhsa_next_free_vgpr 1
		.amdhsa_next_free_sgpr 0
		.amdhsa_accum_offset 4
		.amdhsa_reserve_vcc 0
		.amdhsa_float_round_mode_32 0
		.amdhsa_float_round_mode_16_64 0
		.amdhsa_float_denorm_mode_32 3
		.amdhsa_float_denorm_mode_16_64 3
		.amdhsa_dx10_clamp 1
		.amdhsa_ieee_mode 1
		.amdhsa_fp16_overflow 0
		.amdhsa_tg_split 0
		.amdhsa_exception_fp_ieee_invalid_op 0
		.amdhsa_exception_fp_denorm_src 0
		.amdhsa_exception_fp_ieee_div_zero 0
		.amdhsa_exception_fp_ieee_overflow 0
		.amdhsa_exception_fp_ieee_underflow 0
		.amdhsa_exception_fp_ieee_inexact 0
		.amdhsa_exception_int_div_zero 0
	.end_amdhsa_kernel
	.section	.text._ZN7rocprim17ROCPRIM_400000_NS6detail17trampoline_kernelINS0_14default_configENS1_22reduce_config_selectorImEEZNS1_11reduce_implILb1ES3_N6thrust23THRUST_200600_302600_NS6detail15normal_iteratorINS8_10device_ptrImEEEEPmm11plus_mod_10ImEEE10hipError_tPvRmT1_T2_T3_mT4_P12ihipStream_tbEUlT_E1_NS1_11comp_targetILNS1_3genE2ELNS1_11target_archE906ELNS1_3gpuE6ELNS1_3repE0EEENS1_30default_config_static_selectorELNS0_4arch9wavefront6targetE1EEEvSK_,"axG",@progbits,_ZN7rocprim17ROCPRIM_400000_NS6detail17trampoline_kernelINS0_14default_configENS1_22reduce_config_selectorImEEZNS1_11reduce_implILb1ES3_N6thrust23THRUST_200600_302600_NS6detail15normal_iteratorINS8_10device_ptrImEEEEPmm11plus_mod_10ImEEE10hipError_tPvRmT1_T2_T3_mT4_P12ihipStream_tbEUlT_E1_NS1_11comp_targetILNS1_3genE2ELNS1_11target_archE906ELNS1_3gpuE6ELNS1_3repE0EEENS1_30default_config_static_selectorELNS0_4arch9wavefront6targetE1EEEvSK_,comdat
.Lfunc_end580:
	.size	_ZN7rocprim17ROCPRIM_400000_NS6detail17trampoline_kernelINS0_14default_configENS1_22reduce_config_selectorImEEZNS1_11reduce_implILb1ES3_N6thrust23THRUST_200600_302600_NS6detail15normal_iteratorINS8_10device_ptrImEEEEPmm11plus_mod_10ImEEE10hipError_tPvRmT1_T2_T3_mT4_P12ihipStream_tbEUlT_E1_NS1_11comp_targetILNS1_3genE2ELNS1_11target_archE906ELNS1_3gpuE6ELNS1_3repE0EEENS1_30default_config_static_selectorELNS0_4arch9wavefront6targetE1EEEvSK_, .Lfunc_end580-_ZN7rocprim17ROCPRIM_400000_NS6detail17trampoline_kernelINS0_14default_configENS1_22reduce_config_selectorImEEZNS1_11reduce_implILb1ES3_N6thrust23THRUST_200600_302600_NS6detail15normal_iteratorINS8_10device_ptrImEEEEPmm11plus_mod_10ImEEE10hipError_tPvRmT1_T2_T3_mT4_P12ihipStream_tbEUlT_E1_NS1_11comp_targetILNS1_3genE2ELNS1_11target_archE906ELNS1_3gpuE6ELNS1_3repE0EEENS1_30default_config_static_selectorELNS0_4arch9wavefront6targetE1EEEvSK_
                                        ; -- End function
	.set _ZN7rocprim17ROCPRIM_400000_NS6detail17trampoline_kernelINS0_14default_configENS1_22reduce_config_selectorImEEZNS1_11reduce_implILb1ES3_N6thrust23THRUST_200600_302600_NS6detail15normal_iteratorINS8_10device_ptrImEEEEPmm11plus_mod_10ImEEE10hipError_tPvRmT1_T2_T3_mT4_P12ihipStream_tbEUlT_E1_NS1_11comp_targetILNS1_3genE2ELNS1_11target_archE906ELNS1_3gpuE6ELNS1_3repE0EEENS1_30default_config_static_selectorELNS0_4arch9wavefront6targetE1EEEvSK_.num_vgpr, 0
	.set _ZN7rocprim17ROCPRIM_400000_NS6detail17trampoline_kernelINS0_14default_configENS1_22reduce_config_selectorImEEZNS1_11reduce_implILb1ES3_N6thrust23THRUST_200600_302600_NS6detail15normal_iteratorINS8_10device_ptrImEEEEPmm11plus_mod_10ImEEE10hipError_tPvRmT1_T2_T3_mT4_P12ihipStream_tbEUlT_E1_NS1_11comp_targetILNS1_3genE2ELNS1_11target_archE906ELNS1_3gpuE6ELNS1_3repE0EEENS1_30default_config_static_selectorELNS0_4arch9wavefront6targetE1EEEvSK_.num_agpr, 0
	.set _ZN7rocprim17ROCPRIM_400000_NS6detail17trampoline_kernelINS0_14default_configENS1_22reduce_config_selectorImEEZNS1_11reduce_implILb1ES3_N6thrust23THRUST_200600_302600_NS6detail15normal_iteratorINS8_10device_ptrImEEEEPmm11plus_mod_10ImEEE10hipError_tPvRmT1_T2_T3_mT4_P12ihipStream_tbEUlT_E1_NS1_11comp_targetILNS1_3genE2ELNS1_11target_archE906ELNS1_3gpuE6ELNS1_3repE0EEENS1_30default_config_static_selectorELNS0_4arch9wavefront6targetE1EEEvSK_.numbered_sgpr, 0
	.set _ZN7rocprim17ROCPRIM_400000_NS6detail17trampoline_kernelINS0_14default_configENS1_22reduce_config_selectorImEEZNS1_11reduce_implILb1ES3_N6thrust23THRUST_200600_302600_NS6detail15normal_iteratorINS8_10device_ptrImEEEEPmm11plus_mod_10ImEEE10hipError_tPvRmT1_T2_T3_mT4_P12ihipStream_tbEUlT_E1_NS1_11comp_targetILNS1_3genE2ELNS1_11target_archE906ELNS1_3gpuE6ELNS1_3repE0EEENS1_30default_config_static_selectorELNS0_4arch9wavefront6targetE1EEEvSK_.num_named_barrier, 0
	.set _ZN7rocprim17ROCPRIM_400000_NS6detail17trampoline_kernelINS0_14default_configENS1_22reduce_config_selectorImEEZNS1_11reduce_implILb1ES3_N6thrust23THRUST_200600_302600_NS6detail15normal_iteratorINS8_10device_ptrImEEEEPmm11plus_mod_10ImEEE10hipError_tPvRmT1_T2_T3_mT4_P12ihipStream_tbEUlT_E1_NS1_11comp_targetILNS1_3genE2ELNS1_11target_archE906ELNS1_3gpuE6ELNS1_3repE0EEENS1_30default_config_static_selectorELNS0_4arch9wavefront6targetE1EEEvSK_.private_seg_size, 0
	.set _ZN7rocprim17ROCPRIM_400000_NS6detail17trampoline_kernelINS0_14default_configENS1_22reduce_config_selectorImEEZNS1_11reduce_implILb1ES3_N6thrust23THRUST_200600_302600_NS6detail15normal_iteratorINS8_10device_ptrImEEEEPmm11plus_mod_10ImEEE10hipError_tPvRmT1_T2_T3_mT4_P12ihipStream_tbEUlT_E1_NS1_11comp_targetILNS1_3genE2ELNS1_11target_archE906ELNS1_3gpuE6ELNS1_3repE0EEENS1_30default_config_static_selectorELNS0_4arch9wavefront6targetE1EEEvSK_.uses_vcc, 0
	.set _ZN7rocprim17ROCPRIM_400000_NS6detail17trampoline_kernelINS0_14default_configENS1_22reduce_config_selectorImEEZNS1_11reduce_implILb1ES3_N6thrust23THRUST_200600_302600_NS6detail15normal_iteratorINS8_10device_ptrImEEEEPmm11plus_mod_10ImEEE10hipError_tPvRmT1_T2_T3_mT4_P12ihipStream_tbEUlT_E1_NS1_11comp_targetILNS1_3genE2ELNS1_11target_archE906ELNS1_3gpuE6ELNS1_3repE0EEENS1_30default_config_static_selectorELNS0_4arch9wavefront6targetE1EEEvSK_.uses_flat_scratch, 0
	.set _ZN7rocprim17ROCPRIM_400000_NS6detail17trampoline_kernelINS0_14default_configENS1_22reduce_config_selectorImEEZNS1_11reduce_implILb1ES3_N6thrust23THRUST_200600_302600_NS6detail15normal_iteratorINS8_10device_ptrImEEEEPmm11plus_mod_10ImEEE10hipError_tPvRmT1_T2_T3_mT4_P12ihipStream_tbEUlT_E1_NS1_11comp_targetILNS1_3genE2ELNS1_11target_archE906ELNS1_3gpuE6ELNS1_3repE0EEENS1_30default_config_static_selectorELNS0_4arch9wavefront6targetE1EEEvSK_.has_dyn_sized_stack, 0
	.set _ZN7rocprim17ROCPRIM_400000_NS6detail17trampoline_kernelINS0_14default_configENS1_22reduce_config_selectorImEEZNS1_11reduce_implILb1ES3_N6thrust23THRUST_200600_302600_NS6detail15normal_iteratorINS8_10device_ptrImEEEEPmm11plus_mod_10ImEEE10hipError_tPvRmT1_T2_T3_mT4_P12ihipStream_tbEUlT_E1_NS1_11comp_targetILNS1_3genE2ELNS1_11target_archE906ELNS1_3gpuE6ELNS1_3repE0EEENS1_30default_config_static_selectorELNS0_4arch9wavefront6targetE1EEEvSK_.has_recursion, 0
	.set _ZN7rocprim17ROCPRIM_400000_NS6detail17trampoline_kernelINS0_14default_configENS1_22reduce_config_selectorImEEZNS1_11reduce_implILb1ES3_N6thrust23THRUST_200600_302600_NS6detail15normal_iteratorINS8_10device_ptrImEEEEPmm11plus_mod_10ImEEE10hipError_tPvRmT1_T2_T3_mT4_P12ihipStream_tbEUlT_E1_NS1_11comp_targetILNS1_3genE2ELNS1_11target_archE906ELNS1_3gpuE6ELNS1_3repE0EEENS1_30default_config_static_selectorELNS0_4arch9wavefront6targetE1EEEvSK_.has_indirect_call, 0
	.section	.AMDGPU.csdata,"",@progbits
; Kernel info:
; codeLenInByte = 0
; TotalNumSgprs: 6
; NumVgprs: 0
; NumAgprs: 0
; TotalNumVgprs: 0
; ScratchSize: 0
; MemoryBound: 0
; FloatMode: 240
; IeeeMode: 1
; LDSByteSize: 0 bytes/workgroup (compile time only)
; SGPRBlocks: 0
; VGPRBlocks: 0
; NumSGPRsForWavesPerEU: 6
; NumVGPRsForWavesPerEU: 1
; AccumOffset: 4
; Occupancy: 8
; WaveLimiterHint : 0
; COMPUTE_PGM_RSRC2:SCRATCH_EN: 0
; COMPUTE_PGM_RSRC2:USER_SGPR: 2
; COMPUTE_PGM_RSRC2:TRAP_HANDLER: 0
; COMPUTE_PGM_RSRC2:TGID_X_EN: 1
; COMPUTE_PGM_RSRC2:TGID_Y_EN: 0
; COMPUTE_PGM_RSRC2:TGID_Z_EN: 0
; COMPUTE_PGM_RSRC2:TIDIG_COMP_CNT: 0
; COMPUTE_PGM_RSRC3_GFX90A:ACCUM_OFFSET: 0
; COMPUTE_PGM_RSRC3_GFX90A:TG_SPLIT: 0
	.section	.text._ZN7rocprim17ROCPRIM_400000_NS6detail17trampoline_kernelINS0_14default_configENS1_22reduce_config_selectorImEEZNS1_11reduce_implILb1ES3_N6thrust23THRUST_200600_302600_NS6detail15normal_iteratorINS8_10device_ptrImEEEEPmm11plus_mod_10ImEEE10hipError_tPvRmT1_T2_T3_mT4_P12ihipStream_tbEUlT_E1_NS1_11comp_targetILNS1_3genE10ELNS1_11target_archE1201ELNS1_3gpuE5ELNS1_3repE0EEENS1_30default_config_static_selectorELNS0_4arch9wavefront6targetE1EEEvSK_,"axG",@progbits,_ZN7rocprim17ROCPRIM_400000_NS6detail17trampoline_kernelINS0_14default_configENS1_22reduce_config_selectorImEEZNS1_11reduce_implILb1ES3_N6thrust23THRUST_200600_302600_NS6detail15normal_iteratorINS8_10device_ptrImEEEEPmm11plus_mod_10ImEEE10hipError_tPvRmT1_T2_T3_mT4_P12ihipStream_tbEUlT_E1_NS1_11comp_targetILNS1_3genE10ELNS1_11target_archE1201ELNS1_3gpuE5ELNS1_3repE0EEENS1_30default_config_static_selectorELNS0_4arch9wavefront6targetE1EEEvSK_,comdat
	.protected	_ZN7rocprim17ROCPRIM_400000_NS6detail17trampoline_kernelINS0_14default_configENS1_22reduce_config_selectorImEEZNS1_11reduce_implILb1ES3_N6thrust23THRUST_200600_302600_NS6detail15normal_iteratorINS8_10device_ptrImEEEEPmm11plus_mod_10ImEEE10hipError_tPvRmT1_T2_T3_mT4_P12ihipStream_tbEUlT_E1_NS1_11comp_targetILNS1_3genE10ELNS1_11target_archE1201ELNS1_3gpuE5ELNS1_3repE0EEENS1_30default_config_static_selectorELNS0_4arch9wavefront6targetE1EEEvSK_ ; -- Begin function _ZN7rocprim17ROCPRIM_400000_NS6detail17trampoline_kernelINS0_14default_configENS1_22reduce_config_selectorImEEZNS1_11reduce_implILb1ES3_N6thrust23THRUST_200600_302600_NS6detail15normal_iteratorINS8_10device_ptrImEEEEPmm11plus_mod_10ImEEE10hipError_tPvRmT1_T2_T3_mT4_P12ihipStream_tbEUlT_E1_NS1_11comp_targetILNS1_3genE10ELNS1_11target_archE1201ELNS1_3gpuE5ELNS1_3repE0EEENS1_30default_config_static_selectorELNS0_4arch9wavefront6targetE1EEEvSK_
	.globl	_ZN7rocprim17ROCPRIM_400000_NS6detail17trampoline_kernelINS0_14default_configENS1_22reduce_config_selectorImEEZNS1_11reduce_implILb1ES3_N6thrust23THRUST_200600_302600_NS6detail15normal_iteratorINS8_10device_ptrImEEEEPmm11plus_mod_10ImEEE10hipError_tPvRmT1_T2_T3_mT4_P12ihipStream_tbEUlT_E1_NS1_11comp_targetILNS1_3genE10ELNS1_11target_archE1201ELNS1_3gpuE5ELNS1_3repE0EEENS1_30default_config_static_selectorELNS0_4arch9wavefront6targetE1EEEvSK_
	.p2align	8
	.type	_ZN7rocprim17ROCPRIM_400000_NS6detail17trampoline_kernelINS0_14default_configENS1_22reduce_config_selectorImEEZNS1_11reduce_implILb1ES3_N6thrust23THRUST_200600_302600_NS6detail15normal_iteratorINS8_10device_ptrImEEEEPmm11plus_mod_10ImEEE10hipError_tPvRmT1_T2_T3_mT4_P12ihipStream_tbEUlT_E1_NS1_11comp_targetILNS1_3genE10ELNS1_11target_archE1201ELNS1_3gpuE5ELNS1_3repE0EEENS1_30default_config_static_selectorELNS0_4arch9wavefront6targetE1EEEvSK_,@function
_ZN7rocprim17ROCPRIM_400000_NS6detail17trampoline_kernelINS0_14default_configENS1_22reduce_config_selectorImEEZNS1_11reduce_implILb1ES3_N6thrust23THRUST_200600_302600_NS6detail15normal_iteratorINS8_10device_ptrImEEEEPmm11plus_mod_10ImEEE10hipError_tPvRmT1_T2_T3_mT4_P12ihipStream_tbEUlT_E1_NS1_11comp_targetILNS1_3genE10ELNS1_11target_archE1201ELNS1_3gpuE5ELNS1_3repE0EEENS1_30default_config_static_selectorELNS0_4arch9wavefront6targetE1EEEvSK_: ; @_ZN7rocprim17ROCPRIM_400000_NS6detail17trampoline_kernelINS0_14default_configENS1_22reduce_config_selectorImEEZNS1_11reduce_implILb1ES3_N6thrust23THRUST_200600_302600_NS6detail15normal_iteratorINS8_10device_ptrImEEEEPmm11plus_mod_10ImEEE10hipError_tPvRmT1_T2_T3_mT4_P12ihipStream_tbEUlT_E1_NS1_11comp_targetILNS1_3genE10ELNS1_11target_archE1201ELNS1_3gpuE5ELNS1_3repE0EEENS1_30default_config_static_selectorELNS0_4arch9wavefront6targetE1EEEvSK_
; %bb.0:
	.section	.rodata,"a",@progbits
	.p2align	6, 0x0
	.amdhsa_kernel _ZN7rocprim17ROCPRIM_400000_NS6detail17trampoline_kernelINS0_14default_configENS1_22reduce_config_selectorImEEZNS1_11reduce_implILb1ES3_N6thrust23THRUST_200600_302600_NS6detail15normal_iteratorINS8_10device_ptrImEEEEPmm11plus_mod_10ImEEE10hipError_tPvRmT1_T2_T3_mT4_P12ihipStream_tbEUlT_E1_NS1_11comp_targetILNS1_3genE10ELNS1_11target_archE1201ELNS1_3gpuE5ELNS1_3repE0EEENS1_30default_config_static_selectorELNS0_4arch9wavefront6targetE1EEEvSK_
		.amdhsa_group_segment_fixed_size 0
		.amdhsa_private_segment_fixed_size 0
		.amdhsa_kernarg_size 48
		.amdhsa_user_sgpr_count 2
		.amdhsa_user_sgpr_dispatch_ptr 0
		.amdhsa_user_sgpr_queue_ptr 0
		.amdhsa_user_sgpr_kernarg_segment_ptr 1
		.amdhsa_user_sgpr_dispatch_id 0
		.amdhsa_user_sgpr_kernarg_preload_length 0
		.amdhsa_user_sgpr_kernarg_preload_offset 0
		.amdhsa_user_sgpr_private_segment_size 0
		.amdhsa_uses_dynamic_stack 0
		.amdhsa_enable_private_segment 0
		.amdhsa_system_sgpr_workgroup_id_x 1
		.amdhsa_system_sgpr_workgroup_id_y 0
		.amdhsa_system_sgpr_workgroup_id_z 0
		.amdhsa_system_sgpr_workgroup_info 0
		.amdhsa_system_vgpr_workitem_id 0
		.amdhsa_next_free_vgpr 1
		.amdhsa_next_free_sgpr 0
		.amdhsa_accum_offset 4
		.amdhsa_reserve_vcc 0
		.amdhsa_float_round_mode_32 0
		.amdhsa_float_round_mode_16_64 0
		.amdhsa_float_denorm_mode_32 3
		.amdhsa_float_denorm_mode_16_64 3
		.amdhsa_dx10_clamp 1
		.amdhsa_ieee_mode 1
		.amdhsa_fp16_overflow 0
		.amdhsa_tg_split 0
		.amdhsa_exception_fp_ieee_invalid_op 0
		.amdhsa_exception_fp_denorm_src 0
		.amdhsa_exception_fp_ieee_div_zero 0
		.amdhsa_exception_fp_ieee_overflow 0
		.amdhsa_exception_fp_ieee_underflow 0
		.amdhsa_exception_fp_ieee_inexact 0
		.amdhsa_exception_int_div_zero 0
	.end_amdhsa_kernel
	.section	.text._ZN7rocprim17ROCPRIM_400000_NS6detail17trampoline_kernelINS0_14default_configENS1_22reduce_config_selectorImEEZNS1_11reduce_implILb1ES3_N6thrust23THRUST_200600_302600_NS6detail15normal_iteratorINS8_10device_ptrImEEEEPmm11plus_mod_10ImEEE10hipError_tPvRmT1_T2_T3_mT4_P12ihipStream_tbEUlT_E1_NS1_11comp_targetILNS1_3genE10ELNS1_11target_archE1201ELNS1_3gpuE5ELNS1_3repE0EEENS1_30default_config_static_selectorELNS0_4arch9wavefront6targetE1EEEvSK_,"axG",@progbits,_ZN7rocprim17ROCPRIM_400000_NS6detail17trampoline_kernelINS0_14default_configENS1_22reduce_config_selectorImEEZNS1_11reduce_implILb1ES3_N6thrust23THRUST_200600_302600_NS6detail15normal_iteratorINS8_10device_ptrImEEEEPmm11plus_mod_10ImEEE10hipError_tPvRmT1_T2_T3_mT4_P12ihipStream_tbEUlT_E1_NS1_11comp_targetILNS1_3genE10ELNS1_11target_archE1201ELNS1_3gpuE5ELNS1_3repE0EEENS1_30default_config_static_selectorELNS0_4arch9wavefront6targetE1EEEvSK_,comdat
.Lfunc_end581:
	.size	_ZN7rocprim17ROCPRIM_400000_NS6detail17trampoline_kernelINS0_14default_configENS1_22reduce_config_selectorImEEZNS1_11reduce_implILb1ES3_N6thrust23THRUST_200600_302600_NS6detail15normal_iteratorINS8_10device_ptrImEEEEPmm11plus_mod_10ImEEE10hipError_tPvRmT1_T2_T3_mT4_P12ihipStream_tbEUlT_E1_NS1_11comp_targetILNS1_3genE10ELNS1_11target_archE1201ELNS1_3gpuE5ELNS1_3repE0EEENS1_30default_config_static_selectorELNS0_4arch9wavefront6targetE1EEEvSK_, .Lfunc_end581-_ZN7rocprim17ROCPRIM_400000_NS6detail17trampoline_kernelINS0_14default_configENS1_22reduce_config_selectorImEEZNS1_11reduce_implILb1ES3_N6thrust23THRUST_200600_302600_NS6detail15normal_iteratorINS8_10device_ptrImEEEEPmm11plus_mod_10ImEEE10hipError_tPvRmT1_T2_T3_mT4_P12ihipStream_tbEUlT_E1_NS1_11comp_targetILNS1_3genE10ELNS1_11target_archE1201ELNS1_3gpuE5ELNS1_3repE0EEENS1_30default_config_static_selectorELNS0_4arch9wavefront6targetE1EEEvSK_
                                        ; -- End function
	.set _ZN7rocprim17ROCPRIM_400000_NS6detail17trampoline_kernelINS0_14default_configENS1_22reduce_config_selectorImEEZNS1_11reduce_implILb1ES3_N6thrust23THRUST_200600_302600_NS6detail15normal_iteratorINS8_10device_ptrImEEEEPmm11plus_mod_10ImEEE10hipError_tPvRmT1_T2_T3_mT4_P12ihipStream_tbEUlT_E1_NS1_11comp_targetILNS1_3genE10ELNS1_11target_archE1201ELNS1_3gpuE5ELNS1_3repE0EEENS1_30default_config_static_selectorELNS0_4arch9wavefront6targetE1EEEvSK_.num_vgpr, 0
	.set _ZN7rocprim17ROCPRIM_400000_NS6detail17trampoline_kernelINS0_14default_configENS1_22reduce_config_selectorImEEZNS1_11reduce_implILb1ES3_N6thrust23THRUST_200600_302600_NS6detail15normal_iteratorINS8_10device_ptrImEEEEPmm11plus_mod_10ImEEE10hipError_tPvRmT1_T2_T3_mT4_P12ihipStream_tbEUlT_E1_NS1_11comp_targetILNS1_3genE10ELNS1_11target_archE1201ELNS1_3gpuE5ELNS1_3repE0EEENS1_30default_config_static_selectorELNS0_4arch9wavefront6targetE1EEEvSK_.num_agpr, 0
	.set _ZN7rocprim17ROCPRIM_400000_NS6detail17trampoline_kernelINS0_14default_configENS1_22reduce_config_selectorImEEZNS1_11reduce_implILb1ES3_N6thrust23THRUST_200600_302600_NS6detail15normal_iteratorINS8_10device_ptrImEEEEPmm11plus_mod_10ImEEE10hipError_tPvRmT1_T2_T3_mT4_P12ihipStream_tbEUlT_E1_NS1_11comp_targetILNS1_3genE10ELNS1_11target_archE1201ELNS1_3gpuE5ELNS1_3repE0EEENS1_30default_config_static_selectorELNS0_4arch9wavefront6targetE1EEEvSK_.numbered_sgpr, 0
	.set _ZN7rocprim17ROCPRIM_400000_NS6detail17trampoline_kernelINS0_14default_configENS1_22reduce_config_selectorImEEZNS1_11reduce_implILb1ES3_N6thrust23THRUST_200600_302600_NS6detail15normal_iteratorINS8_10device_ptrImEEEEPmm11plus_mod_10ImEEE10hipError_tPvRmT1_T2_T3_mT4_P12ihipStream_tbEUlT_E1_NS1_11comp_targetILNS1_3genE10ELNS1_11target_archE1201ELNS1_3gpuE5ELNS1_3repE0EEENS1_30default_config_static_selectorELNS0_4arch9wavefront6targetE1EEEvSK_.num_named_barrier, 0
	.set _ZN7rocprim17ROCPRIM_400000_NS6detail17trampoline_kernelINS0_14default_configENS1_22reduce_config_selectorImEEZNS1_11reduce_implILb1ES3_N6thrust23THRUST_200600_302600_NS6detail15normal_iteratorINS8_10device_ptrImEEEEPmm11plus_mod_10ImEEE10hipError_tPvRmT1_T2_T3_mT4_P12ihipStream_tbEUlT_E1_NS1_11comp_targetILNS1_3genE10ELNS1_11target_archE1201ELNS1_3gpuE5ELNS1_3repE0EEENS1_30default_config_static_selectorELNS0_4arch9wavefront6targetE1EEEvSK_.private_seg_size, 0
	.set _ZN7rocprim17ROCPRIM_400000_NS6detail17trampoline_kernelINS0_14default_configENS1_22reduce_config_selectorImEEZNS1_11reduce_implILb1ES3_N6thrust23THRUST_200600_302600_NS6detail15normal_iteratorINS8_10device_ptrImEEEEPmm11plus_mod_10ImEEE10hipError_tPvRmT1_T2_T3_mT4_P12ihipStream_tbEUlT_E1_NS1_11comp_targetILNS1_3genE10ELNS1_11target_archE1201ELNS1_3gpuE5ELNS1_3repE0EEENS1_30default_config_static_selectorELNS0_4arch9wavefront6targetE1EEEvSK_.uses_vcc, 0
	.set _ZN7rocprim17ROCPRIM_400000_NS6detail17trampoline_kernelINS0_14default_configENS1_22reduce_config_selectorImEEZNS1_11reduce_implILb1ES3_N6thrust23THRUST_200600_302600_NS6detail15normal_iteratorINS8_10device_ptrImEEEEPmm11plus_mod_10ImEEE10hipError_tPvRmT1_T2_T3_mT4_P12ihipStream_tbEUlT_E1_NS1_11comp_targetILNS1_3genE10ELNS1_11target_archE1201ELNS1_3gpuE5ELNS1_3repE0EEENS1_30default_config_static_selectorELNS0_4arch9wavefront6targetE1EEEvSK_.uses_flat_scratch, 0
	.set _ZN7rocprim17ROCPRIM_400000_NS6detail17trampoline_kernelINS0_14default_configENS1_22reduce_config_selectorImEEZNS1_11reduce_implILb1ES3_N6thrust23THRUST_200600_302600_NS6detail15normal_iteratorINS8_10device_ptrImEEEEPmm11plus_mod_10ImEEE10hipError_tPvRmT1_T2_T3_mT4_P12ihipStream_tbEUlT_E1_NS1_11comp_targetILNS1_3genE10ELNS1_11target_archE1201ELNS1_3gpuE5ELNS1_3repE0EEENS1_30default_config_static_selectorELNS0_4arch9wavefront6targetE1EEEvSK_.has_dyn_sized_stack, 0
	.set _ZN7rocprim17ROCPRIM_400000_NS6detail17trampoline_kernelINS0_14default_configENS1_22reduce_config_selectorImEEZNS1_11reduce_implILb1ES3_N6thrust23THRUST_200600_302600_NS6detail15normal_iteratorINS8_10device_ptrImEEEEPmm11plus_mod_10ImEEE10hipError_tPvRmT1_T2_T3_mT4_P12ihipStream_tbEUlT_E1_NS1_11comp_targetILNS1_3genE10ELNS1_11target_archE1201ELNS1_3gpuE5ELNS1_3repE0EEENS1_30default_config_static_selectorELNS0_4arch9wavefront6targetE1EEEvSK_.has_recursion, 0
	.set _ZN7rocprim17ROCPRIM_400000_NS6detail17trampoline_kernelINS0_14default_configENS1_22reduce_config_selectorImEEZNS1_11reduce_implILb1ES3_N6thrust23THRUST_200600_302600_NS6detail15normal_iteratorINS8_10device_ptrImEEEEPmm11plus_mod_10ImEEE10hipError_tPvRmT1_T2_T3_mT4_P12ihipStream_tbEUlT_E1_NS1_11comp_targetILNS1_3genE10ELNS1_11target_archE1201ELNS1_3gpuE5ELNS1_3repE0EEENS1_30default_config_static_selectorELNS0_4arch9wavefront6targetE1EEEvSK_.has_indirect_call, 0
	.section	.AMDGPU.csdata,"",@progbits
; Kernel info:
; codeLenInByte = 0
; TotalNumSgprs: 6
; NumVgprs: 0
; NumAgprs: 0
; TotalNumVgprs: 0
; ScratchSize: 0
; MemoryBound: 0
; FloatMode: 240
; IeeeMode: 1
; LDSByteSize: 0 bytes/workgroup (compile time only)
; SGPRBlocks: 0
; VGPRBlocks: 0
; NumSGPRsForWavesPerEU: 6
; NumVGPRsForWavesPerEU: 1
; AccumOffset: 4
; Occupancy: 8
; WaveLimiterHint : 0
; COMPUTE_PGM_RSRC2:SCRATCH_EN: 0
; COMPUTE_PGM_RSRC2:USER_SGPR: 2
; COMPUTE_PGM_RSRC2:TRAP_HANDLER: 0
; COMPUTE_PGM_RSRC2:TGID_X_EN: 1
; COMPUTE_PGM_RSRC2:TGID_Y_EN: 0
; COMPUTE_PGM_RSRC2:TGID_Z_EN: 0
; COMPUTE_PGM_RSRC2:TIDIG_COMP_CNT: 0
; COMPUTE_PGM_RSRC3_GFX90A:ACCUM_OFFSET: 0
; COMPUTE_PGM_RSRC3_GFX90A:TG_SPLIT: 0
	.section	.text._ZN7rocprim17ROCPRIM_400000_NS6detail17trampoline_kernelINS0_14default_configENS1_22reduce_config_selectorImEEZNS1_11reduce_implILb1ES3_N6thrust23THRUST_200600_302600_NS6detail15normal_iteratorINS8_10device_ptrImEEEEPmm11plus_mod_10ImEEE10hipError_tPvRmT1_T2_T3_mT4_P12ihipStream_tbEUlT_E1_NS1_11comp_targetILNS1_3genE10ELNS1_11target_archE1200ELNS1_3gpuE4ELNS1_3repE0EEENS1_30default_config_static_selectorELNS0_4arch9wavefront6targetE1EEEvSK_,"axG",@progbits,_ZN7rocprim17ROCPRIM_400000_NS6detail17trampoline_kernelINS0_14default_configENS1_22reduce_config_selectorImEEZNS1_11reduce_implILb1ES3_N6thrust23THRUST_200600_302600_NS6detail15normal_iteratorINS8_10device_ptrImEEEEPmm11plus_mod_10ImEEE10hipError_tPvRmT1_T2_T3_mT4_P12ihipStream_tbEUlT_E1_NS1_11comp_targetILNS1_3genE10ELNS1_11target_archE1200ELNS1_3gpuE4ELNS1_3repE0EEENS1_30default_config_static_selectorELNS0_4arch9wavefront6targetE1EEEvSK_,comdat
	.protected	_ZN7rocprim17ROCPRIM_400000_NS6detail17trampoline_kernelINS0_14default_configENS1_22reduce_config_selectorImEEZNS1_11reduce_implILb1ES3_N6thrust23THRUST_200600_302600_NS6detail15normal_iteratorINS8_10device_ptrImEEEEPmm11plus_mod_10ImEEE10hipError_tPvRmT1_T2_T3_mT4_P12ihipStream_tbEUlT_E1_NS1_11comp_targetILNS1_3genE10ELNS1_11target_archE1200ELNS1_3gpuE4ELNS1_3repE0EEENS1_30default_config_static_selectorELNS0_4arch9wavefront6targetE1EEEvSK_ ; -- Begin function _ZN7rocprim17ROCPRIM_400000_NS6detail17trampoline_kernelINS0_14default_configENS1_22reduce_config_selectorImEEZNS1_11reduce_implILb1ES3_N6thrust23THRUST_200600_302600_NS6detail15normal_iteratorINS8_10device_ptrImEEEEPmm11plus_mod_10ImEEE10hipError_tPvRmT1_T2_T3_mT4_P12ihipStream_tbEUlT_E1_NS1_11comp_targetILNS1_3genE10ELNS1_11target_archE1200ELNS1_3gpuE4ELNS1_3repE0EEENS1_30default_config_static_selectorELNS0_4arch9wavefront6targetE1EEEvSK_
	.globl	_ZN7rocprim17ROCPRIM_400000_NS6detail17trampoline_kernelINS0_14default_configENS1_22reduce_config_selectorImEEZNS1_11reduce_implILb1ES3_N6thrust23THRUST_200600_302600_NS6detail15normal_iteratorINS8_10device_ptrImEEEEPmm11plus_mod_10ImEEE10hipError_tPvRmT1_T2_T3_mT4_P12ihipStream_tbEUlT_E1_NS1_11comp_targetILNS1_3genE10ELNS1_11target_archE1200ELNS1_3gpuE4ELNS1_3repE0EEENS1_30default_config_static_selectorELNS0_4arch9wavefront6targetE1EEEvSK_
	.p2align	8
	.type	_ZN7rocprim17ROCPRIM_400000_NS6detail17trampoline_kernelINS0_14default_configENS1_22reduce_config_selectorImEEZNS1_11reduce_implILb1ES3_N6thrust23THRUST_200600_302600_NS6detail15normal_iteratorINS8_10device_ptrImEEEEPmm11plus_mod_10ImEEE10hipError_tPvRmT1_T2_T3_mT4_P12ihipStream_tbEUlT_E1_NS1_11comp_targetILNS1_3genE10ELNS1_11target_archE1200ELNS1_3gpuE4ELNS1_3repE0EEENS1_30default_config_static_selectorELNS0_4arch9wavefront6targetE1EEEvSK_,@function
_ZN7rocprim17ROCPRIM_400000_NS6detail17trampoline_kernelINS0_14default_configENS1_22reduce_config_selectorImEEZNS1_11reduce_implILb1ES3_N6thrust23THRUST_200600_302600_NS6detail15normal_iteratorINS8_10device_ptrImEEEEPmm11plus_mod_10ImEEE10hipError_tPvRmT1_T2_T3_mT4_P12ihipStream_tbEUlT_E1_NS1_11comp_targetILNS1_3genE10ELNS1_11target_archE1200ELNS1_3gpuE4ELNS1_3repE0EEENS1_30default_config_static_selectorELNS0_4arch9wavefront6targetE1EEEvSK_: ; @_ZN7rocprim17ROCPRIM_400000_NS6detail17trampoline_kernelINS0_14default_configENS1_22reduce_config_selectorImEEZNS1_11reduce_implILb1ES3_N6thrust23THRUST_200600_302600_NS6detail15normal_iteratorINS8_10device_ptrImEEEEPmm11plus_mod_10ImEEE10hipError_tPvRmT1_T2_T3_mT4_P12ihipStream_tbEUlT_E1_NS1_11comp_targetILNS1_3genE10ELNS1_11target_archE1200ELNS1_3gpuE4ELNS1_3repE0EEENS1_30default_config_static_selectorELNS0_4arch9wavefront6targetE1EEEvSK_
; %bb.0:
	.section	.rodata,"a",@progbits
	.p2align	6, 0x0
	.amdhsa_kernel _ZN7rocprim17ROCPRIM_400000_NS6detail17trampoline_kernelINS0_14default_configENS1_22reduce_config_selectorImEEZNS1_11reduce_implILb1ES3_N6thrust23THRUST_200600_302600_NS6detail15normal_iteratorINS8_10device_ptrImEEEEPmm11plus_mod_10ImEEE10hipError_tPvRmT1_T2_T3_mT4_P12ihipStream_tbEUlT_E1_NS1_11comp_targetILNS1_3genE10ELNS1_11target_archE1200ELNS1_3gpuE4ELNS1_3repE0EEENS1_30default_config_static_selectorELNS0_4arch9wavefront6targetE1EEEvSK_
		.amdhsa_group_segment_fixed_size 0
		.amdhsa_private_segment_fixed_size 0
		.amdhsa_kernarg_size 48
		.amdhsa_user_sgpr_count 2
		.amdhsa_user_sgpr_dispatch_ptr 0
		.amdhsa_user_sgpr_queue_ptr 0
		.amdhsa_user_sgpr_kernarg_segment_ptr 1
		.amdhsa_user_sgpr_dispatch_id 0
		.amdhsa_user_sgpr_kernarg_preload_length 0
		.amdhsa_user_sgpr_kernarg_preload_offset 0
		.amdhsa_user_sgpr_private_segment_size 0
		.amdhsa_uses_dynamic_stack 0
		.amdhsa_enable_private_segment 0
		.amdhsa_system_sgpr_workgroup_id_x 1
		.amdhsa_system_sgpr_workgroup_id_y 0
		.amdhsa_system_sgpr_workgroup_id_z 0
		.amdhsa_system_sgpr_workgroup_info 0
		.amdhsa_system_vgpr_workitem_id 0
		.amdhsa_next_free_vgpr 1
		.amdhsa_next_free_sgpr 0
		.amdhsa_accum_offset 4
		.amdhsa_reserve_vcc 0
		.amdhsa_float_round_mode_32 0
		.amdhsa_float_round_mode_16_64 0
		.amdhsa_float_denorm_mode_32 3
		.amdhsa_float_denorm_mode_16_64 3
		.amdhsa_dx10_clamp 1
		.amdhsa_ieee_mode 1
		.amdhsa_fp16_overflow 0
		.amdhsa_tg_split 0
		.amdhsa_exception_fp_ieee_invalid_op 0
		.amdhsa_exception_fp_denorm_src 0
		.amdhsa_exception_fp_ieee_div_zero 0
		.amdhsa_exception_fp_ieee_overflow 0
		.amdhsa_exception_fp_ieee_underflow 0
		.amdhsa_exception_fp_ieee_inexact 0
		.amdhsa_exception_int_div_zero 0
	.end_amdhsa_kernel
	.section	.text._ZN7rocprim17ROCPRIM_400000_NS6detail17trampoline_kernelINS0_14default_configENS1_22reduce_config_selectorImEEZNS1_11reduce_implILb1ES3_N6thrust23THRUST_200600_302600_NS6detail15normal_iteratorINS8_10device_ptrImEEEEPmm11plus_mod_10ImEEE10hipError_tPvRmT1_T2_T3_mT4_P12ihipStream_tbEUlT_E1_NS1_11comp_targetILNS1_3genE10ELNS1_11target_archE1200ELNS1_3gpuE4ELNS1_3repE0EEENS1_30default_config_static_selectorELNS0_4arch9wavefront6targetE1EEEvSK_,"axG",@progbits,_ZN7rocprim17ROCPRIM_400000_NS6detail17trampoline_kernelINS0_14default_configENS1_22reduce_config_selectorImEEZNS1_11reduce_implILb1ES3_N6thrust23THRUST_200600_302600_NS6detail15normal_iteratorINS8_10device_ptrImEEEEPmm11plus_mod_10ImEEE10hipError_tPvRmT1_T2_T3_mT4_P12ihipStream_tbEUlT_E1_NS1_11comp_targetILNS1_3genE10ELNS1_11target_archE1200ELNS1_3gpuE4ELNS1_3repE0EEENS1_30default_config_static_selectorELNS0_4arch9wavefront6targetE1EEEvSK_,comdat
.Lfunc_end582:
	.size	_ZN7rocprim17ROCPRIM_400000_NS6detail17trampoline_kernelINS0_14default_configENS1_22reduce_config_selectorImEEZNS1_11reduce_implILb1ES3_N6thrust23THRUST_200600_302600_NS6detail15normal_iteratorINS8_10device_ptrImEEEEPmm11plus_mod_10ImEEE10hipError_tPvRmT1_T2_T3_mT4_P12ihipStream_tbEUlT_E1_NS1_11comp_targetILNS1_3genE10ELNS1_11target_archE1200ELNS1_3gpuE4ELNS1_3repE0EEENS1_30default_config_static_selectorELNS0_4arch9wavefront6targetE1EEEvSK_, .Lfunc_end582-_ZN7rocprim17ROCPRIM_400000_NS6detail17trampoline_kernelINS0_14default_configENS1_22reduce_config_selectorImEEZNS1_11reduce_implILb1ES3_N6thrust23THRUST_200600_302600_NS6detail15normal_iteratorINS8_10device_ptrImEEEEPmm11plus_mod_10ImEEE10hipError_tPvRmT1_T2_T3_mT4_P12ihipStream_tbEUlT_E1_NS1_11comp_targetILNS1_3genE10ELNS1_11target_archE1200ELNS1_3gpuE4ELNS1_3repE0EEENS1_30default_config_static_selectorELNS0_4arch9wavefront6targetE1EEEvSK_
                                        ; -- End function
	.set _ZN7rocprim17ROCPRIM_400000_NS6detail17trampoline_kernelINS0_14default_configENS1_22reduce_config_selectorImEEZNS1_11reduce_implILb1ES3_N6thrust23THRUST_200600_302600_NS6detail15normal_iteratorINS8_10device_ptrImEEEEPmm11plus_mod_10ImEEE10hipError_tPvRmT1_T2_T3_mT4_P12ihipStream_tbEUlT_E1_NS1_11comp_targetILNS1_3genE10ELNS1_11target_archE1200ELNS1_3gpuE4ELNS1_3repE0EEENS1_30default_config_static_selectorELNS0_4arch9wavefront6targetE1EEEvSK_.num_vgpr, 0
	.set _ZN7rocprim17ROCPRIM_400000_NS6detail17trampoline_kernelINS0_14default_configENS1_22reduce_config_selectorImEEZNS1_11reduce_implILb1ES3_N6thrust23THRUST_200600_302600_NS6detail15normal_iteratorINS8_10device_ptrImEEEEPmm11plus_mod_10ImEEE10hipError_tPvRmT1_T2_T3_mT4_P12ihipStream_tbEUlT_E1_NS1_11comp_targetILNS1_3genE10ELNS1_11target_archE1200ELNS1_3gpuE4ELNS1_3repE0EEENS1_30default_config_static_selectorELNS0_4arch9wavefront6targetE1EEEvSK_.num_agpr, 0
	.set _ZN7rocprim17ROCPRIM_400000_NS6detail17trampoline_kernelINS0_14default_configENS1_22reduce_config_selectorImEEZNS1_11reduce_implILb1ES3_N6thrust23THRUST_200600_302600_NS6detail15normal_iteratorINS8_10device_ptrImEEEEPmm11plus_mod_10ImEEE10hipError_tPvRmT1_T2_T3_mT4_P12ihipStream_tbEUlT_E1_NS1_11comp_targetILNS1_3genE10ELNS1_11target_archE1200ELNS1_3gpuE4ELNS1_3repE0EEENS1_30default_config_static_selectorELNS0_4arch9wavefront6targetE1EEEvSK_.numbered_sgpr, 0
	.set _ZN7rocprim17ROCPRIM_400000_NS6detail17trampoline_kernelINS0_14default_configENS1_22reduce_config_selectorImEEZNS1_11reduce_implILb1ES3_N6thrust23THRUST_200600_302600_NS6detail15normal_iteratorINS8_10device_ptrImEEEEPmm11plus_mod_10ImEEE10hipError_tPvRmT1_T2_T3_mT4_P12ihipStream_tbEUlT_E1_NS1_11comp_targetILNS1_3genE10ELNS1_11target_archE1200ELNS1_3gpuE4ELNS1_3repE0EEENS1_30default_config_static_selectorELNS0_4arch9wavefront6targetE1EEEvSK_.num_named_barrier, 0
	.set _ZN7rocprim17ROCPRIM_400000_NS6detail17trampoline_kernelINS0_14default_configENS1_22reduce_config_selectorImEEZNS1_11reduce_implILb1ES3_N6thrust23THRUST_200600_302600_NS6detail15normal_iteratorINS8_10device_ptrImEEEEPmm11plus_mod_10ImEEE10hipError_tPvRmT1_T2_T3_mT4_P12ihipStream_tbEUlT_E1_NS1_11comp_targetILNS1_3genE10ELNS1_11target_archE1200ELNS1_3gpuE4ELNS1_3repE0EEENS1_30default_config_static_selectorELNS0_4arch9wavefront6targetE1EEEvSK_.private_seg_size, 0
	.set _ZN7rocprim17ROCPRIM_400000_NS6detail17trampoline_kernelINS0_14default_configENS1_22reduce_config_selectorImEEZNS1_11reduce_implILb1ES3_N6thrust23THRUST_200600_302600_NS6detail15normal_iteratorINS8_10device_ptrImEEEEPmm11plus_mod_10ImEEE10hipError_tPvRmT1_T2_T3_mT4_P12ihipStream_tbEUlT_E1_NS1_11comp_targetILNS1_3genE10ELNS1_11target_archE1200ELNS1_3gpuE4ELNS1_3repE0EEENS1_30default_config_static_selectorELNS0_4arch9wavefront6targetE1EEEvSK_.uses_vcc, 0
	.set _ZN7rocprim17ROCPRIM_400000_NS6detail17trampoline_kernelINS0_14default_configENS1_22reduce_config_selectorImEEZNS1_11reduce_implILb1ES3_N6thrust23THRUST_200600_302600_NS6detail15normal_iteratorINS8_10device_ptrImEEEEPmm11plus_mod_10ImEEE10hipError_tPvRmT1_T2_T3_mT4_P12ihipStream_tbEUlT_E1_NS1_11comp_targetILNS1_3genE10ELNS1_11target_archE1200ELNS1_3gpuE4ELNS1_3repE0EEENS1_30default_config_static_selectorELNS0_4arch9wavefront6targetE1EEEvSK_.uses_flat_scratch, 0
	.set _ZN7rocprim17ROCPRIM_400000_NS6detail17trampoline_kernelINS0_14default_configENS1_22reduce_config_selectorImEEZNS1_11reduce_implILb1ES3_N6thrust23THRUST_200600_302600_NS6detail15normal_iteratorINS8_10device_ptrImEEEEPmm11plus_mod_10ImEEE10hipError_tPvRmT1_T2_T3_mT4_P12ihipStream_tbEUlT_E1_NS1_11comp_targetILNS1_3genE10ELNS1_11target_archE1200ELNS1_3gpuE4ELNS1_3repE0EEENS1_30default_config_static_selectorELNS0_4arch9wavefront6targetE1EEEvSK_.has_dyn_sized_stack, 0
	.set _ZN7rocprim17ROCPRIM_400000_NS6detail17trampoline_kernelINS0_14default_configENS1_22reduce_config_selectorImEEZNS1_11reduce_implILb1ES3_N6thrust23THRUST_200600_302600_NS6detail15normal_iteratorINS8_10device_ptrImEEEEPmm11plus_mod_10ImEEE10hipError_tPvRmT1_T2_T3_mT4_P12ihipStream_tbEUlT_E1_NS1_11comp_targetILNS1_3genE10ELNS1_11target_archE1200ELNS1_3gpuE4ELNS1_3repE0EEENS1_30default_config_static_selectorELNS0_4arch9wavefront6targetE1EEEvSK_.has_recursion, 0
	.set _ZN7rocprim17ROCPRIM_400000_NS6detail17trampoline_kernelINS0_14default_configENS1_22reduce_config_selectorImEEZNS1_11reduce_implILb1ES3_N6thrust23THRUST_200600_302600_NS6detail15normal_iteratorINS8_10device_ptrImEEEEPmm11plus_mod_10ImEEE10hipError_tPvRmT1_T2_T3_mT4_P12ihipStream_tbEUlT_E1_NS1_11comp_targetILNS1_3genE10ELNS1_11target_archE1200ELNS1_3gpuE4ELNS1_3repE0EEENS1_30default_config_static_selectorELNS0_4arch9wavefront6targetE1EEEvSK_.has_indirect_call, 0
	.section	.AMDGPU.csdata,"",@progbits
; Kernel info:
; codeLenInByte = 0
; TotalNumSgprs: 6
; NumVgprs: 0
; NumAgprs: 0
; TotalNumVgprs: 0
; ScratchSize: 0
; MemoryBound: 0
; FloatMode: 240
; IeeeMode: 1
; LDSByteSize: 0 bytes/workgroup (compile time only)
; SGPRBlocks: 0
; VGPRBlocks: 0
; NumSGPRsForWavesPerEU: 6
; NumVGPRsForWavesPerEU: 1
; AccumOffset: 4
; Occupancy: 8
; WaveLimiterHint : 0
; COMPUTE_PGM_RSRC2:SCRATCH_EN: 0
; COMPUTE_PGM_RSRC2:USER_SGPR: 2
; COMPUTE_PGM_RSRC2:TRAP_HANDLER: 0
; COMPUTE_PGM_RSRC2:TGID_X_EN: 1
; COMPUTE_PGM_RSRC2:TGID_Y_EN: 0
; COMPUTE_PGM_RSRC2:TGID_Z_EN: 0
; COMPUTE_PGM_RSRC2:TIDIG_COMP_CNT: 0
; COMPUTE_PGM_RSRC3_GFX90A:ACCUM_OFFSET: 0
; COMPUTE_PGM_RSRC3_GFX90A:TG_SPLIT: 0
	.section	.text._ZN7rocprim17ROCPRIM_400000_NS6detail17trampoline_kernelINS0_14default_configENS1_22reduce_config_selectorImEEZNS1_11reduce_implILb1ES3_N6thrust23THRUST_200600_302600_NS6detail15normal_iteratorINS8_10device_ptrImEEEEPmm11plus_mod_10ImEEE10hipError_tPvRmT1_T2_T3_mT4_P12ihipStream_tbEUlT_E1_NS1_11comp_targetILNS1_3genE9ELNS1_11target_archE1100ELNS1_3gpuE3ELNS1_3repE0EEENS1_30default_config_static_selectorELNS0_4arch9wavefront6targetE1EEEvSK_,"axG",@progbits,_ZN7rocprim17ROCPRIM_400000_NS6detail17trampoline_kernelINS0_14default_configENS1_22reduce_config_selectorImEEZNS1_11reduce_implILb1ES3_N6thrust23THRUST_200600_302600_NS6detail15normal_iteratorINS8_10device_ptrImEEEEPmm11plus_mod_10ImEEE10hipError_tPvRmT1_T2_T3_mT4_P12ihipStream_tbEUlT_E1_NS1_11comp_targetILNS1_3genE9ELNS1_11target_archE1100ELNS1_3gpuE3ELNS1_3repE0EEENS1_30default_config_static_selectorELNS0_4arch9wavefront6targetE1EEEvSK_,comdat
	.protected	_ZN7rocprim17ROCPRIM_400000_NS6detail17trampoline_kernelINS0_14default_configENS1_22reduce_config_selectorImEEZNS1_11reduce_implILb1ES3_N6thrust23THRUST_200600_302600_NS6detail15normal_iteratorINS8_10device_ptrImEEEEPmm11plus_mod_10ImEEE10hipError_tPvRmT1_T2_T3_mT4_P12ihipStream_tbEUlT_E1_NS1_11comp_targetILNS1_3genE9ELNS1_11target_archE1100ELNS1_3gpuE3ELNS1_3repE0EEENS1_30default_config_static_selectorELNS0_4arch9wavefront6targetE1EEEvSK_ ; -- Begin function _ZN7rocprim17ROCPRIM_400000_NS6detail17trampoline_kernelINS0_14default_configENS1_22reduce_config_selectorImEEZNS1_11reduce_implILb1ES3_N6thrust23THRUST_200600_302600_NS6detail15normal_iteratorINS8_10device_ptrImEEEEPmm11plus_mod_10ImEEE10hipError_tPvRmT1_T2_T3_mT4_P12ihipStream_tbEUlT_E1_NS1_11comp_targetILNS1_3genE9ELNS1_11target_archE1100ELNS1_3gpuE3ELNS1_3repE0EEENS1_30default_config_static_selectorELNS0_4arch9wavefront6targetE1EEEvSK_
	.globl	_ZN7rocprim17ROCPRIM_400000_NS6detail17trampoline_kernelINS0_14default_configENS1_22reduce_config_selectorImEEZNS1_11reduce_implILb1ES3_N6thrust23THRUST_200600_302600_NS6detail15normal_iteratorINS8_10device_ptrImEEEEPmm11plus_mod_10ImEEE10hipError_tPvRmT1_T2_T3_mT4_P12ihipStream_tbEUlT_E1_NS1_11comp_targetILNS1_3genE9ELNS1_11target_archE1100ELNS1_3gpuE3ELNS1_3repE0EEENS1_30default_config_static_selectorELNS0_4arch9wavefront6targetE1EEEvSK_
	.p2align	8
	.type	_ZN7rocprim17ROCPRIM_400000_NS6detail17trampoline_kernelINS0_14default_configENS1_22reduce_config_selectorImEEZNS1_11reduce_implILb1ES3_N6thrust23THRUST_200600_302600_NS6detail15normal_iteratorINS8_10device_ptrImEEEEPmm11plus_mod_10ImEEE10hipError_tPvRmT1_T2_T3_mT4_P12ihipStream_tbEUlT_E1_NS1_11comp_targetILNS1_3genE9ELNS1_11target_archE1100ELNS1_3gpuE3ELNS1_3repE0EEENS1_30default_config_static_selectorELNS0_4arch9wavefront6targetE1EEEvSK_,@function
_ZN7rocprim17ROCPRIM_400000_NS6detail17trampoline_kernelINS0_14default_configENS1_22reduce_config_selectorImEEZNS1_11reduce_implILb1ES3_N6thrust23THRUST_200600_302600_NS6detail15normal_iteratorINS8_10device_ptrImEEEEPmm11plus_mod_10ImEEE10hipError_tPvRmT1_T2_T3_mT4_P12ihipStream_tbEUlT_E1_NS1_11comp_targetILNS1_3genE9ELNS1_11target_archE1100ELNS1_3gpuE3ELNS1_3repE0EEENS1_30default_config_static_selectorELNS0_4arch9wavefront6targetE1EEEvSK_: ; @_ZN7rocprim17ROCPRIM_400000_NS6detail17trampoline_kernelINS0_14default_configENS1_22reduce_config_selectorImEEZNS1_11reduce_implILb1ES3_N6thrust23THRUST_200600_302600_NS6detail15normal_iteratorINS8_10device_ptrImEEEEPmm11plus_mod_10ImEEE10hipError_tPvRmT1_T2_T3_mT4_P12ihipStream_tbEUlT_E1_NS1_11comp_targetILNS1_3genE9ELNS1_11target_archE1100ELNS1_3gpuE3ELNS1_3repE0EEENS1_30default_config_static_selectorELNS0_4arch9wavefront6targetE1EEEvSK_
; %bb.0:
	.section	.rodata,"a",@progbits
	.p2align	6, 0x0
	.amdhsa_kernel _ZN7rocprim17ROCPRIM_400000_NS6detail17trampoline_kernelINS0_14default_configENS1_22reduce_config_selectorImEEZNS1_11reduce_implILb1ES3_N6thrust23THRUST_200600_302600_NS6detail15normal_iteratorINS8_10device_ptrImEEEEPmm11plus_mod_10ImEEE10hipError_tPvRmT1_T2_T3_mT4_P12ihipStream_tbEUlT_E1_NS1_11comp_targetILNS1_3genE9ELNS1_11target_archE1100ELNS1_3gpuE3ELNS1_3repE0EEENS1_30default_config_static_selectorELNS0_4arch9wavefront6targetE1EEEvSK_
		.amdhsa_group_segment_fixed_size 0
		.amdhsa_private_segment_fixed_size 0
		.amdhsa_kernarg_size 48
		.amdhsa_user_sgpr_count 2
		.amdhsa_user_sgpr_dispatch_ptr 0
		.amdhsa_user_sgpr_queue_ptr 0
		.amdhsa_user_sgpr_kernarg_segment_ptr 1
		.amdhsa_user_sgpr_dispatch_id 0
		.amdhsa_user_sgpr_kernarg_preload_length 0
		.amdhsa_user_sgpr_kernarg_preload_offset 0
		.amdhsa_user_sgpr_private_segment_size 0
		.amdhsa_uses_dynamic_stack 0
		.amdhsa_enable_private_segment 0
		.amdhsa_system_sgpr_workgroup_id_x 1
		.amdhsa_system_sgpr_workgroup_id_y 0
		.amdhsa_system_sgpr_workgroup_id_z 0
		.amdhsa_system_sgpr_workgroup_info 0
		.amdhsa_system_vgpr_workitem_id 0
		.amdhsa_next_free_vgpr 1
		.amdhsa_next_free_sgpr 0
		.amdhsa_accum_offset 4
		.amdhsa_reserve_vcc 0
		.amdhsa_float_round_mode_32 0
		.amdhsa_float_round_mode_16_64 0
		.amdhsa_float_denorm_mode_32 3
		.amdhsa_float_denorm_mode_16_64 3
		.amdhsa_dx10_clamp 1
		.amdhsa_ieee_mode 1
		.amdhsa_fp16_overflow 0
		.amdhsa_tg_split 0
		.amdhsa_exception_fp_ieee_invalid_op 0
		.amdhsa_exception_fp_denorm_src 0
		.amdhsa_exception_fp_ieee_div_zero 0
		.amdhsa_exception_fp_ieee_overflow 0
		.amdhsa_exception_fp_ieee_underflow 0
		.amdhsa_exception_fp_ieee_inexact 0
		.amdhsa_exception_int_div_zero 0
	.end_amdhsa_kernel
	.section	.text._ZN7rocprim17ROCPRIM_400000_NS6detail17trampoline_kernelINS0_14default_configENS1_22reduce_config_selectorImEEZNS1_11reduce_implILb1ES3_N6thrust23THRUST_200600_302600_NS6detail15normal_iteratorINS8_10device_ptrImEEEEPmm11plus_mod_10ImEEE10hipError_tPvRmT1_T2_T3_mT4_P12ihipStream_tbEUlT_E1_NS1_11comp_targetILNS1_3genE9ELNS1_11target_archE1100ELNS1_3gpuE3ELNS1_3repE0EEENS1_30default_config_static_selectorELNS0_4arch9wavefront6targetE1EEEvSK_,"axG",@progbits,_ZN7rocprim17ROCPRIM_400000_NS6detail17trampoline_kernelINS0_14default_configENS1_22reduce_config_selectorImEEZNS1_11reduce_implILb1ES3_N6thrust23THRUST_200600_302600_NS6detail15normal_iteratorINS8_10device_ptrImEEEEPmm11plus_mod_10ImEEE10hipError_tPvRmT1_T2_T3_mT4_P12ihipStream_tbEUlT_E1_NS1_11comp_targetILNS1_3genE9ELNS1_11target_archE1100ELNS1_3gpuE3ELNS1_3repE0EEENS1_30default_config_static_selectorELNS0_4arch9wavefront6targetE1EEEvSK_,comdat
.Lfunc_end583:
	.size	_ZN7rocprim17ROCPRIM_400000_NS6detail17trampoline_kernelINS0_14default_configENS1_22reduce_config_selectorImEEZNS1_11reduce_implILb1ES3_N6thrust23THRUST_200600_302600_NS6detail15normal_iteratorINS8_10device_ptrImEEEEPmm11plus_mod_10ImEEE10hipError_tPvRmT1_T2_T3_mT4_P12ihipStream_tbEUlT_E1_NS1_11comp_targetILNS1_3genE9ELNS1_11target_archE1100ELNS1_3gpuE3ELNS1_3repE0EEENS1_30default_config_static_selectorELNS0_4arch9wavefront6targetE1EEEvSK_, .Lfunc_end583-_ZN7rocprim17ROCPRIM_400000_NS6detail17trampoline_kernelINS0_14default_configENS1_22reduce_config_selectorImEEZNS1_11reduce_implILb1ES3_N6thrust23THRUST_200600_302600_NS6detail15normal_iteratorINS8_10device_ptrImEEEEPmm11plus_mod_10ImEEE10hipError_tPvRmT1_T2_T3_mT4_P12ihipStream_tbEUlT_E1_NS1_11comp_targetILNS1_3genE9ELNS1_11target_archE1100ELNS1_3gpuE3ELNS1_3repE0EEENS1_30default_config_static_selectorELNS0_4arch9wavefront6targetE1EEEvSK_
                                        ; -- End function
	.set _ZN7rocprim17ROCPRIM_400000_NS6detail17trampoline_kernelINS0_14default_configENS1_22reduce_config_selectorImEEZNS1_11reduce_implILb1ES3_N6thrust23THRUST_200600_302600_NS6detail15normal_iteratorINS8_10device_ptrImEEEEPmm11plus_mod_10ImEEE10hipError_tPvRmT1_T2_T3_mT4_P12ihipStream_tbEUlT_E1_NS1_11comp_targetILNS1_3genE9ELNS1_11target_archE1100ELNS1_3gpuE3ELNS1_3repE0EEENS1_30default_config_static_selectorELNS0_4arch9wavefront6targetE1EEEvSK_.num_vgpr, 0
	.set _ZN7rocprim17ROCPRIM_400000_NS6detail17trampoline_kernelINS0_14default_configENS1_22reduce_config_selectorImEEZNS1_11reduce_implILb1ES3_N6thrust23THRUST_200600_302600_NS6detail15normal_iteratorINS8_10device_ptrImEEEEPmm11plus_mod_10ImEEE10hipError_tPvRmT1_T2_T3_mT4_P12ihipStream_tbEUlT_E1_NS1_11comp_targetILNS1_3genE9ELNS1_11target_archE1100ELNS1_3gpuE3ELNS1_3repE0EEENS1_30default_config_static_selectorELNS0_4arch9wavefront6targetE1EEEvSK_.num_agpr, 0
	.set _ZN7rocprim17ROCPRIM_400000_NS6detail17trampoline_kernelINS0_14default_configENS1_22reduce_config_selectorImEEZNS1_11reduce_implILb1ES3_N6thrust23THRUST_200600_302600_NS6detail15normal_iteratorINS8_10device_ptrImEEEEPmm11plus_mod_10ImEEE10hipError_tPvRmT1_T2_T3_mT4_P12ihipStream_tbEUlT_E1_NS1_11comp_targetILNS1_3genE9ELNS1_11target_archE1100ELNS1_3gpuE3ELNS1_3repE0EEENS1_30default_config_static_selectorELNS0_4arch9wavefront6targetE1EEEvSK_.numbered_sgpr, 0
	.set _ZN7rocprim17ROCPRIM_400000_NS6detail17trampoline_kernelINS0_14default_configENS1_22reduce_config_selectorImEEZNS1_11reduce_implILb1ES3_N6thrust23THRUST_200600_302600_NS6detail15normal_iteratorINS8_10device_ptrImEEEEPmm11plus_mod_10ImEEE10hipError_tPvRmT1_T2_T3_mT4_P12ihipStream_tbEUlT_E1_NS1_11comp_targetILNS1_3genE9ELNS1_11target_archE1100ELNS1_3gpuE3ELNS1_3repE0EEENS1_30default_config_static_selectorELNS0_4arch9wavefront6targetE1EEEvSK_.num_named_barrier, 0
	.set _ZN7rocprim17ROCPRIM_400000_NS6detail17trampoline_kernelINS0_14default_configENS1_22reduce_config_selectorImEEZNS1_11reduce_implILb1ES3_N6thrust23THRUST_200600_302600_NS6detail15normal_iteratorINS8_10device_ptrImEEEEPmm11plus_mod_10ImEEE10hipError_tPvRmT1_T2_T3_mT4_P12ihipStream_tbEUlT_E1_NS1_11comp_targetILNS1_3genE9ELNS1_11target_archE1100ELNS1_3gpuE3ELNS1_3repE0EEENS1_30default_config_static_selectorELNS0_4arch9wavefront6targetE1EEEvSK_.private_seg_size, 0
	.set _ZN7rocprim17ROCPRIM_400000_NS6detail17trampoline_kernelINS0_14default_configENS1_22reduce_config_selectorImEEZNS1_11reduce_implILb1ES3_N6thrust23THRUST_200600_302600_NS6detail15normal_iteratorINS8_10device_ptrImEEEEPmm11plus_mod_10ImEEE10hipError_tPvRmT1_T2_T3_mT4_P12ihipStream_tbEUlT_E1_NS1_11comp_targetILNS1_3genE9ELNS1_11target_archE1100ELNS1_3gpuE3ELNS1_3repE0EEENS1_30default_config_static_selectorELNS0_4arch9wavefront6targetE1EEEvSK_.uses_vcc, 0
	.set _ZN7rocprim17ROCPRIM_400000_NS6detail17trampoline_kernelINS0_14default_configENS1_22reduce_config_selectorImEEZNS1_11reduce_implILb1ES3_N6thrust23THRUST_200600_302600_NS6detail15normal_iteratorINS8_10device_ptrImEEEEPmm11plus_mod_10ImEEE10hipError_tPvRmT1_T2_T3_mT4_P12ihipStream_tbEUlT_E1_NS1_11comp_targetILNS1_3genE9ELNS1_11target_archE1100ELNS1_3gpuE3ELNS1_3repE0EEENS1_30default_config_static_selectorELNS0_4arch9wavefront6targetE1EEEvSK_.uses_flat_scratch, 0
	.set _ZN7rocprim17ROCPRIM_400000_NS6detail17trampoline_kernelINS0_14default_configENS1_22reduce_config_selectorImEEZNS1_11reduce_implILb1ES3_N6thrust23THRUST_200600_302600_NS6detail15normal_iteratorINS8_10device_ptrImEEEEPmm11plus_mod_10ImEEE10hipError_tPvRmT1_T2_T3_mT4_P12ihipStream_tbEUlT_E1_NS1_11comp_targetILNS1_3genE9ELNS1_11target_archE1100ELNS1_3gpuE3ELNS1_3repE0EEENS1_30default_config_static_selectorELNS0_4arch9wavefront6targetE1EEEvSK_.has_dyn_sized_stack, 0
	.set _ZN7rocprim17ROCPRIM_400000_NS6detail17trampoline_kernelINS0_14default_configENS1_22reduce_config_selectorImEEZNS1_11reduce_implILb1ES3_N6thrust23THRUST_200600_302600_NS6detail15normal_iteratorINS8_10device_ptrImEEEEPmm11plus_mod_10ImEEE10hipError_tPvRmT1_T2_T3_mT4_P12ihipStream_tbEUlT_E1_NS1_11comp_targetILNS1_3genE9ELNS1_11target_archE1100ELNS1_3gpuE3ELNS1_3repE0EEENS1_30default_config_static_selectorELNS0_4arch9wavefront6targetE1EEEvSK_.has_recursion, 0
	.set _ZN7rocprim17ROCPRIM_400000_NS6detail17trampoline_kernelINS0_14default_configENS1_22reduce_config_selectorImEEZNS1_11reduce_implILb1ES3_N6thrust23THRUST_200600_302600_NS6detail15normal_iteratorINS8_10device_ptrImEEEEPmm11plus_mod_10ImEEE10hipError_tPvRmT1_T2_T3_mT4_P12ihipStream_tbEUlT_E1_NS1_11comp_targetILNS1_3genE9ELNS1_11target_archE1100ELNS1_3gpuE3ELNS1_3repE0EEENS1_30default_config_static_selectorELNS0_4arch9wavefront6targetE1EEEvSK_.has_indirect_call, 0
	.section	.AMDGPU.csdata,"",@progbits
; Kernel info:
; codeLenInByte = 0
; TotalNumSgprs: 6
; NumVgprs: 0
; NumAgprs: 0
; TotalNumVgprs: 0
; ScratchSize: 0
; MemoryBound: 0
; FloatMode: 240
; IeeeMode: 1
; LDSByteSize: 0 bytes/workgroup (compile time only)
; SGPRBlocks: 0
; VGPRBlocks: 0
; NumSGPRsForWavesPerEU: 6
; NumVGPRsForWavesPerEU: 1
; AccumOffset: 4
; Occupancy: 8
; WaveLimiterHint : 0
; COMPUTE_PGM_RSRC2:SCRATCH_EN: 0
; COMPUTE_PGM_RSRC2:USER_SGPR: 2
; COMPUTE_PGM_RSRC2:TRAP_HANDLER: 0
; COMPUTE_PGM_RSRC2:TGID_X_EN: 1
; COMPUTE_PGM_RSRC2:TGID_Y_EN: 0
; COMPUTE_PGM_RSRC2:TGID_Z_EN: 0
; COMPUTE_PGM_RSRC2:TIDIG_COMP_CNT: 0
; COMPUTE_PGM_RSRC3_GFX90A:ACCUM_OFFSET: 0
; COMPUTE_PGM_RSRC3_GFX90A:TG_SPLIT: 0
	.section	.text._ZN7rocprim17ROCPRIM_400000_NS6detail17trampoline_kernelINS0_14default_configENS1_22reduce_config_selectorImEEZNS1_11reduce_implILb1ES3_N6thrust23THRUST_200600_302600_NS6detail15normal_iteratorINS8_10device_ptrImEEEEPmm11plus_mod_10ImEEE10hipError_tPvRmT1_T2_T3_mT4_P12ihipStream_tbEUlT_E1_NS1_11comp_targetILNS1_3genE8ELNS1_11target_archE1030ELNS1_3gpuE2ELNS1_3repE0EEENS1_30default_config_static_selectorELNS0_4arch9wavefront6targetE1EEEvSK_,"axG",@progbits,_ZN7rocprim17ROCPRIM_400000_NS6detail17trampoline_kernelINS0_14default_configENS1_22reduce_config_selectorImEEZNS1_11reduce_implILb1ES3_N6thrust23THRUST_200600_302600_NS6detail15normal_iteratorINS8_10device_ptrImEEEEPmm11plus_mod_10ImEEE10hipError_tPvRmT1_T2_T3_mT4_P12ihipStream_tbEUlT_E1_NS1_11comp_targetILNS1_3genE8ELNS1_11target_archE1030ELNS1_3gpuE2ELNS1_3repE0EEENS1_30default_config_static_selectorELNS0_4arch9wavefront6targetE1EEEvSK_,comdat
	.protected	_ZN7rocprim17ROCPRIM_400000_NS6detail17trampoline_kernelINS0_14default_configENS1_22reduce_config_selectorImEEZNS1_11reduce_implILb1ES3_N6thrust23THRUST_200600_302600_NS6detail15normal_iteratorINS8_10device_ptrImEEEEPmm11plus_mod_10ImEEE10hipError_tPvRmT1_T2_T3_mT4_P12ihipStream_tbEUlT_E1_NS1_11comp_targetILNS1_3genE8ELNS1_11target_archE1030ELNS1_3gpuE2ELNS1_3repE0EEENS1_30default_config_static_selectorELNS0_4arch9wavefront6targetE1EEEvSK_ ; -- Begin function _ZN7rocprim17ROCPRIM_400000_NS6detail17trampoline_kernelINS0_14default_configENS1_22reduce_config_selectorImEEZNS1_11reduce_implILb1ES3_N6thrust23THRUST_200600_302600_NS6detail15normal_iteratorINS8_10device_ptrImEEEEPmm11plus_mod_10ImEEE10hipError_tPvRmT1_T2_T3_mT4_P12ihipStream_tbEUlT_E1_NS1_11comp_targetILNS1_3genE8ELNS1_11target_archE1030ELNS1_3gpuE2ELNS1_3repE0EEENS1_30default_config_static_selectorELNS0_4arch9wavefront6targetE1EEEvSK_
	.globl	_ZN7rocprim17ROCPRIM_400000_NS6detail17trampoline_kernelINS0_14default_configENS1_22reduce_config_selectorImEEZNS1_11reduce_implILb1ES3_N6thrust23THRUST_200600_302600_NS6detail15normal_iteratorINS8_10device_ptrImEEEEPmm11plus_mod_10ImEEE10hipError_tPvRmT1_T2_T3_mT4_P12ihipStream_tbEUlT_E1_NS1_11comp_targetILNS1_3genE8ELNS1_11target_archE1030ELNS1_3gpuE2ELNS1_3repE0EEENS1_30default_config_static_selectorELNS0_4arch9wavefront6targetE1EEEvSK_
	.p2align	8
	.type	_ZN7rocprim17ROCPRIM_400000_NS6detail17trampoline_kernelINS0_14default_configENS1_22reduce_config_selectorImEEZNS1_11reduce_implILb1ES3_N6thrust23THRUST_200600_302600_NS6detail15normal_iteratorINS8_10device_ptrImEEEEPmm11plus_mod_10ImEEE10hipError_tPvRmT1_T2_T3_mT4_P12ihipStream_tbEUlT_E1_NS1_11comp_targetILNS1_3genE8ELNS1_11target_archE1030ELNS1_3gpuE2ELNS1_3repE0EEENS1_30default_config_static_selectorELNS0_4arch9wavefront6targetE1EEEvSK_,@function
_ZN7rocprim17ROCPRIM_400000_NS6detail17trampoline_kernelINS0_14default_configENS1_22reduce_config_selectorImEEZNS1_11reduce_implILb1ES3_N6thrust23THRUST_200600_302600_NS6detail15normal_iteratorINS8_10device_ptrImEEEEPmm11plus_mod_10ImEEE10hipError_tPvRmT1_T2_T3_mT4_P12ihipStream_tbEUlT_E1_NS1_11comp_targetILNS1_3genE8ELNS1_11target_archE1030ELNS1_3gpuE2ELNS1_3repE0EEENS1_30default_config_static_selectorELNS0_4arch9wavefront6targetE1EEEvSK_: ; @_ZN7rocprim17ROCPRIM_400000_NS6detail17trampoline_kernelINS0_14default_configENS1_22reduce_config_selectorImEEZNS1_11reduce_implILb1ES3_N6thrust23THRUST_200600_302600_NS6detail15normal_iteratorINS8_10device_ptrImEEEEPmm11plus_mod_10ImEEE10hipError_tPvRmT1_T2_T3_mT4_P12ihipStream_tbEUlT_E1_NS1_11comp_targetILNS1_3genE8ELNS1_11target_archE1030ELNS1_3gpuE2ELNS1_3repE0EEENS1_30default_config_static_selectorELNS0_4arch9wavefront6targetE1EEEvSK_
; %bb.0:
	.section	.rodata,"a",@progbits
	.p2align	6, 0x0
	.amdhsa_kernel _ZN7rocprim17ROCPRIM_400000_NS6detail17trampoline_kernelINS0_14default_configENS1_22reduce_config_selectorImEEZNS1_11reduce_implILb1ES3_N6thrust23THRUST_200600_302600_NS6detail15normal_iteratorINS8_10device_ptrImEEEEPmm11plus_mod_10ImEEE10hipError_tPvRmT1_T2_T3_mT4_P12ihipStream_tbEUlT_E1_NS1_11comp_targetILNS1_3genE8ELNS1_11target_archE1030ELNS1_3gpuE2ELNS1_3repE0EEENS1_30default_config_static_selectorELNS0_4arch9wavefront6targetE1EEEvSK_
		.amdhsa_group_segment_fixed_size 0
		.amdhsa_private_segment_fixed_size 0
		.amdhsa_kernarg_size 48
		.amdhsa_user_sgpr_count 2
		.amdhsa_user_sgpr_dispatch_ptr 0
		.amdhsa_user_sgpr_queue_ptr 0
		.amdhsa_user_sgpr_kernarg_segment_ptr 1
		.amdhsa_user_sgpr_dispatch_id 0
		.amdhsa_user_sgpr_kernarg_preload_length 0
		.amdhsa_user_sgpr_kernarg_preload_offset 0
		.amdhsa_user_sgpr_private_segment_size 0
		.amdhsa_uses_dynamic_stack 0
		.amdhsa_enable_private_segment 0
		.amdhsa_system_sgpr_workgroup_id_x 1
		.amdhsa_system_sgpr_workgroup_id_y 0
		.amdhsa_system_sgpr_workgroup_id_z 0
		.amdhsa_system_sgpr_workgroup_info 0
		.amdhsa_system_vgpr_workitem_id 0
		.amdhsa_next_free_vgpr 1
		.amdhsa_next_free_sgpr 0
		.amdhsa_accum_offset 4
		.amdhsa_reserve_vcc 0
		.amdhsa_float_round_mode_32 0
		.amdhsa_float_round_mode_16_64 0
		.amdhsa_float_denorm_mode_32 3
		.amdhsa_float_denorm_mode_16_64 3
		.amdhsa_dx10_clamp 1
		.amdhsa_ieee_mode 1
		.amdhsa_fp16_overflow 0
		.amdhsa_tg_split 0
		.amdhsa_exception_fp_ieee_invalid_op 0
		.amdhsa_exception_fp_denorm_src 0
		.amdhsa_exception_fp_ieee_div_zero 0
		.amdhsa_exception_fp_ieee_overflow 0
		.amdhsa_exception_fp_ieee_underflow 0
		.amdhsa_exception_fp_ieee_inexact 0
		.amdhsa_exception_int_div_zero 0
	.end_amdhsa_kernel
	.section	.text._ZN7rocprim17ROCPRIM_400000_NS6detail17trampoline_kernelINS0_14default_configENS1_22reduce_config_selectorImEEZNS1_11reduce_implILb1ES3_N6thrust23THRUST_200600_302600_NS6detail15normal_iteratorINS8_10device_ptrImEEEEPmm11plus_mod_10ImEEE10hipError_tPvRmT1_T2_T3_mT4_P12ihipStream_tbEUlT_E1_NS1_11comp_targetILNS1_3genE8ELNS1_11target_archE1030ELNS1_3gpuE2ELNS1_3repE0EEENS1_30default_config_static_selectorELNS0_4arch9wavefront6targetE1EEEvSK_,"axG",@progbits,_ZN7rocprim17ROCPRIM_400000_NS6detail17trampoline_kernelINS0_14default_configENS1_22reduce_config_selectorImEEZNS1_11reduce_implILb1ES3_N6thrust23THRUST_200600_302600_NS6detail15normal_iteratorINS8_10device_ptrImEEEEPmm11plus_mod_10ImEEE10hipError_tPvRmT1_T2_T3_mT4_P12ihipStream_tbEUlT_E1_NS1_11comp_targetILNS1_3genE8ELNS1_11target_archE1030ELNS1_3gpuE2ELNS1_3repE0EEENS1_30default_config_static_selectorELNS0_4arch9wavefront6targetE1EEEvSK_,comdat
.Lfunc_end584:
	.size	_ZN7rocprim17ROCPRIM_400000_NS6detail17trampoline_kernelINS0_14default_configENS1_22reduce_config_selectorImEEZNS1_11reduce_implILb1ES3_N6thrust23THRUST_200600_302600_NS6detail15normal_iteratorINS8_10device_ptrImEEEEPmm11plus_mod_10ImEEE10hipError_tPvRmT1_T2_T3_mT4_P12ihipStream_tbEUlT_E1_NS1_11comp_targetILNS1_3genE8ELNS1_11target_archE1030ELNS1_3gpuE2ELNS1_3repE0EEENS1_30default_config_static_selectorELNS0_4arch9wavefront6targetE1EEEvSK_, .Lfunc_end584-_ZN7rocprim17ROCPRIM_400000_NS6detail17trampoline_kernelINS0_14default_configENS1_22reduce_config_selectorImEEZNS1_11reduce_implILb1ES3_N6thrust23THRUST_200600_302600_NS6detail15normal_iteratorINS8_10device_ptrImEEEEPmm11plus_mod_10ImEEE10hipError_tPvRmT1_T2_T3_mT4_P12ihipStream_tbEUlT_E1_NS1_11comp_targetILNS1_3genE8ELNS1_11target_archE1030ELNS1_3gpuE2ELNS1_3repE0EEENS1_30default_config_static_selectorELNS0_4arch9wavefront6targetE1EEEvSK_
                                        ; -- End function
	.set _ZN7rocprim17ROCPRIM_400000_NS6detail17trampoline_kernelINS0_14default_configENS1_22reduce_config_selectorImEEZNS1_11reduce_implILb1ES3_N6thrust23THRUST_200600_302600_NS6detail15normal_iteratorINS8_10device_ptrImEEEEPmm11plus_mod_10ImEEE10hipError_tPvRmT1_T2_T3_mT4_P12ihipStream_tbEUlT_E1_NS1_11comp_targetILNS1_3genE8ELNS1_11target_archE1030ELNS1_3gpuE2ELNS1_3repE0EEENS1_30default_config_static_selectorELNS0_4arch9wavefront6targetE1EEEvSK_.num_vgpr, 0
	.set _ZN7rocprim17ROCPRIM_400000_NS6detail17trampoline_kernelINS0_14default_configENS1_22reduce_config_selectorImEEZNS1_11reduce_implILb1ES3_N6thrust23THRUST_200600_302600_NS6detail15normal_iteratorINS8_10device_ptrImEEEEPmm11plus_mod_10ImEEE10hipError_tPvRmT1_T2_T3_mT4_P12ihipStream_tbEUlT_E1_NS1_11comp_targetILNS1_3genE8ELNS1_11target_archE1030ELNS1_3gpuE2ELNS1_3repE0EEENS1_30default_config_static_selectorELNS0_4arch9wavefront6targetE1EEEvSK_.num_agpr, 0
	.set _ZN7rocprim17ROCPRIM_400000_NS6detail17trampoline_kernelINS0_14default_configENS1_22reduce_config_selectorImEEZNS1_11reduce_implILb1ES3_N6thrust23THRUST_200600_302600_NS6detail15normal_iteratorINS8_10device_ptrImEEEEPmm11plus_mod_10ImEEE10hipError_tPvRmT1_T2_T3_mT4_P12ihipStream_tbEUlT_E1_NS1_11comp_targetILNS1_3genE8ELNS1_11target_archE1030ELNS1_3gpuE2ELNS1_3repE0EEENS1_30default_config_static_selectorELNS0_4arch9wavefront6targetE1EEEvSK_.numbered_sgpr, 0
	.set _ZN7rocprim17ROCPRIM_400000_NS6detail17trampoline_kernelINS0_14default_configENS1_22reduce_config_selectorImEEZNS1_11reduce_implILb1ES3_N6thrust23THRUST_200600_302600_NS6detail15normal_iteratorINS8_10device_ptrImEEEEPmm11plus_mod_10ImEEE10hipError_tPvRmT1_T2_T3_mT4_P12ihipStream_tbEUlT_E1_NS1_11comp_targetILNS1_3genE8ELNS1_11target_archE1030ELNS1_3gpuE2ELNS1_3repE0EEENS1_30default_config_static_selectorELNS0_4arch9wavefront6targetE1EEEvSK_.num_named_barrier, 0
	.set _ZN7rocprim17ROCPRIM_400000_NS6detail17trampoline_kernelINS0_14default_configENS1_22reduce_config_selectorImEEZNS1_11reduce_implILb1ES3_N6thrust23THRUST_200600_302600_NS6detail15normal_iteratorINS8_10device_ptrImEEEEPmm11plus_mod_10ImEEE10hipError_tPvRmT1_T2_T3_mT4_P12ihipStream_tbEUlT_E1_NS1_11comp_targetILNS1_3genE8ELNS1_11target_archE1030ELNS1_3gpuE2ELNS1_3repE0EEENS1_30default_config_static_selectorELNS0_4arch9wavefront6targetE1EEEvSK_.private_seg_size, 0
	.set _ZN7rocprim17ROCPRIM_400000_NS6detail17trampoline_kernelINS0_14default_configENS1_22reduce_config_selectorImEEZNS1_11reduce_implILb1ES3_N6thrust23THRUST_200600_302600_NS6detail15normal_iteratorINS8_10device_ptrImEEEEPmm11plus_mod_10ImEEE10hipError_tPvRmT1_T2_T3_mT4_P12ihipStream_tbEUlT_E1_NS1_11comp_targetILNS1_3genE8ELNS1_11target_archE1030ELNS1_3gpuE2ELNS1_3repE0EEENS1_30default_config_static_selectorELNS0_4arch9wavefront6targetE1EEEvSK_.uses_vcc, 0
	.set _ZN7rocprim17ROCPRIM_400000_NS6detail17trampoline_kernelINS0_14default_configENS1_22reduce_config_selectorImEEZNS1_11reduce_implILb1ES3_N6thrust23THRUST_200600_302600_NS6detail15normal_iteratorINS8_10device_ptrImEEEEPmm11plus_mod_10ImEEE10hipError_tPvRmT1_T2_T3_mT4_P12ihipStream_tbEUlT_E1_NS1_11comp_targetILNS1_3genE8ELNS1_11target_archE1030ELNS1_3gpuE2ELNS1_3repE0EEENS1_30default_config_static_selectorELNS0_4arch9wavefront6targetE1EEEvSK_.uses_flat_scratch, 0
	.set _ZN7rocprim17ROCPRIM_400000_NS6detail17trampoline_kernelINS0_14default_configENS1_22reduce_config_selectorImEEZNS1_11reduce_implILb1ES3_N6thrust23THRUST_200600_302600_NS6detail15normal_iteratorINS8_10device_ptrImEEEEPmm11plus_mod_10ImEEE10hipError_tPvRmT1_T2_T3_mT4_P12ihipStream_tbEUlT_E1_NS1_11comp_targetILNS1_3genE8ELNS1_11target_archE1030ELNS1_3gpuE2ELNS1_3repE0EEENS1_30default_config_static_selectorELNS0_4arch9wavefront6targetE1EEEvSK_.has_dyn_sized_stack, 0
	.set _ZN7rocprim17ROCPRIM_400000_NS6detail17trampoline_kernelINS0_14default_configENS1_22reduce_config_selectorImEEZNS1_11reduce_implILb1ES3_N6thrust23THRUST_200600_302600_NS6detail15normal_iteratorINS8_10device_ptrImEEEEPmm11plus_mod_10ImEEE10hipError_tPvRmT1_T2_T3_mT4_P12ihipStream_tbEUlT_E1_NS1_11comp_targetILNS1_3genE8ELNS1_11target_archE1030ELNS1_3gpuE2ELNS1_3repE0EEENS1_30default_config_static_selectorELNS0_4arch9wavefront6targetE1EEEvSK_.has_recursion, 0
	.set _ZN7rocprim17ROCPRIM_400000_NS6detail17trampoline_kernelINS0_14default_configENS1_22reduce_config_selectorImEEZNS1_11reduce_implILb1ES3_N6thrust23THRUST_200600_302600_NS6detail15normal_iteratorINS8_10device_ptrImEEEEPmm11plus_mod_10ImEEE10hipError_tPvRmT1_T2_T3_mT4_P12ihipStream_tbEUlT_E1_NS1_11comp_targetILNS1_3genE8ELNS1_11target_archE1030ELNS1_3gpuE2ELNS1_3repE0EEENS1_30default_config_static_selectorELNS0_4arch9wavefront6targetE1EEEvSK_.has_indirect_call, 0
	.section	.AMDGPU.csdata,"",@progbits
; Kernel info:
; codeLenInByte = 0
; TotalNumSgprs: 6
; NumVgprs: 0
; NumAgprs: 0
; TotalNumVgprs: 0
; ScratchSize: 0
; MemoryBound: 0
; FloatMode: 240
; IeeeMode: 1
; LDSByteSize: 0 bytes/workgroup (compile time only)
; SGPRBlocks: 0
; VGPRBlocks: 0
; NumSGPRsForWavesPerEU: 6
; NumVGPRsForWavesPerEU: 1
; AccumOffset: 4
; Occupancy: 8
; WaveLimiterHint : 0
; COMPUTE_PGM_RSRC2:SCRATCH_EN: 0
; COMPUTE_PGM_RSRC2:USER_SGPR: 2
; COMPUTE_PGM_RSRC2:TRAP_HANDLER: 0
; COMPUTE_PGM_RSRC2:TGID_X_EN: 1
; COMPUTE_PGM_RSRC2:TGID_Y_EN: 0
; COMPUTE_PGM_RSRC2:TGID_Z_EN: 0
; COMPUTE_PGM_RSRC2:TIDIG_COMP_CNT: 0
; COMPUTE_PGM_RSRC3_GFX90A:ACCUM_OFFSET: 0
; COMPUTE_PGM_RSRC3_GFX90A:TG_SPLIT: 0
	.section	.text._ZN7rocprim17ROCPRIM_400000_NS6detail17trampoline_kernelINS0_14default_configENS1_22reduce_config_selectorIjEEZNS1_11reduce_implILb1ES3_PjS7_j11plus_mod_10IjEEE10hipError_tPvRmT1_T2_T3_mT4_P12ihipStream_tbEUlT_E0_NS1_11comp_targetILNS1_3genE0ELNS1_11target_archE4294967295ELNS1_3gpuE0ELNS1_3repE0EEENS1_30default_config_static_selectorELNS0_4arch9wavefront6targetE1EEEvSD_,"axG",@progbits,_ZN7rocprim17ROCPRIM_400000_NS6detail17trampoline_kernelINS0_14default_configENS1_22reduce_config_selectorIjEEZNS1_11reduce_implILb1ES3_PjS7_j11plus_mod_10IjEEE10hipError_tPvRmT1_T2_T3_mT4_P12ihipStream_tbEUlT_E0_NS1_11comp_targetILNS1_3genE0ELNS1_11target_archE4294967295ELNS1_3gpuE0ELNS1_3repE0EEENS1_30default_config_static_selectorELNS0_4arch9wavefront6targetE1EEEvSD_,comdat
	.protected	_ZN7rocprim17ROCPRIM_400000_NS6detail17trampoline_kernelINS0_14default_configENS1_22reduce_config_selectorIjEEZNS1_11reduce_implILb1ES3_PjS7_j11plus_mod_10IjEEE10hipError_tPvRmT1_T2_T3_mT4_P12ihipStream_tbEUlT_E0_NS1_11comp_targetILNS1_3genE0ELNS1_11target_archE4294967295ELNS1_3gpuE0ELNS1_3repE0EEENS1_30default_config_static_selectorELNS0_4arch9wavefront6targetE1EEEvSD_ ; -- Begin function _ZN7rocprim17ROCPRIM_400000_NS6detail17trampoline_kernelINS0_14default_configENS1_22reduce_config_selectorIjEEZNS1_11reduce_implILb1ES3_PjS7_j11plus_mod_10IjEEE10hipError_tPvRmT1_T2_T3_mT4_P12ihipStream_tbEUlT_E0_NS1_11comp_targetILNS1_3genE0ELNS1_11target_archE4294967295ELNS1_3gpuE0ELNS1_3repE0EEENS1_30default_config_static_selectorELNS0_4arch9wavefront6targetE1EEEvSD_
	.globl	_ZN7rocprim17ROCPRIM_400000_NS6detail17trampoline_kernelINS0_14default_configENS1_22reduce_config_selectorIjEEZNS1_11reduce_implILb1ES3_PjS7_j11plus_mod_10IjEEE10hipError_tPvRmT1_T2_T3_mT4_P12ihipStream_tbEUlT_E0_NS1_11comp_targetILNS1_3genE0ELNS1_11target_archE4294967295ELNS1_3gpuE0ELNS1_3repE0EEENS1_30default_config_static_selectorELNS0_4arch9wavefront6targetE1EEEvSD_
	.p2align	8
	.type	_ZN7rocprim17ROCPRIM_400000_NS6detail17trampoline_kernelINS0_14default_configENS1_22reduce_config_selectorIjEEZNS1_11reduce_implILb1ES3_PjS7_j11plus_mod_10IjEEE10hipError_tPvRmT1_T2_T3_mT4_P12ihipStream_tbEUlT_E0_NS1_11comp_targetILNS1_3genE0ELNS1_11target_archE4294967295ELNS1_3gpuE0ELNS1_3repE0EEENS1_30default_config_static_selectorELNS0_4arch9wavefront6targetE1EEEvSD_,@function
_ZN7rocprim17ROCPRIM_400000_NS6detail17trampoline_kernelINS0_14default_configENS1_22reduce_config_selectorIjEEZNS1_11reduce_implILb1ES3_PjS7_j11plus_mod_10IjEEE10hipError_tPvRmT1_T2_T3_mT4_P12ihipStream_tbEUlT_E0_NS1_11comp_targetILNS1_3genE0ELNS1_11target_archE4294967295ELNS1_3gpuE0ELNS1_3repE0EEENS1_30default_config_static_selectorELNS0_4arch9wavefront6targetE1EEEvSD_: ; @_ZN7rocprim17ROCPRIM_400000_NS6detail17trampoline_kernelINS0_14default_configENS1_22reduce_config_selectorIjEEZNS1_11reduce_implILb1ES3_PjS7_j11plus_mod_10IjEEE10hipError_tPvRmT1_T2_T3_mT4_P12ihipStream_tbEUlT_E0_NS1_11comp_targetILNS1_3genE0ELNS1_11target_archE4294967295ELNS1_3gpuE0ELNS1_3repE0EEENS1_30default_config_static_selectorELNS0_4arch9wavefront6targetE1EEEvSD_
; %bb.0:
	s_load_dwordx8 s[4:11], s[0:1], 0x0
	s_load_dwordx4 s[12:15], s[0:1], 0x20
	v_lshlrev_b32_e32 v6, 2, v0
	v_mbcnt_lo_u32_b32 v1, -1, 0
	s_waitcnt lgkmcnt(0)
	s_lshl_b64 s[6:7], s[6:7], 2
	s_add_u32 s18, s4, s6
	s_addc_u32 s19, s5, s7
	s_lshl_b32 s4, s2, 10
	s_mov_b32 s5, 0
	s_lshr_b64 s[16:17], s[8:9], 10
	s_lshl_b64 s[6:7], s[4:5], 2
	s_add_u32 s6, s18, s6
	s_mov_b32 s3, s5
	s_addc_u32 s7, s19, s7
	s_cmp_lg_u64 s[16:17], s[2:3]
	s_cbranch_scc0 .LBB585_6
; %bb.1:
	global_load_dword v2, v6, s[6:7] offset:1024
	global_load_dword v5, v6, s[6:7]
	global_load_dword v7, v6, s[6:7] offset:2048
	global_load_dword v8, v6, s[6:7] offset:3072
	s_mov_b32 s5, 0xcccccccd
	v_mbcnt_hi_u32_b32 v3, -1, v1
	v_lshlrev_b32_e32 v4, 2, v3
	s_waitcnt vmcnt(3)
	v_mul_hi_u32 v9, v2, s5
	s_waitcnt vmcnt(2)
	v_mul_hi_u32 v10, v5, s5
	v_lshrrev_b32_e32 v9, 3, v9
	v_lshrrev_b32_e32 v10, 3, v10
	v_mul_lo_u32 v9, v9, 10
	v_mul_lo_u32 v10, v10, 10
	v_sub_u32_e32 v2, v2, v9
	v_sub_u32_e32 v5, v5, v10
	v_add_u32_e32 v2, v2, v5
	v_subrev_co_u32_e32 v5, vcc, 10, v2
	s_waitcnt vmcnt(1)
	v_mul_hi_u32 v11, v7, s5
	v_cndmask_b32_e32 v2, v5, v2, vcc
	v_mul_hi_u32 v5, v2, s5
	v_lshrrev_b32_e32 v11, 3, v11
	v_lshrrev_b32_e32 v5, 3, v5
	v_mul_lo_u32 v11, v11, 10
	v_mul_lo_u32 v5, v5, 10
	v_sub_u32_e32 v7, v7, v11
	v_sub_u32_e32 v2, v2, v5
	v_add_u32_e32 v2, v2, v7
	v_subrev_co_u32_e32 v5, vcc, 10, v2
	s_waitcnt vmcnt(0)
	v_mul_hi_u32 v12, v8, s5
	v_cndmask_b32_e32 v2, v5, v2, vcc
	v_mul_hi_u32 v5, v2, s5
	v_lshrrev_b32_e32 v12, 3, v12
	v_lshrrev_b32_e32 v5, 3, v5
	v_mul_lo_u32 v12, v12, 10
	v_mul_lo_u32 v5, v5, 10
	v_sub_u32_e32 v8, v8, v12
	v_sub_u32_e32 v2, v2, v5
	v_add_u32_e32 v2, v2, v8
	v_subrev_co_u32_e32 v5, vcc, 10, v2
	s_nop 1
	v_cndmask_b32_e32 v2, v5, v2, vcc
	v_mul_hi_u32 v7, v2, s5
	v_lshrrev_b32_e32 v7, 3, v7
	v_mov_b32_dpp v5, v2 quad_perm:[1,0,3,2] row_mask:0xf bank_mask:0xf bound_ctrl:1
	v_mul_hi_u32 v8, v5, s5
	v_mul_lo_u32 v7, v7, 10
	v_lshrrev_b32_e32 v8, 3, v8
	v_sub_u32_e32 v2, v2, v7
	v_mul_lo_u32 v7, v8, 10
	v_sub_u32_e32 v5, v5, v7
	v_add_u32_e32 v2, v2, v5
	v_subrev_co_u32_e32 v5, vcc, 10, v2
	s_nop 1
	v_cndmask_b32_e32 v2, v5, v2, vcc
	s_nop 1
	v_mov_b32_dpp v5, v2 quad_perm:[2,3,0,1] row_mask:0xf bank_mask:0xf bound_ctrl:1
	v_mul_hi_u32 v7, v5, s5
	v_lshrrev_b32_e32 v7, 3, v7
	v_mul_lo_u32 v7, v7, 10
	v_sub_u32_e32 v5, v5, v7
	v_add_u32_e32 v2, v2, v5
	v_subrev_co_u32_e32 v5, vcc, 10, v2
	s_nop 1
	v_cndmask_b32_e32 v2, v5, v2, vcc
	v_mul_hi_u32 v7, v2, s5
	v_lshrrev_b32_e32 v7, 3, v7
	v_mov_b32_dpp v5, v2 row_ror:4 row_mask:0xf bank_mask:0xf bound_ctrl:1
	v_mul_hi_u32 v8, v5, s5
	v_mul_lo_u32 v7, v7, 10
	v_lshrrev_b32_e32 v8, 3, v8
	v_sub_u32_e32 v2, v2, v7
	v_mul_lo_u32 v7, v8, 10
	v_sub_u32_e32 v5, v5, v7
	v_add_u32_e32 v2, v2, v5
	v_subrev_co_u32_e32 v5, vcc, 10, v2
	s_nop 1
	v_cndmask_b32_e32 v2, v5, v2, vcc
	v_mul_hi_u32 v7, v2, s5
	v_lshrrev_b32_e32 v7, 3, v7
	v_mov_b32_dpp v5, v2 row_ror:8 row_mask:0xf bank_mask:0xf bound_ctrl:1
	v_mul_hi_u32 v8, v5, s5
	v_mul_lo_u32 v7, v7, 10
	v_lshrrev_b32_e32 v8, 3, v8
	v_sub_u32_e32 v2, v2, v7
	v_mul_lo_u32 v7, v8, 10
	v_sub_u32_e32 v5, v5, v7
	v_add_u32_e32 v2, v2, v5
	v_subrev_co_u32_e32 v5, vcc, 10, v2
	s_nop 1
	v_cndmask_b32_e32 v2, v5, v2, vcc
	v_mul_hi_u32 v7, v2, s5
	v_lshrrev_b32_e32 v7, 3, v7
	v_mov_b32_dpp v5, v2 row_bcast:15 row_mask:0xf bank_mask:0xf bound_ctrl:1
	v_mul_hi_u32 v8, v5, s5
	v_mul_lo_u32 v7, v7, 10
	v_lshrrev_b32_e32 v8, 3, v8
	v_sub_u32_e32 v2, v2, v7
	v_mul_lo_u32 v7, v8, 10
	v_sub_u32_e32 v5, v5, v7
	v_add_u32_e32 v2, v2, v5
	v_subrev_co_u32_e32 v5, vcc, 10, v2
	s_nop 1
	v_cndmask_b32_e32 v2, v5, v2, vcc
	v_mul_hi_u32 v7, v2, s5
	v_lshrrev_b32_e32 v7, 3, v7
	v_mov_b32_dpp v5, v2 row_bcast:31 row_mask:0xf bank_mask:0xf bound_ctrl:1
	v_mul_hi_u32 v8, v5, s5
	v_mul_lo_u32 v7, v7, 10
	v_lshrrev_b32_e32 v8, 3, v8
	v_sub_u32_e32 v2, v2, v7
	v_mul_lo_u32 v7, v8, 10
	v_sub_u32_e32 v5, v5, v7
	v_add_u32_e32 v2, v2, v5
	v_subrev_co_u32_e32 v5, vcc, 10, v2
	s_nop 1
	v_cndmask_b32_e32 v2, v5, v2, vcc
	v_or_b32_e32 v5, 0xfc, v4
	ds_bpermute_b32 v2, v5, v2
	v_cmp_eq_u32_e32 vcc, 0, v3
	s_and_saveexec_b64 s[16:17], vcc
	s_cbranch_execz .LBB585_3
; %bb.2:
	v_lshrrev_b32_e32 v5, 4, v0
	v_and_b32_e32 v5, 12, v5
	s_waitcnt lgkmcnt(0)
	ds_write_b32 v5, v2 offset:16
.LBB585_3:
	s_or_b64 exec, exec, s[16:17]
	v_cmp_gt_u32_e32 vcc, 64, v0
	s_waitcnt lgkmcnt(0)
	s_barrier
	s_and_saveexec_b64 s[16:17], vcc
	s_cbranch_execz .LBB585_5
; %bb.4:
	v_and_b32_e32 v2, 3, v3
	v_lshlrev_b32_e32 v5, 2, v2
	ds_read_b32 v5, v5 offset:16
	v_cmp_ne_u32_e32 vcc, 3, v2
	s_nop 1
	v_addc_co_u32_e32 v2, vcc, 0, v3, vcc
	v_lshlrev_b32_e32 v2, 2, v2
	s_waitcnt lgkmcnt(0)
	ds_bpermute_b32 v2, v2, v5
	v_mul_hi_u32 v3, v5, s5
	v_lshrrev_b32_e32 v3, 3, v3
	v_mul_lo_u32 v3, v3, 10
	v_sub_u32_e32 v3, v5, v3
	s_waitcnt lgkmcnt(0)
	v_mul_hi_u32 v7, v2, s5
	v_lshrrev_b32_e32 v7, 3, v7
	v_mul_lo_u32 v7, v7, 10
	v_sub_u32_e32 v2, v2, v7
	v_add_u32_e32 v2, v2, v3
	v_subrev_co_u32_e32 v3, vcc, 10, v2
	s_nop 1
	v_cndmask_b32_e32 v2, v3, v2, vcc
	v_or_b32_e32 v3, 8, v4
	ds_bpermute_b32 v3, v3, v2
	s_waitcnt lgkmcnt(0)
	v_mul_hi_u32 v4, v3, s5
	v_lshrrev_b32_e32 v4, 3, v4
	v_mul_lo_u32 v4, v4, 10
	v_sub_u32_e32 v3, v3, v4
	v_add_u32_e32 v2, v2, v3
	v_subrev_co_u32_e32 v3, vcc, 10, v2
	s_nop 1
	v_cndmask_b32_e32 v2, v3, v2, vcc
.LBB585_5:
	s_or_b64 exec, exec, s[16:17]
	s_load_dword s18, s[0:1], 0x30
	s_branch .LBB585_39
.LBB585_6:
                                        ; implicit-def: $vgpr2
	s_load_dword s18, s[0:1], 0x30
	s_cbranch_execz .LBB585_39
; %bb.7:
	s_sub_i32 s19, s8, s4
	v_mov_b32_e32 v2, 0
	v_cmp_gt_u32_e32 vcc, s19, v0
	v_mov_b32_e32 v3, v2
	v_mov_b32_e32 v4, v2
	;; [unrolled: 1-line block ×3, first 2 shown]
	s_and_saveexec_b64 s[0:1], vcc
	s_cbranch_execz .LBB585_9
; %bb.8:
	global_load_dword v8, v6, s[6:7]
	v_mov_b32_e32 v9, v2
	v_mov_b32_e32 v10, v2
	;; [unrolled: 1-line block ×3, first 2 shown]
	s_waitcnt vmcnt(0)
	v_mov_b64_e32 v[2:3], v[8:9]
	v_mov_b64_e32 v[4:5], v[10:11]
.LBB585_9:
	s_or_b64 exec, exec, s[0:1]
	v_or_b32_e32 v7, 0x100, v0
	v_cmp_gt_u32_e64 s[4:5], s19, v7
	s_and_saveexec_b64 s[0:1], s[4:5]
	s_cbranch_execz .LBB585_11
; %bb.10:
	global_load_dword v3, v6, s[6:7] offset:1024
.LBB585_11:
	s_or_b64 exec, exec, s[0:1]
	v_or_b32_e32 v7, 0x200, v0
	v_cmp_gt_u32_e64 s[0:1], s19, v7
	s_and_saveexec_b64 s[16:17], s[0:1]
	s_cbranch_execz .LBB585_13
; %bb.12:
	global_load_dword v4, v6, s[6:7] offset:2048
.LBB585_13:
	s_or_b64 exec, exec, s[16:17]
	v_or_b32_e32 v7, 0x300, v0
	v_cmp_gt_u32_e32 vcc, s19, v7
	s_and_saveexec_b64 s[16:17], vcc
	s_cbranch_execnz .LBB585_42
; %bb.14:
	s_or_b64 exec, exec, s[16:17]
	s_and_saveexec_b64 s[6:7], s[4:5]
	s_cbranch_execnz .LBB585_43
.LBB585_15:
	s_or_b64 exec, exec, s[6:7]
	s_and_saveexec_b64 s[4:5], s[0:1]
	s_cbranch_execnz .LBB585_44
.LBB585_16:
	s_or_b64 exec, exec, s[4:5]
	s_and_saveexec_b64 s[0:1], vcc
	s_cbranch_execz .LBB585_18
.LBB585_17:
	s_mov_b32 s4, 0xcccccccd
	s_waitcnt vmcnt(0)
	v_mul_hi_u32 v3, v5, s4
	v_mul_hi_u32 v4, v2, s4
	v_lshrrev_b32_e32 v3, 3, v3
	v_lshrrev_b32_e32 v4, 3, v4
	v_mul_lo_u32 v3, v3, 10
	v_mul_lo_u32 v4, v4, 10
	v_sub_u32_e32 v3, v5, v3
	v_sub_u32_e32 v2, v2, v4
	v_add_u32_e32 v2, v2, v3
	v_subrev_co_u32_e32 v3, vcc, 10, v2
	s_nop 1
	v_cndmask_b32_e32 v2, v3, v2, vcc
.LBB585_18:
	s_or_b64 exec, exec, s[0:1]
	v_mbcnt_hi_u32_b32 v1, -1, v1
	s_waitcnt vmcnt(0)
	v_and_b32_e32 v3, 63, v1
	v_cmp_ne_u32_e32 vcc, 63, v3
	s_min_u32 s4, s19, 0x100
	v_add_u32_e32 v6, 1, v3
	v_addc_co_u32_e32 v4, vcc, 0, v1, vcc
	v_lshlrev_b32_e32 v4, 2, v4
	ds_bpermute_b32 v5, v4, v2
	v_and_b32_e32 v4, 0xc0, v0
	v_sub_u32_e64 v4, s4, v4 clamp
	v_cmp_lt_u32_e32 vcc, v6, v4
	s_and_saveexec_b64 s[0:1], vcc
	s_xor_b64 s[0:1], exec, s[0:1]
	s_cbranch_execz .LBB585_20
; %bb.19:
	s_mov_b32 s5, 0xcccccccd
	s_waitcnt lgkmcnt(0)
	v_mul_hi_u32 v6, v5, s5
	v_lshrrev_b32_e32 v6, 3, v6
	v_mul_lo_u32 v6, v6, 10
	v_sub_u32_e32 v5, v5, v6
	v_mul_hi_u32 v6, v2, s5
	v_lshrrev_b32_e32 v6, 3, v6
	v_mul_lo_u32 v6, v6, 10
	v_sub_u32_e32 v2, v2, v6
	v_add_u32_e32 v2, v5, v2
	v_subrev_co_u32_e32 v5, vcc, 10, v2
	s_nop 1
	v_cndmask_b32_e32 v2, v5, v2, vcc
.LBB585_20:
	s_or_b64 exec, exec, s[0:1]
	v_cmp_gt_u32_e32 vcc, 62, v3
	v_add_u32_e32 v6, 2, v3
	s_waitcnt lgkmcnt(0)
	v_cndmask_b32_e64 v5, 0, 2, vcc
	v_add_lshl_u32 v5, v5, v1, 2
	ds_bpermute_b32 v5, v5, v2
	v_cmp_lt_u32_e32 vcc, v6, v4
	s_and_saveexec_b64 s[0:1], vcc
	s_cbranch_execz .LBB585_22
; %bb.21:
	s_mov_b32 s5, 0xcccccccd
	s_waitcnt lgkmcnt(0)
	v_mul_hi_u32 v6, v5, s5
	v_lshrrev_b32_e32 v6, 3, v6
	v_mul_lo_u32 v6, v6, 10
	v_sub_u32_e32 v5, v5, v6
	v_mul_hi_u32 v6, v2, s5
	v_lshrrev_b32_e32 v6, 3, v6
	v_mul_lo_u32 v6, v6, 10
	v_sub_u32_e32 v2, v2, v6
	v_add_u32_e32 v2, v5, v2
	v_subrev_co_u32_e32 v5, vcc, 10, v2
	s_nop 1
	v_cndmask_b32_e32 v2, v5, v2, vcc
.LBB585_22:
	s_or_b64 exec, exec, s[0:1]
	v_cmp_gt_u32_e32 vcc, 60, v3
	v_add_u32_e32 v6, 4, v3
	s_waitcnt lgkmcnt(0)
	v_cndmask_b32_e64 v5, 0, 4, vcc
	v_add_lshl_u32 v5, v5, v1, 2
	ds_bpermute_b32 v5, v5, v2
	v_cmp_lt_u32_e32 vcc, v6, v4
	s_and_saveexec_b64 s[0:1], vcc
	;; [unrolled: 26-line block ×4, first 2 shown]
	s_cbranch_execz .LBB585_28
; %bb.27:
	s_mov_b32 s5, 0xcccccccd
	s_waitcnt lgkmcnt(0)
	v_mul_hi_u32 v6, v5, s5
	v_lshrrev_b32_e32 v6, 3, v6
	v_mul_lo_u32 v6, v6, 10
	v_sub_u32_e32 v5, v5, v6
	v_mul_hi_u32 v6, v2, s5
	v_lshrrev_b32_e32 v6, 3, v6
	v_mul_lo_u32 v6, v6, 10
	v_sub_u32_e32 v2, v2, v6
	v_add_u32_e32 v2, v5, v2
	v_subrev_co_u32_e32 v5, vcc, 10, v2
	s_nop 1
	v_cndmask_b32_e32 v2, v5, v2, vcc
.LBB585_28:
	s_or_b64 exec, exec, s[0:1]
	s_waitcnt lgkmcnt(0)
	v_lshlrev_b32_e32 v5, 2, v1
	v_or_b32_e32 v6, 0x80, v5
	ds_bpermute_b32 v6, v6, v2
	v_add_u32_e32 v3, 32, v3
	v_cmp_lt_u32_e32 vcc, v3, v4
	s_and_saveexec_b64 s[0:1], vcc
	s_cbranch_execz .LBB585_30
; %bb.29:
	s_mov_b32 s5, 0xcccccccd
	s_waitcnt lgkmcnt(0)
	v_mul_hi_u32 v3, v6, s5
	v_mul_hi_u32 v4, v2, s5
	v_lshrrev_b32_e32 v3, 3, v3
	v_lshrrev_b32_e32 v4, 3, v4
	v_mul_lo_u32 v3, v3, 10
	v_mul_lo_u32 v4, v4, 10
	v_sub_u32_e32 v3, v6, v3
	v_sub_u32_e32 v2, v2, v4
	v_add_u32_e32 v2, v3, v2
	v_subrev_co_u32_e32 v3, vcc, 10, v2
	s_nop 1
	v_cndmask_b32_e32 v2, v3, v2, vcc
.LBB585_30:
	s_or_b64 exec, exec, s[0:1]
	v_cmp_eq_u32_e32 vcc, 0, v1
	s_and_saveexec_b64 s[0:1], vcc
; %bb.31:
	v_lshrrev_b32_e32 v3, 4, v0
	v_and_b32_e32 v3, 12, v3
	ds_write_b32 v3, v2
; %bb.32:
	s_or_b64 exec, exec, s[0:1]
	v_cmp_gt_u32_e32 vcc, 4, v0
	s_waitcnt lgkmcnt(0)
	s_barrier
	s_and_saveexec_b64 s[0:1], vcc
	s_cbranch_execz .LBB585_38
; %bb.33:
	ds_read_b32 v2, v5
	v_and_b32_e32 v3, 3, v1
	v_cmp_ne_u32_e32 vcc, 3, v3
	s_add_i32 s4, s4, 63
	s_lshr_b32 s6, s4, 6
	v_addc_co_u32_e32 v1, vcc, 0, v1, vcc
	v_lshlrev_b32_e32 v1, 2, v1
	s_waitcnt lgkmcnt(0)
	ds_bpermute_b32 v1, v1, v2
	v_add_u32_e32 v4, 1, v3
	v_cmp_gt_u32_e32 vcc, s6, v4
	s_and_saveexec_b64 s[4:5], vcc
	s_cbranch_execz .LBB585_35
; %bb.34:
	s_mov_b32 s7, 0xcccccccd
	s_waitcnt lgkmcnt(0)
	v_mul_hi_u32 v4, v1, s7
	v_lshrrev_b32_e32 v4, 3, v4
	v_mul_lo_u32 v4, v4, 10
	v_sub_u32_e32 v1, v1, v4
	v_mul_hi_u32 v4, v2, s7
	v_lshrrev_b32_e32 v4, 3, v4
	v_mul_lo_u32 v4, v4, 10
	v_sub_u32_e32 v2, v2, v4
	v_add_u32_e32 v1, v1, v2
	v_subrev_co_u32_e32 v2, vcc, 10, v1
	s_nop 1
	v_cndmask_b32_e32 v2, v2, v1, vcc
.LBB585_35:
	s_or_b64 exec, exec, s[4:5]
	s_waitcnt lgkmcnt(0)
	v_or_b32_e32 v1, 8, v5
	ds_bpermute_b32 v1, v1, v2
	v_add_u32_e32 v3, 2, v3
	v_cmp_gt_u32_e32 vcc, s6, v3
	s_and_saveexec_b64 s[4:5], vcc
	s_cbranch_execz .LBB585_37
; %bb.36:
	s_mov_b32 s6, 0xcccccccd
	s_waitcnt lgkmcnt(0)
	v_mul_hi_u32 v3, v1, s6
	v_lshrrev_b32_e32 v3, 3, v3
	v_mul_lo_u32 v3, v3, 10
	v_sub_u32_e32 v1, v1, v3
	v_mul_hi_u32 v3, v2, s6
	v_lshrrev_b32_e32 v3, 3, v3
	v_mul_lo_u32 v3, v3, 10
	v_sub_u32_e32 v2, v2, v3
	v_add_u32_e32 v1, v1, v2
	v_subrev_co_u32_e32 v2, vcc, 10, v1
	s_nop 1
	v_cndmask_b32_e32 v2, v2, v1, vcc
.LBB585_37:
	s_or_b64 exec, exec, s[4:5]
.LBB585_38:
	s_or_b64 exec, exec, s[0:1]
.LBB585_39:
	v_cmp_eq_u32_e32 vcc, 0, v0
	s_and_saveexec_b64 s[0:1], vcc
	s_cbranch_execnz .LBB585_41
; %bb.40:
	s_endpgm
.LBB585_41:
	s_mul_i32 s0, s14, s13
	s_mul_hi_u32 s1, s14, s12
	s_add_i32 s0, s1, s0
	s_mul_i32 s1, s15, s12
	s_add_i32 s1, s0, s1
	s_mul_i32 s0, s14, s12
	s_lshl_b64 s[0:1], s[0:1], 2
	s_add_u32 s4, s10, s0
	s_addc_u32 s5, s11, s1
	s_cmp_eq_u64 s[8:9], 0
	s_cselect_b64 vcc, -1, 0
	s_lshl_b64 s[0:1], s[2:3], 2
	s_waitcnt lgkmcnt(0)
	v_mov_b32_e32 v0, s18
	s_add_u32 s0, s4, s0
	v_cndmask_b32_e32 v0, v2, v0, vcc
	s_addc_u32 s1, s5, s1
	v_mov_b32_e32 v1, 0
	global_store_dword v1, v0, s[0:1]
	s_endpgm
.LBB585_42:
	global_load_dword v5, v6, s[6:7] offset:3072
	s_or_b64 exec, exec, s[16:17]
	s_and_saveexec_b64 s[6:7], s[4:5]
	s_cbranch_execz .LBB585_15
.LBB585_43:
	s_mov_b32 s4, 0xcccccccd
	s_waitcnt vmcnt(0)
	v_mul_hi_u32 v6, v3, s4
	v_lshrrev_b32_e32 v6, 3, v6
	v_mul_lo_u32 v6, v6, 10
	v_sub_u32_e32 v3, v3, v6
	v_mul_hi_u32 v6, v2, s4
	v_lshrrev_b32_e32 v6, 3, v6
	v_mul_lo_u32 v6, v6, 10
	v_sub_u32_e32 v2, v2, v6
	v_add_u32_e32 v2, v3, v2
	v_subrev_co_u32_e64 v3, s[4:5], 10, v2
	s_nop 1
	v_cndmask_b32_e64 v2, v3, v2, s[4:5]
	s_or_b64 exec, exec, s[6:7]
	s_and_saveexec_b64 s[4:5], s[0:1]
	s_cbranch_execz .LBB585_16
.LBB585_44:
	s_mov_b32 s0, 0xcccccccd
	s_waitcnt vmcnt(0)
	v_mul_hi_u32 v3, v4, s0
	v_lshrrev_b32_e32 v3, 3, v3
	v_mul_lo_u32 v3, v3, 10
	v_sub_u32_e32 v3, v4, v3
	v_mul_hi_u32 v4, v2, s0
	v_lshrrev_b32_e32 v4, 3, v4
	v_mul_lo_u32 v4, v4, 10
	v_sub_u32_e32 v2, v2, v4
	v_add_u32_e32 v2, v2, v3
	v_subrev_co_u32_e64 v3, s[0:1], 10, v2
	s_nop 1
	v_cndmask_b32_e64 v2, v3, v2, s[0:1]
	s_or_b64 exec, exec, s[4:5]
	s_and_saveexec_b64 s[0:1], vcc
	s_cbranch_execnz .LBB585_17
	s_branch .LBB585_18
	.section	.rodata,"a",@progbits
	.p2align	6, 0x0
	.amdhsa_kernel _ZN7rocprim17ROCPRIM_400000_NS6detail17trampoline_kernelINS0_14default_configENS1_22reduce_config_selectorIjEEZNS1_11reduce_implILb1ES3_PjS7_j11plus_mod_10IjEEE10hipError_tPvRmT1_T2_T3_mT4_P12ihipStream_tbEUlT_E0_NS1_11comp_targetILNS1_3genE0ELNS1_11target_archE4294967295ELNS1_3gpuE0ELNS1_3repE0EEENS1_30default_config_static_selectorELNS0_4arch9wavefront6targetE1EEEvSD_
		.amdhsa_group_segment_fixed_size 32
		.amdhsa_private_segment_fixed_size 0
		.amdhsa_kernarg_size 56
		.amdhsa_user_sgpr_count 2
		.amdhsa_user_sgpr_dispatch_ptr 0
		.amdhsa_user_sgpr_queue_ptr 0
		.amdhsa_user_sgpr_kernarg_segment_ptr 1
		.amdhsa_user_sgpr_dispatch_id 0
		.amdhsa_user_sgpr_kernarg_preload_length 0
		.amdhsa_user_sgpr_kernarg_preload_offset 0
		.amdhsa_user_sgpr_private_segment_size 0
		.amdhsa_uses_dynamic_stack 0
		.amdhsa_enable_private_segment 0
		.amdhsa_system_sgpr_workgroup_id_x 1
		.amdhsa_system_sgpr_workgroup_id_y 0
		.amdhsa_system_sgpr_workgroup_id_z 0
		.amdhsa_system_sgpr_workgroup_info 0
		.amdhsa_system_vgpr_workitem_id 0
		.amdhsa_next_free_vgpr 13
		.amdhsa_next_free_sgpr 20
		.amdhsa_accum_offset 16
		.amdhsa_reserve_vcc 1
		.amdhsa_float_round_mode_32 0
		.amdhsa_float_round_mode_16_64 0
		.amdhsa_float_denorm_mode_32 3
		.amdhsa_float_denorm_mode_16_64 3
		.amdhsa_dx10_clamp 1
		.amdhsa_ieee_mode 1
		.amdhsa_fp16_overflow 0
		.amdhsa_tg_split 0
		.amdhsa_exception_fp_ieee_invalid_op 0
		.amdhsa_exception_fp_denorm_src 0
		.amdhsa_exception_fp_ieee_div_zero 0
		.amdhsa_exception_fp_ieee_overflow 0
		.amdhsa_exception_fp_ieee_underflow 0
		.amdhsa_exception_fp_ieee_inexact 0
		.amdhsa_exception_int_div_zero 0
	.end_amdhsa_kernel
	.section	.text._ZN7rocprim17ROCPRIM_400000_NS6detail17trampoline_kernelINS0_14default_configENS1_22reduce_config_selectorIjEEZNS1_11reduce_implILb1ES3_PjS7_j11plus_mod_10IjEEE10hipError_tPvRmT1_T2_T3_mT4_P12ihipStream_tbEUlT_E0_NS1_11comp_targetILNS1_3genE0ELNS1_11target_archE4294967295ELNS1_3gpuE0ELNS1_3repE0EEENS1_30default_config_static_selectorELNS0_4arch9wavefront6targetE1EEEvSD_,"axG",@progbits,_ZN7rocprim17ROCPRIM_400000_NS6detail17trampoline_kernelINS0_14default_configENS1_22reduce_config_selectorIjEEZNS1_11reduce_implILb1ES3_PjS7_j11plus_mod_10IjEEE10hipError_tPvRmT1_T2_T3_mT4_P12ihipStream_tbEUlT_E0_NS1_11comp_targetILNS1_3genE0ELNS1_11target_archE4294967295ELNS1_3gpuE0ELNS1_3repE0EEENS1_30default_config_static_selectorELNS0_4arch9wavefront6targetE1EEEvSD_,comdat
.Lfunc_end585:
	.size	_ZN7rocprim17ROCPRIM_400000_NS6detail17trampoline_kernelINS0_14default_configENS1_22reduce_config_selectorIjEEZNS1_11reduce_implILb1ES3_PjS7_j11plus_mod_10IjEEE10hipError_tPvRmT1_T2_T3_mT4_P12ihipStream_tbEUlT_E0_NS1_11comp_targetILNS1_3genE0ELNS1_11target_archE4294967295ELNS1_3gpuE0ELNS1_3repE0EEENS1_30default_config_static_selectorELNS0_4arch9wavefront6targetE1EEEvSD_, .Lfunc_end585-_ZN7rocprim17ROCPRIM_400000_NS6detail17trampoline_kernelINS0_14default_configENS1_22reduce_config_selectorIjEEZNS1_11reduce_implILb1ES3_PjS7_j11plus_mod_10IjEEE10hipError_tPvRmT1_T2_T3_mT4_P12ihipStream_tbEUlT_E0_NS1_11comp_targetILNS1_3genE0ELNS1_11target_archE4294967295ELNS1_3gpuE0ELNS1_3repE0EEENS1_30default_config_static_selectorELNS0_4arch9wavefront6targetE1EEEvSD_
                                        ; -- End function
	.set _ZN7rocprim17ROCPRIM_400000_NS6detail17trampoline_kernelINS0_14default_configENS1_22reduce_config_selectorIjEEZNS1_11reduce_implILb1ES3_PjS7_j11plus_mod_10IjEEE10hipError_tPvRmT1_T2_T3_mT4_P12ihipStream_tbEUlT_E0_NS1_11comp_targetILNS1_3genE0ELNS1_11target_archE4294967295ELNS1_3gpuE0ELNS1_3repE0EEENS1_30default_config_static_selectorELNS0_4arch9wavefront6targetE1EEEvSD_.num_vgpr, 13
	.set _ZN7rocprim17ROCPRIM_400000_NS6detail17trampoline_kernelINS0_14default_configENS1_22reduce_config_selectorIjEEZNS1_11reduce_implILb1ES3_PjS7_j11plus_mod_10IjEEE10hipError_tPvRmT1_T2_T3_mT4_P12ihipStream_tbEUlT_E0_NS1_11comp_targetILNS1_3genE0ELNS1_11target_archE4294967295ELNS1_3gpuE0ELNS1_3repE0EEENS1_30default_config_static_selectorELNS0_4arch9wavefront6targetE1EEEvSD_.num_agpr, 0
	.set _ZN7rocprim17ROCPRIM_400000_NS6detail17trampoline_kernelINS0_14default_configENS1_22reduce_config_selectorIjEEZNS1_11reduce_implILb1ES3_PjS7_j11plus_mod_10IjEEE10hipError_tPvRmT1_T2_T3_mT4_P12ihipStream_tbEUlT_E0_NS1_11comp_targetILNS1_3genE0ELNS1_11target_archE4294967295ELNS1_3gpuE0ELNS1_3repE0EEENS1_30default_config_static_selectorELNS0_4arch9wavefront6targetE1EEEvSD_.numbered_sgpr, 20
	.set _ZN7rocprim17ROCPRIM_400000_NS6detail17trampoline_kernelINS0_14default_configENS1_22reduce_config_selectorIjEEZNS1_11reduce_implILb1ES3_PjS7_j11plus_mod_10IjEEE10hipError_tPvRmT1_T2_T3_mT4_P12ihipStream_tbEUlT_E0_NS1_11comp_targetILNS1_3genE0ELNS1_11target_archE4294967295ELNS1_3gpuE0ELNS1_3repE0EEENS1_30default_config_static_selectorELNS0_4arch9wavefront6targetE1EEEvSD_.num_named_barrier, 0
	.set _ZN7rocprim17ROCPRIM_400000_NS6detail17trampoline_kernelINS0_14default_configENS1_22reduce_config_selectorIjEEZNS1_11reduce_implILb1ES3_PjS7_j11plus_mod_10IjEEE10hipError_tPvRmT1_T2_T3_mT4_P12ihipStream_tbEUlT_E0_NS1_11comp_targetILNS1_3genE0ELNS1_11target_archE4294967295ELNS1_3gpuE0ELNS1_3repE0EEENS1_30default_config_static_selectorELNS0_4arch9wavefront6targetE1EEEvSD_.private_seg_size, 0
	.set _ZN7rocprim17ROCPRIM_400000_NS6detail17trampoline_kernelINS0_14default_configENS1_22reduce_config_selectorIjEEZNS1_11reduce_implILb1ES3_PjS7_j11plus_mod_10IjEEE10hipError_tPvRmT1_T2_T3_mT4_P12ihipStream_tbEUlT_E0_NS1_11comp_targetILNS1_3genE0ELNS1_11target_archE4294967295ELNS1_3gpuE0ELNS1_3repE0EEENS1_30default_config_static_selectorELNS0_4arch9wavefront6targetE1EEEvSD_.uses_vcc, 1
	.set _ZN7rocprim17ROCPRIM_400000_NS6detail17trampoline_kernelINS0_14default_configENS1_22reduce_config_selectorIjEEZNS1_11reduce_implILb1ES3_PjS7_j11plus_mod_10IjEEE10hipError_tPvRmT1_T2_T3_mT4_P12ihipStream_tbEUlT_E0_NS1_11comp_targetILNS1_3genE0ELNS1_11target_archE4294967295ELNS1_3gpuE0ELNS1_3repE0EEENS1_30default_config_static_selectorELNS0_4arch9wavefront6targetE1EEEvSD_.uses_flat_scratch, 0
	.set _ZN7rocprim17ROCPRIM_400000_NS6detail17trampoline_kernelINS0_14default_configENS1_22reduce_config_selectorIjEEZNS1_11reduce_implILb1ES3_PjS7_j11plus_mod_10IjEEE10hipError_tPvRmT1_T2_T3_mT4_P12ihipStream_tbEUlT_E0_NS1_11comp_targetILNS1_3genE0ELNS1_11target_archE4294967295ELNS1_3gpuE0ELNS1_3repE0EEENS1_30default_config_static_selectorELNS0_4arch9wavefront6targetE1EEEvSD_.has_dyn_sized_stack, 0
	.set _ZN7rocprim17ROCPRIM_400000_NS6detail17trampoline_kernelINS0_14default_configENS1_22reduce_config_selectorIjEEZNS1_11reduce_implILb1ES3_PjS7_j11plus_mod_10IjEEE10hipError_tPvRmT1_T2_T3_mT4_P12ihipStream_tbEUlT_E0_NS1_11comp_targetILNS1_3genE0ELNS1_11target_archE4294967295ELNS1_3gpuE0ELNS1_3repE0EEENS1_30default_config_static_selectorELNS0_4arch9wavefront6targetE1EEEvSD_.has_recursion, 0
	.set _ZN7rocprim17ROCPRIM_400000_NS6detail17trampoline_kernelINS0_14default_configENS1_22reduce_config_selectorIjEEZNS1_11reduce_implILb1ES3_PjS7_j11plus_mod_10IjEEE10hipError_tPvRmT1_T2_T3_mT4_P12ihipStream_tbEUlT_E0_NS1_11comp_targetILNS1_3genE0ELNS1_11target_archE4294967295ELNS1_3gpuE0ELNS1_3repE0EEENS1_30default_config_static_selectorELNS0_4arch9wavefront6targetE1EEEvSD_.has_indirect_call, 0
	.section	.AMDGPU.csdata,"",@progbits
; Kernel info:
; codeLenInByte = 2700
; TotalNumSgprs: 26
; NumVgprs: 13
; NumAgprs: 0
; TotalNumVgprs: 13
; ScratchSize: 0
; MemoryBound: 0
; FloatMode: 240
; IeeeMode: 1
; LDSByteSize: 32 bytes/workgroup (compile time only)
; SGPRBlocks: 3
; VGPRBlocks: 1
; NumSGPRsForWavesPerEU: 26
; NumVGPRsForWavesPerEU: 13
; AccumOffset: 16
; Occupancy: 8
; WaveLimiterHint : 1
; COMPUTE_PGM_RSRC2:SCRATCH_EN: 0
; COMPUTE_PGM_RSRC2:USER_SGPR: 2
; COMPUTE_PGM_RSRC2:TRAP_HANDLER: 0
; COMPUTE_PGM_RSRC2:TGID_X_EN: 1
; COMPUTE_PGM_RSRC2:TGID_Y_EN: 0
; COMPUTE_PGM_RSRC2:TGID_Z_EN: 0
; COMPUTE_PGM_RSRC2:TIDIG_COMP_CNT: 0
; COMPUTE_PGM_RSRC3_GFX90A:ACCUM_OFFSET: 3
; COMPUTE_PGM_RSRC3_GFX90A:TG_SPLIT: 0
	.section	.text._ZN7rocprim17ROCPRIM_400000_NS6detail17trampoline_kernelINS0_14default_configENS1_22reduce_config_selectorIjEEZNS1_11reduce_implILb1ES3_PjS7_j11plus_mod_10IjEEE10hipError_tPvRmT1_T2_T3_mT4_P12ihipStream_tbEUlT_E0_NS1_11comp_targetILNS1_3genE5ELNS1_11target_archE942ELNS1_3gpuE9ELNS1_3repE0EEENS1_30default_config_static_selectorELNS0_4arch9wavefront6targetE1EEEvSD_,"axG",@progbits,_ZN7rocprim17ROCPRIM_400000_NS6detail17trampoline_kernelINS0_14default_configENS1_22reduce_config_selectorIjEEZNS1_11reduce_implILb1ES3_PjS7_j11plus_mod_10IjEEE10hipError_tPvRmT1_T2_T3_mT4_P12ihipStream_tbEUlT_E0_NS1_11comp_targetILNS1_3genE5ELNS1_11target_archE942ELNS1_3gpuE9ELNS1_3repE0EEENS1_30default_config_static_selectorELNS0_4arch9wavefront6targetE1EEEvSD_,comdat
	.protected	_ZN7rocprim17ROCPRIM_400000_NS6detail17trampoline_kernelINS0_14default_configENS1_22reduce_config_selectorIjEEZNS1_11reduce_implILb1ES3_PjS7_j11plus_mod_10IjEEE10hipError_tPvRmT1_T2_T3_mT4_P12ihipStream_tbEUlT_E0_NS1_11comp_targetILNS1_3genE5ELNS1_11target_archE942ELNS1_3gpuE9ELNS1_3repE0EEENS1_30default_config_static_selectorELNS0_4arch9wavefront6targetE1EEEvSD_ ; -- Begin function _ZN7rocprim17ROCPRIM_400000_NS6detail17trampoline_kernelINS0_14default_configENS1_22reduce_config_selectorIjEEZNS1_11reduce_implILb1ES3_PjS7_j11plus_mod_10IjEEE10hipError_tPvRmT1_T2_T3_mT4_P12ihipStream_tbEUlT_E0_NS1_11comp_targetILNS1_3genE5ELNS1_11target_archE942ELNS1_3gpuE9ELNS1_3repE0EEENS1_30default_config_static_selectorELNS0_4arch9wavefront6targetE1EEEvSD_
	.globl	_ZN7rocprim17ROCPRIM_400000_NS6detail17trampoline_kernelINS0_14default_configENS1_22reduce_config_selectorIjEEZNS1_11reduce_implILb1ES3_PjS7_j11plus_mod_10IjEEE10hipError_tPvRmT1_T2_T3_mT4_P12ihipStream_tbEUlT_E0_NS1_11comp_targetILNS1_3genE5ELNS1_11target_archE942ELNS1_3gpuE9ELNS1_3repE0EEENS1_30default_config_static_selectorELNS0_4arch9wavefront6targetE1EEEvSD_
	.p2align	8
	.type	_ZN7rocprim17ROCPRIM_400000_NS6detail17trampoline_kernelINS0_14default_configENS1_22reduce_config_selectorIjEEZNS1_11reduce_implILb1ES3_PjS7_j11plus_mod_10IjEEE10hipError_tPvRmT1_T2_T3_mT4_P12ihipStream_tbEUlT_E0_NS1_11comp_targetILNS1_3genE5ELNS1_11target_archE942ELNS1_3gpuE9ELNS1_3repE0EEENS1_30default_config_static_selectorELNS0_4arch9wavefront6targetE1EEEvSD_,@function
_ZN7rocprim17ROCPRIM_400000_NS6detail17trampoline_kernelINS0_14default_configENS1_22reduce_config_selectorIjEEZNS1_11reduce_implILb1ES3_PjS7_j11plus_mod_10IjEEE10hipError_tPvRmT1_T2_T3_mT4_P12ihipStream_tbEUlT_E0_NS1_11comp_targetILNS1_3genE5ELNS1_11target_archE942ELNS1_3gpuE9ELNS1_3repE0EEENS1_30default_config_static_selectorELNS0_4arch9wavefront6targetE1EEEvSD_: ; @_ZN7rocprim17ROCPRIM_400000_NS6detail17trampoline_kernelINS0_14default_configENS1_22reduce_config_selectorIjEEZNS1_11reduce_implILb1ES3_PjS7_j11plus_mod_10IjEEE10hipError_tPvRmT1_T2_T3_mT4_P12ihipStream_tbEUlT_E0_NS1_11comp_targetILNS1_3genE5ELNS1_11target_archE942ELNS1_3gpuE9ELNS1_3repE0EEENS1_30default_config_static_selectorELNS0_4arch9wavefront6targetE1EEEvSD_
; %bb.0:
	.section	.rodata,"a",@progbits
	.p2align	6, 0x0
	.amdhsa_kernel _ZN7rocprim17ROCPRIM_400000_NS6detail17trampoline_kernelINS0_14default_configENS1_22reduce_config_selectorIjEEZNS1_11reduce_implILb1ES3_PjS7_j11plus_mod_10IjEEE10hipError_tPvRmT1_T2_T3_mT4_P12ihipStream_tbEUlT_E0_NS1_11comp_targetILNS1_3genE5ELNS1_11target_archE942ELNS1_3gpuE9ELNS1_3repE0EEENS1_30default_config_static_selectorELNS0_4arch9wavefront6targetE1EEEvSD_
		.amdhsa_group_segment_fixed_size 0
		.amdhsa_private_segment_fixed_size 0
		.amdhsa_kernarg_size 56
		.amdhsa_user_sgpr_count 2
		.amdhsa_user_sgpr_dispatch_ptr 0
		.amdhsa_user_sgpr_queue_ptr 0
		.amdhsa_user_sgpr_kernarg_segment_ptr 1
		.amdhsa_user_sgpr_dispatch_id 0
		.amdhsa_user_sgpr_kernarg_preload_length 0
		.amdhsa_user_sgpr_kernarg_preload_offset 0
		.amdhsa_user_sgpr_private_segment_size 0
		.amdhsa_uses_dynamic_stack 0
		.amdhsa_enable_private_segment 0
		.amdhsa_system_sgpr_workgroup_id_x 1
		.amdhsa_system_sgpr_workgroup_id_y 0
		.amdhsa_system_sgpr_workgroup_id_z 0
		.amdhsa_system_sgpr_workgroup_info 0
		.amdhsa_system_vgpr_workitem_id 0
		.amdhsa_next_free_vgpr 1
		.amdhsa_next_free_sgpr 0
		.amdhsa_accum_offset 4
		.amdhsa_reserve_vcc 0
		.amdhsa_float_round_mode_32 0
		.amdhsa_float_round_mode_16_64 0
		.amdhsa_float_denorm_mode_32 3
		.amdhsa_float_denorm_mode_16_64 3
		.amdhsa_dx10_clamp 1
		.amdhsa_ieee_mode 1
		.amdhsa_fp16_overflow 0
		.amdhsa_tg_split 0
		.amdhsa_exception_fp_ieee_invalid_op 0
		.amdhsa_exception_fp_denorm_src 0
		.amdhsa_exception_fp_ieee_div_zero 0
		.amdhsa_exception_fp_ieee_overflow 0
		.amdhsa_exception_fp_ieee_underflow 0
		.amdhsa_exception_fp_ieee_inexact 0
		.amdhsa_exception_int_div_zero 0
	.end_amdhsa_kernel
	.section	.text._ZN7rocprim17ROCPRIM_400000_NS6detail17trampoline_kernelINS0_14default_configENS1_22reduce_config_selectorIjEEZNS1_11reduce_implILb1ES3_PjS7_j11plus_mod_10IjEEE10hipError_tPvRmT1_T2_T3_mT4_P12ihipStream_tbEUlT_E0_NS1_11comp_targetILNS1_3genE5ELNS1_11target_archE942ELNS1_3gpuE9ELNS1_3repE0EEENS1_30default_config_static_selectorELNS0_4arch9wavefront6targetE1EEEvSD_,"axG",@progbits,_ZN7rocprim17ROCPRIM_400000_NS6detail17trampoline_kernelINS0_14default_configENS1_22reduce_config_selectorIjEEZNS1_11reduce_implILb1ES3_PjS7_j11plus_mod_10IjEEE10hipError_tPvRmT1_T2_T3_mT4_P12ihipStream_tbEUlT_E0_NS1_11comp_targetILNS1_3genE5ELNS1_11target_archE942ELNS1_3gpuE9ELNS1_3repE0EEENS1_30default_config_static_selectorELNS0_4arch9wavefront6targetE1EEEvSD_,comdat
.Lfunc_end586:
	.size	_ZN7rocprim17ROCPRIM_400000_NS6detail17trampoline_kernelINS0_14default_configENS1_22reduce_config_selectorIjEEZNS1_11reduce_implILb1ES3_PjS7_j11plus_mod_10IjEEE10hipError_tPvRmT1_T2_T3_mT4_P12ihipStream_tbEUlT_E0_NS1_11comp_targetILNS1_3genE5ELNS1_11target_archE942ELNS1_3gpuE9ELNS1_3repE0EEENS1_30default_config_static_selectorELNS0_4arch9wavefront6targetE1EEEvSD_, .Lfunc_end586-_ZN7rocprim17ROCPRIM_400000_NS6detail17trampoline_kernelINS0_14default_configENS1_22reduce_config_selectorIjEEZNS1_11reduce_implILb1ES3_PjS7_j11plus_mod_10IjEEE10hipError_tPvRmT1_T2_T3_mT4_P12ihipStream_tbEUlT_E0_NS1_11comp_targetILNS1_3genE5ELNS1_11target_archE942ELNS1_3gpuE9ELNS1_3repE0EEENS1_30default_config_static_selectorELNS0_4arch9wavefront6targetE1EEEvSD_
                                        ; -- End function
	.set _ZN7rocprim17ROCPRIM_400000_NS6detail17trampoline_kernelINS0_14default_configENS1_22reduce_config_selectorIjEEZNS1_11reduce_implILb1ES3_PjS7_j11plus_mod_10IjEEE10hipError_tPvRmT1_T2_T3_mT4_P12ihipStream_tbEUlT_E0_NS1_11comp_targetILNS1_3genE5ELNS1_11target_archE942ELNS1_3gpuE9ELNS1_3repE0EEENS1_30default_config_static_selectorELNS0_4arch9wavefront6targetE1EEEvSD_.num_vgpr, 0
	.set _ZN7rocprim17ROCPRIM_400000_NS6detail17trampoline_kernelINS0_14default_configENS1_22reduce_config_selectorIjEEZNS1_11reduce_implILb1ES3_PjS7_j11plus_mod_10IjEEE10hipError_tPvRmT1_T2_T3_mT4_P12ihipStream_tbEUlT_E0_NS1_11comp_targetILNS1_3genE5ELNS1_11target_archE942ELNS1_3gpuE9ELNS1_3repE0EEENS1_30default_config_static_selectorELNS0_4arch9wavefront6targetE1EEEvSD_.num_agpr, 0
	.set _ZN7rocprim17ROCPRIM_400000_NS6detail17trampoline_kernelINS0_14default_configENS1_22reduce_config_selectorIjEEZNS1_11reduce_implILb1ES3_PjS7_j11plus_mod_10IjEEE10hipError_tPvRmT1_T2_T3_mT4_P12ihipStream_tbEUlT_E0_NS1_11comp_targetILNS1_3genE5ELNS1_11target_archE942ELNS1_3gpuE9ELNS1_3repE0EEENS1_30default_config_static_selectorELNS0_4arch9wavefront6targetE1EEEvSD_.numbered_sgpr, 0
	.set _ZN7rocprim17ROCPRIM_400000_NS6detail17trampoline_kernelINS0_14default_configENS1_22reduce_config_selectorIjEEZNS1_11reduce_implILb1ES3_PjS7_j11plus_mod_10IjEEE10hipError_tPvRmT1_T2_T3_mT4_P12ihipStream_tbEUlT_E0_NS1_11comp_targetILNS1_3genE5ELNS1_11target_archE942ELNS1_3gpuE9ELNS1_3repE0EEENS1_30default_config_static_selectorELNS0_4arch9wavefront6targetE1EEEvSD_.num_named_barrier, 0
	.set _ZN7rocprim17ROCPRIM_400000_NS6detail17trampoline_kernelINS0_14default_configENS1_22reduce_config_selectorIjEEZNS1_11reduce_implILb1ES3_PjS7_j11plus_mod_10IjEEE10hipError_tPvRmT1_T2_T3_mT4_P12ihipStream_tbEUlT_E0_NS1_11comp_targetILNS1_3genE5ELNS1_11target_archE942ELNS1_3gpuE9ELNS1_3repE0EEENS1_30default_config_static_selectorELNS0_4arch9wavefront6targetE1EEEvSD_.private_seg_size, 0
	.set _ZN7rocprim17ROCPRIM_400000_NS6detail17trampoline_kernelINS0_14default_configENS1_22reduce_config_selectorIjEEZNS1_11reduce_implILb1ES3_PjS7_j11plus_mod_10IjEEE10hipError_tPvRmT1_T2_T3_mT4_P12ihipStream_tbEUlT_E0_NS1_11comp_targetILNS1_3genE5ELNS1_11target_archE942ELNS1_3gpuE9ELNS1_3repE0EEENS1_30default_config_static_selectorELNS0_4arch9wavefront6targetE1EEEvSD_.uses_vcc, 0
	.set _ZN7rocprim17ROCPRIM_400000_NS6detail17trampoline_kernelINS0_14default_configENS1_22reduce_config_selectorIjEEZNS1_11reduce_implILb1ES3_PjS7_j11plus_mod_10IjEEE10hipError_tPvRmT1_T2_T3_mT4_P12ihipStream_tbEUlT_E0_NS1_11comp_targetILNS1_3genE5ELNS1_11target_archE942ELNS1_3gpuE9ELNS1_3repE0EEENS1_30default_config_static_selectorELNS0_4arch9wavefront6targetE1EEEvSD_.uses_flat_scratch, 0
	.set _ZN7rocprim17ROCPRIM_400000_NS6detail17trampoline_kernelINS0_14default_configENS1_22reduce_config_selectorIjEEZNS1_11reduce_implILb1ES3_PjS7_j11plus_mod_10IjEEE10hipError_tPvRmT1_T2_T3_mT4_P12ihipStream_tbEUlT_E0_NS1_11comp_targetILNS1_3genE5ELNS1_11target_archE942ELNS1_3gpuE9ELNS1_3repE0EEENS1_30default_config_static_selectorELNS0_4arch9wavefront6targetE1EEEvSD_.has_dyn_sized_stack, 0
	.set _ZN7rocprim17ROCPRIM_400000_NS6detail17trampoline_kernelINS0_14default_configENS1_22reduce_config_selectorIjEEZNS1_11reduce_implILb1ES3_PjS7_j11plus_mod_10IjEEE10hipError_tPvRmT1_T2_T3_mT4_P12ihipStream_tbEUlT_E0_NS1_11comp_targetILNS1_3genE5ELNS1_11target_archE942ELNS1_3gpuE9ELNS1_3repE0EEENS1_30default_config_static_selectorELNS0_4arch9wavefront6targetE1EEEvSD_.has_recursion, 0
	.set _ZN7rocprim17ROCPRIM_400000_NS6detail17trampoline_kernelINS0_14default_configENS1_22reduce_config_selectorIjEEZNS1_11reduce_implILb1ES3_PjS7_j11plus_mod_10IjEEE10hipError_tPvRmT1_T2_T3_mT4_P12ihipStream_tbEUlT_E0_NS1_11comp_targetILNS1_3genE5ELNS1_11target_archE942ELNS1_3gpuE9ELNS1_3repE0EEENS1_30default_config_static_selectorELNS0_4arch9wavefront6targetE1EEEvSD_.has_indirect_call, 0
	.section	.AMDGPU.csdata,"",@progbits
; Kernel info:
; codeLenInByte = 0
; TotalNumSgprs: 6
; NumVgprs: 0
; NumAgprs: 0
; TotalNumVgprs: 0
; ScratchSize: 0
; MemoryBound: 0
; FloatMode: 240
; IeeeMode: 1
; LDSByteSize: 0 bytes/workgroup (compile time only)
; SGPRBlocks: 0
; VGPRBlocks: 0
; NumSGPRsForWavesPerEU: 6
; NumVGPRsForWavesPerEU: 1
; AccumOffset: 4
; Occupancy: 8
; WaveLimiterHint : 0
; COMPUTE_PGM_RSRC2:SCRATCH_EN: 0
; COMPUTE_PGM_RSRC2:USER_SGPR: 2
; COMPUTE_PGM_RSRC2:TRAP_HANDLER: 0
; COMPUTE_PGM_RSRC2:TGID_X_EN: 1
; COMPUTE_PGM_RSRC2:TGID_Y_EN: 0
; COMPUTE_PGM_RSRC2:TGID_Z_EN: 0
; COMPUTE_PGM_RSRC2:TIDIG_COMP_CNT: 0
; COMPUTE_PGM_RSRC3_GFX90A:ACCUM_OFFSET: 0
; COMPUTE_PGM_RSRC3_GFX90A:TG_SPLIT: 0
	.section	.text._ZN7rocprim17ROCPRIM_400000_NS6detail17trampoline_kernelINS0_14default_configENS1_22reduce_config_selectorIjEEZNS1_11reduce_implILb1ES3_PjS7_j11plus_mod_10IjEEE10hipError_tPvRmT1_T2_T3_mT4_P12ihipStream_tbEUlT_E0_NS1_11comp_targetILNS1_3genE4ELNS1_11target_archE910ELNS1_3gpuE8ELNS1_3repE0EEENS1_30default_config_static_selectorELNS0_4arch9wavefront6targetE1EEEvSD_,"axG",@progbits,_ZN7rocprim17ROCPRIM_400000_NS6detail17trampoline_kernelINS0_14default_configENS1_22reduce_config_selectorIjEEZNS1_11reduce_implILb1ES3_PjS7_j11plus_mod_10IjEEE10hipError_tPvRmT1_T2_T3_mT4_P12ihipStream_tbEUlT_E0_NS1_11comp_targetILNS1_3genE4ELNS1_11target_archE910ELNS1_3gpuE8ELNS1_3repE0EEENS1_30default_config_static_selectorELNS0_4arch9wavefront6targetE1EEEvSD_,comdat
	.protected	_ZN7rocprim17ROCPRIM_400000_NS6detail17trampoline_kernelINS0_14default_configENS1_22reduce_config_selectorIjEEZNS1_11reduce_implILb1ES3_PjS7_j11plus_mod_10IjEEE10hipError_tPvRmT1_T2_T3_mT4_P12ihipStream_tbEUlT_E0_NS1_11comp_targetILNS1_3genE4ELNS1_11target_archE910ELNS1_3gpuE8ELNS1_3repE0EEENS1_30default_config_static_selectorELNS0_4arch9wavefront6targetE1EEEvSD_ ; -- Begin function _ZN7rocprim17ROCPRIM_400000_NS6detail17trampoline_kernelINS0_14default_configENS1_22reduce_config_selectorIjEEZNS1_11reduce_implILb1ES3_PjS7_j11plus_mod_10IjEEE10hipError_tPvRmT1_T2_T3_mT4_P12ihipStream_tbEUlT_E0_NS1_11comp_targetILNS1_3genE4ELNS1_11target_archE910ELNS1_3gpuE8ELNS1_3repE0EEENS1_30default_config_static_selectorELNS0_4arch9wavefront6targetE1EEEvSD_
	.globl	_ZN7rocprim17ROCPRIM_400000_NS6detail17trampoline_kernelINS0_14default_configENS1_22reduce_config_selectorIjEEZNS1_11reduce_implILb1ES3_PjS7_j11plus_mod_10IjEEE10hipError_tPvRmT1_T2_T3_mT4_P12ihipStream_tbEUlT_E0_NS1_11comp_targetILNS1_3genE4ELNS1_11target_archE910ELNS1_3gpuE8ELNS1_3repE0EEENS1_30default_config_static_selectorELNS0_4arch9wavefront6targetE1EEEvSD_
	.p2align	8
	.type	_ZN7rocprim17ROCPRIM_400000_NS6detail17trampoline_kernelINS0_14default_configENS1_22reduce_config_selectorIjEEZNS1_11reduce_implILb1ES3_PjS7_j11plus_mod_10IjEEE10hipError_tPvRmT1_T2_T3_mT4_P12ihipStream_tbEUlT_E0_NS1_11comp_targetILNS1_3genE4ELNS1_11target_archE910ELNS1_3gpuE8ELNS1_3repE0EEENS1_30default_config_static_selectorELNS0_4arch9wavefront6targetE1EEEvSD_,@function
_ZN7rocprim17ROCPRIM_400000_NS6detail17trampoline_kernelINS0_14default_configENS1_22reduce_config_selectorIjEEZNS1_11reduce_implILb1ES3_PjS7_j11plus_mod_10IjEEE10hipError_tPvRmT1_T2_T3_mT4_P12ihipStream_tbEUlT_E0_NS1_11comp_targetILNS1_3genE4ELNS1_11target_archE910ELNS1_3gpuE8ELNS1_3repE0EEENS1_30default_config_static_selectorELNS0_4arch9wavefront6targetE1EEEvSD_: ; @_ZN7rocprim17ROCPRIM_400000_NS6detail17trampoline_kernelINS0_14default_configENS1_22reduce_config_selectorIjEEZNS1_11reduce_implILb1ES3_PjS7_j11plus_mod_10IjEEE10hipError_tPvRmT1_T2_T3_mT4_P12ihipStream_tbEUlT_E0_NS1_11comp_targetILNS1_3genE4ELNS1_11target_archE910ELNS1_3gpuE8ELNS1_3repE0EEENS1_30default_config_static_selectorELNS0_4arch9wavefront6targetE1EEEvSD_
; %bb.0:
	.section	.rodata,"a",@progbits
	.p2align	6, 0x0
	.amdhsa_kernel _ZN7rocprim17ROCPRIM_400000_NS6detail17trampoline_kernelINS0_14default_configENS1_22reduce_config_selectorIjEEZNS1_11reduce_implILb1ES3_PjS7_j11plus_mod_10IjEEE10hipError_tPvRmT1_T2_T3_mT4_P12ihipStream_tbEUlT_E0_NS1_11comp_targetILNS1_3genE4ELNS1_11target_archE910ELNS1_3gpuE8ELNS1_3repE0EEENS1_30default_config_static_selectorELNS0_4arch9wavefront6targetE1EEEvSD_
		.amdhsa_group_segment_fixed_size 0
		.amdhsa_private_segment_fixed_size 0
		.amdhsa_kernarg_size 56
		.amdhsa_user_sgpr_count 2
		.amdhsa_user_sgpr_dispatch_ptr 0
		.amdhsa_user_sgpr_queue_ptr 0
		.amdhsa_user_sgpr_kernarg_segment_ptr 1
		.amdhsa_user_sgpr_dispatch_id 0
		.amdhsa_user_sgpr_kernarg_preload_length 0
		.amdhsa_user_sgpr_kernarg_preload_offset 0
		.amdhsa_user_sgpr_private_segment_size 0
		.amdhsa_uses_dynamic_stack 0
		.amdhsa_enable_private_segment 0
		.amdhsa_system_sgpr_workgroup_id_x 1
		.amdhsa_system_sgpr_workgroup_id_y 0
		.amdhsa_system_sgpr_workgroup_id_z 0
		.amdhsa_system_sgpr_workgroup_info 0
		.amdhsa_system_vgpr_workitem_id 0
		.amdhsa_next_free_vgpr 1
		.amdhsa_next_free_sgpr 0
		.amdhsa_accum_offset 4
		.amdhsa_reserve_vcc 0
		.amdhsa_float_round_mode_32 0
		.amdhsa_float_round_mode_16_64 0
		.amdhsa_float_denorm_mode_32 3
		.amdhsa_float_denorm_mode_16_64 3
		.amdhsa_dx10_clamp 1
		.amdhsa_ieee_mode 1
		.amdhsa_fp16_overflow 0
		.amdhsa_tg_split 0
		.amdhsa_exception_fp_ieee_invalid_op 0
		.amdhsa_exception_fp_denorm_src 0
		.amdhsa_exception_fp_ieee_div_zero 0
		.amdhsa_exception_fp_ieee_overflow 0
		.amdhsa_exception_fp_ieee_underflow 0
		.amdhsa_exception_fp_ieee_inexact 0
		.amdhsa_exception_int_div_zero 0
	.end_amdhsa_kernel
	.section	.text._ZN7rocprim17ROCPRIM_400000_NS6detail17trampoline_kernelINS0_14default_configENS1_22reduce_config_selectorIjEEZNS1_11reduce_implILb1ES3_PjS7_j11plus_mod_10IjEEE10hipError_tPvRmT1_T2_T3_mT4_P12ihipStream_tbEUlT_E0_NS1_11comp_targetILNS1_3genE4ELNS1_11target_archE910ELNS1_3gpuE8ELNS1_3repE0EEENS1_30default_config_static_selectorELNS0_4arch9wavefront6targetE1EEEvSD_,"axG",@progbits,_ZN7rocprim17ROCPRIM_400000_NS6detail17trampoline_kernelINS0_14default_configENS1_22reduce_config_selectorIjEEZNS1_11reduce_implILb1ES3_PjS7_j11plus_mod_10IjEEE10hipError_tPvRmT1_T2_T3_mT4_P12ihipStream_tbEUlT_E0_NS1_11comp_targetILNS1_3genE4ELNS1_11target_archE910ELNS1_3gpuE8ELNS1_3repE0EEENS1_30default_config_static_selectorELNS0_4arch9wavefront6targetE1EEEvSD_,comdat
.Lfunc_end587:
	.size	_ZN7rocprim17ROCPRIM_400000_NS6detail17trampoline_kernelINS0_14default_configENS1_22reduce_config_selectorIjEEZNS1_11reduce_implILb1ES3_PjS7_j11plus_mod_10IjEEE10hipError_tPvRmT1_T2_T3_mT4_P12ihipStream_tbEUlT_E0_NS1_11comp_targetILNS1_3genE4ELNS1_11target_archE910ELNS1_3gpuE8ELNS1_3repE0EEENS1_30default_config_static_selectorELNS0_4arch9wavefront6targetE1EEEvSD_, .Lfunc_end587-_ZN7rocprim17ROCPRIM_400000_NS6detail17trampoline_kernelINS0_14default_configENS1_22reduce_config_selectorIjEEZNS1_11reduce_implILb1ES3_PjS7_j11plus_mod_10IjEEE10hipError_tPvRmT1_T2_T3_mT4_P12ihipStream_tbEUlT_E0_NS1_11comp_targetILNS1_3genE4ELNS1_11target_archE910ELNS1_3gpuE8ELNS1_3repE0EEENS1_30default_config_static_selectorELNS0_4arch9wavefront6targetE1EEEvSD_
                                        ; -- End function
	.set _ZN7rocprim17ROCPRIM_400000_NS6detail17trampoline_kernelINS0_14default_configENS1_22reduce_config_selectorIjEEZNS1_11reduce_implILb1ES3_PjS7_j11plus_mod_10IjEEE10hipError_tPvRmT1_T2_T3_mT4_P12ihipStream_tbEUlT_E0_NS1_11comp_targetILNS1_3genE4ELNS1_11target_archE910ELNS1_3gpuE8ELNS1_3repE0EEENS1_30default_config_static_selectorELNS0_4arch9wavefront6targetE1EEEvSD_.num_vgpr, 0
	.set _ZN7rocprim17ROCPRIM_400000_NS6detail17trampoline_kernelINS0_14default_configENS1_22reduce_config_selectorIjEEZNS1_11reduce_implILb1ES3_PjS7_j11plus_mod_10IjEEE10hipError_tPvRmT1_T2_T3_mT4_P12ihipStream_tbEUlT_E0_NS1_11comp_targetILNS1_3genE4ELNS1_11target_archE910ELNS1_3gpuE8ELNS1_3repE0EEENS1_30default_config_static_selectorELNS0_4arch9wavefront6targetE1EEEvSD_.num_agpr, 0
	.set _ZN7rocprim17ROCPRIM_400000_NS6detail17trampoline_kernelINS0_14default_configENS1_22reduce_config_selectorIjEEZNS1_11reduce_implILb1ES3_PjS7_j11plus_mod_10IjEEE10hipError_tPvRmT1_T2_T3_mT4_P12ihipStream_tbEUlT_E0_NS1_11comp_targetILNS1_3genE4ELNS1_11target_archE910ELNS1_3gpuE8ELNS1_3repE0EEENS1_30default_config_static_selectorELNS0_4arch9wavefront6targetE1EEEvSD_.numbered_sgpr, 0
	.set _ZN7rocprim17ROCPRIM_400000_NS6detail17trampoline_kernelINS0_14default_configENS1_22reduce_config_selectorIjEEZNS1_11reduce_implILb1ES3_PjS7_j11plus_mod_10IjEEE10hipError_tPvRmT1_T2_T3_mT4_P12ihipStream_tbEUlT_E0_NS1_11comp_targetILNS1_3genE4ELNS1_11target_archE910ELNS1_3gpuE8ELNS1_3repE0EEENS1_30default_config_static_selectorELNS0_4arch9wavefront6targetE1EEEvSD_.num_named_barrier, 0
	.set _ZN7rocprim17ROCPRIM_400000_NS6detail17trampoline_kernelINS0_14default_configENS1_22reduce_config_selectorIjEEZNS1_11reduce_implILb1ES3_PjS7_j11plus_mod_10IjEEE10hipError_tPvRmT1_T2_T3_mT4_P12ihipStream_tbEUlT_E0_NS1_11comp_targetILNS1_3genE4ELNS1_11target_archE910ELNS1_3gpuE8ELNS1_3repE0EEENS1_30default_config_static_selectorELNS0_4arch9wavefront6targetE1EEEvSD_.private_seg_size, 0
	.set _ZN7rocprim17ROCPRIM_400000_NS6detail17trampoline_kernelINS0_14default_configENS1_22reduce_config_selectorIjEEZNS1_11reduce_implILb1ES3_PjS7_j11plus_mod_10IjEEE10hipError_tPvRmT1_T2_T3_mT4_P12ihipStream_tbEUlT_E0_NS1_11comp_targetILNS1_3genE4ELNS1_11target_archE910ELNS1_3gpuE8ELNS1_3repE0EEENS1_30default_config_static_selectorELNS0_4arch9wavefront6targetE1EEEvSD_.uses_vcc, 0
	.set _ZN7rocprim17ROCPRIM_400000_NS6detail17trampoline_kernelINS0_14default_configENS1_22reduce_config_selectorIjEEZNS1_11reduce_implILb1ES3_PjS7_j11plus_mod_10IjEEE10hipError_tPvRmT1_T2_T3_mT4_P12ihipStream_tbEUlT_E0_NS1_11comp_targetILNS1_3genE4ELNS1_11target_archE910ELNS1_3gpuE8ELNS1_3repE0EEENS1_30default_config_static_selectorELNS0_4arch9wavefront6targetE1EEEvSD_.uses_flat_scratch, 0
	.set _ZN7rocprim17ROCPRIM_400000_NS6detail17trampoline_kernelINS0_14default_configENS1_22reduce_config_selectorIjEEZNS1_11reduce_implILb1ES3_PjS7_j11plus_mod_10IjEEE10hipError_tPvRmT1_T2_T3_mT4_P12ihipStream_tbEUlT_E0_NS1_11comp_targetILNS1_3genE4ELNS1_11target_archE910ELNS1_3gpuE8ELNS1_3repE0EEENS1_30default_config_static_selectorELNS0_4arch9wavefront6targetE1EEEvSD_.has_dyn_sized_stack, 0
	.set _ZN7rocprim17ROCPRIM_400000_NS6detail17trampoline_kernelINS0_14default_configENS1_22reduce_config_selectorIjEEZNS1_11reduce_implILb1ES3_PjS7_j11plus_mod_10IjEEE10hipError_tPvRmT1_T2_T3_mT4_P12ihipStream_tbEUlT_E0_NS1_11comp_targetILNS1_3genE4ELNS1_11target_archE910ELNS1_3gpuE8ELNS1_3repE0EEENS1_30default_config_static_selectorELNS0_4arch9wavefront6targetE1EEEvSD_.has_recursion, 0
	.set _ZN7rocprim17ROCPRIM_400000_NS6detail17trampoline_kernelINS0_14default_configENS1_22reduce_config_selectorIjEEZNS1_11reduce_implILb1ES3_PjS7_j11plus_mod_10IjEEE10hipError_tPvRmT1_T2_T3_mT4_P12ihipStream_tbEUlT_E0_NS1_11comp_targetILNS1_3genE4ELNS1_11target_archE910ELNS1_3gpuE8ELNS1_3repE0EEENS1_30default_config_static_selectorELNS0_4arch9wavefront6targetE1EEEvSD_.has_indirect_call, 0
	.section	.AMDGPU.csdata,"",@progbits
; Kernel info:
; codeLenInByte = 0
; TotalNumSgprs: 6
; NumVgprs: 0
; NumAgprs: 0
; TotalNumVgprs: 0
; ScratchSize: 0
; MemoryBound: 0
; FloatMode: 240
; IeeeMode: 1
; LDSByteSize: 0 bytes/workgroup (compile time only)
; SGPRBlocks: 0
; VGPRBlocks: 0
; NumSGPRsForWavesPerEU: 6
; NumVGPRsForWavesPerEU: 1
; AccumOffset: 4
; Occupancy: 8
; WaveLimiterHint : 0
; COMPUTE_PGM_RSRC2:SCRATCH_EN: 0
; COMPUTE_PGM_RSRC2:USER_SGPR: 2
; COMPUTE_PGM_RSRC2:TRAP_HANDLER: 0
; COMPUTE_PGM_RSRC2:TGID_X_EN: 1
; COMPUTE_PGM_RSRC2:TGID_Y_EN: 0
; COMPUTE_PGM_RSRC2:TGID_Z_EN: 0
; COMPUTE_PGM_RSRC2:TIDIG_COMP_CNT: 0
; COMPUTE_PGM_RSRC3_GFX90A:ACCUM_OFFSET: 0
; COMPUTE_PGM_RSRC3_GFX90A:TG_SPLIT: 0
	.section	.text._ZN7rocprim17ROCPRIM_400000_NS6detail17trampoline_kernelINS0_14default_configENS1_22reduce_config_selectorIjEEZNS1_11reduce_implILb1ES3_PjS7_j11plus_mod_10IjEEE10hipError_tPvRmT1_T2_T3_mT4_P12ihipStream_tbEUlT_E0_NS1_11comp_targetILNS1_3genE3ELNS1_11target_archE908ELNS1_3gpuE7ELNS1_3repE0EEENS1_30default_config_static_selectorELNS0_4arch9wavefront6targetE1EEEvSD_,"axG",@progbits,_ZN7rocprim17ROCPRIM_400000_NS6detail17trampoline_kernelINS0_14default_configENS1_22reduce_config_selectorIjEEZNS1_11reduce_implILb1ES3_PjS7_j11plus_mod_10IjEEE10hipError_tPvRmT1_T2_T3_mT4_P12ihipStream_tbEUlT_E0_NS1_11comp_targetILNS1_3genE3ELNS1_11target_archE908ELNS1_3gpuE7ELNS1_3repE0EEENS1_30default_config_static_selectorELNS0_4arch9wavefront6targetE1EEEvSD_,comdat
	.protected	_ZN7rocprim17ROCPRIM_400000_NS6detail17trampoline_kernelINS0_14default_configENS1_22reduce_config_selectorIjEEZNS1_11reduce_implILb1ES3_PjS7_j11plus_mod_10IjEEE10hipError_tPvRmT1_T2_T3_mT4_P12ihipStream_tbEUlT_E0_NS1_11comp_targetILNS1_3genE3ELNS1_11target_archE908ELNS1_3gpuE7ELNS1_3repE0EEENS1_30default_config_static_selectorELNS0_4arch9wavefront6targetE1EEEvSD_ ; -- Begin function _ZN7rocprim17ROCPRIM_400000_NS6detail17trampoline_kernelINS0_14default_configENS1_22reduce_config_selectorIjEEZNS1_11reduce_implILb1ES3_PjS7_j11plus_mod_10IjEEE10hipError_tPvRmT1_T2_T3_mT4_P12ihipStream_tbEUlT_E0_NS1_11comp_targetILNS1_3genE3ELNS1_11target_archE908ELNS1_3gpuE7ELNS1_3repE0EEENS1_30default_config_static_selectorELNS0_4arch9wavefront6targetE1EEEvSD_
	.globl	_ZN7rocprim17ROCPRIM_400000_NS6detail17trampoline_kernelINS0_14default_configENS1_22reduce_config_selectorIjEEZNS1_11reduce_implILb1ES3_PjS7_j11plus_mod_10IjEEE10hipError_tPvRmT1_T2_T3_mT4_P12ihipStream_tbEUlT_E0_NS1_11comp_targetILNS1_3genE3ELNS1_11target_archE908ELNS1_3gpuE7ELNS1_3repE0EEENS1_30default_config_static_selectorELNS0_4arch9wavefront6targetE1EEEvSD_
	.p2align	8
	.type	_ZN7rocprim17ROCPRIM_400000_NS6detail17trampoline_kernelINS0_14default_configENS1_22reduce_config_selectorIjEEZNS1_11reduce_implILb1ES3_PjS7_j11plus_mod_10IjEEE10hipError_tPvRmT1_T2_T3_mT4_P12ihipStream_tbEUlT_E0_NS1_11comp_targetILNS1_3genE3ELNS1_11target_archE908ELNS1_3gpuE7ELNS1_3repE0EEENS1_30default_config_static_selectorELNS0_4arch9wavefront6targetE1EEEvSD_,@function
_ZN7rocprim17ROCPRIM_400000_NS6detail17trampoline_kernelINS0_14default_configENS1_22reduce_config_selectorIjEEZNS1_11reduce_implILb1ES3_PjS7_j11plus_mod_10IjEEE10hipError_tPvRmT1_T2_T3_mT4_P12ihipStream_tbEUlT_E0_NS1_11comp_targetILNS1_3genE3ELNS1_11target_archE908ELNS1_3gpuE7ELNS1_3repE0EEENS1_30default_config_static_selectorELNS0_4arch9wavefront6targetE1EEEvSD_: ; @_ZN7rocprim17ROCPRIM_400000_NS6detail17trampoline_kernelINS0_14default_configENS1_22reduce_config_selectorIjEEZNS1_11reduce_implILb1ES3_PjS7_j11plus_mod_10IjEEE10hipError_tPvRmT1_T2_T3_mT4_P12ihipStream_tbEUlT_E0_NS1_11comp_targetILNS1_3genE3ELNS1_11target_archE908ELNS1_3gpuE7ELNS1_3repE0EEENS1_30default_config_static_selectorELNS0_4arch9wavefront6targetE1EEEvSD_
; %bb.0:
	.section	.rodata,"a",@progbits
	.p2align	6, 0x0
	.amdhsa_kernel _ZN7rocprim17ROCPRIM_400000_NS6detail17trampoline_kernelINS0_14default_configENS1_22reduce_config_selectorIjEEZNS1_11reduce_implILb1ES3_PjS7_j11plus_mod_10IjEEE10hipError_tPvRmT1_T2_T3_mT4_P12ihipStream_tbEUlT_E0_NS1_11comp_targetILNS1_3genE3ELNS1_11target_archE908ELNS1_3gpuE7ELNS1_3repE0EEENS1_30default_config_static_selectorELNS0_4arch9wavefront6targetE1EEEvSD_
		.amdhsa_group_segment_fixed_size 0
		.amdhsa_private_segment_fixed_size 0
		.amdhsa_kernarg_size 56
		.amdhsa_user_sgpr_count 2
		.amdhsa_user_sgpr_dispatch_ptr 0
		.amdhsa_user_sgpr_queue_ptr 0
		.amdhsa_user_sgpr_kernarg_segment_ptr 1
		.amdhsa_user_sgpr_dispatch_id 0
		.amdhsa_user_sgpr_kernarg_preload_length 0
		.amdhsa_user_sgpr_kernarg_preload_offset 0
		.amdhsa_user_sgpr_private_segment_size 0
		.amdhsa_uses_dynamic_stack 0
		.amdhsa_enable_private_segment 0
		.amdhsa_system_sgpr_workgroup_id_x 1
		.amdhsa_system_sgpr_workgroup_id_y 0
		.amdhsa_system_sgpr_workgroup_id_z 0
		.amdhsa_system_sgpr_workgroup_info 0
		.amdhsa_system_vgpr_workitem_id 0
		.amdhsa_next_free_vgpr 1
		.amdhsa_next_free_sgpr 0
		.amdhsa_accum_offset 4
		.amdhsa_reserve_vcc 0
		.amdhsa_float_round_mode_32 0
		.amdhsa_float_round_mode_16_64 0
		.amdhsa_float_denorm_mode_32 3
		.amdhsa_float_denorm_mode_16_64 3
		.amdhsa_dx10_clamp 1
		.amdhsa_ieee_mode 1
		.amdhsa_fp16_overflow 0
		.amdhsa_tg_split 0
		.amdhsa_exception_fp_ieee_invalid_op 0
		.amdhsa_exception_fp_denorm_src 0
		.amdhsa_exception_fp_ieee_div_zero 0
		.amdhsa_exception_fp_ieee_overflow 0
		.amdhsa_exception_fp_ieee_underflow 0
		.amdhsa_exception_fp_ieee_inexact 0
		.amdhsa_exception_int_div_zero 0
	.end_amdhsa_kernel
	.section	.text._ZN7rocprim17ROCPRIM_400000_NS6detail17trampoline_kernelINS0_14default_configENS1_22reduce_config_selectorIjEEZNS1_11reduce_implILb1ES3_PjS7_j11plus_mod_10IjEEE10hipError_tPvRmT1_T2_T3_mT4_P12ihipStream_tbEUlT_E0_NS1_11comp_targetILNS1_3genE3ELNS1_11target_archE908ELNS1_3gpuE7ELNS1_3repE0EEENS1_30default_config_static_selectorELNS0_4arch9wavefront6targetE1EEEvSD_,"axG",@progbits,_ZN7rocprim17ROCPRIM_400000_NS6detail17trampoline_kernelINS0_14default_configENS1_22reduce_config_selectorIjEEZNS1_11reduce_implILb1ES3_PjS7_j11plus_mod_10IjEEE10hipError_tPvRmT1_T2_T3_mT4_P12ihipStream_tbEUlT_E0_NS1_11comp_targetILNS1_3genE3ELNS1_11target_archE908ELNS1_3gpuE7ELNS1_3repE0EEENS1_30default_config_static_selectorELNS0_4arch9wavefront6targetE1EEEvSD_,comdat
.Lfunc_end588:
	.size	_ZN7rocprim17ROCPRIM_400000_NS6detail17trampoline_kernelINS0_14default_configENS1_22reduce_config_selectorIjEEZNS1_11reduce_implILb1ES3_PjS7_j11plus_mod_10IjEEE10hipError_tPvRmT1_T2_T3_mT4_P12ihipStream_tbEUlT_E0_NS1_11comp_targetILNS1_3genE3ELNS1_11target_archE908ELNS1_3gpuE7ELNS1_3repE0EEENS1_30default_config_static_selectorELNS0_4arch9wavefront6targetE1EEEvSD_, .Lfunc_end588-_ZN7rocprim17ROCPRIM_400000_NS6detail17trampoline_kernelINS0_14default_configENS1_22reduce_config_selectorIjEEZNS1_11reduce_implILb1ES3_PjS7_j11plus_mod_10IjEEE10hipError_tPvRmT1_T2_T3_mT4_P12ihipStream_tbEUlT_E0_NS1_11comp_targetILNS1_3genE3ELNS1_11target_archE908ELNS1_3gpuE7ELNS1_3repE0EEENS1_30default_config_static_selectorELNS0_4arch9wavefront6targetE1EEEvSD_
                                        ; -- End function
	.set _ZN7rocprim17ROCPRIM_400000_NS6detail17trampoline_kernelINS0_14default_configENS1_22reduce_config_selectorIjEEZNS1_11reduce_implILb1ES3_PjS7_j11plus_mod_10IjEEE10hipError_tPvRmT1_T2_T3_mT4_P12ihipStream_tbEUlT_E0_NS1_11comp_targetILNS1_3genE3ELNS1_11target_archE908ELNS1_3gpuE7ELNS1_3repE0EEENS1_30default_config_static_selectorELNS0_4arch9wavefront6targetE1EEEvSD_.num_vgpr, 0
	.set _ZN7rocprim17ROCPRIM_400000_NS6detail17trampoline_kernelINS0_14default_configENS1_22reduce_config_selectorIjEEZNS1_11reduce_implILb1ES3_PjS7_j11plus_mod_10IjEEE10hipError_tPvRmT1_T2_T3_mT4_P12ihipStream_tbEUlT_E0_NS1_11comp_targetILNS1_3genE3ELNS1_11target_archE908ELNS1_3gpuE7ELNS1_3repE0EEENS1_30default_config_static_selectorELNS0_4arch9wavefront6targetE1EEEvSD_.num_agpr, 0
	.set _ZN7rocprim17ROCPRIM_400000_NS6detail17trampoline_kernelINS0_14default_configENS1_22reduce_config_selectorIjEEZNS1_11reduce_implILb1ES3_PjS7_j11plus_mod_10IjEEE10hipError_tPvRmT1_T2_T3_mT4_P12ihipStream_tbEUlT_E0_NS1_11comp_targetILNS1_3genE3ELNS1_11target_archE908ELNS1_3gpuE7ELNS1_3repE0EEENS1_30default_config_static_selectorELNS0_4arch9wavefront6targetE1EEEvSD_.numbered_sgpr, 0
	.set _ZN7rocprim17ROCPRIM_400000_NS6detail17trampoline_kernelINS0_14default_configENS1_22reduce_config_selectorIjEEZNS1_11reduce_implILb1ES3_PjS7_j11plus_mod_10IjEEE10hipError_tPvRmT1_T2_T3_mT4_P12ihipStream_tbEUlT_E0_NS1_11comp_targetILNS1_3genE3ELNS1_11target_archE908ELNS1_3gpuE7ELNS1_3repE0EEENS1_30default_config_static_selectorELNS0_4arch9wavefront6targetE1EEEvSD_.num_named_barrier, 0
	.set _ZN7rocprim17ROCPRIM_400000_NS6detail17trampoline_kernelINS0_14default_configENS1_22reduce_config_selectorIjEEZNS1_11reduce_implILb1ES3_PjS7_j11plus_mod_10IjEEE10hipError_tPvRmT1_T2_T3_mT4_P12ihipStream_tbEUlT_E0_NS1_11comp_targetILNS1_3genE3ELNS1_11target_archE908ELNS1_3gpuE7ELNS1_3repE0EEENS1_30default_config_static_selectorELNS0_4arch9wavefront6targetE1EEEvSD_.private_seg_size, 0
	.set _ZN7rocprim17ROCPRIM_400000_NS6detail17trampoline_kernelINS0_14default_configENS1_22reduce_config_selectorIjEEZNS1_11reduce_implILb1ES3_PjS7_j11plus_mod_10IjEEE10hipError_tPvRmT1_T2_T3_mT4_P12ihipStream_tbEUlT_E0_NS1_11comp_targetILNS1_3genE3ELNS1_11target_archE908ELNS1_3gpuE7ELNS1_3repE0EEENS1_30default_config_static_selectorELNS0_4arch9wavefront6targetE1EEEvSD_.uses_vcc, 0
	.set _ZN7rocprim17ROCPRIM_400000_NS6detail17trampoline_kernelINS0_14default_configENS1_22reduce_config_selectorIjEEZNS1_11reduce_implILb1ES3_PjS7_j11plus_mod_10IjEEE10hipError_tPvRmT1_T2_T3_mT4_P12ihipStream_tbEUlT_E0_NS1_11comp_targetILNS1_3genE3ELNS1_11target_archE908ELNS1_3gpuE7ELNS1_3repE0EEENS1_30default_config_static_selectorELNS0_4arch9wavefront6targetE1EEEvSD_.uses_flat_scratch, 0
	.set _ZN7rocprim17ROCPRIM_400000_NS6detail17trampoline_kernelINS0_14default_configENS1_22reduce_config_selectorIjEEZNS1_11reduce_implILb1ES3_PjS7_j11plus_mod_10IjEEE10hipError_tPvRmT1_T2_T3_mT4_P12ihipStream_tbEUlT_E0_NS1_11comp_targetILNS1_3genE3ELNS1_11target_archE908ELNS1_3gpuE7ELNS1_3repE0EEENS1_30default_config_static_selectorELNS0_4arch9wavefront6targetE1EEEvSD_.has_dyn_sized_stack, 0
	.set _ZN7rocprim17ROCPRIM_400000_NS6detail17trampoline_kernelINS0_14default_configENS1_22reduce_config_selectorIjEEZNS1_11reduce_implILb1ES3_PjS7_j11plus_mod_10IjEEE10hipError_tPvRmT1_T2_T3_mT4_P12ihipStream_tbEUlT_E0_NS1_11comp_targetILNS1_3genE3ELNS1_11target_archE908ELNS1_3gpuE7ELNS1_3repE0EEENS1_30default_config_static_selectorELNS0_4arch9wavefront6targetE1EEEvSD_.has_recursion, 0
	.set _ZN7rocprim17ROCPRIM_400000_NS6detail17trampoline_kernelINS0_14default_configENS1_22reduce_config_selectorIjEEZNS1_11reduce_implILb1ES3_PjS7_j11plus_mod_10IjEEE10hipError_tPvRmT1_T2_T3_mT4_P12ihipStream_tbEUlT_E0_NS1_11comp_targetILNS1_3genE3ELNS1_11target_archE908ELNS1_3gpuE7ELNS1_3repE0EEENS1_30default_config_static_selectorELNS0_4arch9wavefront6targetE1EEEvSD_.has_indirect_call, 0
	.section	.AMDGPU.csdata,"",@progbits
; Kernel info:
; codeLenInByte = 0
; TotalNumSgprs: 6
; NumVgprs: 0
; NumAgprs: 0
; TotalNumVgprs: 0
; ScratchSize: 0
; MemoryBound: 0
; FloatMode: 240
; IeeeMode: 1
; LDSByteSize: 0 bytes/workgroup (compile time only)
; SGPRBlocks: 0
; VGPRBlocks: 0
; NumSGPRsForWavesPerEU: 6
; NumVGPRsForWavesPerEU: 1
; AccumOffset: 4
; Occupancy: 8
; WaveLimiterHint : 0
; COMPUTE_PGM_RSRC2:SCRATCH_EN: 0
; COMPUTE_PGM_RSRC2:USER_SGPR: 2
; COMPUTE_PGM_RSRC2:TRAP_HANDLER: 0
; COMPUTE_PGM_RSRC2:TGID_X_EN: 1
; COMPUTE_PGM_RSRC2:TGID_Y_EN: 0
; COMPUTE_PGM_RSRC2:TGID_Z_EN: 0
; COMPUTE_PGM_RSRC2:TIDIG_COMP_CNT: 0
; COMPUTE_PGM_RSRC3_GFX90A:ACCUM_OFFSET: 0
; COMPUTE_PGM_RSRC3_GFX90A:TG_SPLIT: 0
	.section	.text._ZN7rocprim17ROCPRIM_400000_NS6detail17trampoline_kernelINS0_14default_configENS1_22reduce_config_selectorIjEEZNS1_11reduce_implILb1ES3_PjS7_j11plus_mod_10IjEEE10hipError_tPvRmT1_T2_T3_mT4_P12ihipStream_tbEUlT_E0_NS1_11comp_targetILNS1_3genE2ELNS1_11target_archE906ELNS1_3gpuE6ELNS1_3repE0EEENS1_30default_config_static_selectorELNS0_4arch9wavefront6targetE1EEEvSD_,"axG",@progbits,_ZN7rocprim17ROCPRIM_400000_NS6detail17trampoline_kernelINS0_14default_configENS1_22reduce_config_selectorIjEEZNS1_11reduce_implILb1ES3_PjS7_j11plus_mod_10IjEEE10hipError_tPvRmT1_T2_T3_mT4_P12ihipStream_tbEUlT_E0_NS1_11comp_targetILNS1_3genE2ELNS1_11target_archE906ELNS1_3gpuE6ELNS1_3repE0EEENS1_30default_config_static_selectorELNS0_4arch9wavefront6targetE1EEEvSD_,comdat
	.protected	_ZN7rocprim17ROCPRIM_400000_NS6detail17trampoline_kernelINS0_14default_configENS1_22reduce_config_selectorIjEEZNS1_11reduce_implILb1ES3_PjS7_j11plus_mod_10IjEEE10hipError_tPvRmT1_T2_T3_mT4_P12ihipStream_tbEUlT_E0_NS1_11comp_targetILNS1_3genE2ELNS1_11target_archE906ELNS1_3gpuE6ELNS1_3repE0EEENS1_30default_config_static_selectorELNS0_4arch9wavefront6targetE1EEEvSD_ ; -- Begin function _ZN7rocprim17ROCPRIM_400000_NS6detail17trampoline_kernelINS0_14default_configENS1_22reduce_config_selectorIjEEZNS1_11reduce_implILb1ES3_PjS7_j11plus_mod_10IjEEE10hipError_tPvRmT1_T2_T3_mT4_P12ihipStream_tbEUlT_E0_NS1_11comp_targetILNS1_3genE2ELNS1_11target_archE906ELNS1_3gpuE6ELNS1_3repE0EEENS1_30default_config_static_selectorELNS0_4arch9wavefront6targetE1EEEvSD_
	.globl	_ZN7rocprim17ROCPRIM_400000_NS6detail17trampoline_kernelINS0_14default_configENS1_22reduce_config_selectorIjEEZNS1_11reduce_implILb1ES3_PjS7_j11plus_mod_10IjEEE10hipError_tPvRmT1_T2_T3_mT4_P12ihipStream_tbEUlT_E0_NS1_11comp_targetILNS1_3genE2ELNS1_11target_archE906ELNS1_3gpuE6ELNS1_3repE0EEENS1_30default_config_static_selectorELNS0_4arch9wavefront6targetE1EEEvSD_
	.p2align	8
	.type	_ZN7rocprim17ROCPRIM_400000_NS6detail17trampoline_kernelINS0_14default_configENS1_22reduce_config_selectorIjEEZNS1_11reduce_implILb1ES3_PjS7_j11plus_mod_10IjEEE10hipError_tPvRmT1_T2_T3_mT4_P12ihipStream_tbEUlT_E0_NS1_11comp_targetILNS1_3genE2ELNS1_11target_archE906ELNS1_3gpuE6ELNS1_3repE0EEENS1_30default_config_static_selectorELNS0_4arch9wavefront6targetE1EEEvSD_,@function
_ZN7rocprim17ROCPRIM_400000_NS6detail17trampoline_kernelINS0_14default_configENS1_22reduce_config_selectorIjEEZNS1_11reduce_implILb1ES3_PjS7_j11plus_mod_10IjEEE10hipError_tPvRmT1_T2_T3_mT4_P12ihipStream_tbEUlT_E0_NS1_11comp_targetILNS1_3genE2ELNS1_11target_archE906ELNS1_3gpuE6ELNS1_3repE0EEENS1_30default_config_static_selectorELNS0_4arch9wavefront6targetE1EEEvSD_: ; @_ZN7rocprim17ROCPRIM_400000_NS6detail17trampoline_kernelINS0_14default_configENS1_22reduce_config_selectorIjEEZNS1_11reduce_implILb1ES3_PjS7_j11plus_mod_10IjEEE10hipError_tPvRmT1_T2_T3_mT4_P12ihipStream_tbEUlT_E0_NS1_11comp_targetILNS1_3genE2ELNS1_11target_archE906ELNS1_3gpuE6ELNS1_3repE0EEENS1_30default_config_static_selectorELNS0_4arch9wavefront6targetE1EEEvSD_
; %bb.0:
	.section	.rodata,"a",@progbits
	.p2align	6, 0x0
	.amdhsa_kernel _ZN7rocprim17ROCPRIM_400000_NS6detail17trampoline_kernelINS0_14default_configENS1_22reduce_config_selectorIjEEZNS1_11reduce_implILb1ES3_PjS7_j11plus_mod_10IjEEE10hipError_tPvRmT1_T2_T3_mT4_P12ihipStream_tbEUlT_E0_NS1_11comp_targetILNS1_3genE2ELNS1_11target_archE906ELNS1_3gpuE6ELNS1_3repE0EEENS1_30default_config_static_selectorELNS0_4arch9wavefront6targetE1EEEvSD_
		.amdhsa_group_segment_fixed_size 0
		.amdhsa_private_segment_fixed_size 0
		.amdhsa_kernarg_size 56
		.amdhsa_user_sgpr_count 2
		.amdhsa_user_sgpr_dispatch_ptr 0
		.amdhsa_user_sgpr_queue_ptr 0
		.amdhsa_user_sgpr_kernarg_segment_ptr 1
		.amdhsa_user_sgpr_dispatch_id 0
		.amdhsa_user_sgpr_kernarg_preload_length 0
		.amdhsa_user_sgpr_kernarg_preload_offset 0
		.amdhsa_user_sgpr_private_segment_size 0
		.amdhsa_uses_dynamic_stack 0
		.amdhsa_enable_private_segment 0
		.amdhsa_system_sgpr_workgroup_id_x 1
		.amdhsa_system_sgpr_workgroup_id_y 0
		.amdhsa_system_sgpr_workgroup_id_z 0
		.amdhsa_system_sgpr_workgroup_info 0
		.amdhsa_system_vgpr_workitem_id 0
		.amdhsa_next_free_vgpr 1
		.amdhsa_next_free_sgpr 0
		.amdhsa_accum_offset 4
		.amdhsa_reserve_vcc 0
		.amdhsa_float_round_mode_32 0
		.amdhsa_float_round_mode_16_64 0
		.amdhsa_float_denorm_mode_32 3
		.amdhsa_float_denorm_mode_16_64 3
		.amdhsa_dx10_clamp 1
		.amdhsa_ieee_mode 1
		.amdhsa_fp16_overflow 0
		.amdhsa_tg_split 0
		.amdhsa_exception_fp_ieee_invalid_op 0
		.amdhsa_exception_fp_denorm_src 0
		.amdhsa_exception_fp_ieee_div_zero 0
		.amdhsa_exception_fp_ieee_overflow 0
		.amdhsa_exception_fp_ieee_underflow 0
		.amdhsa_exception_fp_ieee_inexact 0
		.amdhsa_exception_int_div_zero 0
	.end_amdhsa_kernel
	.section	.text._ZN7rocprim17ROCPRIM_400000_NS6detail17trampoline_kernelINS0_14default_configENS1_22reduce_config_selectorIjEEZNS1_11reduce_implILb1ES3_PjS7_j11plus_mod_10IjEEE10hipError_tPvRmT1_T2_T3_mT4_P12ihipStream_tbEUlT_E0_NS1_11comp_targetILNS1_3genE2ELNS1_11target_archE906ELNS1_3gpuE6ELNS1_3repE0EEENS1_30default_config_static_selectorELNS0_4arch9wavefront6targetE1EEEvSD_,"axG",@progbits,_ZN7rocprim17ROCPRIM_400000_NS6detail17trampoline_kernelINS0_14default_configENS1_22reduce_config_selectorIjEEZNS1_11reduce_implILb1ES3_PjS7_j11plus_mod_10IjEEE10hipError_tPvRmT1_T2_T3_mT4_P12ihipStream_tbEUlT_E0_NS1_11comp_targetILNS1_3genE2ELNS1_11target_archE906ELNS1_3gpuE6ELNS1_3repE0EEENS1_30default_config_static_selectorELNS0_4arch9wavefront6targetE1EEEvSD_,comdat
.Lfunc_end589:
	.size	_ZN7rocprim17ROCPRIM_400000_NS6detail17trampoline_kernelINS0_14default_configENS1_22reduce_config_selectorIjEEZNS1_11reduce_implILb1ES3_PjS7_j11plus_mod_10IjEEE10hipError_tPvRmT1_T2_T3_mT4_P12ihipStream_tbEUlT_E0_NS1_11comp_targetILNS1_3genE2ELNS1_11target_archE906ELNS1_3gpuE6ELNS1_3repE0EEENS1_30default_config_static_selectorELNS0_4arch9wavefront6targetE1EEEvSD_, .Lfunc_end589-_ZN7rocprim17ROCPRIM_400000_NS6detail17trampoline_kernelINS0_14default_configENS1_22reduce_config_selectorIjEEZNS1_11reduce_implILb1ES3_PjS7_j11plus_mod_10IjEEE10hipError_tPvRmT1_T2_T3_mT4_P12ihipStream_tbEUlT_E0_NS1_11comp_targetILNS1_3genE2ELNS1_11target_archE906ELNS1_3gpuE6ELNS1_3repE0EEENS1_30default_config_static_selectorELNS0_4arch9wavefront6targetE1EEEvSD_
                                        ; -- End function
	.set _ZN7rocprim17ROCPRIM_400000_NS6detail17trampoline_kernelINS0_14default_configENS1_22reduce_config_selectorIjEEZNS1_11reduce_implILb1ES3_PjS7_j11plus_mod_10IjEEE10hipError_tPvRmT1_T2_T3_mT4_P12ihipStream_tbEUlT_E0_NS1_11comp_targetILNS1_3genE2ELNS1_11target_archE906ELNS1_3gpuE6ELNS1_3repE0EEENS1_30default_config_static_selectorELNS0_4arch9wavefront6targetE1EEEvSD_.num_vgpr, 0
	.set _ZN7rocprim17ROCPRIM_400000_NS6detail17trampoline_kernelINS0_14default_configENS1_22reduce_config_selectorIjEEZNS1_11reduce_implILb1ES3_PjS7_j11plus_mod_10IjEEE10hipError_tPvRmT1_T2_T3_mT4_P12ihipStream_tbEUlT_E0_NS1_11comp_targetILNS1_3genE2ELNS1_11target_archE906ELNS1_3gpuE6ELNS1_3repE0EEENS1_30default_config_static_selectorELNS0_4arch9wavefront6targetE1EEEvSD_.num_agpr, 0
	.set _ZN7rocprim17ROCPRIM_400000_NS6detail17trampoline_kernelINS0_14default_configENS1_22reduce_config_selectorIjEEZNS1_11reduce_implILb1ES3_PjS7_j11plus_mod_10IjEEE10hipError_tPvRmT1_T2_T3_mT4_P12ihipStream_tbEUlT_E0_NS1_11comp_targetILNS1_3genE2ELNS1_11target_archE906ELNS1_3gpuE6ELNS1_3repE0EEENS1_30default_config_static_selectorELNS0_4arch9wavefront6targetE1EEEvSD_.numbered_sgpr, 0
	.set _ZN7rocprim17ROCPRIM_400000_NS6detail17trampoline_kernelINS0_14default_configENS1_22reduce_config_selectorIjEEZNS1_11reduce_implILb1ES3_PjS7_j11plus_mod_10IjEEE10hipError_tPvRmT1_T2_T3_mT4_P12ihipStream_tbEUlT_E0_NS1_11comp_targetILNS1_3genE2ELNS1_11target_archE906ELNS1_3gpuE6ELNS1_3repE0EEENS1_30default_config_static_selectorELNS0_4arch9wavefront6targetE1EEEvSD_.num_named_barrier, 0
	.set _ZN7rocprim17ROCPRIM_400000_NS6detail17trampoline_kernelINS0_14default_configENS1_22reduce_config_selectorIjEEZNS1_11reduce_implILb1ES3_PjS7_j11plus_mod_10IjEEE10hipError_tPvRmT1_T2_T3_mT4_P12ihipStream_tbEUlT_E0_NS1_11comp_targetILNS1_3genE2ELNS1_11target_archE906ELNS1_3gpuE6ELNS1_3repE0EEENS1_30default_config_static_selectorELNS0_4arch9wavefront6targetE1EEEvSD_.private_seg_size, 0
	.set _ZN7rocprim17ROCPRIM_400000_NS6detail17trampoline_kernelINS0_14default_configENS1_22reduce_config_selectorIjEEZNS1_11reduce_implILb1ES3_PjS7_j11plus_mod_10IjEEE10hipError_tPvRmT1_T2_T3_mT4_P12ihipStream_tbEUlT_E0_NS1_11comp_targetILNS1_3genE2ELNS1_11target_archE906ELNS1_3gpuE6ELNS1_3repE0EEENS1_30default_config_static_selectorELNS0_4arch9wavefront6targetE1EEEvSD_.uses_vcc, 0
	.set _ZN7rocprim17ROCPRIM_400000_NS6detail17trampoline_kernelINS0_14default_configENS1_22reduce_config_selectorIjEEZNS1_11reduce_implILb1ES3_PjS7_j11plus_mod_10IjEEE10hipError_tPvRmT1_T2_T3_mT4_P12ihipStream_tbEUlT_E0_NS1_11comp_targetILNS1_3genE2ELNS1_11target_archE906ELNS1_3gpuE6ELNS1_3repE0EEENS1_30default_config_static_selectorELNS0_4arch9wavefront6targetE1EEEvSD_.uses_flat_scratch, 0
	.set _ZN7rocprim17ROCPRIM_400000_NS6detail17trampoline_kernelINS0_14default_configENS1_22reduce_config_selectorIjEEZNS1_11reduce_implILb1ES3_PjS7_j11plus_mod_10IjEEE10hipError_tPvRmT1_T2_T3_mT4_P12ihipStream_tbEUlT_E0_NS1_11comp_targetILNS1_3genE2ELNS1_11target_archE906ELNS1_3gpuE6ELNS1_3repE0EEENS1_30default_config_static_selectorELNS0_4arch9wavefront6targetE1EEEvSD_.has_dyn_sized_stack, 0
	.set _ZN7rocprim17ROCPRIM_400000_NS6detail17trampoline_kernelINS0_14default_configENS1_22reduce_config_selectorIjEEZNS1_11reduce_implILb1ES3_PjS7_j11plus_mod_10IjEEE10hipError_tPvRmT1_T2_T3_mT4_P12ihipStream_tbEUlT_E0_NS1_11comp_targetILNS1_3genE2ELNS1_11target_archE906ELNS1_3gpuE6ELNS1_3repE0EEENS1_30default_config_static_selectorELNS0_4arch9wavefront6targetE1EEEvSD_.has_recursion, 0
	.set _ZN7rocprim17ROCPRIM_400000_NS6detail17trampoline_kernelINS0_14default_configENS1_22reduce_config_selectorIjEEZNS1_11reduce_implILb1ES3_PjS7_j11plus_mod_10IjEEE10hipError_tPvRmT1_T2_T3_mT4_P12ihipStream_tbEUlT_E0_NS1_11comp_targetILNS1_3genE2ELNS1_11target_archE906ELNS1_3gpuE6ELNS1_3repE0EEENS1_30default_config_static_selectorELNS0_4arch9wavefront6targetE1EEEvSD_.has_indirect_call, 0
	.section	.AMDGPU.csdata,"",@progbits
; Kernel info:
; codeLenInByte = 0
; TotalNumSgprs: 6
; NumVgprs: 0
; NumAgprs: 0
; TotalNumVgprs: 0
; ScratchSize: 0
; MemoryBound: 0
; FloatMode: 240
; IeeeMode: 1
; LDSByteSize: 0 bytes/workgroup (compile time only)
; SGPRBlocks: 0
; VGPRBlocks: 0
; NumSGPRsForWavesPerEU: 6
; NumVGPRsForWavesPerEU: 1
; AccumOffset: 4
; Occupancy: 8
; WaveLimiterHint : 0
; COMPUTE_PGM_RSRC2:SCRATCH_EN: 0
; COMPUTE_PGM_RSRC2:USER_SGPR: 2
; COMPUTE_PGM_RSRC2:TRAP_HANDLER: 0
; COMPUTE_PGM_RSRC2:TGID_X_EN: 1
; COMPUTE_PGM_RSRC2:TGID_Y_EN: 0
; COMPUTE_PGM_RSRC2:TGID_Z_EN: 0
; COMPUTE_PGM_RSRC2:TIDIG_COMP_CNT: 0
; COMPUTE_PGM_RSRC3_GFX90A:ACCUM_OFFSET: 0
; COMPUTE_PGM_RSRC3_GFX90A:TG_SPLIT: 0
	.section	.text._ZN7rocprim17ROCPRIM_400000_NS6detail17trampoline_kernelINS0_14default_configENS1_22reduce_config_selectorIjEEZNS1_11reduce_implILb1ES3_PjS7_j11plus_mod_10IjEEE10hipError_tPvRmT1_T2_T3_mT4_P12ihipStream_tbEUlT_E0_NS1_11comp_targetILNS1_3genE10ELNS1_11target_archE1201ELNS1_3gpuE5ELNS1_3repE0EEENS1_30default_config_static_selectorELNS0_4arch9wavefront6targetE1EEEvSD_,"axG",@progbits,_ZN7rocprim17ROCPRIM_400000_NS6detail17trampoline_kernelINS0_14default_configENS1_22reduce_config_selectorIjEEZNS1_11reduce_implILb1ES3_PjS7_j11plus_mod_10IjEEE10hipError_tPvRmT1_T2_T3_mT4_P12ihipStream_tbEUlT_E0_NS1_11comp_targetILNS1_3genE10ELNS1_11target_archE1201ELNS1_3gpuE5ELNS1_3repE0EEENS1_30default_config_static_selectorELNS0_4arch9wavefront6targetE1EEEvSD_,comdat
	.protected	_ZN7rocprim17ROCPRIM_400000_NS6detail17trampoline_kernelINS0_14default_configENS1_22reduce_config_selectorIjEEZNS1_11reduce_implILb1ES3_PjS7_j11plus_mod_10IjEEE10hipError_tPvRmT1_T2_T3_mT4_P12ihipStream_tbEUlT_E0_NS1_11comp_targetILNS1_3genE10ELNS1_11target_archE1201ELNS1_3gpuE5ELNS1_3repE0EEENS1_30default_config_static_selectorELNS0_4arch9wavefront6targetE1EEEvSD_ ; -- Begin function _ZN7rocprim17ROCPRIM_400000_NS6detail17trampoline_kernelINS0_14default_configENS1_22reduce_config_selectorIjEEZNS1_11reduce_implILb1ES3_PjS7_j11plus_mod_10IjEEE10hipError_tPvRmT1_T2_T3_mT4_P12ihipStream_tbEUlT_E0_NS1_11comp_targetILNS1_3genE10ELNS1_11target_archE1201ELNS1_3gpuE5ELNS1_3repE0EEENS1_30default_config_static_selectorELNS0_4arch9wavefront6targetE1EEEvSD_
	.globl	_ZN7rocprim17ROCPRIM_400000_NS6detail17trampoline_kernelINS0_14default_configENS1_22reduce_config_selectorIjEEZNS1_11reduce_implILb1ES3_PjS7_j11plus_mod_10IjEEE10hipError_tPvRmT1_T2_T3_mT4_P12ihipStream_tbEUlT_E0_NS1_11comp_targetILNS1_3genE10ELNS1_11target_archE1201ELNS1_3gpuE5ELNS1_3repE0EEENS1_30default_config_static_selectorELNS0_4arch9wavefront6targetE1EEEvSD_
	.p2align	8
	.type	_ZN7rocprim17ROCPRIM_400000_NS6detail17trampoline_kernelINS0_14default_configENS1_22reduce_config_selectorIjEEZNS1_11reduce_implILb1ES3_PjS7_j11plus_mod_10IjEEE10hipError_tPvRmT1_T2_T3_mT4_P12ihipStream_tbEUlT_E0_NS1_11comp_targetILNS1_3genE10ELNS1_11target_archE1201ELNS1_3gpuE5ELNS1_3repE0EEENS1_30default_config_static_selectorELNS0_4arch9wavefront6targetE1EEEvSD_,@function
_ZN7rocprim17ROCPRIM_400000_NS6detail17trampoline_kernelINS0_14default_configENS1_22reduce_config_selectorIjEEZNS1_11reduce_implILb1ES3_PjS7_j11plus_mod_10IjEEE10hipError_tPvRmT1_T2_T3_mT4_P12ihipStream_tbEUlT_E0_NS1_11comp_targetILNS1_3genE10ELNS1_11target_archE1201ELNS1_3gpuE5ELNS1_3repE0EEENS1_30default_config_static_selectorELNS0_4arch9wavefront6targetE1EEEvSD_: ; @_ZN7rocprim17ROCPRIM_400000_NS6detail17trampoline_kernelINS0_14default_configENS1_22reduce_config_selectorIjEEZNS1_11reduce_implILb1ES3_PjS7_j11plus_mod_10IjEEE10hipError_tPvRmT1_T2_T3_mT4_P12ihipStream_tbEUlT_E0_NS1_11comp_targetILNS1_3genE10ELNS1_11target_archE1201ELNS1_3gpuE5ELNS1_3repE0EEENS1_30default_config_static_selectorELNS0_4arch9wavefront6targetE1EEEvSD_
; %bb.0:
	.section	.rodata,"a",@progbits
	.p2align	6, 0x0
	.amdhsa_kernel _ZN7rocprim17ROCPRIM_400000_NS6detail17trampoline_kernelINS0_14default_configENS1_22reduce_config_selectorIjEEZNS1_11reduce_implILb1ES3_PjS7_j11plus_mod_10IjEEE10hipError_tPvRmT1_T2_T3_mT4_P12ihipStream_tbEUlT_E0_NS1_11comp_targetILNS1_3genE10ELNS1_11target_archE1201ELNS1_3gpuE5ELNS1_3repE0EEENS1_30default_config_static_selectorELNS0_4arch9wavefront6targetE1EEEvSD_
		.amdhsa_group_segment_fixed_size 0
		.amdhsa_private_segment_fixed_size 0
		.amdhsa_kernarg_size 56
		.amdhsa_user_sgpr_count 2
		.amdhsa_user_sgpr_dispatch_ptr 0
		.amdhsa_user_sgpr_queue_ptr 0
		.amdhsa_user_sgpr_kernarg_segment_ptr 1
		.amdhsa_user_sgpr_dispatch_id 0
		.amdhsa_user_sgpr_kernarg_preload_length 0
		.amdhsa_user_sgpr_kernarg_preload_offset 0
		.amdhsa_user_sgpr_private_segment_size 0
		.amdhsa_uses_dynamic_stack 0
		.amdhsa_enable_private_segment 0
		.amdhsa_system_sgpr_workgroup_id_x 1
		.amdhsa_system_sgpr_workgroup_id_y 0
		.amdhsa_system_sgpr_workgroup_id_z 0
		.amdhsa_system_sgpr_workgroup_info 0
		.amdhsa_system_vgpr_workitem_id 0
		.amdhsa_next_free_vgpr 1
		.amdhsa_next_free_sgpr 0
		.amdhsa_accum_offset 4
		.amdhsa_reserve_vcc 0
		.amdhsa_float_round_mode_32 0
		.amdhsa_float_round_mode_16_64 0
		.amdhsa_float_denorm_mode_32 3
		.amdhsa_float_denorm_mode_16_64 3
		.amdhsa_dx10_clamp 1
		.amdhsa_ieee_mode 1
		.amdhsa_fp16_overflow 0
		.amdhsa_tg_split 0
		.amdhsa_exception_fp_ieee_invalid_op 0
		.amdhsa_exception_fp_denorm_src 0
		.amdhsa_exception_fp_ieee_div_zero 0
		.amdhsa_exception_fp_ieee_overflow 0
		.amdhsa_exception_fp_ieee_underflow 0
		.amdhsa_exception_fp_ieee_inexact 0
		.amdhsa_exception_int_div_zero 0
	.end_amdhsa_kernel
	.section	.text._ZN7rocprim17ROCPRIM_400000_NS6detail17trampoline_kernelINS0_14default_configENS1_22reduce_config_selectorIjEEZNS1_11reduce_implILb1ES3_PjS7_j11plus_mod_10IjEEE10hipError_tPvRmT1_T2_T3_mT4_P12ihipStream_tbEUlT_E0_NS1_11comp_targetILNS1_3genE10ELNS1_11target_archE1201ELNS1_3gpuE5ELNS1_3repE0EEENS1_30default_config_static_selectorELNS0_4arch9wavefront6targetE1EEEvSD_,"axG",@progbits,_ZN7rocprim17ROCPRIM_400000_NS6detail17trampoline_kernelINS0_14default_configENS1_22reduce_config_selectorIjEEZNS1_11reduce_implILb1ES3_PjS7_j11plus_mod_10IjEEE10hipError_tPvRmT1_T2_T3_mT4_P12ihipStream_tbEUlT_E0_NS1_11comp_targetILNS1_3genE10ELNS1_11target_archE1201ELNS1_3gpuE5ELNS1_3repE0EEENS1_30default_config_static_selectorELNS0_4arch9wavefront6targetE1EEEvSD_,comdat
.Lfunc_end590:
	.size	_ZN7rocprim17ROCPRIM_400000_NS6detail17trampoline_kernelINS0_14default_configENS1_22reduce_config_selectorIjEEZNS1_11reduce_implILb1ES3_PjS7_j11plus_mod_10IjEEE10hipError_tPvRmT1_T2_T3_mT4_P12ihipStream_tbEUlT_E0_NS1_11comp_targetILNS1_3genE10ELNS1_11target_archE1201ELNS1_3gpuE5ELNS1_3repE0EEENS1_30default_config_static_selectorELNS0_4arch9wavefront6targetE1EEEvSD_, .Lfunc_end590-_ZN7rocprim17ROCPRIM_400000_NS6detail17trampoline_kernelINS0_14default_configENS1_22reduce_config_selectorIjEEZNS1_11reduce_implILb1ES3_PjS7_j11plus_mod_10IjEEE10hipError_tPvRmT1_T2_T3_mT4_P12ihipStream_tbEUlT_E0_NS1_11comp_targetILNS1_3genE10ELNS1_11target_archE1201ELNS1_3gpuE5ELNS1_3repE0EEENS1_30default_config_static_selectorELNS0_4arch9wavefront6targetE1EEEvSD_
                                        ; -- End function
	.set _ZN7rocprim17ROCPRIM_400000_NS6detail17trampoline_kernelINS0_14default_configENS1_22reduce_config_selectorIjEEZNS1_11reduce_implILb1ES3_PjS7_j11plus_mod_10IjEEE10hipError_tPvRmT1_T2_T3_mT4_P12ihipStream_tbEUlT_E0_NS1_11comp_targetILNS1_3genE10ELNS1_11target_archE1201ELNS1_3gpuE5ELNS1_3repE0EEENS1_30default_config_static_selectorELNS0_4arch9wavefront6targetE1EEEvSD_.num_vgpr, 0
	.set _ZN7rocprim17ROCPRIM_400000_NS6detail17trampoline_kernelINS0_14default_configENS1_22reduce_config_selectorIjEEZNS1_11reduce_implILb1ES3_PjS7_j11plus_mod_10IjEEE10hipError_tPvRmT1_T2_T3_mT4_P12ihipStream_tbEUlT_E0_NS1_11comp_targetILNS1_3genE10ELNS1_11target_archE1201ELNS1_3gpuE5ELNS1_3repE0EEENS1_30default_config_static_selectorELNS0_4arch9wavefront6targetE1EEEvSD_.num_agpr, 0
	.set _ZN7rocprim17ROCPRIM_400000_NS6detail17trampoline_kernelINS0_14default_configENS1_22reduce_config_selectorIjEEZNS1_11reduce_implILb1ES3_PjS7_j11plus_mod_10IjEEE10hipError_tPvRmT1_T2_T3_mT4_P12ihipStream_tbEUlT_E0_NS1_11comp_targetILNS1_3genE10ELNS1_11target_archE1201ELNS1_3gpuE5ELNS1_3repE0EEENS1_30default_config_static_selectorELNS0_4arch9wavefront6targetE1EEEvSD_.numbered_sgpr, 0
	.set _ZN7rocprim17ROCPRIM_400000_NS6detail17trampoline_kernelINS0_14default_configENS1_22reduce_config_selectorIjEEZNS1_11reduce_implILb1ES3_PjS7_j11plus_mod_10IjEEE10hipError_tPvRmT1_T2_T3_mT4_P12ihipStream_tbEUlT_E0_NS1_11comp_targetILNS1_3genE10ELNS1_11target_archE1201ELNS1_3gpuE5ELNS1_3repE0EEENS1_30default_config_static_selectorELNS0_4arch9wavefront6targetE1EEEvSD_.num_named_barrier, 0
	.set _ZN7rocprim17ROCPRIM_400000_NS6detail17trampoline_kernelINS0_14default_configENS1_22reduce_config_selectorIjEEZNS1_11reduce_implILb1ES3_PjS7_j11plus_mod_10IjEEE10hipError_tPvRmT1_T2_T3_mT4_P12ihipStream_tbEUlT_E0_NS1_11comp_targetILNS1_3genE10ELNS1_11target_archE1201ELNS1_3gpuE5ELNS1_3repE0EEENS1_30default_config_static_selectorELNS0_4arch9wavefront6targetE1EEEvSD_.private_seg_size, 0
	.set _ZN7rocprim17ROCPRIM_400000_NS6detail17trampoline_kernelINS0_14default_configENS1_22reduce_config_selectorIjEEZNS1_11reduce_implILb1ES3_PjS7_j11plus_mod_10IjEEE10hipError_tPvRmT1_T2_T3_mT4_P12ihipStream_tbEUlT_E0_NS1_11comp_targetILNS1_3genE10ELNS1_11target_archE1201ELNS1_3gpuE5ELNS1_3repE0EEENS1_30default_config_static_selectorELNS0_4arch9wavefront6targetE1EEEvSD_.uses_vcc, 0
	.set _ZN7rocprim17ROCPRIM_400000_NS6detail17trampoline_kernelINS0_14default_configENS1_22reduce_config_selectorIjEEZNS1_11reduce_implILb1ES3_PjS7_j11plus_mod_10IjEEE10hipError_tPvRmT1_T2_T3_mT4_P12ihipStream_tbEUlT_E0_NS1_11comp_targetILNS1_3genE10ELNS1_11target_archE1201ELNS1_3gpuE5ELNS1_3repE0EEENS1_30default_config_static_selectorELNS0_4arch9wavefront6targetE1EEEvSD_.uses_flat_scratch, 0
	.set _ZN7rocprim17ROCPRIM_400000_NS6detail17trampoline_kernelINS0_14default_configENS1_22reduce_config_selectorIjEEZNS1_11reduce_implILb1ES3_PjS7_j11plus_mod_10IjEEE10hipError_tPvRmT1_T2_T3_mT4_P12ihipStream_tbEUlT_E0_NS1_11comp_targetILNS1_3genE10ELNS1_11target_archE1201ELNS1_3gpuE5ELNS1_3repE0EEENS1_30default_config_static_selectorELNS0_4arch9wavefront6targetE1EEEvSD_.has_dyn_sized_stack, 0
	.set _ZN7rocprim17ROCPRIM_400000_NS6detail17trampoline_kernelINS0_14default_configENS1_22reduce_config_selectorIjEEZNS1_11reduce_implILb1ES3_PjS7_j11plus_mod_10IjEEE10hipError_tPvRmT1_T2_T3_mT4_P12ihipStream_tbEUlT_E0_NS1_11comp_targetILNS1_3genE10ELNS1_11target_archE1201ELNS1_3gpuE5ELNS1_3repE0EEENS1_30default_config_static_selectorELNS0_4arch9wavefront6targetE1EEEvSD_.has_recursion, 0
	.set _ZN7rocprim17ROCPRIM_400000_NS6detail17trampoline_kernelINS0_14default_configENS1_22reduce_config_selectorIjEEZNS1_11reduce_implILb1ES3_PjS7_j11plus_mod_10IjEEE10hipError_tPvRmT1_T2_T3_mT4_P12ihipStream_tbEUlT_E0_NS1_11comp_targetILNS1_3genE10ELNS1_11target_archE1201ELNS1_3gpuE5ELNS1_3repE0EEENS1_30default_config_static_selectorELNS0_4arch9wavefront6targetE1EEEvSD_.has_indirect_call, 0
	.section	.AMDGPU.csdata,"",@progbits
; Kernel info:
; codeLenInByte = 0
; TotalNumSgprs: 6
; NumVgprs: 0
; NumAgprs: 0
; TotalNumVgprs: 0
; ScratchSize: 0
; MemoryBound: 0
; FloatMode: 240
; IeeeMode: 1
; LDSByteSize: 0 bytes/workgroup (compile time only)
; SGPRBlocks: 0
; VGPRBlocks: 0
; NumSGPRsForWavesPerEU: 6
; NumVGPRsForWavesPerEU: 1
; AccumOffset: 4
; Occupancy: 8
; WaveLimiterHint : 0
; COMPUTE_PGM_RSRC2:SCRATCH_EN: 0
; COMPUTE_PGM_RSRC2:USER_SGPR: 2
; COMPUTE_PGM_RSRC2:TRAP_HANDLER: 0
; COMPUTE_PGM_RSRC2:TGID_X_EN: 1
; COMPUTE_PGM_RSRC2:TGID_Y_EN: 0
; COMPUTE_PGM_RSRC2:TGID_Z_EN: 0
; COMPUTE_PGM_RSRC2:TIDIG_COMP_CNT: 0
; COMPUTE_PGM_RSRC3_GFX90A:ACCUM_OFFSET: 0
; COMPUTE_PGM_RSRC3_GFX90A:TG_SPLIT: 0
	.section	.text._ZN7rocprim17ROCPRIM_400000_NS6detail17trampoline_kernelINS0_14default_configENS1_22reduce_config_selectorIjEEZNS1_11reduce_implILb1ES3_PjS7_j11plus_mod_10IjEEE10hipError_tPvRmT1_T2_T3_mT4_P12ihipStream_tbEUlT_E0_NS1_11comp_targetILNS1_3genE10ELNS1_11target_archE1200ELNS1_3gpuE4ELNS1_3repE0EEENS1_30default_config_static_selectorELNS0_4arch9wavefront6targetE1EEEvSD_,"axG",@progbits,_ZN7rocprim17ROCPRIM_400000_NS6detail17trampoline_kernelINS0_14default_configENS1_22reduce_config_selectorIjEEZNS1_11reduce_implILb1ES3_PjS7_j11plus_mod_10IjEEE10hipError_tPvRmT1_T2_T3_mT4_P12ihipStream_tbEUlT_E0_NS1_11comp_targetILNS1_3genE10ELNS1_11target_archE1200ELNS1_3gpuE4ELNS1_3repE0EEENS1_30default_config_static_selectorELNS0_4arch9wavefront6targetE1EEEvSD_,comdat
	.protected	_ZN7rocprim17ROCPRIM_400000_NS6detail17trampoline_kernelINS0_14default_configENS1_22reduce_config_selectorIjEEZNS1_11reduce_implILb1ES3_PjS7_j11plus_mod_10IjEEE10hipError_tPvRmT1_T2_T3_mT4_P12ihipStream_tbEUlT_E0_NS1_11comp_targetILNS1_3genE10ELNS1_11target_archE1200ELNS1_3gpuE4ELNS1_3repE0EEENS1_30default_config_static_selectorELNS0_4arch9wavefront6targetE1EEEvSD_ ; -- Begin function _ZN7rocprim17ROCPRIM_400000_NS6detail17trampoline_kernelINS0_14default_configENS1_22reduce_config_selectorIjEEZNS1_11reduce_implILb1ES3_PjS7_j11plus_mod_10IjEEE10hipError_tPvRmT1_T2_T3_mT4_P12ihipStream_tbEUlT_E0_NS1_11comp_targetILNS1_3genE10ELNS1_11target_archE1200ELNS1_3gpuE4ELNS1_3repE0EEENS1_30default_config_static_selectorELNS0_4arch9wavefront6targetE1EEEvSD_
	.globl	_ZN7rocprim17ROCPRIM_400000_NS6detail17trampoline_kernelINS0_14default_configENS1_22reduce_config_selectorIjEEZNS1_11reduce_implILb1ES3_PjS7_j11plus_mod_10IjEEE10hipError_tPvRmT1_T2_T3_mT4_P12ihipStream_tbEUlT_E0_NS1_11comp_targetILNS1_3genE10ELNS1_11target_archE1200ELNS1_3gpuE4ELNS1_3repE0EEENS1_30default_config_static_selectorELNS0_4arch9wavefront6targetE1EEEvSD_
	.p2align	8
	.type	_ZN7rocprim17ROCPRIM_400000_NS6detail17trampoline_kernelINS0_14default_configENS1_22reduce_config_selectorIjEEZNS1_11reduce_implILb1ES3_PjS7_j11plus_mod_10IjEEE10hipError_tPvRmT1_T2_T3_mT4_P12ihipStream_tbEUlT_E0_NS1_11comp_targetILNS1_3genE10ELNS1_11target_archE1200ELNS1_3gpuE4ELNS1_3repE0EEENS1_30default_config_static_selectorELNS0_4arch9wavefront6targetE1EEEvSD_,@function
_ZN7rocprim17ROCPRIM_400000_NS6detail17trampoline_kernelINS0_14default_configENS1_22reduce_config_selectorIjEEZNS1_11reduce_implILb1ES3_PjS7_j11plus_mod_10IjEEE10hipError_tPvRmT1_T2_T3_mT4_P12ihipStream_tbEUlT_E0_NS1_11comp_targetILNS1_3genE10ELNS1_11target_archE1200ELNS1_3gpuE4ELNS1_3repE0EEENS1_30default_config_static_selectorELNS0_4arch9wavefront6targetE1EEEvSD_: ; @_ZN7rocprim17ROCPRIM_400000_NS6detail17trampoline_kernelINS0_14default_configENS1_22reduce_config_selectorIjEEZNS1_11reduce_implILb1ES3_PjS7_j11plus_mod_10IjEEE10hipError_tPvRmT1_T2_T3_mT4_P12ihipStream_tbEUlT_E0_NS1_11comp_targetILNS1_3genE10ELNS1_11target_archE1200ELNS1_3gpuE4ELNS1_3repE0EEENS1_30default_config_static_selectorELNS0_4arch9wavefront6targetE1EEEvSD_
; %bb.0:
	.section	.rodata,"a",@progbits
	.p2align	6, 0x0
	.amdhsa_kernel _ZN7rocprim17ROCPRIM_400000_NS6detail17trampoline_kernelINS0_14default_configENS1_22reduce_config_selectorIjEEZNS1_11reduce_implILb1ES3_PjS7_j11plus_mod_10IjEEE10hipError_tPvRmT1_T2_T3_mT4_P12ihipStream_tbEUlT_E0_NS1_11comp_targetILNS1_3genE10ELNS1_11target_archE1200ELNS1_3gpuE4ELNS1_3repE0EEENS1_30default_config_static_selectorELNS0_4arch9wavefront6targetE1EEEvSD_
		.amdhsa_group_segment_fixed_size 0
		.amdhsa_private_segment_fixed_size 0
		.amdhsa_kernarg_size 56
		.amdhsa_user_sgpr_count 2
		.amdhsa_user_sgpr_dispatch_ptr 0
		.amdhsa_user_sgpr_queue_ptr 0
		.amdhsa_user_sgpr_kernarg_segment_ptr 1
		.amdhsa_user_sgpr_dispatch_id 0
		.amdhsa_user_sgpr_kernarg_preload_length 0
		.amdhsa_user_sgpr_kernarg_preload_offset 0
		.amdhsa_user_sgpr_private_segment_size 0
		.amdhsa_uses_dynamic_stack 0
		.amdhsa_enable_private_segment 0
		.amdhsa_system_sgpr_workgroup_id_x 1
		.amdhsa_system_sgpr_workgroup_id_y 0
		.amdhsa_system_sgpr_workgroup_id_z 0
		.amdhsa_system_sgpr_workgroup_info 0
		.amdhsa_system_vgpr_workitem_id 0
		.amdhsa_next_free_vgpr 1
		.amdhsa_next_free_sgpr 0
		.amdhsa_accum_offset 4
		.amdhsa_reserve_vcc 0
		.amdhsa_float_round_mode_32 0
		.amdhsa_float_round_mode_16_64 0
		.amdhsa_float_denorm_mode_32 3
		.amdhsa_float_denorm_mode_16_64 3
		.amdhsa_dx10_clamp 1
		.amdhsa_ieee_mode 1
		.amdhsa_fp16_overflow 0
		.amdhsa_tg_split 0
		.amdhsa_exception_fp_ieee_invalid_op 0
		.amdhsa_exception_fp_denorm_src 0
		.amdhsa_exception_fp_ieee_div_zero 0
		.amdhsa_exception_fp_ieee_overflow 0
		.amdhsa_exception_fp_ieee_underflow 0
		.amdhsa_exception_fp_ieee_inexact 0
		.amdhsa_exception_int_div_zero 0
	.end_amdhsa_kernel
	.section	.text._ZN7rocprim17ROCPRIM_400000_NS6detail17trampoline_kernelINS0_14default_configENS1_22reduce_config_selectorIjEEZNS1_11reduce_implILb1ES3_PjS7_j11plus_mod_10IjEEE10hipError_tPvRmT1_T2_T3_mT4_P12ihipStream_tbEUlT_E0_NS1_11comp_targetILNS1_3genE10ELNS1_11target_archE1200ELNS1_3gpuE4ELNS1_3repE0EEENS1_30default_config_static_selectorELNS0_4arch9wavefront6targetE1EEEvSD_,"axG",@progbits,_ZN7rocprim17ROCPRIM_400000_NS6detail17trampoline_kernelINS0_14default_configENS1_22reduce_config_selectorIjEEZNS1_11reduce_implILb1ES3_PjS7_j11plus_mod_10IjEEE10hipError_tPvRmT1_T2_T3_mT4_P12ihipStream_tbEUlT_E0_NS1_11comp_targetILNS1_3genE10ELNS1_11target_archE1200ELNS1_3gpuE4ELNS1_3repE0EEENS1_30default_config_static_selectorELNS0_4arch9wavefront6targetE1EEEvSD_,comdat
.Lfunc_end591:
	.size	_ZN7rocprim17ROCPRIM_400000_NS6detail17trampoline_kernelINS0_14default_configENS1_22reduce_config_selectorIjEEZNS1_11reduce_implILb1ES3_PjS7_j11plus_mod_10IjEEE10hipError_tPvRmT1_T2_T3_mT4_P12ihipStream_tbEUlT_E0_NS1_11comp_targetILNS1_3genE10ELNS1_11target_archE1200ELNS1_3gpuE4ELNS1_3repE0EEENS1_30default_config_static_selectorELNS0_4arch9wavefront6targetE1EEEvSD_, .Lfunc_end591-_ZN7rocprim17ROCPRIM_400000_NS6detail17trampoline_kernelINS0_14default_configENS1_22reduce_config_selectorIjEEZNS1_11reduce_implILb1ES3_PjS7_j11plus_mod_10IjEEE10hipError_tPvRmT1_T2_T3_mT4_P12ihipStream_tbEUlT_E0_NS1_11comp_targetILNS1_3genE10ELNS1_11target_archE1200ELNS1_3gpuE4ELNS1_3repE0EEENS1_30default_config_static_selectorELNS0_4arch9wavefront6targetE1EEEvSD_
                                        ; -- End function
	.set _ZN7rocprim17ROCPRIM_400000_NS6detail17trampoline_kernelINS0_14default_configENS1_22reduce_config_selectorIjEEZNS1_11reduce_implILb1ES3_PjS7_j11plus_mod_10IjEEE10hipError_tPvRmT1_T2_T3_mT4_P12ihipStream_tbEUlT_E0_NS1_11comp_targetILNS1_3genE10ELNS1_11target_archE1200ELNS1_3gpuE4ELNS1_3repE0EEENS1_30default_config_static_selectorELNS0_4arch9wavefront6targetE1EEEvSD_.num_vgpr, 0
	.set _ZN7rocprim17ROCPRIM_400000_NS6detail17trampoline_kernelINS0_14default_configENS1_22reduce_config_selectorIjEEZNS1_11reduce_implILb1ES3_PjS7_j11plus_mod_10IjEEE10hipError_tPvRmT1_T2_T3_mT4_P12ihipStream_tbEUlT_E0_NS1_11comp_targetILNS1_3genE10ELNS1_11target_archE1200ELNS1_3gpuE4ELNS1_3repE0EEENS1_30default_config_static_selectorELNS0_4arch9wavefront6targetE1EEEvSD_.num_agpr, 0
	.set _ZN7rocprim17ROCPRIM_400000_NS6detail17trampoline_kernelINS0_14default_configENS1_22reduce_config_selectorIjEEZNS1_11reduce_implILb1ES3_PjS7_j11plus_mod_10IjEEE10hipError_tPvRmT1_T2_T3_mT4_P12ihipStream_tbEUlT_E0_NS1_11comp_targetILNS1_3genE10ELNS1_11target_archE1200ELNS1_3gpuE4ELNS1_3repE0EEENS1_30default_config_static_selectorELNS0_4arch9wavefront6targetE1EEEvSD_.numbered_sgpr, 0
	.set _ZN7rocprim17ROCPRIM_400000_NS6detail17trampoline_kernelINS0_14default_configENS1_22reduce_config_selectorIjEEZNS1_11reduce_implILb1ES3_PjS7_j11plus_mod_10IjEEE10hipError_tPvRmT1_T2_T3_mT4_P12ihipStream_tbEUlT_E0_NS1_11comp_targetILNS1_3genE10ELNS1_11target_archE1200ELNS1_3gpuE4ELNS1_3repE0EEENS1_30default_config_static_selectorELNS0_4arch9wavefront6targetE1EEEvSD_.num_named_barrier, 0
	.set _ZN7rocprim17ROCPRIM_400000_NS6detail17trampoline_kernelINS0_14default_configENS1_22reduce_config_selectorIjEEZNS1_11reduce_implILb1ES3_PjS7_j11plus_mod_10IjEEE10hipError_tPvRmT1_T2_T3_mT4_P12ihipStream_tbEUlT_E0_NS1_11comp_targetILNS1_3genE10ELNS1_11target_archE1200ELNS1_3gpuE4ELNS1_3repE0EEENS1_30default_config_static_selectorELNS0_4arch9wavefront6targetE1EEEvSD_.private_seg_size, 0
	.set _ZN7rocprim17ROCPRIM_400000_NS6detail17trampoline_kernelINS0_14default_configENS1_22reduce_config_selectorIjEEZNS1_11reduce_implILb1ES3_PjS7_j11plus_mod_10IjEEE10hipError_tPvRmT1_T2_T3_mT4_P12ihipStream_tbEUlT_E0_NS1_11comp_targetILNS1_3genE10ELNS1_11target_archE1200ELNS1_3gpuE4ELNS1_3repE0EEENS1_30default_config_static_selectorELNS0_4arch9wavefront6targetE1EEEvSD_.uses_vcc, 0
	.set _ZN7rocprim17ROCPRIM_400000_NS6detail17trampoline_kernelINS0_14default_configENS1_22reduce_config_selectorIjEEZNS1_11reduce_implILb1ES3_PjS7_j11plus_mod_10IjEEE10hipError_tPvRmT1_T2_T3_mT4_P12ihipStream_tbEUlT_E0_NS1_11comp_targetILNS1_3genE10ELNS1_11target_archE1200ELNS1_3gpuE4ELNS1_3repE0EEENS1_30default_config_static_selectorELNS0_4arch9wavefront6targetE1EEEvSD_.uses_flat_scratch, 0
	.set _ZN7rocprim17ROCPRIM_400000_NS6detail17trampoline_kernelINS0_14default_configENS1_22reduce_config_selectorIjEEZNS1_11reduce_implILb1ES3_PjS7_j11plus_mod_10IjEEE10hipError_tPvRmT1_T2_T3_mT4_P12ihipStream_tbEUlT_E0_NS1_11comp_targetILNS1_3genE10ELNS1_11target_archE1200ELNS1_3gpuE4ELNS1_3repE0EEENS1_30default_config_static_selectorELNS0_4arch9wavefront6targetE1EEEvSD_.has_dyn_sized_stack, 0
	.set _ZN7rocprim17ROCPRIM_400000_NS6detail17trampoline_kernelINS0_14default_configENS1_22reduce_config_selectorIjEEZNS1_11reduce_implILb1ES3_PjS7_j11plus_mod_10IjEEE10hipError_tPvRmT1_T2_T3_mT4_P12ihipStream_tbEUlT_E0_NS1_11comp_targetILNS1_3genE10ELNS1_11target_archE1200ELNS1_3gpuE4ELNS1_3repE0EEENS1_30default_config_static_selectorELNS0_4arch9wavefront6targetE1EEEvSD_.has_recursion, 0
	.set _ZN7rocprim17ROCPRIM_400000_NS6detail17trampoline_kernelINS0_14default_configENS1_22reduce_config_selectorIjEEZNS1_11reduce_implILb1ES3_PjS7_j11plus_mod_10IjEEE10hipError_tPvRmT1_T2_T3_mT4_P12ihipStream_tbEUlT_E0_NS1_11comp_targetILNS1_3genE10ELNS1_11target_archE1200ELNS1_3gpuE4ELNS1_3repE0EEENS1_30default_config_static_selectorELNS0_4arch9wavefront6targetE1EEEvSD_.has_indirect_call, 0
	.section	.AMDGPU.csdata,"",@progbits
; Kernel info:
; codeLenInByte = 0
; TotalNumSgprs: 6
; NumVgprs: 0
; NumAgprs: 0
; TotalNumVgprs: 0
; ScratchSize: 0
; MemoryBound: 0
; FloatMode: 240
; IeeeMode: 1
; LDSByteSize: 0 bytes/workgroup (compile time only)
; SGPRBlocks: 0
; VGPRBlocks: 0
; NumSGPRsForWavesPerEU: 6
; NumVGPRsForWavesPerEU: 1
; AccumOffset: 4
; Occupancy: 8
; WaveLimiterHint : 0
; COMPUTE_PGM_RSRC2:SCRATCH_EN: 0
; COMPUTE_PGM_RSRC2:USER_SGPR: 2
; COMPUTE_PGM_RSRC2:TRAP_HANDLER: 0
; COMPUTE_PGM_RSRC2:TGID_X_EN: 1
; COMPUTE_PGM_RSRC2:TGID_Y_EN: 0
; COMPUTE_PGM_RSRC2:TGID_Z_EN: 0
; COMPUTE_PGM_RSRC2:TIDIG_COMP_CNT: 0
; COMPUTE_PGM_RSRC3_GFX90A:ACCUM_OFFSET: 0
; COMPUTE_PGM_RSRC3_GFX90A:TG_SPLIT: 0
	.section	.text._ZN7rocprim17ROCPRIM_400000_NS6detail17trampoline_kernelINS0_14default_configENS1_22reduce_config_selectorIjEEZNS1_11reduce_implILb1ES3_PjS7_j11plus_mod_10IjEEE10hipError_tPvRmT1_T2_T3_mT4_P12ihipStream_tbEUlT_E0_NS1_11comp_targetILNS1_3genE9ELNS1_11target_archE1100ELNS1_3gpuE3ELNS1_3repE0EEENS1_30default_config_static_selectorELNS0_4arch9wavefront6targetE1EEEvSD_,"axG",@progbits,_ZN7rocprim17ROCPRIM_400000_NS6detail17trampoline_kernelINS0_14default_configENS1_22reduce_config_selectorIjEEZNS1_11reduce_implILb1ES3_PjS7_j11plus_mod_10IjEEE10hipError_tPvRmT1_T2_T3_mT4_P12ihipStream_tbEUlT_E0_NS1_11comp_targetILNS1_3genE9ELNS1_11target_archE1100ELNS1_3gpuE3ELNS1_3repE0EEENS1_30default_config_static_selectorELNS0_4arch9wavefront6targetE1EEEvSD_,comdat
	.protected	_ZN7rocprim17ROCPRIM_400000_NS6detail17trampoline_kernelINS0_14default_configENS1_22reduce_config_selectorIjEEZNS1_11reduce_implILb1ES3_PjS7_j11plus_mod_10IjEEE10hipError_tPvRmT1_T2_T3_mT4_P12ihipStream_tbEUlT_E0_NS1_11comp_targetILNS1_3genE9ELNS1_11target_archE1100ELNS1_3gpuE3ELNS1_3repE0EEENS1_30default_config_static_selectorELNS0_4arch9wavefront6targetE1EEEvSD_ ; -- Begin function _ZN7rocprim17ROCPRIM_400000_NS6detail17trampoline_kernelINS0_14default_configENS1_22reduce_config_selectorIjEEZNS1_11reduce_implILb1ES3_PjS7_j11plus_mod_10IjEEE10hipError_tPvRmT1_T2_T3_mT4_P12ihipStream_tbEUlT_E0_NS1_11comp_targetILNS1_3genE9ELNS1_11target_archE1100ELNS1_3gpuE3ELNS1_3repE0EEENS1_30default_config_static_selectorELNS0_4arch9wavefront6targetE1EEEvSD_
	.globl	_ZN7rocprim17ROCPRIM_400000_NS6detail17trampoline_kernelINS0_14default_configENS1_22reduce_config_selectorIjEEZNS1_11reduce_implILb1ES3_PjS7_j11plus_mod_10IjEEE10hipError_tPvRmT1_T2_T3_mT4_P12ihipStream_tbEUlT_E0_NS1_11comp_targetILNS1_3genE9ELNS1_11target_archE1100ELNS1_3gpuE3ELNS1_3repE0EEENS1_30default_config_static_selectorELNS0_4arch9wavefront6targetE1EEEvSD_
	.p2align	8
	.type	_ZN7rocprim17ROCPRIM_400000_NS6detail17trampoline_kernelINS0_14default_configENS1_22reduce_config_selectorIjEEZNS1_11reduce_implILb1ES3_PjS7_j11plus_mod_10IjEEE10hipError_tPvRmT1_T2_T3_mT4_P12ihipStream_tbEUlT_E0_NS1_11comp_targetILNS1_3genE9ELNS1_11target_archE1100ELNS1_3gpuE3ELNS1_3repE0EEENS1_30default_config_static_selectorELNS0_4arch9wavefront6targetE1EEEvSD_,@function
_ZN7rocprim17ROCPRIM_400000_NS6detail17trampoline_kernelINS0_14default_configENS1_22reduce_config_selectorIjEEZNS1_11reduce_implILb1ES3_PjS7_j11plus_mod_10IjEEE10hipError_tPvRmT1_T2_T3_mT4_P12ihipStream_tbEUlT_E0_NS1_11comp_targetILNS1_3genE9ELNS1_11target_archE1100ELNS1_3gpuE3ELNS1_3repE0EEENS1_30default_config_static_selectorELNS0_4arch9wavefront6targetE1EEEvSD_: ; @_ZN7rocprim17ROCPRIM_400000_NS6detail17trampoline_kernelINS0_14default_configENS1_22reduce_config_selectorIjEEZNS1_11reduce_implILb1ES3_PjS7_j11plus_mod_10IjEEE10hipError_tPvRmT1_T2_T3_mT4_P12ihipStream_tbEUlT_E0_NS1_11comp_targetILNS1_3genE9ELNS1_11target_archE1100ELNS1_3gpuE3ELNS1_3repE0EEENS1_30default_config_static_selectorELNS0_4arch9wavefront6targetE1EEEvSD_
; %bb.0:
	.section	.rodata,"a",@progbits
	.p2align	6, 0x0
	.amdhsa_kernel _ZN7rocprim17ROCPRIM_400000_NS6detail17trampoline_kernelINS0_14default_configENS1_22reduce_config_selectorIjEEZNS1_11reduce_implILb1ES3_PjS7_j11plus_mod_10IjEEE10hipError_tPvRmT1_T2_T3_mT4_P12ihipStream_tbEUlT_E0_NS1_11comp_targetILNS1_3genE9ELNS1_11target_archE1100ELNS1_3gpuE3ELNS1_3repE0EEENS1_30default_config_static_selectorELNS0_4arch9wavefront6targetE1EEEvSD_
		.amdhsa_group_segment_fixed_size 0
		.amdhsa_private_segment_fixed_size 0
		.amdhsa_kernarg_size 56
		.amdhsa_user_sgpr_count 2
		.amdhsa_user_sgpr_dispatch_ptr 0
		.amdhsa_user_sgpr_queue_ptr 0
		.amdhsa_user_sgpr_kernarg_segment_ptr 1
		.amdhsa_user_sgpr_dispatch_id 0
		.amdhsa_user_sgpr_kernarg_preload_length 0
		.amdhsa_user_sgpr_kernarg_preload_offset 0
		.amdhsa_user_sgpr_private_segment_size 0
		.amdhsa_uses_dynamic_stack 0
		.amdhsa_enable_private_segment 0
		.amdhsa_system_sgpr_workgroup_id_x 1
		.amdhsa_system_sgpr_workgroup_id_y 0
		.amdhsa_system_sgpr_workgroup_id_z 0
		.amdhsa_system_sgpr_workgroup_info 0
		.amdhsa_system_vgpr_workitem_id 0
		.amdhsa_next_free_vgpr 1
		.amdhsa_next_free_sgpr 0
		.amdhsa_accum_offset 4
		.amdhsa_reserve_vcc 0
		.amdhsa_float_round_mode_32 0
		.amdhsa_float_round_mode_16_64 0
		.amdhsa_float_denorm_mode_32 3
		.amdhsa_float_denorm_mode_16_64 3
		.amdhsa_dx10_clamp 1
		.amdhsa_ieee_mode 1
		.amdhsa_fp16_overflow 0
		.amdhsa_tg_split 0
		.amdhsa_exception_fp_ieee_invalid_op 0
		.amdhsa_exception_fp_denorm_src 0
		.amdhsa_exception_fp_ieee_div_zero 0
		.amdhsa_exception_fp_ieee_overflow 0
		.amdhsa_exception_fp_ieee_underflow 0
		.amdhsa_exception_fp_ieee_inexact 0
		.amdhsa_exception_int_div_zero 0
	.end_amdhsa_kernel
	.section	.text._ZN7rocprim17ROCPRIM_400000_NS6detail17trampoline_kernelINS0_14default_configENS1_22reduce_config_selectorIjEEZNS1_11reduce_implILb1ES3_PjS7_j11plus_mod_10IjEEE10hipError_tPvRmT1_T2_T3_mT4_P12ihipStream_tbEUlT_E0_NS1_11comp_targetILNS1_3genE9ELNS1_11target_archE1100ELNS1_3gpuE3ELNS1_3repE0EEENS1_30default_config_static_selectorELNS0_4arch9wavefront6targetE1EEEvSD_,"axG",@progbits,_ZN7rocprim17ROCPRIM_400000_NS6detail17trampoline_kernelINS0_14default_configENS1_22reduce_config_selectorIjEEZNS1_11reduce_implILb1ES3_PjS7_j11plus_mod_10IjEEE10hipError_tPvRmT1_T2_T3_mT4_P12ihipStream_tbEUlT_E0_NS1_11comp_targetILNS1_3genE9ELNS1_11target_archE1100ELNS1_3gpuE3ELNS1_3repE0EEENS1_30default_config_static_selectorELNS0_4arch9wavefront6targetE1EEEvSD_,comdat
.Lfunc_end592:
	.size	_ZN7rocprim17ROCPRIM_400000_NS6detail17trampoline_kernelINS0_14default_configENS1_22reduce_config_selectorIjEEZNS1_11reduce_implILb1ES3_PjS7_j11plus_mod_10IjEEE10hipError_tPvRmT1_T2_T3_mT4_P12ihipStream_tbEUlT_E0_NS1_11comp_targetILNS1_3genE9ELNS1_11target_archE1100ELNS1_3gpuE3ELNS1_3repE0EEENS1_30default_config_static_selectorELNS0_4arch9wavefront6targetE1EEEvSD_, .Lfunc_end592-_ZN7rocprim17ROCPRIM_400000_NS6detail17trampoline_kernelINS0_14default_configENS1_22reduce_config_selectorIjEEZNS1_11reduce_implILb1ES3_PjS7_j11plus_mod_10IjEEE10hipError_tPvRmT1_T2_T3_mT4_P12ihipStream_tbEUlT_E0_NS1_11comp_targetILNS1_3genE9ELNS1_11target_archE1100ELNS1_3gpuE3ELNS1_3repE0EEENS1_30default_config_static_selectorELNS0_4arch9wavefront6targetE1EEEvSD_
                                        ; -- End function
	.set _ZN7rocprim17ROCPRIM_400000_NS6detail17trampoline_kernelINS0_14default_configENS1_22reduce_config_selectorIjEEZNS1_11reduce_implILb1ES3_PjS7_j11plus_mod_10IjEEE10hipError_tPvRmT1_T2_T3_mT4_P12ihipStream_tbEUlT_E0_NS1_11comp_targetILNS1_3genE9ELNS1_11target_archE1100ELNS1_3gpuE3ELNS1_3repE0EEENS1_30default_config_static_selectorELNS0_4arch9wavefront6targetE1EEEvSD_.num_vgpr, 0
	.set _ZN7rocprim17ROCPRIM_400000_NS6detail17trampoline_kernelINS0_14default_configENS1_22reduce_config_selectorIjEEZNS1_11reduce_implILb1ES3_PjS7_j11plus_mod_10IjEEE10hipError_tPvRmT1_T2_T3_mT4_P12ihipStream_tbEUlT_E0_NS1_11comp_targetILNS1_3genE9ELNS1_11target_archE1100ELNS1_3gpuE3ELNS1_3repE0EEENS1_30default_config_static_selectorELNS0_4arch9wavefront6targetE1EEEvSD_.num_agpr, 0
	.set _ZN7rocprim17ROCPRIM_400000_NS6detail17trampoline_kernelINS0_14default_configENS1_22reduce_config_selectorIjEEZNS1_11reduce_implILb1ES3_PjS7_j11plus_mod_10IjEEE10hipError_tPvRmT1_T2_T3_mT4_P12ihipStream_tbEUlT_E0_NS1_11comp_targetILNS1_3genE9ELNS1_11target_archE1100ELNS1_3gpuE3ELNS1_3repE0EEENS1_30default_config_static_selectorELNS0_4arch9wavefront6targetE1EEEvSD_.numbered_sgpr, 0
	.set _ZN7rocprim17ROCPRIM_400000_NS6detail17trampoline_kernelINS0_14default_configENS1_22reduce_config_selectorIjEEZNS1_11reduce_implILb1ES3_PjS7_j11plus_mod_10IjEEE10hipError_tPvRmT1_T2_T3_mT4_P12ihipStream_tbEUlT_E0_NS1_11comp_targetILNS1_3genE9ELNS1_11target_archE1100ELNS1_3gpuE3ELNS1_3repE0EEENS1_30default_config_static_selectorELNS0_4arch9wavefront6targetE1EEEvSD_.num_named_barrier, 0
	.set _ZN7rocprim17ROCPRIM_400000_NS6detail17trampoline_kernelINS0_14default_configENS1_22reduce_config_selectorIjEEZNS1_11reduce_implILb1ES3_PjS7_j11plus_mod_10IjEEE10hipError_tPvRmT1_T2_T3_mT4_P12ihipStream_tbEUlT_E0_NS1_11comp_targetILNS1_3genE9ELNS1_11target_archE1100ELNS1_3gpuE3ELNS1_3repE0EEENS1_30default_config_static_selectorELNS0_4arch9wavefront6targetE1EEEvSD_.private_seg_size, 0
	.set _ZN7rocprim17ROCPRIM_400000_NS6detail17trampoline_kernelINS0_14default_configENS1_22reduce_config_selectorIjEEZNS1_11reduce_implILb1ES3_PjS7_j11plus_mod_10IjEEE10hipError_tPvRmT1_T2_T3_mT4_P12ihipStream_tbEUlT_E0_NS1_11comp_targetILNS1_3genE9ELNS1_11target_archE1100ELNS1_3gpuE3ELNS1_3repE0EEENS1_30default_config_static_selectorELNS0_4arch9wavefront6targetE1EEEvSD_.uses_vcc, 0
	.set _ZN7rocprim17ROCPRIM_400000_NS6detail17trampoline_kernelINS0_14default_configENS1_22reduce_config_selectorIjEEZNS1_11reduce_implILb1ES3_PjS7_j11plus_mod_10IjEEE10hipError_tPvRmT1_T2_T3_mT4_P12ihipStream_tbEUlT_E0_NS1_11comp_targetILNS1_3genE9ELNS1_11target_archE1100ELNS1_3gpuE3ELNS1_3repE0EEENS1_30default_config_static_selectorELNS0_4arch9wavefront6targetE1EEEvSD_.uses_flat_scratch, 0
	.set _ZN7rocprim17ROCPRIM_400000_NS6detail17trampoline_kernelINS0_14default_configENS1_22reduce_config_selectorIjEEZNS1_11reduce_implILb1ES3_PjS7_j11plus_mod_10IjEEE10hipError_tPvRmT1_T2_T3_mT4_P12ihipStream_tbEUlT_E0_NS1_11comp_targetILNS1_3genE9ELNS1_11target_archE1100ELNS1_3gpuE3ELNS1_3repE0EEENS1_30default_config_static_selectorELNS0_4arch9wavefront6targetE1EEEvSD_.has_dyn_sized_stack, 0
	.set _ZN7rocprim17ROCPRIM_400000_NS6detail17trampoline_kernelINS0_14default_configENS1_22reduce_config_selectorIjEEZNS1_11reduce_implILb1ES3_PjS7_j11plus_mod_10IjEEE10hipError_tPvRmT1_T2_T3_mT4_P12ihipStream_tbEUlT_E0_NS1_11comp_targetILNS1_3genE9ELNS1_11target_archE1100ELNS1_3gpuE3ELNS1_3repE0EEENS1_30default_config_static_selectorELNS0_4arch9wavefront6targetE1EEEvSD_.has_recursion, 0
	.set _ZN7rocprim17ROCPRIM_400000_NS6detail17trampoline_kernelINS0_14default_configENS1_22reduce_config_selectorIjEEZNS1_11reduce_implILb1ES3_PjS7_j11plus_mod_10IjEEE10hipError_tPvRmT1_T2_T3_mT4_P12ihipStream_tbEUlT_E0_NS1_11comp_targetILNS1_3genE9ELNS1_11target_archE1100ELNS1_3gpuE3ELNS1_3repE0EEENS1_30default_config_static_selectorELNS0_4arch9wavefront6targetE1EEEvSD_.has_indirect_call, 0
	.section	.AMDGPU.csdata,"",@progbits
; Kernel info:
; codeLenInByte = 0
; TotalNumSgprs: 6
; NumVgprs: 0
; NumAgprs: 0
; TotalNumVgprs: 0
; ScratchSize: 0
; MemoryBound: 0
; FloatMode: 240
; IeeeMode: 1
; LDSByteSize: 0 bytes/workgroup (compile time only)
; SGPRBlocks: 0
; VGPRBlocks: 0
; NumSGPRsForWavesPerEU: 6
; NumVGPRsForWavesPerEU: 1
; AccumOffset: 4
; Occupancy: 8
; WaveLimiterHint : 0
; COMPUTE_PGM_RSRC2:SCRATCH_EN: 0
; COMPUTE_PGM_RSRC2:USER_SGPR: 2
; COMPUTE_PGM_RSRC2:TRAP_HANDLER: 0
; COMPUTE_PGM_RSRC2:TGID_X_EN: 1
; COMPUTE_PGM_RSRC2:TGID_Y_EN: 0
; COMPUTE_PGM_RSRC2:TGID_Z_EN: 0
; COMPUTE_PGM_RSRC2:TIDIG_COMP_CNT: 0
; COMPUTE_PGM_RSRC3_GFX90A:ACCUM_OFFSET: 0
; COMPUTE_PGM_RSRC3_GFX90A:TG_SPLIT: 0
	.section	.text._ZN7rocprim17ROCPRIM_400000_NS6detail17trampoline_kernelINS0_14default_configENS1_22reduce_config_selectorIjEEZNS1_11reduce_implILb1ES3_PjS7_j11plus_mod_10IjEEE10hipError_tPvRmT1_T2_T3_mT4_P12ihipStream_tbEUlT_E0_NS1_11comp_targetILNS1_3genE8ELNS1_11target_archE1030ELNS1_3gpuE2ELNS1_3repE0EEENS1_30default_config_static_selectorELNS0_4arch9wavefront6targetE1EEEvSD_,"axG",@progbits,_ZN7rocprim17ROCPRIM_400000_NS6detail17trampoline_kernelINS0_14default_configENS1_22reduce_config_selectorIjEEZNS1_11reduce_implILb1ES3_PjS7_j11plus_mod_10IjEEE10hipError_tPvRmT1_T2_T3_mT4_P12ihipStream_tbEUlT_E0_NS1_11comp_targetILNS1_3genE8ELNS1_11target_archE1030ELNS1_3gpuE2ELNS1_3repE0EEENS1_30default_config_static_selectorELNS0_4arch9wavefront6targetE1EEEvSD_,comdat
	.protected	_ZN7rocprim17ROCPRIM_400000_NS6detail17trampoline_kernelINS0_14default_configENS1_22reduce_config_selectorIjEEZNS1_11reduce_implILb1ES3_PjS7_j11plus_mod_10IjEEE10hipError_tPvRmT1_T2_T3_mT4_P12ihipStream_tbEUlT_E0_NS1_11comp_targetILNS1_3genE8ELNS1_11target_archE1030ELNS1_3gpuE2ELNS1_3repE0EEENS1_30default_config_static_selectorELNS0_4arch9wavefront6targetE1EEEvSD_ ; -- Begin function _ZN7rocprim17ROCPRIM_400000_NS6detail17trampoline_kernelINS0_14default_configENS1_22reduce_config_selectorIjEEZNS1_11reduce_implILb1ES3_PjS7_j11plus_mod_10IjEEE10hipError_tPvRmT1_T2_T3_mT4_P12ihipStream_tbEUlT_E0_NS1_11comp_targetILNS1_3genE8ELNS1_11target_archE1030ELNS1_3gpuE2ELNS1_3repE0EEENS1_30default_config_static_selectorELNS0_4arch9wavefront6targetE1EEEvSD_
	.globl	_ZN7rocprim17ROCPRIM_400000_NS6detail17trampoline_kernelINS0_14default_configENS1_22reduce_config_selectorIjEEZNS1_11reduce_implILb1ES3_PjS7_j11plus_mod_10IjEEE10hipError_tPvRmT1_T2_T3_mT4_P12ihipStream_tbEUlT_E0_NS1_11comp_targetILNS1_3genE8ELNS1_11target_archE1030ELNS1_3gpuE2ELNS1_3repE0EEENS1_30default_config_static_selectorELNS0_4arch9wavefront6targetE1EEEvSD_
	.p2align	8
	.type	_ZN7rocprim17ROCPRIM_400000_NS6detail17trampoline_kernelINS0_14default_configENS1_22reduce_config_selectorIjEEZNS1_11reduce_implILb1ES3_PjS7_j11plus_mod_10IjEEE10hipError_tPvRmT1_T2_T3_mT4_P12ihipStream_tbEUlT_E0_NS1_11comp_targetILNS1_3genE8ELNS1_11target_archE1030ELNS1_3gpuE2ELNS1_3repE0EEENS1_30default_config_static_selectorELNS0_4arch9wavefront6targetE1EEEvSD_,@function
_ZN7rocprim17ROCPRIM_400000_NS6detail17trampoline_kernelINS0_14default_configENS1_22reduce_config_selectorIjEEZNS1_11reduce_implILb1ES3_PjS7_j11plus_mod_10IjEEE10hipError_tPvRmT1_T2_T3_mT4_P12ihipStream_tbEUlT_E0_NS1_11comp_targetILNS1_3genE8ELNS1_11target_archE1030ELNS1_3gpuE2ELNS1_3repE0EEENS1_30default_config_static_selectorELNS0_4arch9wavefront6targetE1EEEvSD_: ; @_ZN7rocprim17ROCPRIM_400000_NS6detail17trampoline_kernelINS0_14default_configENS1_22reduce_config_selectorIjEEZNS1_11reduce_implILb1ES3_PjS7_j11plus_mod_10IjEEE10hipError_tPvRmT1_T2_T3_mT4_P12ihipStream_tbEUlT_E0_NS1_11comp_targetILNS1_3genE8ELNS1_11target_archE1030ELNS1_3gpuE2ELNS1_3repE0EEENS1_30default_config_static_selectorELNS0_4arch9wavefront6targetE1EEEvSD_
; %bb.0:
	.section	.rodata,"a",@progbits
	.p2align	6, 0x0
	.amdhsa_kernel _ZN7rocprim17ROCPRIM_400000_NS6detail17trampoline_kernelINS0_14default_configENS1_22reduce_config_selectorIjEEZNS1_11reduce_implILb1ES3_PjS7_j11plus_mod_10IjEEE10hipError_tPvRmT1_T2_T3_mT4_P12ihipStream_tbEUlT_E0_NS1_11comp_targetILNS1_3genE8ELNS1_11target_archE1030ELNS1_3gpuE2ELNS1_3repE0EEENS1_30default_config_static_selectorELNS0_4arch9wavefront6targetE1EEEvSD_
		.amdhsa_group_segment_fixed_size 0
		.amdhsa_private_segment_fixed_size 0
		.amdhsa_kernarg_size 56
		.amdhsa_user_sgpr_count 2
		.amdhsa_user_sgpr_dispatch_ptr 0
		.amdhsa_user_sgpr_queue_ptr 0
		.amdhsa_user_sgpr_kernarg_segment_ptr 1
		.amdhsa_user_sgpr_dispatch_id 0
		.amdhsa_user_sgpr_kernarg_preload_length 0
		.amdhsa_user_sgpr_kernarg_preload_offset 0
		.amdhsa_user_sgpr_private_segment_size 0
		.amdhsa_uses_dynamic_stack 0
		.amdhsa_enable_private_segment 0
		.amdhsa_system_sgpr_workgroup_id_x 1
		.amdhsa_system_sgpr_workgroup_id_y 0
		.amdhsa_system_sgpr_workgroup_id_z 0
		.amdhsa_system_sgpr_workgroup_info 0
		.amdhsa_system_vgpr_workitem_id 0
		.amdhsa_next_free_vgpr 1
		.amdhsa_next_free_sgpr 0
		.amdhsa_accum_offset 4
		.amdhsa_reserve_vcc 0
		.amdhsa_float_round_mode_32 0
		.amdhsa_float_round_mode_16_64 0
		.amdhsa_float_denorm_mode_32 3
		.amdhsa_float_denorm_mode_16_64 3
		.amdhsa_dx10_clamp 1
		.amdhsa_ieee_mode 1
		.amdhsa_fp16_overflow 0
		.amdhsa_tg_split 0
		.amdhsa_exception_fp_ieee_invalid_op 0
		.amdhsa_exception_fp_denorm_src 0
		.amdhsa_exception_fp_ieee_div_zero 0
		.amdhsa_exception_fp_ieee_overflow 0
		.amdhsa_exception_fp_ieee_underflow 0
		.amdhsa_exception_fp_ieee_inexact 0
		.amdhsa_exception_int_div_zero 0
	.end_amdhsa_kernel
	.section	.text._ZN7rocprim17ROCPRIM_400000_NS6detail17trampoline_kernelINS0_14default_configENS1_22reduce_config_selectorIjEEZNS1_11reduce_implILb1ES3_PjS7_j11plus_mod_10IjEEE10hipError_tPvRmT1_T2_T3_mT4_P12ihipStream_tbEUlT_E0_NS1_11comp_targetILNS1_3genE8ELNS1_11target_archE1030ELNS1_3gpuE2ELNS1_3repE0EEENS1_30default_config_static_selectorELNS0_4arch9wavefront6targetE1EEEvSD_,"axG",@progbits,_ZN7rocprim17ROCPRIM_400000_NS6detail17trampoline_kernelINS0_14default_configENS1_22reduce_config_selectorIjEEZNS1_11reduce_implILb1ES3_PjS7_j11plus_mod_10IjEEE10hipError_tPvRmT1_T2_T3_mT4_P12ihipStream_tbEUlT_E0_NS1_11comp_targetILNS1_3genE8ELNS1_11target_archE1030ELNS1_3gpuE2ELNS1_3repE0EEENS1_30default_config_static_selectorELNS0_4arch9wavefront6targetE1EEEvSD_,comdat
.Lfunc_end593:
	.size	_ZN7rocprim17ROCPRIM_400000_NS6detail17trampoline_kernelINS0_14default_configENS1_22reduce_config_selectorIjEEZNS1_11reduce_implILb1ES3_PjS7_j11plus_mod_10IjEEE10hipError_tPvRmT1_T2_T3_mT4_P12ihipStream_tbEUlT_E0_NS1_11comp_targetILNS1_3genE8ELNS1_11target_archE1030ELNS1_3gpuE2ELNS1_3repE0EEENS1_30default_config_static_selectorELNS0_4arch9wavefront6targetE1EEEvSD_, .Lfunc_end593-_ZN7rocprim17ROCPRIM_400000_NS6detail17trampoline_kernelINS0_14default_configENS1_22reduce_config_selectorIjEEZNS1_11reduce_implILb1ES3_PjS7_j11plus_mod_10IjEEE10hipError_tPvRmT1_T2_T3_mT4_P12ihipStream_tbEUlT_E0_NS1_11comp_targetILNS1_3genE8ELNS1_11target_archE1030ELNS1_3gpuE2ELNS1_3repE0EEENS1_30default_config_static_selectorELNS0_4arch9wavefront6targetE1EEEvSD_
                                        ; -- End function
	.set _ZN7rocprim17ROCPRIM_400000_NS6detail17trampoline_kernelINS0_14default_configENS1_22reduce_config_selectorIjEEZNS1_11reduce_implILb1ES3_PjS7_j11plus_mod_10IjEEE10hipError_tPvRmT1_T2_T3_mT4_P12ihipStream_tbEUlT_E0_NS1_11comp_targetILNS1_3genE8ELNS1_11target_archE1030ELNS1_3gpuE2ELNS1_3repE0EEENS1_30default_config_static_selectorELNS0_4arch9wavefront6targetE1EEEvSD_.num_vgpr, 0
	.set _ZN7rocprim17ROCPRIM_400000_NS6detail17trampoline_kernelINS0_14default_configENS1_22reduce_config_selectorIjEEZNS1_11reduce_implILb1ES3_PjS7_j11plus_mod_10IjEEE10hipError_tPvRmT1_T2_T3_mT4_P12ihipStream_tbEUlT_E0_NS1_11comp_targetILNS1_3genE8ELNS1_11target_archE1030ELNS1_3gpuE2ELNS1_3repE0EEENS1_30default_config_static_selectorELNS0_4arch9wavefront6targetE1EEEvSD_.num_agpr, 0
	.set _ZN7rocprim17ROCPRIM_400000_NS6detail17trampoline_kernelINS0_14default_configENS1_22reduce_config_selectorIjEEZNS1_11reduce_implILb1ES3_PjS7_j11plus_mod_10IjEEE10hipError_tPvRmT1_T2_T3_mT4_P12ihipStream_tbEUlT_E0_NS1_11comp_targetILNS1_3genE8ELNS1_11target_archE1030ELNS1_3gpuE2ELNS1_3repE0EEENS1_30default_config_static_selectorELNS0_4arch9wavefront6targetE1EEEvSD_.numbered_sgpr, 0
	.set _ZN7rocprim17ROCPRIM_400000_NS6detail17trampoline_kernelINS0_14default_configENS1_22reduce_config_selectorIjEEZNS1_11reduce_implILb1ES3_PjS7_j11plus_mod_10IjEEE10hipError_tPvRmT1_T2_T3_mT4_P12ihipStream_tbEUlT_E0_NS1_11comp_targetILNS1_3genE8ELNS1_11target_archE1030ELNS1_3gpuE2ELNS1_3repE0EEENS1_30default_config_static_selectorELNS0_4arch9wavefront6targetE1EEEvSD_.num_named_barrier, 0
	.set _ZN7rocprim17ROCPRIM_400000_NS6detail17trampoline_kernelINS0_14default_configENS1_22reduce_config_selectorIjEEZNS1_11reduce_implILb1ES3_PjS7_j11plus_mod_10IjEEE10hipError_tPvRmT1_T2_T3_mT4_P12ihipStream_tbEUlT_E0_NS1_11comp_targetILNS1_3genE8ELNS1_11target_archE1030ELNS1_3gpuE2ELNS1_3repE0EEENS1_30default_config_static_selectorELNS0_4arch9wavefront6targetE1EEEvSD_.private_seg_size, 0
	.set _ZN7rocprim17ROCPRIM_400000_NS6detail17trampoline_kernelINS0_14default_configENS1_22reduce_config_selectorIjEEZNS1_11reduce_implILb1ES3_PjS7_j11plus_mod_10IjEEE10hipError_tPvRmT1_T2_T3_mT4_P12ihipStream_tbEUlT_E0_NS1_11comp_targetILNS1_3genE8ELNS1_11target_archE1030ELNS1_3gpuE2ELNS1_3repE0EEENS1_30default_config_static_selectorELNS0_4arch9wavefront6targetE1EEEvSD_.uses_vcc, 0
	.set _ZN7rocprim17ROCPRIM_400000_NS6detail17trampoline_kernelINS0_14default_configENS1_22reduce_config_selectorIjEEZNS1_11reduce_implILb1ES3_PjS7_j11plus_mod_10IjEEE10hipError_tPvRmT1_T2_T3_mT4_P12ihipStream_tbEUlT_E0_NS1_11comp_targetILNS1_3genE8ELNS1_11target_archE1030ELNS1_3gpuE2ELNS1_3repE0EEENS1_30default_config_static_selectorELNS0_4arch9wavefront6targetE1EEEvSD_.uses_flat_scratch, 0
	.set _ZN7rocprim17ROCPRIM_400000_NS6detail17trampoline_kernelINS0_14default_configENS1_22reduce_config_selectorIjEEZNS1_11reduce_implILb1ES3_PjS7_j11plus_mod_10IjEEE10hipError_tPvRmT1_T2_T3_mT4_P12ihipStream_tbEUlT_E0_NS1_11comp_targetILNS1_3genE8ELNS1_11target_archE1030ELNS1_3gpuE2ELNS1_3repE0EEENS1_30default_config_static_selectorELNS0_4arch9wavefront6targetE1EEEvSD_.has_dyn_sized_stack, 0
	.set _ZN7rocprim17ROCPRIM_400000_NS6detail17trampoline_kernelINS0_14default_configENS1_22reduce_config_selectorIjEEZNS1_11reduce_implILb1ES3_PjS7_j11plus_mod_10IjEEE10hipError_tPvRmT1_T2_T3_mT4_P12ihipStream_tbEUlT_E0_NS1_11comp_targetILNS1_3genE8ELNS1_11target_archE1030ELNS1_3gpuE2ELNS1_3repE0EEENS1_30default_config_static_selectorELNS0_4arch9wavefront6targetE1EEEvSD_.has_recursion, 0
	.set _ZN7rocprim17ROCPRIM_400000_NS6detail17trampoline_kernelINS0_14default_configENS1_22reduce_config_selectorIjEEZNS1_11reduce_implILb1ES3_PjS7_j11plus_mod_10IjEEE10hipError_tPvRmT1_T2_T3_mT4_P12ihipStream_tbEUlT_E0_NS1_11comp_targetILNS1_3genE8ELNS1_11target_archE1030ELNS1_3gpuE2ELNS1_3repE0EEENS1_30default_config_static_selectorELNS0_4arch9wavefront6targetE1EEEvSD_.has_indirect_call, 0
	.section	.AMDGPU.csdata,"",@progbits
; Kernel info:
; codeLenInByte = 0
; TotalNumSgprs: 6
; NumVgprs: 0
; NumAgprs: 0
; TotalNumVgprs: 0
; ScratchSize: 0
; MemoryBound: 0
; FloatMode: 240
; IeeeMode: 1
; LDSByteSize: 0 bytes/workgroup (compile time only)
; SGPRBlocks: 0
; VGPRBlocks: 0
; NumSGPRsForWavesPerEU: 6
; NumVGPRsForWavesPerEU: 1
; AccumOffset: 4
; Occupancy: 8
; WaveLimiterHint : 0
; COMPUTE_PGM_RSRC2:SCRATCH_EN: 0
; COMPUTE_PGM_RSRC2:USER_SGPR: 2
; COMPUTE_PGM_RSRC2:TRAP_HANDLER: 0
; COMPUTE_PGM_RSRC2:TGID_X_EN: 1
; COMPUTE_PGM_RSRC2:TGID_Y_EN: 0
; COMPUTE_PGM_RSRC2:TGID_Z_EN: 0
; COMPUTE_PGM_RSRC2:TIDIG_COMP_CNT: 0
; COMPUTE_PGM_RSRC3_GFX90A:ACCUM_OFFSET: 0
; COMPUTE_PGM_RSRC3_GFX90A:TG_SPLIT: 0
	.section	.text._ZN7rocprim17ROCPRIM_400000_NS6detail17trampoline_kernelINS0_14default_configENS1_22reduce_config_selectorIjEEZNS1_11reduce_implILb1ES3_PjS7_j11plus_mod_10IjEEE10hipError_tPvRmT1_T2_T3_mT4_P12ihipStream_tbEUlT_E1_NS1_11comp_targetILNS1_3genE0ELNS1_11target_archE4294967295ELNS1_3gpuE0ELNS1_3repE0EEENS1_30default_config_static_selectorELNS0_4arch9wavefront6targetE1EEEvSD_,"axG",@progbits,_ZN7rocprim17ROCPRIM_400000_NS6detail17trampoline_kernelINS0_14default_configENS1_22reduce_config_selectorIjEEZNS1_11reduce_implILb1ES3_PjS7_j11plus_mod_10IjEEE10hipError_tPvRmT1_T2_T3_mT4_P12ihipStream_tbEUlT_E1_NS1_11comp_targetILNS1_3genE0ELNS1_11target_archE4294967295ELNS1_3gpuE0ELNS1_3repE0EEENS1_30default_config_static_selectorELNS0_4arch9wavefront6targetE1EEEvSD_,comdat
	.protected	_ZN7rocprim17ROCPRIM_400000_NS6detail17trampoline_kernelINS0_14default_configENS1_22reduce_config_selectorIjEEZNS1_11reduce_implILb1ES3_PjS7_j11plus_mod_10IjEEE10hipError_tPvRmT1_T2_T3_mT4_P12ihipStream_tbEUlT_E1_NS1_11comp_targetILNS1_3genE0ELNS1_11target_archE4294967295ELNS1_3gpuE0ELNS1_3repE0EEENS1_30default_config_static_selectorELNS0_4arch9wavefront6targetE1EEEvSD_ ; -- Begin function _ZN7rocprim17ROCPRIM_400000_NS6detail17trampoline_kernelINS0_14default_configENS1_22reduce_config_selectorIjEEZNS1_11reduce_implILb1ES3_PjS7_j11plus_mod_10IjEEE10hipError_tPvRmT1_T2_T3_mT4_P12ihipStream_tbEUlT_E1_NS1_11comp_targetILNS1_3genE0ELNS1_11target_archE4294967295ELNS1_3gpuE0ELNS1_3repE0EEENS1_30default_config_static_selectorELNS0_4arch9wavefront6targetE1EEEvSD_
	.globl	_ZN7rocprim17ROCPRIM_400000_NS6detail17trampoline_kernelINS0_14default_configENS1_22reduce_config_selectorIjEEZNS1_11reduce_implILb1ES3_PjS7_j11plus_mod_10IjEEE10hipError_tPvRmT1_T2_T3_mT4_P12ihipStream_tbEUlT_E1_NS1_11comp_targetILNS1_3genE0ELNS1_11target_archE4294967295ELNS1_3gpuE0ELNS1_3repE0EEENS1_30default_config_static_selectorELNS0_4arch9wavefront6targetE1EEEvSD_
	.p2align	8
	.type	_ZN7rocprim17ROCPRIM_400000_NS6detail17trampoline_kernelINS0_14default_configENS1_22reduce_config_selectorIjEEZNS1_11reduce_implILb1ES3_PjS7_j11plus_mod_10IjEEE10hipError_tPvRmT1_T2_T3_mT4_P12ihipStream_tbEUlT_E1_NS1_11comp_targetILNS1_3genE0ELNS1_11target_archE4294967295ELNS1_3gpuE0ELNS1_3repE0EEENS1_30default_config_static_selectorELNS0_4arch9wavefront6targetE1EEEvSD_,@function
_ZN7rocprim17ROCPRIM_400000_NS6detail17trampoline_kernelINS0_14default_configENS1_22reduce_config_selectorIjEEZNS1_11reduce_implILb1ES3_PjS7_j11plus_mod_10IjEEE10hipError_tPvRmT1_T2_T3_mT4_P12ihipStream_tbEUlT_E1_NS1_11comp_targetILNS1_3genE0ELNS1_11target_archE4294967295ELNS1_3gpuE0ELNS1_3repE0EEENS1_30default_config_static_selectorELNS0_4arch9wavefront6targetE1EEEvSD_: ; @_ZN7rocprim17ROCPRIM_400000_NS6detail17trampoline_kernelINS0_14default_configENS1_22reduce_config_selectorIjEEZNS1_11reduce_implILb1ES3_PjS7_j11plus_mod_10IjEEE10hipError_tPvRmT1_T2_T3_mT4_P12ihipStream_tbEUlT_E1_NS1_11comp_targetILNS1_3genE0ELNS1_11target_archE4294967295ELNS1_3gpuE0ELNS1_3repE0EEENS1_30default_config_static_selectorELNS0_4arch9wavefront6targetE1EEEvSD_
; %bb.0:
	s_load_dword s76, s[0:1], 0x4
	s_load_dwordx4 s[68:71], s[0:1], 0x8
	s_load_dword s33, s[0:1], 0x20
	s_waitcnt lgkmcnt(0)
	s_cmp_lt_i32 s76, 8
	s_cbranch_scc1 .LBB594_10
; %bb.1:
	s_cmp_gt_i32 s76, 15
	s_cbranch_scc0 .LBB594_11
; %bb.2:
	s_cmp_gt_i32 s76, 31
	s_cbranch_scc0 .LBB594_12
; %bb.3:
	s_cmp_eq_u32 s76, 32
	s_mov_b64 s[66:67], 0
	s_cbranch_scc0 .LBB594_13
; %bb.4:
	s_mov_b32 s3, 0
	s_lshl_b32 s4, s2, 13
	s_mov_b32 s5, s3
	s_lshr_b64 s[6:7], s[70:71], 13
	s_lshl_b64 s[8:9], s[4:5], 2
	s_add_u32 s72, s68, s8
	s_addc_u32 s73, s69, s9
	s_cmp_lg_u64 s[6:7], s[2:3]
	s_cbranch_scc0 .LBB594_22
; %bb.5:
	v_lshlrev_b32_e32 v2, 2, v0
	global_load_dword v1, v2, s[72:73] offset:1024
	global_load_dword v10, v2, s[72:73]
	global_load_dword v11, v2, s[72:73] offset:2048
	global_load_dword v12, v2, s[72:73] offset:3072
	v_mov_b32_e32 v3, 0
	v_lshl_add_u64 v[4:5], s[72:73], 0, v[2:3]
	v_add_co_u32_e32 v2, vcc, 0x1000, v4
	s_mov_b32 s5, 0xcccccccd
	s_nop 0
	v_addc_co_u32_e32 v3, vcc, 0, v5, vcc
	v_add_co_u32_e32 v6, vcc, 0x2000, v4
	s_waitcnt vmcnt(1)
	v_mul_hi_u32 v35, v11, s5
	v_addc_co_u32_e32 v7, vcc, 0, v5, vcc
	global_load_dword v13, v[2:3], off
	global_load_dword v14, v[2:3], off offset:1024
	global_load_dword v15, v[2:3], off offset:2048
	;; [unrolled: 1-line block ×3, first 2 shown]
	global_load_dword v17, v[6:7], off
	global_load_dword v18, v[6:7], off offset:1024
	global_load_dword v19, v[6:7], off offset:2048
	;; [unrolled: 1-line block ×3, first 2 shown]
	v_add_co_u32_e32 v8, vcc, 0x3000, v4
	v_lshrrev_b32_e32 v35, 3, v35
	s_nop 0
	v_addc_co_u32_e32 v9, vcc, 0, v5, vcc
	v_add_co_u32_e32 v2, vcc, 0x4000, v4
	v_mul_lo_u32 v35, v35, 10
	s_nop 0
	v_addc_co_u32_e32 v3, vcc, 0, v5, vcc
	v_add_co_u32_e32 v6, vcc, 0x5000, v4
	global_load_dword v21, v[8:9], off
	global_load_dword v22, v[8:9], off offset:1024
	global_load_dword v23, v[8:9], off offset:2048
	;; [unrolled: 1-line block ×3, first 2 shown]
	global_load_dword v25, v[2:3], off
	global_load_dword v26, v[2:3], off offset:1024
	global_load_dword v27, v[2:3], off offset:2048
	global_load_dword v28, v[2:3], off offset:3072
	v_addc_co_u32_e32 v7, vcc, 0, v5, vcc
	v_add_co_u32_e32 v2, vcc, 0x6000, v4
	s_nop 1
	v_addc_co_u32_e32 v3, vcc, 0, v5, vcc
	v_add_co_u32_e32 v4, vcc, 0x7000, v4
	global_load_dword v8, v[6:7], off
	global_load_dword v9, v[6:7], off offset:1024
	global_load_dword v29, v[6:7], off offset:2048
	;; [unrolled: 1-line block ×3, first 2 shown]
	global_load_dword v31, v[2:3], off
	global_load_dword v32, v[2:3], off offset:1024
	global_load_dword v33, v[2:3], off offset:2048
	;; [unrolled: 1-line block ×3, first 2 shown]
	v_addc_co_u32_e32 v5, vcc, 0, v5, vcc
	global_load_dword v2, v[4:5], off
	global_load_dword v3, v[4:5], off offset:1024
	global_load_dword v6, v[4:5], off offset:2048
	;; [unrolled: 1-line block ×3, first 2 shown]
	v_mul_hi_u32 v4, v1, s5
	v_mul_hi_u32 v5, v10, s5
	v_lshrrev_b32_e32 v4, 3, v4
	v_lshrrev_b32_e32 v5, 3, v5
	v_mul_lo_u32 v4, v4, 10
	v_mul_lo_u32 v5, v5, 10
	v_sub_u32_e32 v1, v1, v4
	v_sub_u32_e32 v4, v10, v5
	v_add_u32_e32 v1, v1, v4
	v_subrev_co_u32_e32 v4, vcc, 10, v1
	v_sub_u32_e32 v5, v11, v35
	s_nop 0
	v_cndmask_b32_e32 v1, v4, v1, vcc
	v_mul_hi_u32 v4, v1, s5
	v_lshrrev_b32_e32 v4, 3, v4
	v_mul_lo_u32 v4, v4, 10
	v_sub_u32_e32 v1, v1, v4
	v_add_u32_e32 v1, v1, v5
	v_subrev_co_u32_e32 v4, vcc, 10, v1
	s_nop 1
	v_cndmask_b32_e32 v1, v4, v1, vcc
	s_waitcnt vmcnt(28)
	v_mul_hi_u32 v4, v12, s5
	v_mul_hi_u32 v5, v1, s5
	v_lshrrev_b32_e32 v4, 3, v4
	v_lshrrev_b32_e32 v5, 3, v5
	v_mul_lo_u32 v4, v4, 10
	v_mul_lo_u32 v5, v5, 10
	v_sub_u32_e32 v4, v12, v4
	v_sub_u32_e32 v1, v1, v5
	v_add_u32_e32 v1, v1, v4
	v_subrev_co_u32_e32 v4, vcc, 10, v1
	s_nop 1
	v_cndmask_b32_e32 v1, v4, v1, vcc
	v_mul_hi_u32 v5, v1, s5
	v_lshrrev_b32_e32 v5, 3, v5
	v_mul_lo_u32 v5, v5, 10
	v_sub_u32_e32 v1, v1, v5
	s_waitcnt vmcnt(27)
	v_mul_hi_u32 v4, v13, s5
	v_lshrrev_b32_e32 v4, 3, v4
	v_mul_lo_u32 v4, v4, 10
	v_sub_u32_e32 v4, v13, v4
	v_add_u32_e32 v1, v1, v4
	v_subrev_co_u32_e32 v4, vcc, 10, v1
	s_nop 1
	v_cndmask_b32_e32 v1, v4, v1, vcc
	s_waitcnt vmcnt(26)
	v_mul_hi_u32 v4, v14, s5
	v_mul_hi_u32 v5, v1, s5
	v_lshrrev_b32_e32 v4, 3, v4
	v_lshrrev_b32_e32 v5, 3, v5
	v_mul_lo_u32 v4, v4, 10
	v_mul_lo_u32 v5, v5, 10
	v_sub_u32_e32 v4, v14, v4
	v_sub_u32_e32 v1, v1, v5
	v_add_u32_e32 v1, v1, v4
	v_subrev_co_u32_e32 v4, vcc, 10, v1
	s_nop 1
	v_cndmask_b32_e32 v1, v4, v1, vcc
	s_waitcnt vmcnt(25)
	v_mul_hi_u32 v4, v15, s5
	v_mul_hi_u32 v5, v1, s5
	v_lshrrev_b32_e32 v4, 3, v4
	v_lshrrev_b32_e32 v5, 3, v5
	v_mul_lo_u32 v4, v4, 10
	v_mul_lo_u32 v5, v5, 10
	v_sub_u32_e32 v4, v15, v4
	v_sub_u32_e32 v1, v1, v5
	v_add_u32_e32 v1, v1, v4
	v_subrev_co_u32_e32 v4, vcc, 10, v1
	s_nop 1
	v_cndmask_b32_e32 v1, v4, v1, vcc
	s_waitcnt vmcnt(24)
	v_mul_hi_u32 v4, v16, s5
	v_mul_hi_u32 v5, v1, s5
	v_lshrrev_b32_e32 v4, 3, v4
	v_lshrrev_b32_e32 v5, 3, v5
	v_mul_lo_u32 v4, v4, 10
	v_mul_lo_u32 v5, v5, 10
	v_sub_u32_e32 v4, v16, v4
	v_sub_u32_e32 v1, v1, v5
	v_add_u32_e32 v1, v1, v4
	v_subrev_co_u32_e32 v4, vcc, 10, v1
	s_nop 1
	v_cndmask_b32_e32 v1, v4, v1, vcc
	s_waitcnt vmcnt(23)
	v_mul_hi_u32 v4, v17, s5
	v_mul_hi_u32 v5, v1, s5
	v_lshrrev_b32_e32 v4, 3, v4
	v_lshrrev_b32_e32 v5, 3, v5
	v_mul_lo_u32 v4, v4, 10
	v_mul_lo_u32 v5, v5, 10
	v_sub_u32_e32 v4, v17, v4
	v_sub_u32_e32 v1, v1, v5
	v_add_u32_e32 v1, v1, v4
	v_subrev_co_u32_e32 v4, vcc, 10, v1
	s_nop 1
	v_cndmask_b32_e32 v1, v4, v1, vcc
	s_waitcnt vmcnt(22)
	v_mul_hi_u32 v4, v18, s5
	v_mul_hi_u32 v5, v1, s5
	v_lshrrev_b32_e32 v4, 3, v4
	v_lshrrev_b32_e32 v5, 3, v5
	v_mul_lo_u32 v4, v4, 10
	v_mul_lo_u32 v5, v5, 10
	v_sub_u32_e32 v4, v18, v4
	v_sub_u32_e32 v1, v1, v5
	v_add_u32_e32 v1, v1, v4
	v_subrev_co_u32_e32 v4, vcc, 10, v1
	s_nop 1
	v_cndmask_b32_e32 v1, v4, v1, vcc
	s_waitcnt vmcnt(21)
	v_mul_hi_u32 v4, v19, s5
	v_mul_hi_u32 v5, v1, s5
	v_lshrrev_b32_e32 v4, 3, v4
	v_lshrrev_b32_e32 v5, 3, v5
	v_mul_lo_u32 v4, v4, 10
	v_mul_lo_u32 v5, v5, 10
	v_sub_u32_e32 v4, v19, v4
	v_sub_u32_e32 v1, v1, v5
	v_add_u32_e32 v1, v1, v4
	v_subrev_co_u32_e32 v4, vcc, 10, v1
	s_nop 1
	v_cndmask_b32_e32 v1, v4, v1, vcc
	s_waitcnt vmcnt(20)
	v_mul_hi_u32 v4, v20, s5
	v_mul_hi_u32 v5, v1, s5
	v_lshrrev_b32_e32 v4, 3, v4
	v_lshrrev_b32_e32 v5, 3, v5
	v_mul_lo_u32 v4, v4, 10
	v_mul_lo_u32 v5, v5, 10
	v_sub_u32_e32 v4, v20, v4
	v_sub_u32_e32 v1, v1, v5
	v_add_u32_e32 v1, v1, v4
	v_subrev_co_u32_e32 v4, vcc, 10, v1
	s_nop 1
	v_cndmask_b32_e32 v1, v4, v1, vcc
	s_waitcnt vmcnt(19)
	v_mul_hi_u32 v4, v21, s5
	v_mul_hi_u32 v5, v1, s5
	v_lshrrev_b32_e32 v4, 3, v4
	v_lshrrev_b32_e32 v5, 3, v5
	v_mul_lo_u32 v4, v4, 10
	v_mul_lo_u32 v5, v5, 10
	v_sub_u32_e32 v4, v21, v4
	v_sub_u32_e32 v1, v1, v5
	v_add_u32_e32 v1, v1, v4
	v_subrev_co_u32_e32 v4, vcc, 10, v1
	s_nop 1
	v_cndmask_b32_e32 v1, v4, v1, vcc
	s_waitcnt vmcnt(18)
	v_mul_hi_u32 v4, v22, s5
	v_mul_hi_u32 v5, v1, s5
	v_lshrrev_b32_e32 v4, 3, v4
	v_lshrrev_b32_e32 v5, 3, v5
	v_mul_lo_u32 v4, v4, 10
	v_mul_lo_u32 v5, v5, 10
	v_sub_u32_e32 v4, v22, v4
	v_sub_u32_e32 v1, v1, v5
	v_add_u32_e32 v1, v1, v4
	v_subrev_co_u32_e32 v4, vcc, 10, v1
	s_nop 1
	v_cndmask_b32_e32 v1, v4, v1, vcc
	s_waitcnt vmcnt(17)
	v_mul_hi_u32 v4, v23, s5
	v_mul_hi_u32 v5, v1, s5
	v_lshrrev_b32_e32 v4, 3, v4
	v_lshrrev_b32_e32 v5, 3, v5
	v_mul_lo_u32 v4, v4, 10
	v_mul_lo_u32 v5, v5, 10
	v_sub_u32_e32 v4, v23, v4
	v_sub_u32_e32 v1, v1, v5
	v_add_u32_e32 v1, v1, v4
	v_subrev_co_u32_e32 v4, vcc, 10, v1
	s_nop 1
	v_cndmask_b32_e32 v1, v4, v1, vcc
	s_waitcnt vmcnt(16)
	v_mul_hi_u32 v4, v24, s5
	v_mul_hi_u32 v5, v1, s5
	v_lshrrev_b32_e32 v4, 3, v4
	v_lshrrev_b32_e32 v5, 3, v5
	v_mul_lo_u32 v4, v4, 10
	v_mul_lo_u32 v5, v5, 10
	v_sub_u32_e32 v4, v24, v4
	v_sub_u32_e32 v1, v1, v5
	v_add_u32_e32 v1, v1, v4
	v_subrev_co_u32_e32 v4, vcc, 10, v1
	s_nop 1
	v_cndmask_b32_e32 v1, v4, v1, vcc
	s_waitcnt vmcnt(15)
	v_mul_hi_u32 v4, v25, s5
	v_mul_hi_u32 v5, v1, s5
	v_lshrrev_b32_e32 v4, 3, v4
	v_lshrrev_b32_e32 v5, 3, v5
	v_mul_lo_u32 v4, v4, 10
	v_mul_lo_u32 v5, v5, 10
	v_sub_u32_e32 v4, v25, v4
	v_sub_u32_e32 v1, v1, v5
	v_add_u32_e32 v1, v1, v4
	v_subrev_co_u32_e32 v4, vcc, 10, v1
	s_nop 1
	v_cndmask_b32_e32 v1, v4, v1, vcc
	s_waitcnt vmcnt(14)
	v_mul_hi_u32 v4, v26, s5
	v_mul_hi_u32 v5, v1, s5
	v_lshrrev_b32_e32 v4, 3, v4
	v_lshrrev_b32_e32 v5, 3, v5
	v_mul_lo_u32 v4, v4, 10
	v_mul_lo_u32 v5, v5, 10
	v_sub_u32_e32 v4, v26, v4
	v_sub_u32_e32 v1, v1, v5
	v_add_u32_e32 v1, v1, v4
	v_subrev_co_u32_e32 v4, vcc, 10, v1
	s_nop 1
	v_cndmask_b32_e32 v1, v4, v1, vcc
	s_waitcnt vmcnt(13)
	v_mul_hi_u32 v4, v27, s5
	v_mul_hi_u32 v5, v1, s5
	v_lshrrev_b32_e32 v4, 3, v4
	v_lshrrev_b32_e32 v5, 3, v5
	v_mul_lo_u32 v4, v4, 10
	v_mul_lo_u32 v5, v5, 10
	v_sub_u32_e32 v4, v27, v4
	v_sub_u32_e32 v1, v1, v5
	v_add_u32_e32 v1, v1, v4
	v_subrev_co_u32_e32 v4, vcc, 10, v1
	s_nop 1
	v_cndmask_b32_e32 v1, v4, v1, vcc
	s_waitcnt vmcnt(12)
	v_mul_hi_u32 v4, v28, s5
	v_mul_hi_u32 v5, v1, s5
	v_lshrrev_b32_e32 v4, 3, v4
	v_lshrrev_b32_e32 v5, 3, v5
	v_mul_lo_u32 v4, v4, 10
	v_mul_lo_u32 v5, v5, 10
	v_sub_u32_e32 v4, v28, v4
	v_sub_u32_e32 v1, v1, v5
	v_add_u32_e32 v1, v1, v4
	v_subrev_co_u32_e32 v4, vcc, 10, v1
	s_nop 1
	v_cndmask_b32_e32 v1, v4, v1, vcc
	s_waitcnt vmcnt(11)
	v_mul_hi_u32 v4, v8, s5
	v_mul_hi_u32 v5, v1, s5
	v_lshrrev_b32_e32 v4, 3, v4
	v_lshrrev_b32_e32 v5, 3, v5
	v_mul_lo_u32 v4, v4, 10
	v_mul_lo_u32 v5, v5, 10
	v_sub_u32_e32 v4, v8, v4
	v_sub_u32_e32 v1, v1, v5
	v_add_u32_e32 v1, v1, v4
	v_subrev_co_u32_e32 v4, vcc, 10, v1
	s_nop 1
	v_cndmask_b32_e32 v1, v4, v1, vcc
	s_waitcnt vmcnt(10)
	v_mul_hi_u32 v4, v9, s5
	v_mul_hi_u32 v5, v1, s5
	v_lshrrev_b32_e32 v4, 3, v4
	v_lshrrev_b32_e32 v5, 3, v5
	v_mul_lo_u32 v4, v4, 10
	v_mul_lo_u32 v5, v5, 10
	v_sub_u32_e32 v4, v9, v4
	v_sub_u32_e32 v1, v1, v5
	v_add_u32_e32 v1, v1, v4
	v_subrev_co_u32_e32 v4, vcc, 10, v1
	s_nop 1
	v_cndmask_b32_e32 v1, v4, v1, vcc
	s_waitcnt vmcnt(9)
	v_mul_hi_u32 v4, v29, s5
	v_mul_hi_u32 v5, v1, s5
	v_lshrrev_b32_e32 v4, 3, v4
	v_lshrrev_b32_e32 v5, 3, v5
	v_mul_lo_u32 v4, v4, 10
	v_mul_lo_u32 v5, v5, 10
	v_sub_u32_e32 v4, v29, v4
	v_sub_u32_e32 v1, v1, v5
	v_add_u32_e32 v1, v1, v4
	v_subrev_co_u32_e32 v4, vcc, 10, v1
	s_nop 1
	v_cndmask_b32_e32 v1, v4, v1, vcc
	s_waitcnt vmcnt(8)
	v_mul_hi_u32 v4, v30, s5
	v_mul_hi_u32 v5, v1, s5
	v_lshrrev_b32_e32 v4, 3, v4
	v_lshrrev_b32_e32 v5, 3, v5
	v_mul_lo_u32 v4, v4, 10
	v_mul_lo_u32 v5, v5, 10
	v_sub_u32_e32 v4, v30, v4
	v_sub_u32_e32 v1, v1, v5
	v_add_u32_e32 v1, v1, v4
	v_subrev_co_u32_e32 v4, vcc, 10, v1
	s_nop 1
	v_cndmask_b32_e32 v1, v4, v1, vcc
	s_waitcnt vmcnt(7)
	v_mul_hi_u32 v4, v31, s5
	v_mul_hi_u32 v5, v1, s5
	v_lshrrev_b32_e32 v4, 3, v4
	v_lshrrev_b32_e32 v5, 3, v5
	v_mul_lo_u32 v4, v4, 10
	v_mul_lo_u32 v5, v5, 10
	v_sub_u32_e32 v4, v31, v4
	v_sub_u32_e32 v1, v1, v5
	v_add_u32_e32 v1, v1, v4
	v_subrev_co_u32_e32 v4, vcc, 10, v1
	s_nop 1
	v_cndmask_b32_e32 v1, v4, v1, vcc
	s_waitcnt vmcnt(6)
	v_mul_hi_u32 v4, v32, s5
	v_mul_hi_u32 v5, v1, s5
	v_lshrrev_b32_e32 v4, 3, v4
	v_lshrrev_b32_e32 v5, 3, v5
	v_mul_lo_u32 v4, v4, 10
	v_mul_lo_u32 v5, v5, 10
	v_sub_u32_e32 v4, v32, v4
	v_sub_u32_e32 v1, v1, v5
	v_add_u32_e32 v1, v1, v4
	v_subrev_co_u32_e32 v4, vcc, 10, v1
	s_nop 1
	v_cndmask_b32_e32 v1, v4, v1, vcc
	s_waitcnt vmcnt(5)
	v_mul_hi_u32 v4, v33, s5
	v_mul_hi_u32 v5, v1, s5
	v_lshrrev_b32_e32 v4, 3, v4
	v_lshrrev_b32_e32 v5, 3, v5
	v_mul_lo_u32 v4, v4, 10
	v_mul_lo_u32 v5, v5, 10
	v_sub_u32_e32 v4, v33, v4
	v_sub_u32_e32 v1, v1, v5
	v_add_u32_e32 v1, v1, v4
	v_subrev_co_u32_e32 v4, vcc, 10, v1
	s_nop 1
	v_cndmask_b32_e32 v1, v4, v1, vcc
	s_waitcnt vmcnt(4)
	v_mul_hi_u32 v4, v34, s5
	v_mul_hi_u32 v5, v1, s5
	v_lshrrev_b32_e32 v4, 3, v4
	v_lshrrev_b32_e32 v5, 3, v5
	v_mul_lo_u32 v4, v4, 10
	v_mul_lo_u32 v5, v5, 10
	v_sub_u32_e32 v4, v34, v4
	v_sub_u32_e32 v1, v1, v5
	v_add_u32_e32 v1, v1, v4
	v_subrev_co_u32_e32 v4, vcc, 10, v1
	s_nop 1
	v_cndmask_b32_e32 v1, v4, v1, vcc
	s_waitcnt vmcnt(3)
	v_mul_hi_u32 v4, v2, s5
	v_lshrrev_b32_e32 v4, 3, v4
	v_mul_lo_u32 v4, v4, 10
	v_sub_u32_e32 v2, v2, v4
	v_mul_hi_u32 v4, v1, s5
	v_lshrrev_b32_e32 v4, 3, v4
	v_mul_lo_u32 v4, v4, 10
	v_sub_u32_e32 v1, v1, v4
	v_add_u32_e32 v1, v1, v2
	v_subrev_co_u32_e32 v2, vcc, 10, v1
	s_nop 1
	v_cndmask_b32_e32 v1, v2, v1, vcc
	s_waitcnt vmcnt(2)
	v_mul_hi_u32 v2, v3, s5
	v_lshrrev_b32_e32 v2, 3, v2
	v_mul_lo_u32 v2, v2, 10
	v_sub_u32_e32 v2, v3, v2
	v_mul_hi_u32 v3, v1, s5
	v_lshrrev_b32_e32 v3, 3, v3
	v_mul_lo_u32 v3, v3, 10
	v_sub_u32_e32 v1, v1, v3
	v_add_u32_e32 v1, v1, v2
	v_subrev_co_u32_e32 v2, vcc, 10, v1
	s_nop 1
	v_cndmask_b32_e32 v1, v2, v1, vcc
	s_waitcnt vmcnt(1)
	v_mul_hi_u32 v2, v6, s5
	v_mul_hi_u32 v3, v1, s5
	v_lshrrev_b32_e32 v2, 3, v2
	v_lshrrev_b32_e32 v3, 3, v3
	v_mul_lo_u32 v2, v2, 10
	v_mul_lo_u32 v3, v3, 10
	v_sub_u32_e32 v2, v6, v2
	v_sub_u32_e32 v1, v1, v3
	v_add_u32_e32 v1, v1, v2
	v_subrev_co_u32_e32 v2, vcc, 10, v1
	s_nop 1
	v_cndmask_b32_e32 v1, v2, v1, vcc
	s_waitcnt vmcnt(0)
	v_mul_hi_u32 v2, v7, s5
	v_mul_hi_u32 v3, v1, s5
	v_lshrrev_b32_e32 v2, 3, v2
	v_lshrrev_b32_e32 v3, 3, v3
	v_mul_lo_u32 v2, v2, 10
	v_mul_lo_u32 v3, v3, 10
	v_sub_u32_e32 v2, v7, v2
	v_sub_u32_e32 v1, v1, v3
	v_add_u32_e32 v1, v1, v2
	v_subrev_co_u32_e32 v2, vcc, 10, v1
	s_nop 1
	v_cndmask_b32_e32 v2, v2, v1, vcc
	v_mul_hi_u32 v4, v2, s5
	v_lshrrev_b32_e32 v4, 3, v4
	v_mov_b32_dpp v3, v2 quad_perm:[1,0,3,2] row_mask:0xf bank_mask:0xf bound_ctrl:1
	v_mul_lo_u32 v4, v4, 10
	v_sub_u32_e32 v2, v2, v4
	v_mul_hi_u32 v4, v3, s5
	v_lshrrev_b32_e32 v4, 3, v4
	v_mul_lo_u32 v4, v4, 10
	v_sub_u32_e32 v3, v3, v4
	v_add_u32_e32 v2, v2, v3
	v_subrev_co_u32_e32 v3, vcc, 10, v2
	v_mbcnt_lo_u32_b32 v1, -1, 0
	s_nop 0
	v_cndmask_b32_e32 v2, v3, v2, vcc
	v_mbcnt_hi_u32_b32 v1, -1, v1
	s_nop 0
	v_mov_b32_dpp v3, v2 quad_perm:[2,3,0,1] row_mask:0xf bank_mask:0xf bound_ctrl:1
	v_mul_hi_u32 v4, v3, s5
	v_lshrrev_b32_e32 v4, 3, v4
	v_mul_lo_u32 v4, v4, 10
	v_sub_u32_e32 v3, v3, v4
	v_add_u32_e32 v2, v2, v3
	v_subrev_co_u32_e32 v3, vcc, 10, v2
	s_nop 1
	v_cndmask_b32_e32 v2, v3, v2, vcc
	v_mul_hi_u32 v4, v2, s5
	v_lshrrev_b32_e32 v4, 3, v4
	v_mov_b32_dpp v3, v2 row_ror:4 row_mask:0xf bank_mask:0xf bound_ctrl:1
	v_mul_lo_u32 v4, v4, 10
	v_sub_u32_e32 v2, v2, v4
	v_mul_hi_u32 v4, v3, s5
	v_lshrrev_b32_e32 v4, 3, v4
	v_mul_lo_u32 v4, v4, 10
	v_sub_u32_e32 v3, v3, v4
	v_add_u32_e32 v2, v2, v3
	v_subrev_co_u32_e32 v3, vcc, 10, v2
	s_nop 1
	v_cndmask_b32_e32 v2, v3, v2, vcc
	v_mul_hi_u32 v4, v2, s5
	v_lshrrev_b32_e32 v4, 3, v4
	v_mov_b32_dpp v3, v2 row_ror:8 row_mask:0xf bank_mask:0xf bound_ctrl:1
	v_mul_lo_u32 v4, v4, 10
	v_sub_u32_e32 v2, v2, v4
	v_mul_hi_u32 v4, v3, s5
	v_lshrrev_b32_e32 v4, 3, v4
	v_mul_lo_u32 v4, v4, 10
	v_sub_u32_e32 v3, v3, v4
	v_add_u32_e32 v2, v2, v3
	v_subrev_co_u32_e32 v3, vcc, 10, v2
	s_nop 1
	v_cndmask_b32_e32 v2, v3, v2, vcc
	v_mul_hi_u32 v4, v2, s5
	v_lshrrev_b32_e32 v4, 3, v4
	v_mov_b32_dpp v3, v2 row_bcast:15 row_mask:0xf bank_mask:0xf bound_ctrl:1
	v_mul_lo_u32 v4, v4, 10
	v_sub_u32_e32 v2, v2, v4
	v_mul_hi_u32 v4, v3, s5
	v_lshrrev_b32_e32 v4, 3, v4
	v_mul_lo_u32 v4, v4, 10
	v_sub_u32_e32 v3, v3, v4
	v_add_u32_e32 v2, v2, v3
	v_subrev_co_u32_e32 v3, vcc, 10, v2
	s_nop 1
	v_cndmask_b32_e32 v2, v3, v2, vcc
	v_mul_hi_u32 v4, v2, s5
	v_lshrrev_b32_e32 v4, 3, v4
	v_mov_b32_dpp v3, v2 row_bcast:31 row_mask:0xf bank_mask:0xf bound_ctrl:1
	v_mul_lo_u32 v4, v4, 10
	v_sub_u32_e32 v2, v2, v4
	v_mul_hi_u32 v4, v3, s5
	v_lshrrev_b32_e32 v4, 3, v4
	v_mul_lo_u32 v4, v4, 10
	v_sub_u32_e32 v3, v3, v4
	v_add_u32_e32 v2, v2, v3
	v_subrev_co_u32_e32 v3, vcc, 10, v2
	s_nop 1
	v_cndmask_b32_e32 v2, v3, v2, vcc
	v_lshlrev_b32_e32 v3, 2, v1
	v_or_b32_e32 v4, 0xfc, v3
	ds_bpermute_b32 v2, v4, v2
	v_cmp_eq_u32_e32 vcc, 0, v1
	s_and_saveexec_b64 s[6:7], vcc
	s_cbranch_execz .LBB594_7
; %bb.6:
	v_lshrrev_b32_e32 v4, 4, v0
	v_and_b32_e32 v4, 12, v4
	s_waitcnt lgkmcnt(0)
	ds_write_b32 v4, v2 offset:64
.LBB594_7:
	s_or_b64 exec, exec, s[6:7]
	v_cmp_gt_u32_e32 vcc, 64, v0
	s_waitcnt lgkmcnt(0)
	s_barrier
	s_and_saveexec_b64 s[6:7], vcc
	s_cbranch_execz .LBB594_9
; %bb.8:
	v_and_b32_e32 v2, 3, v1
	v_lshlrev_b32_e32 v4, 2, v2
	ds_read_b32 v4, v4 offset:64
	v_cmp_ne_u32_e32 vcc, 3, v2
	s_waitcnt lgkmcnt(0)
	v_mul_hi_u32 v2, v4, s5
	v_addc_co_u32_e32 v1, vcc, 0, v1, vcc
	v_lshlrev_b32_e32 v1, 2, v1
	ds_bpermute_b32 v1, v1, v4
	v_lshrrev_b32_e32 v2, 3, v2
	v_mul_lo_u32 v2, v2, 10
	v_sub_u32_e32 v2, v4, v2
	s_waitcnt lgkmcnt(0)
	v_mul_hi_u32 v5, v1, s5
	v_lshrrev_b32_e32 v5, 3, v5
	v_mul_lo_u32 v5, v5, 10
	v_sub_u32_e32 v1, v1, v5
	v_add_u32_e32 v1, v1, v2
	v_subrev_co_u32_e32 v2, vcc, 10, v1
	s_nop 1
	v_cndmask_b32_e32 v1, v2, v1, vcc
	v_or_b32_e32 v2, 8, v3
	ds_bpermute_b32 v2, v2, v1
	s_waitcnt lgkmcnt(0)
	v_mul_hi_u32 v3, v2, s5
	v_lshrrev_b32_e32 v3, 3, v3
	v_mul_lo_u32 v3, v3, 10
	v_sub_u32_e32 v2, v2, v3
	v_add_u32_e32 v1, v1, v2
	v_subrev_co_u32_e32 v2, vcc, 10, v1
	s_nop 1
	v_cndmask_b32_e32 v2, v2, v1, vcc
.LBB594_9:
	s_or_b64 exec, exec, s[6:7]
	s_mov_b64 s[6:7], 0
	s_branch .LBB594_23
.LBB594_10:
	s_mov_b64 s[34:35], 0
                                        ; implicit-def: $vgpr1
	s_cbranch_execnz .LBB594_280
	s_branch .LBB594_389
.LBB594_11:
	s_mov_b64 s[34:35], 0
                                        ; implicit-def: $vgpr1
	s_cbranch_execnz .LBB594_221
	s_branch .LBB594_229
.LBB594_12:
	s_mov_b64 s[66:67], -1
.LBB594_13:
	s_mov_b64 s[34:35], 0
                                        ; implicit-def: $vgpr1
	s_and_b64 vcc, exec, s[66:67]
	s_cbranch_vccz .LBB594_145
.LBB594_14:
	s_cmp_eq_u32 s76, 16
	s_cbranch_scc0 .LBB594_21
; %bb.15:
	s_mov_b32 s3, 0
	s_lshl_b32 s4, s2, 12
	s_mov_b32 s5, s3
	s_lshr_b64 s[6:7], s[70:71], 12
	s_lshl_b64 s[8:9], s[4:5], 2
	s_add_u32 s36, s68, s8
	s_addc_u32 s37, s69, s9
	s_cmp_lg_u64 s[6:7], s[2:3]
	s_cbranch_scc0 .LBB594_146
; %bb.16:
	v_lshlrev_b32_e32 v2, 2, v0
	s_waitcnt lgkmcnt(0)
	global_load_dword v1, v2, s[36:37] offset:1024
	global_load_dword v6, v2, s[36:37]
	global_load_dword v7, v2, s[36:37] offset:2048
	global_load_dword v8, v2, s[36:37] offset:3072
	v_mov_b32_e32 v3, 0
	v_lshl_add_u64 v[2:3], s[36:37], 0, v[2:3]
	v_add_co_u32_e32 v4, vcc, 0x1000, v2
	s_mov_b32 s5, 0xcccccccd
	s_nop 0
	v_addc_co_u32_e32 v5, vcc, 0, v3, vcc
	global_load_dword v9, v[4:5], off
	global_load_dword v10, v[4:5], off offset:1024
	global_load_dword v11, v[4:5], off offset:2048
	global_load_dword v12, v[4:5], off offset:3072
	v_add_co_u32_e32 v4, vcc, 0x2000, v2
	s_waitcnt vmcnt(5)
	v_mul_hi_u32 v19, v7, s5
	v_addc_co_u32_e32 v5, vcc, 0, v3, vcc
	global_load_dword v13, v[4:5], off
	global_load_dword v14, v[4:5], off offset:1024
	global_load_dword v15, v[4:5], off offset:2048
	;; [unrolled: 1-line block ×3, first 2 shown]
	v_add_co_u32_e32 v2, vcc, 0x3000, v2
	s_waitcnt vmcnt(8)
	v_mul_hi_u32 v20, v8, s5
	v_addc_co_u32_e32 v3, vcc, 0, v3, vcc
	global_load_dword v4, v[2:3], off
	global_load_dword v5, v[2:3], off offset:1024
	global_load_dword v17, v[2:3], off offset:2048
	;; [unrolled: 1-line block ×3, first 2 shown]
	v_mul_hi_u32 v2, v1, s5
	v_mul_hi_u32 v3, v6, s5
	v_lshrrev_b32_e32 v2, 3, v2
	v_lshrrev_b32_e32 v3, 3, v3
	v_mul_lo_u32 v2, v2, 10
	v_mul_lo_u32 v3, v3, 10
	v_lshrrev_b32_e32 v19, 3, v19
	v_lshrrev_b32_e32 v20, 3, v20
	v_sub_u32_e32 v1, v1, v2
	v_sub_u32_e32 v2, v6, v3
	v_mul_lo_u32 v19, v19, 10
	v_mul_lo_u32 v20, v20, 10
	v_add_u32_e32 v1, v1, v2
	v_sub_u32_e32 v3, v7, v19
	v_sub_u32_e32 v6, v8, v20
	s_waitcnt vmcnt(11)
	v_mul_hi_u32 v7, v9, s5
	s_waitcnt vmcnt(10)
	v_mul_hi_u32 v8, v10, s5
	;; [unrolled: 2-line block ×3, first 2 shown]
	v_subrev_co_u32_e32 v21, vcc, 10, v1
	v_lshrrev_b32_e32 v2, 3, v7
	v_lshrrev_b32_e32 v7, 3, v8
	;; [unrolled: 1-line block ×3, first 2 shown]
	v_cndmask_b32_e32 v1, v21, v1, vcc
	v_mul_lo_u32 v8, v8, 10
	v_mul_hi_u32 v21, v1, s5
	v_sub_u32_e32 v8, v11, v8
	v_lshrrev_b32_e32 v11, 3, v21
	v_mul_lo_u32 v11, v11, 10
	v_sub_u32_e32 v1, v1, v11
	v_add_u32_e32 v1, v1, v3
	v_subrev_co_u32_e32 v3, vcc, 10, v1
	v_mul_lo_u32 v2, v2, 10
	s_nop 0
	v_cndmask_b32_e32 v1, v3, v1, vcc
	v_mul_hi_u32 v3, v1, s5
	v_lshrrev_b32_e32 v3, 3, v3
	v_mul_lo_u32 v3, v3, 10
	v_sub_u32_e32 v1, v1, v3
	v_add_u32_e32 v1, v1, v6
	v_subrev_co_u32_e32 v3, vcc, 10, v1
	v_sub_u32_e32 v2, v9, v2
	s_nop 0
	v_cndmask_b32_e32 v1, v3, v1, vcc
	v_mul_hi_u32 v3, v1, s5
	v_lshrrev_b32_e32 v3, 3, v3
	v_mul_lo_u32 v3, v3, 10
	v_sub_u32_e32 v1, v1, v3
	v_add_u32_e32 v1, v1, v2
	v_subrev_co_u32_e32 v2, vcc, 10, v1
	v_mul_lo_u32 v7, v7, 10
	s_nop 0
	v_cndmask_b32_e32 v1, v2, v1, vcc
	v_mul_hi_u32 v2, v1, s5
	v_lshrrev_b32_e32 v2, 3, v2
	v_mul_lo_u32 v2, v2, 10
	v_sub_u32_e32 v7, v10, v7
	v_sub_u32_e32 v1, v1, v2
	v_add_u32_e32 v1, v1, v7
	v_subrev_co_u32_e32 v2, vcc, 10, v1
	s_waitcnt vmcnt(8)
	v_mul_hi_u32 v20, v12, s5
	v_cndmask_b32_e32 v1, v2, v1, vcc
	v_mul_hi_u32 v2, v1, s5
	v_lshrrev_b32_e32 v2, 3, v2
	v_mul_lo_u32 v2, v2, 10
	v_sub_u32_e32 v1, v1, v2
	v_add_u32_e32 v1, v1, v8
	v_subrev_co_u32_e32 v2, vcc, 10, v1
	v_lshrrev_b32_e32 v19, 3, v20
	s_nop 0
	v_cndmask_b32_e32 v1, v2, v1, vcc
	v_mul_hi_u32 v2, v1, s5
	v_lshrrev_b32_e32 v2, 3, v2
	v_mul_lo_u32 v19, v19, 10
	v_mul_lo_u32 v2, v2, 10
	v_sub_u32_e32 v9, v12, v19
	v_sub_u32_e32 v1, v1, v2
	v_add_u32_e32 v1, v1, v9
	v_subrev_co_u32_e32 v2, vcc, 10, v1
	s_waitcnt vmcnt(7)
	v_mul_hi_u32 v20, v13, s5
	v_cndmask_b32_e32 v1, v2, v1, vcc
	v_mul_hi_u32 v2, v1, s5
	v_lshrrev_b32_e32 v20, 3, v20
	v_lshrrev_b32_e32 v2, 3, v2
	v_mul_lo_u32 v10, v20, 10
	v_mul_lo_u32 v2, v2, 10
	v_sub_u32_e32 v10, v13, v10
	v_sub_u32_e32 v1, v1, v2
	v_add_u32_e32 v1, v1, v10
	v_subrev_co_u32_e32 v2, vcc, 10, v1
	s_nop 1
	v_cndmask_b32_e32 v1, v2, v1, vcc
	s_waitcnt vmcnt(6)
	v_mul_hi_u32 v2, v14, s5
	v_mul_hi_u32 v3, v1, s5
	v_lshrrev_b32_e32 v2, 3, v2
	v_lshrrev_b32_e32 v3, 3, v3
	v_mul_lo_u32 v2, v2, 10
	v_mul_lo_u32 v3, v3, 10
	v_sub_u32_e32 v2, v14, v2
	v_sub_u32_e32 v1, v1, v3
	v_add_u32_e32 v1, v1, v2
	v_subrev_co_u32_e32 v2, vcc, 10, v1
	s_nop 1
	v_cndmask_b32_e32 v1, v2, v1, vcc
	s_waitcnt vmcnt(5)
	v_mul_hi_u32 v2, v15, s5
	v_mul_hi_u32 v3, v1, s5
	v_lshrrev_b32_e32 v2, 3, v2
	v_lshrrev_b32_e32 v3, 3, v3
	v_mul_lo_u32 v2, v2, 10
	v_mul_lo_u32 v3, v3, 10
	v_sub_u32_e32 v2, v15, v2
	v_sub_u32_e32 v1, v1, v3
	v_add_u32_e32 v1, v1, v2
	v_subrev_co_u32_e32 v2, vcc, 10, v1
	s_nop 1
	v_cndmask_b32_e32 v1, v2, v1, vcc
	s_waitcnt vmcnt(4)
	v_mul_hi_u32 v2, v16, s5
	v_mul_hi_u32 v3, v1, s5
	v_lshrrev_b32_e32 v2, 3, v2
	v_lshrrev_b32_e32 v3, 3, v3
	v_mul_lo_u32 v2, v2, 10
	v_mul_lo_u32 v3, v3, 10
	v_sub_u32_e32 v2, v16, v2
	v_sub_u32_e32 v1, v1, v3
	v_add_u32_e32 v1, v1, v2
	v_subrev_co_u32_e32 v2, vcc, 10, v1
	s_nop 1
	v_cndmask_b32_e32 v1, v2, v1, vcc
	s_waitcnt vmcnt(3)
	v_mul_hi_u32 v2, v4, s5
	v_mul_hi_u32 v3, v1, s5
	v_lshrrev_b32_e32 v2, 3, v2
	v_lshrrev_b32_e32 v3, 3, v3
	v_mul_lo_u32 v2, v2, 10
	v_mul_lo_u32 v3, v3, 10
	v_sub_u32_e32 v2, v4, v2
	v_sub_u32_e32 v1, v1, v3
	v_add_u32_e32 v1, v1, v2
	v_subrev_co_u32_e32 v2, vcc, 10, v1
	s_nop 1
	v_cndmask_b32_e32 v1, v2, v1, vcc
	s_waitcnt vmcnt(2)
	v_mul_hi_u32 v2, v5, s5
	v_mul_hi_u32 v3, v1, s5
	v_lshrrev_b32_e32 v2, 3, v2
	v_lshrrev_b32_e32 v3, 3, v3
	v_mul_lo_u32 v2, v2, 10
	v_mul_lo_u32 v3, v3, 10
	v_sub_u32_e32 v2, v5, v2
	v_sub_u32_e32 v1, v1, v3
	v_add_u32_e32 v1, v1, v2
	v_subrev_co_u32_e32 v2, vcc, 10, v1
	s_nop 1
	v_cndmask_b32_e32 v1, v2, v1, vcc
	s_waitcnt vmcnt(1)
	v_mul_hi_u32 v2, v17, s5
	v_mul_hi_u32 v3, v1, s5
	v_lshrrev_b32_e32 v2, 3, v2
	v_lshrrev_b32_e32 v3, 3, v3
	v_mul_lo_u32 v2, v2, 10
	v_mul_lo_u32 v3, v3, 10
	v_sub_u32_e32 v2, v17, v2
	v_sub_u32_e32 v1, v1, v3
	v_add_u32_e32 v1, v1, v2
	v_subrev_co_u32_e32 v2, vcc, 10, v1
	s_nop 1
	v_cndmask_b32_e32 v1, v2, v1, vcc
	s_waitcnt vmcnt(0)
	v_mul_hi_u32 v2, v18, s5
	v_mul_hi_u32 v3, v1, s5
	v_lshrrev_b32_e32 v2, 3, v2
	v_lshrrev_b32_e32 v3, 3, v3
	v_mul_lo_u32 v2, v2, 10
	v_mul_lo_u32 v3, v3, 10
	v_sub_u32_e32 v2, v18, v2
	v_sub_u32_e32 v1, v1, v3
	v_add_u32_e32 v1, v1, v2
	v_subrev_co_u32_e32 v2, vcc, 10, v1
	s_nop 1
	v_cndmask_b32_e32 v2, v2, v1, vcc
	v_mul_hi_u32 v4, v2, s5
	v_lshrrev_b32_e32 v4, 3, v4
	v_mov_b32_dpp v3, v2 quad_perm:[1,0,3,2] row_mask:0xf bank_mask:0xf bound_ctrl:1
	v_mul_lo_u32 v4, v4, 10
	v_sub_u32_e32 v2, v2, v4
	v_mul_hi_u32 v4, v3, s5
	v_lshrrev_b32_e32 v4, 3, v4
	v_mul_lo_u32 v4, v4, 10
	v_sub_u32_e32 v3, v3, v4
	v_add_u32_e32 v2, v2, v3
	v_subrev_co_u32_e32 v3, vcc, 10, v2
	v_mbcnt_lo_u32_b32 v1, -1, 0
	s_nop 0
	v_cndmask_b32_e32 v2, v3, v2, vcc
	v_mbcnt_hi_u32_b32 v1, -1, v1
	s_nop 0
	v_mov_b32_dpp v3, v2 quad_perm:[2,3,0,1] row_mask:0xf bank_mask:0xf bound_ctrl:1
	v_mul_hi_u32 v4, v3, s5
	v_lshrrev_b32_e32 v4, 3, v4
	v_mul_lo_u32 v4, v4, 10
	v_sub_u32_e32 v3, v3, v4
	v_add_u32_e32 v2, v2, v3
	v_subrev_co_u32_e32 v3, vcc, 10, v2
	s_nop 1
	v_cndmask_b32_e32 v2, v3, v2, vcc
	v_mul_hi_u32 v4, v2, s5
	v_lshrrev_b32_e32 v4, 3, v4
	v_mov_b32_dpp v3, v2 row_ror:4 row_mask:0xf bank_mask:0xf bound_ctrl:1
	v_mul_lo_u32 v4, v4, 10
	v_sub_u32_e32 v2, v2, v4
	v_mul_hi_u32 v4, v3, s5
	v_lshrrev_b32_e32 v4, 3, v4
	v_mul_lo_u32 v4, v4, 10
	v_sub_u32_e32 v3, v3, v4
	v_add_u32_e32 v2, v2, v3
	v_subrev_co_u32_e32 v3, vcc, 10, v2
	s_nop 1
	v_cndmask_b32_e32 v2, v3, v2, vcc
	v_mul_hi_u32 v4, v2, s5
	v_lshrrev_b32_e32 v4, 3, v4
	v_mov_b32_dpp v3, v2 row_ror:8 row_mask:0xf bank_mask:0xf bound_ctrl:1
	v_mul_lo_u32 v4, v4, 10
	v_sub_u32_e32 v2, v2, v4
	v_mul_hi_u32 v4, v3, s5
	v_lshrrev_b32_e32 v4, 3, v4
	v_mul_lo_u32 v4, v4, 10
	v_sub_u32_e32 v3, v3, v4
	v_add_u32_e32 v2, v2, v3
	v_subrev_co_u32_e32 v3, vcc, 10, v2
	s_nop 1
	v_cndmask_b32_e32 v2, v3, v2, vcc
	v_mul_hi_u32 v4, v2, s5
	v_lshrrev_b32_e32 v4, 3, v4
	v_mov_b32_dpp v3, v2 row_bcast:15 row_mask:0xf bank_mask:0xf bound_ctrl:1
	v_mul_lo_u32 v4, v4, 10
	v_sub_u32_e32 v2, v2, v4
	v_mul_hi_u32 v4, v3, s5
	v_lshrrev_b32_e32 v4, 3, v4
	v_mul_lo_u32 v4, v4, 10
	v_sub_u32_e32 v3, v3, v4
	v_add_u32_e32 v2, v2, v3
	v_subrev_co_u32_e32 v3, vcc, 10, v2
	s_nop 1
	v_cndmask_b32_e32 v2, v3, v2, vcc
	v_mul_hi_u32 v4, v2, s5
	v_lshrrev_b32_e32 v4, 3, v4
	v_mov_b32_dpp v3, v2 row_bcast:31 row_mask:0xf bank_mask:0xf bound_ctrl:1
	v_mul_lo_u32 v4, v4, 10
	v_sub_u32_e32 v2, v2, v4
	v_mul_hi_u32 v4, v3, s5
	v_lshrrev_b32_e32 v4, 3, v4
	v_mul_lo_u32 v4, v4, 10
	v_sub_u32_e32 v3, v3, v4
	v_add_u32_e32 v2, v2, v3
	v_subrev_co_u32_e32 v3, vcc, 10, v2
	s_nop 1
	v_cndmask_b32_e32 v2, v3, v2, vcc
	v_lshlrev_b32_e32 v3, 2, v1
	v_or_b32_e32 v4, 0xfc, v3
	ds_bpermute_b32 v2, v4, v2
	v_cmp_eq_u32_e32 vcc, 0, v1
	s_and_saveexec_b64 s[6:7], vcc
	s_cbranch_execz .LBB594_18
; %bb.17:
	v_lshrrev_b32_e32 v4, 4, v0
	v_and_b32_e32 v4, 12, v4
	s_waitcnt lgkmcnt(0)
	ds_write_b32 v4, v2 offset:16
.LBB594_18:
	s_or_b64 exec, exec, s[6:7]
	v_cmp_gt_u32_e32 vcc, 64, v0
	s_waitcnt lgkmcnt(0)
	s_barrier
	s_and_saveexec_b64 s[6:7], vcc
	s_cbranch_execz .LBB594_20
; %bb.19:
	v_and_b32_e32 v2, 3, v1
	v_lshlrev_b32_e32 v4, 2, v2
	ds_read_b32 v4, v4 offset:16
	v_cmp_ne_u32_e32 vcc, 3, v2
	s_waitcnt lgkmcnt(0)
	v_mul_hi_u32 v2, v4, s5
	v_addc_co_u32_e32 v1, vcc, 0, v1, vcc
	v_lshlrev_b32_e32 v1, 2, v1
	ds_bpermute_b32 v1, v1, v4
	v_lshrrev_b32_e32 v2, 3, v2
	v_mul_lo_u32 v2, v2, 10
	v_sub_u32_e32 v2, v4, v2
	s_waitcnt lgkmcnt(0)
	v_mul_hi_u32 v5, v1, s5
	v_lshrrev_b32_e32 v5, 3, v5
	v_mul_lo_u32 v5, v5, 10
	v_sub_u32_e32 v1, v1, v5
	v_add_u32_e32 v1, v1, v2
	v_subrev_co_u32_e32 v2, vcc, 10, v1
	s_nop 1
	v_cndmask_b32_e32 v1, v2, v1, vcc
	v_or_b32_e32 v2, 8, v3
	ds_bpermute_b32 v2, v2, v1
	s_waitcnt lgkmcnt(0)
	v_mul_hi_u32 v3, v2, s5
	v_lshrrev_b32_e32 v3, 3, v3
	v_mul_lo_u32 v3, v3, 10
	v_sub_u32_e32 v2, v2, v3
	v_add_u32_e32 v1, v1, v2
	v_subrev_co_u32_e32 v2, vcc, 10, v1
	s_nop 1
	v_cndmask_b32_e32 v2, v2, v1, vcc
.LBB594_20:
	s_or_b64 exec, exec, s[6:7]
	s_mov_b64 s[6:7], 0
	s_branch .LBB594_147
.LBB594_21:
                                        ; implicit-def: $vgpr1
	s_branch .LBB594_229
.LBB594_22:
	s_mov_b64 s[6:7], -1
                                        ; implicit-def: $vgpr2
.LBB594_23:
	s_and_b64 vcc, exec, s[6:7]
	s_cbranch_vccz .LBB594_140
; %bb.24:
	s_sub_i32 s77, s70, s4
	v_mov_b32_e32 v2, 0
	v_cmp_gt_u32_e32 vcc, s77, v0
	v_mov_b32_e32 v3, v2
	v_mov_b32_e32 v4, v2
	;; [unrolled: 1-line block ×31, first 2 shown]
	s_and_saveexec_b64 s[4:5], vcc
	s_cbranch_execz .LBB594_26
; %bb.25:
	v_lshlrev_b32_e32 v1, 2, v0
	global_load_dword v4, v1, s[72:73]
	v_mov_b32_e32 v5, v2
	v_mov_b32_e32 v6, v2
	;; [unrolled: 1-line block ×31, first 2 shown]
	s_waitcnt vmcnt(0)
	v_mov_b64_e32 v[2:3], v[4:5]
	v_mov_b64_e32 v[4:5], v[6:7]
	;; [unrolled: 1-line block ×16, first 2 shown]
.LBB594_26:
	s_or_b64 exec, exec, s[4:5]
	v_or_b32_e32 v1, 0x100, v0
	v_cmp_gt_u32_e64 s[64:65], s77, v1
	s_and_saveexec_b64 s[4:5], s[64:65]
	s_cbranch_execz .LBB594_28
; %bb.27:
	v_lshlrev_b32_e32 v1, 2, v0
	global_load_dword v3, v1, s[72:73] offset:1024
.LBB594_28:
	s_or_b64 exec, exec, s[4:5]
	v_or_b32_e32 v1, 0x200, v0
	v_cmp_gt_u32_e64 s[62:63], s77, v1
	s_and_saveexec_b64 s[4:5], s[62:63]
	s_cbranch_execz .LBB594_30
; %bb.29:
	v_lshlrev_b32_e32 v1, 2, v0
	global_load_dword v4, v1, s[72:73] offset:2048
.LBB594_30:
	;; [unrolled: 9-line block ×3, first 2 shown]
	s_or_b64 exec, exec, s[4:5]
	v_or_b32_e32 v1, 0x400, v0
	v_cmp_gt_u32_e64 s[58:59], s77, v1
	s_and_saveexec_b64 s[4:5], s[58:59]
	s_cbranch_execz .LBB594_34
; %bb.33:
	v_lshlrev_b32_e32 v1, 2, v1
	global_load_dword v6, v1, s[72:73]
.LBB594_34:
	s_or_b64 exec, exec, s[4:5]
	v_or_b32_e32 v1, 0x500, v0
	v_cmp_gt_u32_e64 s[56:57], s77, v1
	s_and_saveexec_b64 s[4:5], s[56:57]
	s_cbranch_execz .LBB594_36
; %bb.35:
	v_lshlrev_b32_e32 v1, 2, v1
	global_load_dword v7, v1, s[72:73]
.LBB594_36:
	;; [unrolled: 9-line block ×27, first 2 shown]
	s_or_b64 exec, exec, s[74:75]
	v_or_b32_e32 v1, 0x1f00, v0
	v_cmp_gt_u32_e32 vcc, s77, v1
	s_and_saveexec_b64 s[74:75], vcc
	s_cbranch_execnz .LBB594_421
; %bb.87:
	s_or_b64 exec, exec, s[74:75]
	s_and_saveexec_b64 s[72:73], s[64:65]
	s_cbranch_execnz .LBB594_422
.LBB594_88:
	s_or_b64 exec, exec, s[72:73]
	s_and_saveexec_b64 s[64:65], s[62:63]
	s_cbranch_execnz .LBB594_423
.LBB594_89:
	s_or_b64 exec, exec, s[64:65]
	s_and_saveexec_b64 s[62:63], s[60:61]
	s_cbranch_execnz .LBB594_424
.LBB594_90:
	s_or_b64 exec, exec, s[62:63]
	s_and_saveexec_b64 s[60:61], s[58:59]
	s_cbranch_execnz .LBB594_425
.LBB594_91:
	s_or_b64 exec, exec, s[60:61]
	s_and_saveexec_b64 s[58:59], s[56:57]
	s_cbranch_execnz .LBB594_426
.LBB594_92:
	s_or_b64 exec, exec, s[58:59]
	s_and_saveexec_b64 s[56:57], s[54:55]
	s_cbranch_execnz .LBB594_427
.LBB594_93:
	s_or_b64 exec, exec, s[56:57]
	s_and_saveexec_b64 s[54:55], s[52:53]
	s_cbranch_execnz .LBB594_428
.LBB594_94:
	s_or_b64 exec, exec, s[54:55]
	s_and_saveexec_b64 s[52:53], s[50:51]
	s_cbranch_execnz .LBB594_429
.LBB594_95:
	s_or_b64 exec, exec, s[52:53]
	s_and_saveexec_b64 s[50:51], s[48:49]
	s_cbranch_execnz .LBB594_430
.LBB594_96:
	s_or_b64 exec, exec, s[50:51]
	s_and_saveexec_b64 s[48:49], s[46:47]
	s_cbranch_execnz .LBB594_431
.LBB594_97:
	s_or_b64 exec, exec, s[48:49]
	s_and_saveexec_b64 s[46:47], s[44:45]
	s_cbranch_execnz .LBB594_432
.LBB594_98:
	s_or_b64 exec, exec, s[46:47]
	s_and_saveexec_b64 s[44:45], s[42:43]
	s_cbranch_execnz .LBB594_433
.LBB594_99:
	s_or_b64 exec, exec, s[44:45]
	s_and_saveexec_b64 s[42:43], s[40:41]
	s_cbranch_execnz .LBB594_434
.LBB594_100:
	s_or_b64 exec, exec, s[42:43]
	s_and_saveexec_b64 s[40:41], s[38:39]
	s_cbranch_execnz .LBB594_435
.LBB594_101:
	s_or_b64 exec, exec, s[40:41]
	s_and_saveexec_b64 s[38:39], s[36:37]
	s_cbranch_execnz .LBB594_436
.LBB594_102:
	s_or_b64 exec, exec, s[38:39]
	s_and_saveexec_b64 s[36:37], s[34:35]
	s_cbranch_execnz .LBB594_437
.LBB594_103:
	s_or_b64 exec, exec, s[36:37]
	s_and_saveexec_b64 s[34:35], s[30:31]
	s_cbranch_execnz .LBB594_438
.LBB594_104:
	s_or_b64 exec, exec, s[34:35]
	s_and_saveexec_b64 s[30:31], s[28:29]
	s_cbranch_execnz .LBB594_439
.LBB594_105:
	s_or_b64 exec, exec, s[30:31]
	s_and_saveexec_b64 s[28:29], s[26:27]
	s_cbranch_execnz .LBB594_440
.LBB594_106:
	s_or_b64 exec, exec, s[28:29]
	s_and_saveexec_b64 s[26:27], s[24:25]
	s_cbranch_execnz .LBB594_441
.LBB594_107:
	s_or_b64 exec, exec, s[26:27]
	s_and_saveexec_b64 s[24:25], s[22:23]
	s_cbranch_execnz .LBB594_442
.LBB594_108:
	s_or_b64 exec, exec, s[24:25]
	s_and_saveexec_b64 s[22:23], s[20:21]
	s_cbranch_execnz .LBB594_443
.LBB594_109:
	s_or_b64 exec, exec, s[22:23]
	s_and_saveexec_b64 s[20:21], s[18:19]
	s_cbranch_execnz .LBB594_444
.LBB594_110:
	s_or_b64 exec, exec, s[20:21]
	s_and_saveexec_b64 s[18:19], s[16:17]
	s_cbranch_execnz .LBB594_445
.LBB594_111:
	s_or_b64 exec, exec, s[18:19]
	s_and_saveexec_b64 s[16:17], s[14:15]
	s_cbranch_execnz .LBB594_446
.LBB594_112:
	s_or_b64 exec, exec, s[16:17]
	s_and_saveexec_b64 s[14:15], s[12:13]
	s_cbranch_execnz .LBB594_447
.LBB594_113:
	s_or_b64 exec, exec, s[14:15]
	s_and_saveexec_b64 s[12:13], s[10:11]
	s_cbranch_execnz .LBB594_448
.LBB594_114:
	s_or_b64 exec, exec, s[12:13]
	s_and_saveexec_b64 s[10:11], s[8:9]
	s_cbranch_execnz .LBB594_449
.LBB594_115:
	s_or_b64 exec, exec, s[10:11]
	s_and_saveexec_b64 s[8:9], s[6:7]
	s_cbranch_execnz .LBB594_450
.LBB594_116:
	s_or_b64 exec, exec, s[8:9]
	s_and_saveexec_b64 s[6:7], s[4:5]
	s_cbranch_execnz .LBB594_451
.LBB594_117:
	s_or_b64 exec, exec, s[6:7]
	s_and_saveexec_b64 s[4:5], vcc
	s_cbranch_execz .LBB594_119
.LBB594_118:
	s_mov_b32 s6, 0xcccccccd
	s_waitcnt vmcnt(0)
	v_mul_hi_u32 v1, v33, s6
	v_mul_hi_u32 v3, v2, s6
	v_lshrrev_b32_e32 v1, 3, v1
	v_lshrrev_b32_e32 v3, 3, v3
	v_mul_lo_u32 v1, v1, 10
	v_mul_lo_u32 v3, v3, 10
	v_sub_u32_e32 v1, v33, v1
	v_sub_u32_e32 v2, v2, v3
	v_add_u32_e32 v1, v2, v1
	v_subrev_co_u32_e32 v2, vcc, 10, v1
	s_nop 1
	v_cndmask_b32_e32 v2, v2, v1, vcc
.LBB594_119:
	s_or_b64 exec, exec, s[4:5]
	v_mbcnt_lo_u32_b32 v1, -1, 0
	v_mbcnt_hi_u32_b32 v1, -1, v1
	s_waitcnt vmcnt(0)
	v_and_b32_e32 v3, 63, v1
	v_cmp_ne_u32_e32 vcc, 63, v3
	s_min_u32 s6, s77, 0x100
	v_add_u32_e32 v6, 1, v3
	v_addc_co_u32_e32 v4, vcc, 0, v1, vcc
	v_lshlrev_b32_e32 v4, 2, v4
	ds_bpermute_b32 v5, v4, v2
	v_and_b32_e32 v4, 0xc0, v0
	v_sub_u32_e64 v4, s6, v4 clamp
	v_cmp_lt_u32_e32 vcc, v6, v4
	s_and_saveexec_b64 s[4:5], vcc
	s_xor_b64 s[4:5], exec, s[4:5]
	s_cbranch_execz .LBB594_121
; %bb.120:
	s_mov_b32 s7, 0xcccccccd
	s_waitcnt lgkmcnt(0)
	v_mul_hi_u32 v6, v5, s7
	v_lshrrev_b32_e32 v6, 3, v6
	v_mul_lo_u32 v6, v6, 10
	v_sub_u32_e32 v5, v5, v6
	v_mul_hi_u32 v6, v2, s7
	v_lshrrev_b32_e32 v6, 3, v6
	v_mul_lo_u32 v6, v6, 10
	v_sub_u32_e32 v2, v2, v6
	v_add_u32_e32 v2, v5, v2
	v_subrev_co_u32_e32 v5, vcc, 10, v2
	s_nop 1
	v_cndmask_b32_e32 v2, v5, v2, vcc
.LBB594_121:
	s_or_b64 exec, exec, s[4:5]
	v_cmp_gt_u32_e32 vcc, 62, v3
	v_add_u32_e32 v6, 2, v3
	s_waitcnt lgkmcnt(0)
	v_cndmask_b32_e64 v5, 0, 2, vcc
	v_add_lshl_u32 v5, v5, v1, 2
	ds_bpermute_b32 v5, v5, v2
	v_cmp_lt_u32_e32 vcc, v6, v4
	s_and_saveexec_b64 s[4:5], vcc
	s_cbranch_execz .LBB594_123
; %bb.122:
	s_mov_b32 s7, 0xcccccccd
	s_waitcnt lgkmcnt(0)
	v_mul_hi_u32 v6, v5, s7
	v_lshrrev_b32_e32 v6, 3, v6
	v_mul_lo_u32 v6, v6, 10
	v_sub_u32_e32 v5, v5, v6
	v_mul_hi_u32 v6, v2, s7
	v_lshrrev_b32_e32 v6, 3, v6
	v_mul_lo_u32 v6, v6, 10
	v_sub_u32_e32 v2, v2, v6
	v_add_u32_e32 v2, v5, v2
	v_subrev_co_u32_e32 v5, vcc, 10, v2
	s_nop 1
	v_cndmask_b32_e32 v2, v5, v2, vcc
.LBB594_123:
	s_or_b64 exec, exec, s[4:5]
	v_cmp_gt_u32_e32 vcc, 60, v3
	v_add_u32_e32 v6, 4, v3
	s_waitcnt lgkmcnt(0)
	v_cndmask_b32_e64 v5, 0, 4, vcc
	v_add_lshl_u32 v5, v5, v1, 2
	ds_bpermute_b32 v5, v5, v2
	v_cmp_lt_u32_e32 vcc, v6, v4
	s_and_saveexec_b64 s[4:5], vcc
	;; [unrolled: 26-line block ×4, first 2 shown]
	s_cbranch_execz .LBB594_129
; %bb.128:
	s_mov_b32 s7, 0xcccccccd
	s_waitcnt lgkmcnt(0)
	v_mul_hi_u32 v6, v5, s7
	v_lshrrev_b32_e32 v6, 3, v6
	v_mul_lo_u32 v6, v6, 10
	v_sub_u32_e32 v5, v5, v6
	v_mul_hi_u32 v6, v2, s7
	v_lshrrev_b32_e32 v6, 3, v6
	v_mul_lo_u32 v6, v6, 10
	v_sub_u32_e32 v2, v2, v6
	v_add_u32_e32 v2, v5, v2
	v_subrev_co_u32_e32 v5, vcc, 10, v2
	s_nop 1
	v_cndmask_b32_e32 v2, v5, v2, vcc
.LBB594_129:
	s_or_b64 exec, exec, s[4:5]
	s_waitcnt lgkmcnt(0)
	v_lshlrev_b32_e32 v5, 2, v1
	v_or_b32_e32 v6, 0x80, v5
	ds_bpermute_b32 v6, v6, v2
	v_add_u32_e32 v3, 32, v3
	v_cmp_lt_u32_e32 vcc, v3, v4
	s_and_saveexec_b64 s[4:5], vcc
	s_cbranch_execz .LBB594_131
; %bb.130:
	s_mov_b32 s7, 0xcccccccd
	s_waitcnt lgkmcnt(0)
	v_mul_hi_u32 v3, v6, s7
	v_mul_hi_u32 v4, v2, s7
	v_lshrrev_b32_e32 v3, 3, v3
	v_lshrrev_b32_e32 v4, 3, v4
	v_mul_lo_u32 v3, v3, 10
	v_mul_lo_u32 v4, v4, 10
	v_sub_u32_e32 v3, v6, v3
	v_sub_u32_e32 v2, v2, v4
	v_add_u32_e32 v2, v3, v2
	v_subrev_co_u32_e32 v3, vcc, 10, v2
	s_nop 1
	v_cndmask_b32_e32 v2, v3, v2, vcc
.LBB594_131:
	s_or_b64 exec, exec, s[4:5]
	v_cmp_eq_u32_e32 vcc, 0, v1
	s_and_saveexec_b64 s[4:5], vcc
; %bb.132:
	v_lshrrev_b32_e32 v3, 4, v0
	v_and_b32_e32 v3, 12, v3
	ds_write_b32 v3, v2
; %bb.133:
	s_or_b64 exec, exec, s[4:5]
	v_cmp_gt_u32_e32 vcc, 4, v0
	s_waitcnt lgkmcnt(0)
	s_barrier
	s_and_saveexec_b64 s[4:5], vcc
	s_cbranch_execz .LBB594_139
; %bb.134:
	ds_read_b32 v2, v5
	v_and_b32_e32 v3, 3, v1
	v_cmp_ne_u32_e32 vcc, 3, v3
	s_add_i32 s6, s6, 63
	s_lshr_b32 s8, s6, 6
	v_addc_co_u32_e32 v1, vcc, 0, v1, vcc
	v_lshlrev_b32_e32 v1, 2, v1
	s_waitcnt lgkmcnt(0)
	ds_bpermute_b32 v1, v1, v2
	v_add_u32_e32 v4, 1, v3
	v_cmp_gt_u32_e32 vcc, s8, v4
	s_and_saveexec_b64 s[6:7], vcc
	s_cbranch_execz .LBB594_136
; %bb.135:
	s_mov_b32 s9, 0xcccccccd
	s_waitcnt lgkmcnt(0)
	v_mul_hi_u32 v4, v1, s9
	v_lshrrev_b32_e32 v4, 3, v4
	v_mul_lo_u32 v4, v4, 10
	v_sub_u32_e32 v1, v1, v4
	v_mul_hi_u32 v4, v2, s9
	v_lshrrev_b32_e32 v4, 3, v4
	v_mul_lo_u32 v4, v4, 10
	v_sub_u32_e32 v2, v2, v4
	v_add_u32_e32 v1, v1, v2
	v_subrev_co_u32_e32 v2, vcc, 10, v1
	s_nop 1
	v_cndmask_b32_e32 v2, v2, v1, vcc
.LBB594_136:
	s_or_b64 exec, exec, s[6:7]
	s_waitcnt lgkmcnt(0)
	v_or_b32_e32 v1, 8, v5
	ds_bpermute_b32 v1, v1, v2
	v_add_u32_e32 v3, 2, v3
	v_cmp_gt_u32_e32 vcc, s8, v3
	s_and_saveexec_b64 s[6:7], vcc
	s_cbranch_execz .LBB594_138
; %bb.137:
	s_mov_b32 s8, 0xcccccccd
	s_waitcnt lgkmcnt(0)
	v_mul_hi_u32 v3, v1, s8
	v_lshrrev_b32_e32 v3, 3, v3
	v_mul_lo_u32 v3, v3, 10
	v_sub_u32_e32 v1, v1, v3
	v_mul_hi_u32 v3, v2, s8
	v_lshrrev_b32_e32 v3, 3, v3
	v_mul_lo_u32 v3, v3, 10
	v_sub_u32_e32 v2, v2, v3
	v_add_u32_e32 v1, v1, v2
	v_subrev_co_u32_e32 v2, vcc, 10, v1
	s_nop 1
	v_cndmask_b32_e32 v2, v2, v1, vcc
.LBB594_138:
	s_or_b64 exec, exec, s[6:7]
.LBB594_139:
	s_or_b64 exec, exec, s[4:5]
.LBB594_140:
	v_cmp_eq_u32_e32 vcc, 0, v0
	s_mov_b64 s[34:35], 0
                                        ; implicit-def: $vgpr1
	s_and_saveexec_b64 s[4:5], vcc
	s_xor_b64 s[4:5], exec, s[4:5]
	s_cbranch_execz .LBB594_144
; %bb.141:
	s_cmp_eq_u64 s[70:71], 0
	s_waitcnt lgkmcnt(0)
	v_mov_b32_e32 v1, s33
	s_cbranch_scc1 .LBB594_143
; %bb.142:
	s_mov_b32 s6, 0xcccccccd
	v_mul_hi_u32 v1, v2, s6
	s_mul_hi_u32 s6, s33, 0xcccccccd
	v_lshrrev_b32_e32 v1, 3, v1
	s_lshr_b32 s6, s6, 3
	v_mul_lo_u32 v1, v1, 10
	s_mul_i32 s6, s6, 10
	v_sub_u32_e32 v1, v2, v1
	s_sub_i32 s6, s33, s6
	v_add_u32_e32 v1, s6, v1
	v_subrev_co_u32_e32 v2, vcc, 10, v1
	s_nop 1
	v_cndmask_b32_e32 v1, v2, v1, vcc
.LBB594_143:
	s_mov_b64 s[34:35], exec
.LBB594_144:
	s_or_b64 exec, exec, s[4:5]
	s_and_b64 vcc, exec, s[66:67]
	s_cbranch_vccnz .LBB594_14
.LBB594_145:
	s_branch .LBB594_229
.LBB594_146:
	s_mov_b64 s[6:7], -1
                                        ; implicit-def: $vgpr2
.LBB594_147:
	s_and_b64 vcc, exec, s[6:7]
	s_cbranch_vccz .LBB594_216
; %bb.148:
	s_sub_i32 s40, s70, s4
	v_mov_b32_e32 v2, 0
	v_cmp_gt_u32_e32 vcc, s40, v0
	v_mov_b32_e32 v3, v2
	v_mov_b32_e32 v4, v2
	;; [unrolled: 1-line block ×15, first 2 shown]
	s_and_saveexec_b64 s[4:5], vcc
	s_cbranch_execz .LBB594_150
; %bb.149:
	s_waitcnt lgkmcnt(0)
	v_lshlrev_b32_e32 v1, 2, v0
	global_load_dword v4, v1, s[36:37]
	v_mov_b32_e32 v5, v2
	v_mov_b32_e32 v6, v2
	;; [unrolled: 1-line block ×15, first 2 shown]
	s_waitcnt vmcnt(0)
	v_mov_b64_e32 v[2:3], v[4:5]
	v_mov_b64_e32 v[4:5], v[6:7]
	;; [unrolled: 1-line block ×8, first 2 shown]
.LBB594_150:
	s_or_b64 exec, exec, s[4:5]
	s_waitcnt lgkmcnt(0)
	v_or_b32_e32 v1, 0x100, v0
	v_cmp_gt_u32_e64 s[30:31], s40, v1
	s_and_saveexec_b64 s[4:5], s[30:31]
	s_cbranch_execz .LBB594_152
; %bb.151:
	v_lshlrev_b32_e32 v1, 2, v0
	global_load_dword v3, v1, s[36:37] offset:1024
.LBB594_152:
	s_or_b64 exec, exec, s[4:5]
	v_or_b32_e32 v1, 0x200, v0
	v_cmp_gt_u32_e64 s[28:29], s40, v1
	s_and_saveexec_b64 s[4:5], s[28:29]
	s_cbranch_execz .LBB594_154
; %bb.153:
	v_lshlrev_b32_e32 v1, 2, v0
	global_load_dword v4, v1, s[36:37] offset:2048
.LBB594_154:
	s_or_b64 exec, exec, s[4:5]
	;; [unrolled: 9-line block ×3, first 2 shown]
	v_or_b32_e32 v1, 0x400, v0
	v_cmp_gt_u32_e64 s[24:25], s40, v1
	s_and_saveexec_b64 s[4:5], s[24:25]
	s_cbranch_execz .LBB594_158
; %bb.157:
	v_lshlrev_b32_e32 v1, 2, v1
	global_load_dword v6, v1, s[36:37]
.LBB594_158:
	s_or_b64 exec, exec, s[4:5]
	v_or_b32_e32 v1, 0x500, v0
	v_cmp_gt_u32_e64 s[22:23], s40, v1
	s_and_saveexec_b64 s[4:5], s[22:23]
	s_cbranch_execz .LBB594_160
; %bb.159:
	v_lshlrev_b32_e32 v1, 2, v1
	global_load_dword v7, v1, s[36:37]
.LBB594_160:
	s_or_b64 exec, exec, s[4:5]
	v_or_b32_e32 v1, 0x600, v0
	v_cmp_gt_u32_e64 s[20:21], s40, v1
	s_and_saveexec_b64 s[4:5], s[20:21]
	s_cbranch_execz .LBB594_162
; %bb.161:
	v_lshlrev_b32_e32 v1, 2, v1
	global_load_dword v8, v1, s[36:37]
.LBB594_162:
	s_or_b64 exec, exec, s[4:5]
	v_or_b32_e32 v1, 0x700, v0
	v_cmp_gt_u32_e64 s[18:19], s40, v1
	s_and_saveexec_b64 s[4:5], s[18:19]
	s_cbranch_execz .LBB594_164
; %bb.163:
	v_lshlrev_b32_e32 v1, 2, v1
	global_load_dword v9, v1, s[36:37]
.LBB594_164:
	s_or_b64 exec, exec, s[4:5]
	v_or_b32_e32 v1, 0x800, v0
	v_cmp_gt_u32_e64 s[16:17], s40, v1
	s_and_saveexec_b64 s[4:5], s[16:17]
	s_cbranch_execz .LBB594_166
; %bb.165:
	v_lshlrev_b32_e32 v1, 2, v1
	global_load_dword v10, v1, s[36:37]
.LBB594_166:
	s_or_b64 exec, exec, s[4:5]
	v_or_b32_e32 v1, 0x900, v0
	v_cmp_gt_u32_e64 s[14:15], s40, v1
	s_and_saveexec_b64 s[4:5], s[14:15]
	s_cbranch_execz .LBB594_168
; %bb.167:
	v_lshlrev_b32_e32 v1, 2, v1
	global_load_dword v11, v1, s[36:37]
.LBB594_168:
	s_or_b64 exec, exec, s[4:5]
	v_or_b32_e32 v1, 0xa00, v0
	v_cmp_gt_u32_e64 s[12:13], s40, v1
	s_and_saveexec_b64 s[4:5], s[12:13]
	s_cbranch_execz .LBB594_170
; %bb.169:
	v_lshlrev_b32_e32 v1, 2, v1
	global_load_dword v12, v1, s[36:37]
.LBB594_170:
	s_or_b64 exec, exec, s[4:5]
	v_or_b32_e32 v1, 0xb00, v0
	v_cmp_gt_u32_e64 s[10:11], s40, v1
	s_and_saveexec_b64 s[4:5], s[10:11]
	s_cbranch_execz .LBB594_172
; %bb.171:
	v_lshlrev_b32_e32 v1, 2, v1
	global_load_dword v13, v1, s[36:37]
.LBB594_172:
	s_or_b64 exec, exec, s[4:5]
	v_or_b32_e32 v1, 0xc00, v0
	v_cmp_gt_u32_e64 s[8:9], s40, v1
	s_and_saveexec_b64 s[4:5], s[8:9]
	s_cbranch_execz .LBB594_174
; %bb.173:
	v_lshlrev_b32_e32 v1, 2, v1
	global_load_dword v14, v1, s[36:37]
.LBB594_174:
	s_or_b64 exec, exec, s[4:5]
	v_or_b32_e32 v1, 0xd00, v0
	v_cmp_gt_u32_e64 s[6:7], s40, v1
	s_and_saveexec_b64 s[4:5], s[6:7]
	s_cbranch_execz .LBB594_176
; %bb.175:
	v_lshlrev_b32_e32 v1, 2, v1
	global_load_dword v15, v1, s[36:37]
.LBB594_176:
	s_or_b64 exec, exec, s[4:5]
	v_or_b32_e32 v1, 0xe00, v0
	v_cmp_gt_u32_e64 s[4:5], s40, v1
	s_and_saveexec_b64 s[38:39], s[4:5]
	s_cbranch_execz .LBB594_178
; %bb.177:
	v_lshlrev_b32_e32 v1, 2, v1
	global_load_dword v16, v1, s[36:37]
.LBB594_178:
	s_or_b64 exec, exec, s[38:39]
	v_or_b32_e32 v1, 0xf00, v0
	v_cmp_gt_u32_e32 vcc, s40, v1
	s_and_saveexec_b64 s[38:39], vcc
	s_cbranch_execnz .LBB594_452
; %bb.179:
	s_or_b64 exec, exec, s[38:39]
	s_and_saveexec_b64 s[36:37], s[30:31]
	s_cbranch_execnz .LBB594_453
.LBB594_180:
	s_or_b64 exec, exec, s[36:37]
	s_and_saveexec_b64 s[30:31], s[28:29]
	s_cbranch_execnz .LBB594_454
.LBB594_181:
	s_or_b64 exec, exec, s[30:31]
	s_and_saveexec_b64 s[28:29], s[26:27]
	s_cbranch_execnz .LBB594_455
.LBB594_182:
	s_or_b64 exec, exec, s[28:29]
	s_and_saveexec_b64 s[26:27], s[24:25]
	s_cbranch_execnz .LBB594_456
.LBB594_183:
	s_or_b64 exec, exec, s[26:27]
	s_and_saveexec_b64 s[24:25], s[22:23]
	s_cbranch_execnz .LBB594_457
.LBB594_184:
	s_or_b64 exec, exec, s[24:25]
	s_and_saveexec_b64 s[22:23], s[20:21]
	s_cbranch_execnz .LBB594_458
.LBB594_185:
	s_or_b64 exec, exec, s[22:23]
	s_and_saveexec_b64 s[20:21], s[18:19]
	s_cbranch_execnz .LBB594_459
.LBB594_186:
	s_or_b64 exec, exec, s[20:21]
	s_and_saveexec_b64 s[18:19], s[16:17]
	s_cbranch_execnz .LBB594_460
.LBB594_187:
	s_or_b64 exec, exec, s[18:19]
	s_and_saveexec_b64 s[16:17], s[14:15]
	s_cbranch_execnz .LBB594_461
.LBB594_188:
	s_or_b64 exec, exec, s[16:17]
	s_and_saveexec_b64 s[14:15], s[12:13]
	s_cbranch_execnz .LBB594_462
.LBB594_189:
	s_or_b64 exec, exec, s[14:15]
	s_and_saveexec_b64 s[12:13], s[10:11]
	s_cbranch_execnz .LBB594_463
.LBB594_190:
	s_or_b64 exec, exec, s[12:13]
	s_and_saveexec_b64 s[10:11], s[8:9]
	s_cbranch_execnz .LBB594_464
.LBB594_191:
	s_or_b64 exec, exec, s[10:11]
	s_and_saveexec_b64 s[8:9], s[6:7]
	s_cbranch_execnz .LBB594_465
.LBB594_192:
	s_or_b64 exec, exec, s[8:9]
	s_and_saveexec_b64 s[6:7], s[4:5]
	s_cbranch_execnz .LBB594_466
.LBB594_193:
	s_or_b64 exec, exec, s[6:7]
	s_and_saveexec_b64 s[4:5], vcc
	s_cbranch_execz .LBB594_195
.LBB594_194:
	s_mov_b32 s6, 0xcccccccd
	s_waitcnt vmcnt(0)
	v_mul_hi_u32 v1, v17, s6
	v_mul_hi_u32 v3, v2, s6
	v_lshrrev_b32_e32 v1, 3, v1
	v_lshrrev_b32_e32 v3, 3, v3
	v_mul_lo_u32 v1, v1, 10
	v_mul_lo_u32 v3, v3, 10
	v_sub_u32_e32 v1, v17, v1
	v_sub_u32_e32 v2, v2, v3
	v_add_u32_e32 v1, v2, v1
	v_subrev_co_u32_e32 v2, vcc, 10, v1
	s_nop 1
	v_cndmask_b32_e32 v2, v2, v1, vcc
.LBB594_195:
	s_or_b64 exec, exec, s[4:5]
	v_mbcnt_lo_u32_b32 v1, -1, 0
	v_mbcnt_hi_u32_b32 v1, -1, v1
	s_waitcnt vmcnt(0)
	v_and_b32_e32 v3, 63, v1
	v_cmp_ne_u32_e32 vcc, 63, v3
	s_min_u32 s6, s40, 0x100
	v_add_u32_e32 v6, 1, v3
	v_addc_co_u32_e32 v4, vcc, 0, v1, vcc
	v_lshlrev_b32_e32 v4, 2, v4
	ds_bpermute_b32 v5, v4, v2
	v_and_b32_e32 v4, 0xc0, v0
	v_sub_u32_e64 v4, s6, v4 clamp
	v_cmp_lt_u32_e32 vcc, v6, v4
	s_and_saveexec_b64 s[4:5], vcc
	s_xor_b64 s[4:5], exec, s[4:5]
	s_cbranch_execz .LBB594_197
; %bb.196:
	s_mov_b32 s7, 0xcccccccd
	s_waitcnt lgkmcnt(0)
	v_mul_hi_u32 v6, v5, s7
	v_lshrrev_b32_e32 v6, 3, v6
	v_mul_lo_u32 v6, v6, 10
	v_sub_u32_e32 v5, v5, v6
	v_mul_hi_u32 v6, v2, s7
	v_lshrrev_b32_e32 v6, 3, v6
	v_mul_lo_u32 v6, v6, 10
	v_sub_u32_e32 v2, v2, v6
	v_add_u32_e32 v2, v5, v2
	v_subrev_co_u32_e32 v5, vcc, 10, v2
	s_nop 1
	v_cndmask_b32_e32 v2, v5, v2, vcc
.LBB594_197:
	s_or_b64 exec, exec, s[4:5]
	v_cmp_gt_u32_e32 vcc, 62, v3
	v_add_u32_e32 v6, 2, v3
	s_waitcnt lgkmcnt(0)
	v_cndmask_b32_e64 v5, 0, 2, vcc
	v_add_lshl_u32 v5, v5, v1, 2
	ds_bpermute_b32 v5, v5, v2
	v_cmp_lt_u32_e32 vcc, v6, v4
	s_and_saveexec_b64 s[4:5], vcc
	s_cbranch_execz .LBB594_199
; %bb.198:
	s_mov_b32 s7, 0xcccccccd
	s_waitcnt lgkmcnt(0)
	v_mul_hi_u32 v6, v5, s7
	v_lshrrev_b32_e32 v6, 3, v6
	v_mul_lo_u32 v6, v6, 10
	v_sub_u32_e32 v5, v5, v6
	v_mul_hi_u32 v6, v2, s7
	v_lshrrev_b32_e32 v6, 3, v6
	v_mul_lo_u32 v6, v6, 10
	v_sub_u32_e32 v2, v2, v6
	v_add_u32_e32 v2, v5, v2
	v_subrev_co_u32_e32 v5, vcc, 10, v2
	s_nop 1
	v_cndmask_b32_e32 v2, v5, v2, vcc
.LBB594_199:
	s_or_b64 exec, exec, s[4:5]
	v_cmp_gt_u32_e32 vcc, 60, v3
	v_add_u32_e32 v6, 4, v3
	s_waitcnt lgkmcnt(0)
	v_cndmask_b32_e64 v5, 0, 4, vcc
	v_add_lshl_u32 v5, v5, v1, 2
	ds_bpermute_b32 v5, v5, v2
	v_cmp_lt_u32_e32 vcc, v6, v4
	s_and_saveexec_b64 s[4:5], vcc
	;; [unrolled: 26-line block ×4, first 2 shown]
	s_cbranch_execz .LBB594_205
; %bb.204:
	s_mov_b32 s7, 0xcccccccd
	s_waitcnt lgkmcnt(0)
	v_mul_hi_u32 v6, v5, s7
	v_lshrrev_b32_e32 v6, 3, v6
	v_mul_lo_u32 v6, v6, 10
	v_sub_u32_e32 v5, v5, v6
	v_mul_hi_u32 v6, v2, s7
	v_lshrrev_b32_e32 v6, 3, v6
	v_mul_lo_u32 v6, v6, 10
	v_sub_u32_e32 v2, v2, v6
	v_add_u32_e32 v2, v5, v2
	v_subrev_co_u32_e32 v5, vcc, 10, v2
	s_nop 1
	v_cndmask_b32_e32 v2, v5, v2, vcc
.LBB594_205:
	s_or_b64 exec, exec, s[4:5]
	s_waitcnt lgkmcnt(0)
	v_lshlrev_b32_e32 v5, 2, v1
	v_or_b32_e32 v6, 0x80, v5
	ds_bpermute_b32 v6, v6, v2
	v_add_u32_e32 v3, 32, v3
	v_cmp_lt_u32_e32 vcc, v3, v4
	s_and_saveexec_b64 s[4:5], vcc
	s_cbranch_execz .LBB594_207
; %bb.206:
	s_mov_b32 s7, 0xcccccccd
	s_waitcnt lgkmcnt(0)
	v_mul_hi_u32 v3, v6, s7
	v_mul_hi_u32 v4, v2, s7
	v_lshrrev_b32_e32 v3, 3, v3
	v_lshrrev_b32_e32 v4, 3, v4
	v_mul_lo_u32 v3, v3, 10
	v_mul_lo_u32 v4, v4, 10
	v_sub_u32_e32 v3, v6, v3
	v_sub_u32_e32 v2, v2, v4
	v_add_u32_e32 v2, v3, v2
	v_subrev_co_u32_e32 v3, vcc, 10, v2
	s_nop 1
	v_cndmask_b32_e32 v2, v3, v2, vcc
.LBB594_207:
	s_or_b64 exec, exec, s[4:5]
	v_cmp_eq_u32_e32 vcc, 0, v1
	s_and_saveexec_b64 s[4:5], vcc
; %bb.208:
	v_lshrrev_b32_e32 v3, 4, v0
	v_and_b32_e32 v3, 12, v3
	ds_write_b32 v3, v2
; %bb.209:
	s_or_b64 exec, exec, s[4:5]
	v_cmp_gt_u32_e32 vcc, 4, v0
	s_waitcnt lgkmcnt(0)
	s_barrier
	s_and_saveexec_b64 s[4:5], vcc
	s_cbranch_execz .LBB594_215
; %bb.210:
	ds_read_b32 v2, v5
	v_and_b32_e32 v3, 3, v1
	v_cmp_ne_u32_e32 vcc, 3, v3
	s_add_i32 s6, s6, 63
	s_lshr_b32 s8, s6, 6
	v_addc_co_u32_e32 v1, vcc, 0, v1, vcc
	v_lshlrev_b32_e32 v1, 2, v1
	s_waitcnt lgkmcnt(0)
	ds_bpermute_b32 v1, v1, v2
	v_add_u32_e32 v4, 1, v3
	v_cmp_gt_u32_e32 vcc, s8, v4
	s_and_saveexec_b64 s[6:7], vcc
	s_cbranch_execz .LBB594_212
; %bb.211:
	s_mov_b32 s9, 0xcccccccd
	s_waitcnt lgkmcnt(0)
	v_mul_hi_u32 v4, v1, s9
	v_lshrrev_b32_e32 v4, 3, v4
	v_mul_lo_u32 v4, v4, 10
	v_sub_u32_e32 v1, v1, v4
	v_mul_hi_u32 v4, v2, s9
	v_lshrrev_b32_e32 v4, 3, v4
	v_mul_lo_u32 v4, v4, 10
	v_sub_u32_e32 v2, v2, v4
	v_add_u32_e32 v1, v1, v2
	v_subrev_co_u32_e32 v2, vcc, 10, v1
	s_nop 1
	v_cndmask_b32_e32 v2, v2, v1, vcc
.LBB594_212:
	s_or_b64 exec, exec, s[6:7]
	s_waitcnt lgkmcnt(0)
	v_or_b32_e32 v1, 8, v5
	ds_bpermute_b32 v1, v1, v2
	v_add_u32_e32 v3, 2, v3
	v_cmp_gt_u32_e32 vcc, s8, v3
	s_and_saveexec_b64 s[6:7], vcc
	s_cbranch_execz .LBB594_214
; %bb.213:
	s_mov_b32 s8, 0xcccccccd
	s_waitcnt lgkmcnt(0)
	v_mul_hi_u32 v3, v1, s8
	v_lshrrev_b32_e32 v3, 3, v3
	v_mul_lo_u32 v3, v3, 10
	v_sub_u32_e32 v1, v1, v3
	v_mul_hi_u32 v3, v2, s8
	v_lshrrev_b32_e32 v3, 3, v3
	v_mul_lo_u32 v3, v3, 10
	v_sub_u32_e32 v2, v2, v3
	v_add_u32_e32 v1, v1, v2
	v_subrev_co_u32_e32 v2, vcc, 10, v1
	s_nop 1
	v_cndmask_b32_e32 v2, v2, v1, vcc
.LBB594_214:
	s_or_b64 exec, exec, s[6:7]
.LBB594_215:
	s_or_b64 exec, exec, s[4:5]
.LBB594_216:
	v_cmp_eq_u32_e32 vcc, 0, v0
                                        ; implicit-def: $vgpr1
	s_and_saveexec_b64 s[4:5], vcc
	s_xor_b64 s[4:5], exec, s[4:5]
	s_cbranch_execz .LBB594_220
; %bb.217:
	s_cmp_eq_u64 s[70:71], 0
	s_waitcnt lgkmcnt(0)
	v_mov_b32_e32 v1, s33
	s_cbranch_scc1 .LBB594_219
; %bb.218:
	s_mov_b32 s6, 0xcccccccd
	v_mul_hi_u32 v1, v2, s6
	s_mul_hi_u32 s6, s33, 0xcccccccd
	v_lshrrev_b32_e32 v1, 3, v1
	s_lshr_b32 s6, s6, 3
	v_mul_lo_u32 v1, v1, 10
	s_mul_i32 s6, s6, 10
	v_sub_u32_e32 v1, v2, v1
	s_sub_i32 s6, s33, s6
	v_add_u32_e32 v1, s6, v1
	v_subrev_co_u32_e32 v2, vcc, 10, v1
	s_nop 1
	v_cndmask_b32_e32 v1, v2, v1, vcc
.LBB594_219:
	s_or_b64 s[34:35], s[34:35], exec
.LBB594_220:
	s_or_b64 exec, exec, s[4:5]
	s_branch .LBB594_229
.LBB594_221:
	s_cmp_eq_u32 s76, 8
	s_cbranch_scc0 .LBB594_228
; %bb.222:
	s_mov_b32 s3, 0
	s_lshl_b32 s4, s2, 11
	s_mov_b32 s5, s3
	s_lshr_b64 s[6:7], s[70:71], 11
	s_lshl_b64 s[8:9], s[4:5], 2
	s_add_u32 s16, s68, s8
	s_addc_u32 s17, s69, s9
	s_cmp_lg_u64 s[6:7], s[2:3]
	s_cbranch_scc0 .LBB594_230
; %bb.223:
	v_lshlrev_b32_e32 v2, 2, v0
	v_mov_b32_e32 v3, 0
	global_load_dword v4, v2, s[16:17] offset:1024
	global_load_dword v5, v2, s[16:17]
	global_load_dword v6, v2, s[16:17] offset:2048
	global_load_dword v7, v2, s[16:17] offset:3072
	v_lshl_add_u64 v[2:3], s[16:17], 0, v[2:3]
	v_add_co_u32_e32 v2, vcc, 0x1000, v2
	s_mov_b32 s5, 0xcccccccd
	s_nop 0
	v_addc_co_u32_e32 v3, vcc, 0, v3, vcc
	global_load_dword v8, v[2:3], off
	global_load_dword v9, v[2:3], off offset:1024
	global_load_dword v10, v[2:3], off offset:2048
	;; [unrolled: 1-line block ×3, first 2 shown]
	s_waitcnt lgkmcnt(0)
	v_mbcnt_lo_u32_b32 v1, -1, 0
	v_mbcnt_hi_u32_b32 v1, -1, v1
	s_waitcnt vmcnt(7)
	v_mul_hi_u32 v2, v4, s5
	s_waitcnt vmcnt(6)
	v_mul_hi_u32 v3, v5, s5
	;; [unrolled: 2-line block ×4, first 2 shown]
	v_lshrrev_b32_e32 v2, 3, v2
	v_lshrrev_b32_e32 v3, 3, v3
	;; [unrolled: 1-line block ×4, first 2 shown]
	v_mul_lo_u32 v2, v2, 10
	v_mul_lo_u32 v3, v3, 10
	;; [unrolled: 1-line block ×4, first 2 shown]
	v_sub_u32_e32 v2, v4, v2
	v_sub_u32_e32 v3, v5, v3
	;; [unrolled: 1-line block ×4, first 2 shown]
	s_waitcnt vmcnt(3)
	v_mul_hi_u32 v6, v8, s5
	s_waitcnt vmcnt(2)
	v_mul_hi_u32 v7, v9, s5
	;; [unrolled: 2-line block ×4, first 2 shown]
	v_add_u32_e32 v2, v2, v3
	v_lshrrev_b32_e32 v3, 3, v6
	v_lshrrev_b32_e32 v6, 3, v7
	;; [unrolled: 1-line block ×4, first 2 shown]
	v_subrev_co_u32_e32 v13, vcc, 10, v2
	v_mul_lo_u32 v6, v6, 10
	s_nop 0
	v_cndmask_b32_e32 v2, v13, v2, vcc
	v_mul_hi_u32 v13, v2, s5
	v_sub_u32_e32 v6, v9, v6
	v_lshrrev_b32_e32 v9, 3, v13
	v_mul_lo_u32 v9, v9, 10
	v_sub_u32_e32 v2, v2, v9
	v_add_u32_e32 v2, v2, v4
	v_subrev_co_u32_e32 v4, vcc, 10, v2
	v_mul_lo_u32 v3, v3, 10
	s_nop 0
	v_cndmask_b32_e32 v2, v4, v2, vcc
	v_mul_hi_u32 v4, v2, s5
	v_lshrrev_b32_e32 v4, 3, v4
	v_mul_lo_u32 v4, v4, 10
	v_sub_u32_e32 v2, v2, v4
	v_add_u32_e32 v2, v2, v5
	v_subrev_co_u32_e32 v4, vcc, 10, v2
	v_sub_u32_e32 v3, v8, v3
	s_nop 0
	v_cndmask_b32_e32 v2, v4, v2, vcc
	v_mul_hi_u32 v4, v2, s5
	v_lshrrev_b32_e32 v4, 3, v4
	v_mul_lo_u32 v4, v4, 10
	v_sub_u32_e32 v2, v2, v4
	v_add_u32_e32 v2, v2, v3
	v_subrev_co_u32_e32 v3, vcc, 10, v2
	v_mul_lo_u32 v7, v7, 10
	s_nop 0
	v_cndmask_b32_e32 v2, v3, v2, vcc
	v_mul_hi_u32 v3, v2, s5
	v_lshrrev_b32_e32 v3, 3, v3
	v_mul_lo_u32 v3, v3, 10
	v_sub_u32_e32 v2, v2, v3
	v_add_u32_e32 v2, v2, v6
	v_subrev_co_u32_e32 v3, vcc, 10, v2
	v_sub_u32_e32 v7, v10, v7
	s_nop 0
	v_cndmask_b32_e32 v2, v3, v2, vcc
	v_mul_hi_u32 v3, v2, s5
	v_lshrrev_b32_e32 v3, 3, v3
	v_mul_lo_u32 v3, v3, 10
	v_sub_u32_e32 v2, v2, v3
	v_add_u32_e32 v2, v2, v7
	v_subrev_co_u32_e32 v3, vcc, 10, v2
	v_mul_lo_u32 v12, v12, 10
	s_nop 0
	v_cndmask_b32_e32 v2, v3, v2, vcc
	v_mul_hi_u32 v3, v2, s5
	v_lshrrev_b32_e32 v3, 3, v3
	v_mul_lo_u32 v3, v3, 10
	v_sub_u32_e32 v8, v11, v12
	v_sub_u32_e32 v2, v2, v3
	v_add_u32_e32 v2, v2, v8
	v_subrev_co_u32_e32 v3, vcc, 10, v2
	s_nop 1
	v_cndmask_b32_e32 v2, v3, v2, vcc
	v_mul_hi_u32 v4, v2, s5
	v_lshrrev_b32_e32 v4, 3, v4
	v_mov_b32_dpp v3, v2 quad_perm:[1,0,3,2] row_mask:0xf bank_mask:0xf bound_ctrl:1
	v_mul_hi_u32 v5, v3, s5
	v_mul_lo_u32 v4, v4, 10
	v_lshrrev_b32_e32 v5, 3, v5
	v_sub_u32_e32 v2, v2, v4
	v_mul_lo_u32 v4, v5, 10
	v_sub_u32_e32 v3, v3, v4
	v_add_u32_e32 v2, v2, v3
	v_subrev_co_u32_e32 v3, vcc, 10, v2
	s_nop 1
	v_cndmask_b32_e32 v2, v3, v2, vcc
	s_nop 1
	v_mov_b32_dpp v3, v2 quad_perm:[2,3,0,1] row_mask:0xf bank_mask:0xf bound_ctrl:1
	v_mul_hi_u32 v4, v3, s5
	v_lshrrev_b32_e32 v4, 3, v4
	v_mul_lo_u32 v4, v4, 10
	v_sub_u32_e32 v3, v3, v4
	v_add_u32_e32 v2, v2, v3
	v_subrev_co_u32_e32 v3, vcc, 10, v2
	s_nop 1
	v_cndmask_b32_e32 v2, v3, v2, vcc
	v_mul_hi_u32 v4, v2, s5
	v_lshrrev_b32_e32 v4, 3, v4
	v_mov_b32_dpp v3, v2 row_ror:4 row_mask:0xf bank_mask:0xf bound_ctrl:1
	v_mul_hi_u32 v5, v3, s5
	v_mul_lo_u32 v4, v4, 10
	v_lshrrev_b32_e32 v5, 3, v5
	v_sub_u32_e32 v2, v2, v4
	v_mul_lo_u32 v4, v5, 10
	v_sub_u32_e32 v3, v3, v4
	v_add_u32_e32 v2, v2, v3
	v_subrev_co_u32_e32 v3, vcc, 10, v2
	s_nop 1
	v_cndmask_b32_e32 v2, v3, v2, vcc
	v_mul_hi_u32 v4, v2, s5
	v_lshrrev_b32_e32 v4, 3, v4
	v_mov_b32_dpp v3, v2 row_ror:8 row_mask:0xf bank_mask:0xf bound_ctrl:1
	v_mul_hi_u32 v5, v3, s5
	v_mul_lo_u32 v4, v4, 10
	v_lshrrev_b32_e32 v5, 3, v5
	v_sub_u32_e32 v2, v2, v4
	v_mul_lo_u32 v4, v5, 10
	v_sub_u32_e32 v3, v3, v4
	v_add_u32_e32 v2, v2, v3
	v_subrev_co_u32_e32 v3, vcc, 10, v2
	s_nop 1
	v_cndmask_b32_e32 v2, v3, v2, vcc
	v_mul_hi_u32 v4, v2, s5
	v_lshrrev_b32_e32 v4, 3, v4
	v_mov_b32_dpp v3, v2 row_bcast:15 row_mask:0xf bank_mask:0xf bound_ctrl:1
	v_mul_lo_u32 v4, v4, 10
	v_sub_u32_e32 v2, v2, v4
	v_mul_hi_u32 v4, v3, s5
	v_lshrrev_b32_e32 v4, 3, v4
	v_mul_lo_u32 v4, v4, 10
	v_sub_u32_e32 v3, v3, v4
	v_add_u32_e32 v2, v2, v3
	v_subrev_co_u32_e32 v3, vcc, 10, v2
	s_nop 1
	v_cndmask_b32_e32 v2, v3, v2, vcc
	v_mul_hi_u32 v4, v2, s5
	v_lshrrev_b32_e32 v4, 3, v4
	v_mov_b32_dpp v3, v2 row_bcast:31 row_mask:0xf bank_mask:0xf bound_ctrl:1
	v_mul_lo_u32 v4, v4, 10
	v_sub_u32_e32 v2, v2, v4
	v_mul_hi_u32 v4, v3, s5
	v_lshrrev_b32_e32 v4, 3, v4
	v_mul_lo_u32 v4, v4, 10
	v_sub_u32_e32 v3, v3, v4
	v_add_u32_e32 v2, v2, v3
	v_subrev_co_u32_e32 v3, vcc, 10, v2
	s_nop 1
	v_cndmask_b32_e32 v2, v3, v2, vcc
	v_lshlrev_b32_e32 v3, 2, v1
	v_or_b32_e32 v4, 0xfc, v3
	ds_bpermute_b32 v2, v4, v2
	v_cmp_eq_u32_e32 vcc, 0, v1
	s_and_saveexec_b64 s[6:7], vcc
	s_cbranch_execz .LBB594_225
; %bb.224:
	v_lshrrev_b32_e32 v4, 4, v0
	v_and_b32_e32 v4, 12, v4
	s_waitcnt lgkmcnt(0)
	ds_write_b32 v4, v2 offset:96
.LBB594_225:
	s_or_b64 exec, exec, s[6:7]
	v_cmp_gt_u32_e32 vcc, 64, v0
	s_waitcnt lgkmcnt(0)
	s_barrier
	s_and_saveexec_b64 s[6:7], vcc
	s_cbranch_execz .LBB594_227
; %bb.226:
	v_and_b32_e32 v2, 3, v1
	v_lshlrev_b32_e32 v4, 2, v2
	ds_read_b32 v4, v4 offset:96
	v_cmp_ne_u32_e32 vcc, 3, v2
	s_waitcnt lgkmcnt(0)
	v_mul_hi_u32 v2, v4, s5
	v_addc_co_u32_e32 v1, vcc, 0, v1, vcc
	v_lshlrev_b32_e32 v1, 2, v1
	ds_bpermute_b32 v1, v1, v4
	v_lshrrev_b32_e32 v2, 3, v2
	v_mul_lo_u32 v2, v2, 10
	v_sub_u32_e32 v2, v4, v2
	s_waitcnt lgkmcnt(0)
	v_mul_hi_u32 v5, v1, s5
	v_lshrrev_b32_e32 v5, 3, v5
	v_mul_lo_u32 v5, v5, 10
	v_sub_u32_e32 v1, v1, v5
	v_add_u32_e32 v1, v1, v2
	v_subrev_co_u32_e32 v2, vcc, 10, v1
	s_nop 1
	v_cndmask_b32_e32 v1, v2, v1, vcc
	v_or_b32_e32 v2, 8, v3
	ds_bpermute_b32 v2, v2, v1
	s_waitcnt lgkmcnt(0)
	v_mul_hi_u32 v3, v2, s5
	v_lshrrev_b32_e32 v3, 3, v3
	v_mul_lo_u32 v3, v3, 10
	v_sub_u32_e32 v2, v2, v3
	v_add_u32_e32 v1, v1, v2
	v_subrev_co_u32_e32 v2, vcc, 10, v1
	s_nop 1
	v_cndmask_b32_e32 v2, v2, v1, vcc
.LBB594_227:
	s_or_b64 exec, exec, s[6:7]
	s_branch .LBB594_275
.LBB594_228:
                                        ; implicit-def: $vgpr1
.LBB594_229:
	s_branch .LBB594_389
.LBB594_230:
                                        ; implicit-def: $vgpr2
	s_cbranch_execz .LBB594_275
; %bb.231:
	s_sub_i32 s20, s70, s4
	v_mov_b32_e32 v2, 0
	v_cmp_gt_u32_e32 vcc, s20, v0
	v_mov_b32_e32 v3, v2
	v_mov_b32_e32 v4, v2
	;; [unrolled: 1-line block ×7, first 2 shown]
	s_and_saveexec_b64 s[4:5], vcc
	s_cbranch_execz .LBB594_233
; %bb.232:
	s_waitcnt lgkmcnt(0)
	v_lshlrev_b32_e32 v1, 2, v0
	global_load_dword v4, v1, s[16:17]
	v_mov_b32_e32 v5, v2
	v_mov_b32_e32 v6, v2
	;; [unrolled: 1-line block ×7, first 2 shown]
	s_waitcnt vmcnt(0)
	v_mov_b64_e32 v[2:3], v[4:5]
	v_mov_b64_e32 v[4:5], v[6:7]
	;; [unrolled: 1-line block ×4, first 2 shown]
.LBB594_233:
	s_or_b64 exec, exec, s[4:5]
	s_waitcnt lgkmcnt(0)
	v_or_b32_e32 v1, 0x100, v0
	v_cmp_gt_u32_e64 s[14:15], s20, v1
	s_and_saveexec_b64 s[4:5], s[14:15]
	s_cbranch_execz .LBB594_235
; %bb.234:
	v_lshlrev_b32_e32 v1, 2, v0
	global_load_dword v3, v1, s[16:17] offset:1024
.LBB594_235:
	s_or_b64 exec, exec, s[4:5]
	v_or_b32_e32 v1, 0x200, v0
	v_cmp_gt_u32_e64 s[12:13], s20, v1
	s_and_saveexec_b64 s[4:5], s[12:13]
	s_cbranch_execz .LBB594_237
; %bb.236:
	v_lshlrev_b32_e32 v1, 2, v0
	global_load_dword v4, v1, s[16:17] offset:2048
.LBB594_237:
	s_or_b64 exec, exec, s[4:5]
	;; [unrolled: 9-line block ×3, first 2 shown]
	v_or_b32_e32 v1, 0x400, v0
	v_cmp_gt_u32_e64 s[8:9], s20, v1
	s_and_saveexec_b64 s[4:5], s[8:9]
	s_cbranch_execz .LBB594_241
; %bb.240:
	v_lshlrev_b32_e32 v1, 2, v1
	global_load_dword v6, v1, s[16:17]
.LBB594_241:
	s_or_b64 exec, exec, s[4:5]
	v_or_b32_e32 v1, 0x500, v0
	v_cmp_gt_u32_e64 s[6:7], s20, v1
	s_and_saveexec_b64 s[4:5], s[6:7]
	s_cbranch_execz .LBB594_243
; %bb.242:
	v_lshlrev_b32_e32 v1, 2, v1
	global_load_dword v7, v1, s[16:17]
.LBB594_243:
	s_or_b64 exec, exec, s[4:5]
	;; [unrolled: 9-line block ×3, first 2 shown]
	v_or_b32_e32 v1, 0x700, v0
	v_cmp_gt_u32_e32 vcc, s20, v1
	s_and_saveexec_b64 s[18:19], vcc
	s_cbranch_execnz .LBB594_293
; %bb.246:
	s_or_b64 exec, exec, s[18:19]
	s_and_saveexec_b64 s[16:17], s[14:15]
	s_cbranch_execnz .LBB594_294
.LBB594_247:
	s_or_b64 exec, exec, s[16:17]
	s_and_saveexec_b64 s[14:15], s[12:13]
	s_cbranch_execnz .LBB594_295
.LBB594_248:
	s_or_b64 exec, exec, s[14:15]
	s_and_saveexec_b64 s[12:13], s[10:11]
	s_cbranch_execnz .LBB594_296
.LBB594_249:
	s_or_b64 exec, exec, s[12:13]
	s_and_saveexec_b64 s[10:11], s[8:9]
	s_cbranch_execnz .LBB594_297
.LBB594_250:
	s_or_b64 exec, exec, s[10:11]
	s_and_saveexec_b64 s[8:9], s[6:7]
	s_cbranch_execnz .LBB594_298
.LBB594_251:
	s_or_b64 exec, exec, s[8:9]
	s_and_saveexec_b64 s[6:7], s[4:5]
	s_cbranch_execnz .LBB594_299
.LBB594_252:
	s_or_b64 exec, exec, s[6:7]
	s_and_saveexec_b64 s[4:5], vcc
	s_cbranch_execz .LBB594_254
.LBB594_253:
	s_mov_b32 s6, 0xcccccccd
	s_waitcnt vmcnt(0)
	v_mul_hi_u32 v1, v9, s6
	v_mul_hi_u32 v3, v2, s6
	v_lshrrev_b32_e32 v1, 3, v1
	v_lshrrev_b32_e32 v3, 3, v3
	v_mul_lo_u32 v1, v1, 10
	v_mul_lo_u32 v3, v3, 10
	v_sub_u32_e32 v1, v9, v1
	v_sub_u32_e32 v2, v2, v3
	v_add_u32_e32 v1, v2, v1
	v_subrev_co_u32_e32 v2, vcc, 10, v1
	s_nop 1
	v_cndmask_b32_e32 v2, v2, v1, vcc
.LBB594_254:
	s_or_b64 exec, exec, s[4:5]
	v_mbcnt_lo_u32_b32 v1, -1, 0
	v_mbcnt_hi_u32_b32 v1, -1, v1
	s_waitcnt vmcnt(0)
	v_and_b32_e32 v3, 63, v1
	v_cmp_ne_u32_e32 vcc, 63, v3
	s_min_u32 s6, s20, 0x100
	v_add_u32_e32 v6, 1, v3
	v_addc_co_u32_e32 v4, vcc, 0, v1, vcc
	v_lshlrev_b32_e32 v4, 2, v4
	ds_bpermute_b32 v5, v4, v2
	v_and_b32_e32 v4, 0xc0, v0
	v_sub_u32_e64 v4, s6, v4 clamp
	v_cmp_lt_u32_e32 vcc, v6, v4
	s_and_saveexec_b64 s[4:5], vcc
	s_xor_b64 s[4:5], exec, s[4:5]
	s_cbranch_execz .LBB594_256
; %bb.255:
	s_mov_b32 s7, 0xcccccccd
	s_waitcnt lgkmcnt(0)
	v_mul_hi_u32 v6, v5, s7
	v_lshrrev_b32_e32 v6, 3, v6
	v_mul_lo_u32 v6, v6, 10
	v_sub_u32_e32 v5, v5, v6
	v_mul_hi_u32 v6, v2, s7
	v_lshrrev_b32_e32 v6, 3, v6
	v_mul_lo_u32 v6, v6, 10
	v_sub_u32_e32 v2, v2, v6
	v_add_u32_e32 v2, v5, v2
	v_subrev_co_u32_e32 v5, vcc, 10, v2
	s_nop 1
	v_cndmask_b32_e32 v2, v5, v2, vcc
.LBB594_256:
	s_or_b64 exec, exec, s[4:5]
	v_cmp_gt_u32_e32 vcc, 62, v3
	v_add_u32_e32 v6, 2, v3
	s_waitcnt lgkmcnt(0)
	v_cndmask_b32_e64 v5, 0, 2, vcc
	v_add_lshl_u32 v5, v5, v1, 2
	ds_bpermute_b32 v5, v5, v2
	v_cmp_lt_u32_e32 vcc, v6, v4
	s_and_saveexec_b64 s[4:5], vcc
	s_cbranch_execz .LBB594_258
; %bb.257:
	s_mov_b32 s7, 0xcccccccd
	s_waitcnt lgkmcnt(0)
	v_mul_hi_u32 v6, v5, s7
	v_lshrrev_b32_e32 v6, 3, v6
	v_mul_lo_u32 v6, v6, 10
	v_sub_u32_e32 v5, v5, v6
	v_mul_hi_u32 v6, v2, s7
	v_lshrrev_b32_e32 v6, 3, v6
	v_mul_lo_u32 v6, v6, 10
	v_sub_u32_e32 v2, v2, v6
	v_add_u32_e32 v2, v5, v2
	v_subrev_co_u32_e32 v5, vcc, 10, v2
	s_nop 1
	v_cndmask_b32_e32 v2, v5, v2, vcc
.LBB594_258:
	s_or_b64 exec, exec, s[4:5]
	v_cmp_gt_u32_e32 vcc, 60, v3
	v_add_u32_e32 v6, 4, v3
	s_waitcnt lgkmcnt(0)
	v_cndmask_b32_e64 v5, 0, 4, vcc
	v_add_lshl_u32 v5, v5, v1, 2
	ds_bpermute_b32 v5, v5, v2
	v_cmp_lt_u32_e32 vcc, v6, v4
	s_and_saveexec_b64 s[4:5], vcc
	;; [unrolled: 26-line block ×4, first 2 shown]
	s_cbranch_execz .LBB594_264
; %bb.263:
	s_mov_b32 s7, 0xcccccccd
	s_waitcnt lgkmcnt(0)
	v_mul_hi_u32 v6, v5, s7
	v_lshrrev_b32_e32 v6, 3, v6
	v_mul_lo_u32 v6, v6, 10
	v_sub_u32_e32 v5, v5, v6
	v_mul_hi_u32 v6, v2, s7
	v_lshrrev_b32_e32 v6, 3, v6
	v_mul_lo_u32 v6, v6, 10
	v_sub_u32_e32 v2, v2, v6
	v_add_u32_e32 v2, v5, v2
	v_subrev_co_u32_e32 v5, vcc, 10, v2
	s_nop 1
	v_cndmask_b32_e32 v2, v5, v2, vcc
.LBB594_264:
	s_or_b64 exec, exec, s[4:5]
	s_waitcnt lgkmcnt(0)
	v_lshlrev_b32_e32 v5, 2, v1
	v_or_b32_e32 v6, 0x80, v5
	ds_bpermute_b32 v6, v6, v2
	v_add_u32_e32 v3, 32, v3
	v_cmp_lt_u32_e32 vcc, v3, v4
	s_and_saveexec_b64 s[4:5], vcc
	s_cbranch_execz .LBB594_266
; %bb.265:
	s_mov_b32 s7, 0xcccccccd
	s_waitcnt lgkmcnt(0)
	v_mul_hi_u32 v3, v6, s7
	v_mul_hi_u32 v4, v2, s7
	v_lshrrev_b32_e32 v3, 3, v3
	v_lshrrev_b32_e32 v4, 3, v4
	v_mul_lo_u32 v3, v3, 10
	v_mul_lo_u32 v4, v4, 10
	v_sub_u32_e32 v3, v6, v3
	v_sub_u32_e32 v2, v2, v4
	v_add_u32_e32 v2, v3, v2
	v_subrev_co_u32_e32 v3, vcc, 10, v2
	s_nop 1
	v_cndmask_b32_e32 v2, v3, v2, vcc
.LBB594_266:
	s_or_b64 exec, exec, s[4:5]
	v_cmp_eq_u32_e32 vcc, 0, v1
	s_and_saveexec_b64 s[4:5], vcc
; %bb.267:
	v_lshrrev_b32_e32 v3, 4, v0
	v_and_b32_e32 v3, 12, v3
	ds_write_b32 v3, v2
; %bb.268:
	s_or_b64 exec, exec, s[4:5]
	v_cmp_gt_u32_e32 vcc, 4, v0
	s_waitcnt lgkmcnt(0)
	s_barrier
	s_and_saveexec_b64 s[4:5], vcc
	s_cbranch_execz .LBB594_274
; %bb.269:
	ds_read_b32 v2, v5
	v_and_b32_e32 v3, 3, v1
	v_cmp_ne_u32_e32 vcc, 3, v3
	s_add_i32 s6, s6, 63
	s_lshr_b32 s8, s6, 6
	v_addc_co_u32_e32 v1, vcc, 0, v1, vcc
	v_lshlrev_b32_e32 v1, 2, v1
	s_waitcnt lgkmcnt(0)
	ds_bpermute_b32 v1, v1, v2
	v_add_u32_e32 v4, 1, v3
	v_cmp_gt_u32_e32 vcc, s8, v4
	s_and_saveexec_b64 s[6:7], vcc
	s_cbranch_execz .LBB594_271
; %bb.270:
	s_mov_b32 s9, 0xcccccccd
	s_waitcnt lgkmcnt(0)
	v_mul_hi_u32 v4, v1, s9
	v_lshrrev_b32_e32 v4, 3, v4
	v_mul_lo_u32 v4, v4, 10
	v_sub_u32_e32 v1, v1, v4
	v_mul_hi_u32 v4, v2, s9
	v_lshrrev_b32_e32 v4, 3, v4
	v_mul_lo_u32 v4, v4, 10
	v_sub_u32_e32 v2, v2, v4
	v_add_u32_e32 v1, v1, v2
	v_subrev_co_u32_e32 v2, vcc, 10, v1
	s_nop 1
	v_cndmask_b32_e32 v2, v2, v1, vcc
.LBB594_271:
	s_or_b64 exec, exec, s[6:7]
	s_waitcnt lgkmcnt(0)
	v_or_b32_e32 v1, 8, v5
	ds_bpermute_b32 v1, v1, v2
	v_add_u32_e32 v3, 2, v3
	v_cmp_gt_u32_e32 vcc, s8, v3
	s_and_saveexec_b64 s[6:7], vcc
	s_cbranch_execz .LBB594_273
; %bb.272:
	s_mov_b32 s8, 0xcccccccd
	s_waitcnt lgkmcnt(0)
	v_mul_hi_u32 v3, v1, s8
	v_lshrrev_b32_e32 v3, 3, v3
	v_mul_lo_u32 v3, v3, 10
	v_sub_u32_e32 v1, v1, v3
	v_mul_hi_u32 v3, v2, s8
	v_lshrrev_b32_e32 v3, 3, v3
	v_mul_lo_u32 v3, v3, 10
	v_sub_u32_e32 v2, v2, v3
	v_add_u32_e32 v1, v1, v2
	v_subrev_co_u32_e32 v2, vcc, 10, v1
	s_nop 1
	v_cndmask_b32_e32 v2, v2, v1, vcc
.LBB594_273:
	s_or_b64 exec, exec, s[6:7]
.LBB594_274:
	s_or_b64 exec, exec, s[4:5]
.LBB594_275:
	v_cmp_eq_u32_e32 vcc, 0, v0
                                        ; implicit-def: $vgpr1
	s_and_saveexec_b64 s[4:5], vcc
	s_xor_b64 s[4:5], exec, s[4:5]
	s_cbranch_execz .LBB594_279
; %bb.276:
	s_cmp_eq_u64 s[70:71], 0
	s_waitcnt lgkmcnt(0)
	v_mov_b32_e32 v1, s33
	s_cbranch_scc1 .LBB594_278
; %bb.277:
	s_mov_b32 s6, 0xcccccccd
	v_mul_hi_u32 v1, v2, s6
	s_mul_hi_u32 s6, s33, 0xcccccccd
	v_lshrrev_b32_e32 v1, 3, v1
	s_lshr_b32 s6, s6, 3
	v_mul_lo_u32 v1, v1, 10
	s_mul_i32 s6, s6, 10
	v_sub_u32_e32 v1, v2, v1
	s_sub_i32 s6, s33, s6
	v_add_u32_e32 v1, s6, v1
	v_subrev_co_u32_e32 v2, vcc, 10, v1
	s_nop 1
	v_cndmask_b32_e32 v1, v2, v1, vcc
.LBB594_278:
	s_or_b64 s[34:35], s[34:35], exec
.LBB594_279:
	s_or_b64 exec, exec, s[4:5]
	s_branch .LBB594_389
.LBB594_280:
	s_cmp_gt_i32 s76, 1
	s_cbranch_scc0 .LBB594_289
; %bb.281:
	s_cmp_gt_i32 s76, 3
	s_cbranch_scc0 .LBB594_290
; %bb.282:
	s_cmp_eq_u32 s76, 4
	s_cbranch_scc0 .LBB594_291
; %bb.283:
	s_mov_b32 s3, 0
	s_lshl_b32 s4, s2, 10
	s_mov_b32 s5, s3
	s_lshr_b64 s[6:7], s[70:71], 10
	s_lshl_b64 s[8:9], s[4:5], 2
	s_add_u32 s8, s68, s8
	s_addc_u32 s9, s69, s9
	s_cmp_lg_u64 s[6:7], s[2:3]
	s_cbranch_scc0 .LBB594_300
; %bb.284:
	s_waitcnt lgkmcnt(0)
	v_lshlrev_b32_e32 v1, 2, v0
	global_load_dword v2, v1, s[8:9] offset:1024
	global_load_dword v4, v1, s[8:9]
	global_load_dword v5, v1, s[8:9] offset:2048
	global_load_dword v6, v1, s[8:9] offset:3072
	s_mov_b32 s5, 0xcccccccd
	v_mbcnt_lo_u32_b32 v1, -1, 0
	v_mbcnt_hi_u32_b32 v1, -1, v1
	v_lshlrev_b32_e32 v3, 2, v1
	s_waitcnt vmcnt(3)
	v_mul_hi_u32 v7, v2, s5
	s_waitcnt vmcnt(2)
	v_mul_hi_u32 v8, v4, s5
	v_lshrrev_b32_e32 v7, 3, v7
	v_lshrrev_b32_e32 v8, 3, v8
	v_mul_lo_u32 v7, v7, 10
	v_mul_lo_u32 v8, v8, 10
	v_sub_u32_e32 v2, v2, v7
	v_sub_u32_e32 v4, v4, v8
	v_add_u32_e32 v2, v2, v4
	v_subrev_co_u32_e32 v4, vcc, 10, v2
	s_waitcnt vmcnt(1)
	v_mul_hi_u32 v9, v5, s5
	v_cndmask_b32_e32 v2, v4, v2, vcc
	v_mul_hi_u32 v4, v2, s5
	v_lshrrev_b32_e32 v9, 3, v9
	v_lshrrev_b32_e32 v4, 3, v4
	v_mul_lo_u32 v9, v9, 10
	v_mul_lo_u32 v4, v4, 10
	v_sub_u32_e32 v5, v5, v9
	v_sub_u32_e32 v2, v2, v4
	v_add_u32_e32 v2, v2, v5
	v_subrev_co_u32_e32 v4, vcc, 10, v2
	s_waitcnt vmcnt(0)
	v_mul_hi_u32 v10, v6, s5
	v_cndmask_b32_e32 v2, v4, v2, vcc
	v_mul_hi_u32 v4, v2, s5
	v_lshrrev_b32_e32 v10, 3, v10
	v_lshrrev_b32_e32 v4, 3, v4
	v_mul_lo_u32 v10, v10, 10
	v_mul_lo_u32 v4, v4, 10
	v_sub_u32_e32 v6, v6, v10
	v_sub_u32_e32 v2, v2, v4
	v_add_u32_e32 v2, v2, v6
	v_subrev_co_u32_e32 v4, vcc, 10, v2
	s_nop 1
	v_cndmask_b32_e32 v2, v4, v2, vcc
	v_mul_hi_u32 v5, v2, s5
	v_lshrrev_b32_e32 v5, 3, v5
	v_mov_b32_dpp v4, v2 quad_perm:[1,0,3,2] row_mask:0xf bank_mask:0xf bound_ctrl:1
	v_mul_hi_u32 v6, v4, s5
	v_mul_lo_u32 v5, v5, 10
	v_lshrrev_b32_e32 v6, 3, v6
	v_sub_u32_e32 v2, v2, v5
	v_mul_lo_u32 v5, v6, 10
	v_sub_u32_e32 v4, v4, v5
	v_add_u32_e32 v2, v2, v4
	v_subrev_co_u32_e32 v4, vcc, 10, v2
	s_nop 1
	v_cndmask_b32_e32 v2, v4, v2, vcc
	s_nop 1
	v_mov_b32_dpp v4, v2 quad_perm:[2,3,0,1] row_mask:0xf bank_mask:0xf bound_ctrl:1
	v_mul_hi_u32 v5, v4, s5
	v_lshrrev_b32_e32 v5, 3, v5
	v_mul_lo_u32 v5, v5, 10
	v_sub_u32_e32 v4, v4, v5
	v_add_u32_e32 v2, v2, v4
	v_subrev_co_u32_e32 v4, vcc, 10, v2
	s_nop 1
	v_cndmask_b32_e32 v2, v4, v2, vcc
	v_mul_hi_u32 v5, v2, s5
	v_lshrrev_b32_e32 v5, 3, v5
	v_mov_b32_dpp v4, v2 row_ror:4 row_mask:0xf bank_mask:0xf bound_ctrl:1
	v_mul_hi_u32 v6, v4, s5
	v_mul_lo_u32 v5, v5, 10
	v_lshrrev_b32_e32 v6, 3, v6
	v_sub_u32_e32 v2, v2, v5
	v_mul_lo_u32 v5, v6, 10
	v_sub_u32_e32 v4, v4, v5
	v_add_u32_e32 v2, v2, v4
	v_subrev_co_u32_e32 v4, vcc, 10, v2
	s_nop 1
	v_cndmask_b32_e32 v2, v4, v2, vcc
	v_mul_hi_u32 v5, v2, s5
	v_lshrrev_b32_e32 v5, 3, v5
	v_mov_b32_dpp v4, v2 row_ror:8 row_mask:0xf bank_mask:0xf bound_ctrl:1
	v_mul_hi_u32 v6, v4, s5
	v_mul_lo_u32 v5, v5, 10
	v_lshrrev_b32_e32 v6, 3, v6
	v_sub_u32_e32 v2, v2, v5
	v_mul_lo_u32 v5, v6, 10
	v_sub_u32_e32 v4, v4, v5
	v_add_u32_e32 v2, v2, v4
	v_subrev_co_u32_e32 v4, vcc, 10, v2
	s_nop 1
	v_cndmask_b32_e32 v2, v4, v2, vcc
	v_mul_hi_u32 v5, v2, s5
	v_lshrrev_b32_e32 v5, 3, v5
	v_mov_b32_dpp v4, v2 row_bcast:15 row_mask:0xf bank_mask:0xf bound_ctrl:1
	v_mul_hi_u32 v6, v4, s5
	v_mul_lo_u32 v5, v5, 10
	v_lshrrev_b32_e32 v6, 3, v6
	v_sub_u32_e32 v2, v2, v5
	v_mul_lo_u32 v5, v6, 10
	v_sub_u32_e32 v4, v4, v5
	v_add_u32_e32 v2, v2, v4
	v_subrev_co_u32_e32 v4, vcc, 10, v2
	s_nop 1
	v_cndmask_b32_e32 v2, v4, v2, vcc
	v_mul_hi_u32 v5, v2, s5
	v_lshrrev_b32_e32 v5, 3, v5
	v_mov_b32_dpp v4, v2 row_bcast:31 row_mask:0xf bank_mask:0xf bound_ctrl:1
	v_mul_hi_u32 v6, v4, s5
	v_mul_lo_u32 v5, v5, 10
	v_lshrrev_b32_e32 v6, 3, v6
	v_sub_u32_e32 v2, v2, v5
	v_mul_lo_u32 v5, v6, 10
	v_sub_u32_e32 v4, v4, v5
	v_add_u32_e32 v2, v2, v4
	v_subrev_co_u32_e32 v4, vcc, 10, v2
	s_nop 1
	v_cndmask_b32_e32 v2, v4, v2, vcc
	v_or_b32_e32 v4, 0xfc, v3
	ds_bpermute_b32 v2, v4, v2
	v_cmp_eq_u32_e32 vcc, 0, v1
	s_and_saveexec_b64 s[6:7], vcc
	s_cbranch_execz .LBB594_286
; %bb.285:
	v_lshrrev_b32_e32 v4, 4, v0
	v_and_b32_e32 v4, 12, v4
	s_waitcnt lgkmcnt(0)
	ds_write_b32 v4, v2 offset:80
.LBB594_286:
	s_or_b64 exec, exec, s[6:7]
	v_cmp_gt_u32_e32 vcc, 64, v0
	s_waitcnt lgkmcnt(0)
	s_barrier
	s_and_saveexec_b64 s[6:7], vcc
	s_cbranch_execz .LBB594_288
; %bb.287:
	v_and_b32_e32 v2, 3, v1
	v_lshlrev_b32_e32 v4, 2, v2
	ds_read_b32 v4, v4 offset:80
	v_cmp_ne_u32_e32 vcc, 3, v2
	s_waitcnt lgkmcnt(0)
	v_mul_hi_u32 v2, v4, s5
	v_addc_co_u32_e32 v1, vcc, 0, v1, vcc
	v_lshlrev_b32_e32 v1, 2, v1
	ds_bpermute_b32 v1, v1, v4
	v_lshrrev_b32_e32 v2, 3, v2
	v_mul_lo_u32 v2, v2, 10
	v_sub_u32_e32 v2, v4, v2
	s_waitcnt lgkmcnt(0)
	v_mul_hi_u32 v5, v1, s5
	v_lshrrev_b32_e32 v5, 3, v5
	v_mul_lo_u32 v5, v5, 10
	v_sub_u32_e32 v1, v1, v5
	v_add_u32_e32 v1, v1, v2
	v_subrev_co_u32_e32 v2, vcc, 10, v1
	s_nop 1
	v_cndmask_b32_e32 v1, v2, v1, vcc
	v_or_b32_e32 v2, 8, v3
	ds_bpermute_b32 v2, v2, v1
	s_waitcnt lgkmcnt(0)
	v_mul_hi_u32 v3, v2, s5
	v_lshrrev_b32_e32 v3, 3, v3
	v_mul_lo_u32 v3, v3, 10
	v_sub_u32_e32 v2, v2, v3
	v_add_u32_e32 v1, v1, v2
	v_subrev_co_u32_e32 v2, vcc, 10, v1
	s_nop 1
	v_cndmask_b32_e32 v2, v2, v1, vcc
.LBB594_288:
	s_or_b64 exec, exec, s[6:7]
	s_mov_b64 s[6:7], 0
	s_branch .LBB594_301
.LBB594_289:
                                        ; implicit-def: $vgpr1
	s_cbranch_execnz .LBB594_381
	s_branch .LBB594_389
.LBB594_290:
                                        ; implicit-def: $vgpr1
	s_cbranch_execz .LBB594_292
	s_branch .LBB594_339
.LBB594_291:
                                        ; implicit-def: $vgpr1
.LBB594_292:
	s_branch .LBB594_389
.LBB594_293:
	v_lshlrev_b32_e32 v1, 2, v1
	global_load_dword v9, v1, s[16:17]
	s_or_b64 exec, exec, s[18:19]
	s_and_saveexec_b64 s[16:17], s[14:15]
	s_cbranch_execz .LBB594_247
.LBB594_294:
	s_mov_b32 s14, 0xcccccccd
	s_waitcnt vmcnt(0)
	v_mul_hi_u32 v1, v3, s14
	v_lshrrev_b32_e32 v1, 3, v1
	v_mul_lo_u32 v1, v1, 10
	v_sub_u32_e32 v1, v3, v1
	v_mul_hi_u32 v3, v2, s14
	v_lshrrev_b32_e32 v3, 3, v3
	v_mul_lo_u32 v3, v3, 10
	v_sub_u32_e32 v2, v2, v3
	v_add_u32_e32 v1, v1, v2
	v_subrev_co_u32_e64 v2, s[14:15], 10, v1
	s_nop 1
	v_cndmask_b32_e64 v2, v2, v1, s[14:15]
	s_or_b64 exec, exec, s[16:17]
	s_and_saveexec_b64 s[14:15], s[12:13]
	s_cbranch_execz .LBB594_248
.LBB594_295:
	s_mov_b32 s12, 0xcccccccd
	s_waitcnt vmcnt(0)
	v_mul_hi_u32 v1, v4, s12
	v_mul_hi_u32 v3, v2, s12
	v_lshrrev_b32_e32 v1, 3, v1
	v_lshrrev_b32_e32 v3, 3, v3
	v_mul_lo_u32 v1, v1, 10
	v_mul_lo_u32 v3, v3, 10
	v_sub_u32_e32 v1, v4, v1
	v_sub_u32_e32 v2, v2, v3
	v_add_u32_e32 v1, v2, v1
	v_subrev_co_u32_e64 v2, s[12:13], 10, v1
	s_nop 1
	v_cndmask_b32_e64 v2, v2, v1, s[12:13]
	s_or_b64 exec, exec, s[14:15]
	s_and_saveexec_b64 s[12:13], s[10:11]
	s_cbranch_execz .LBB594_249
.LBB594_296:
	s_mov_b32 s10, 0xcccccccd
	s_waitcnt vmcnt(0)
	v_mul_hi_u32 v1, v5, s10
	v_mul_hi_u32 v3, v2, s10
	v_lshrrev_b32_e32 v1, 3, v1
	v_lshrrev_b32_e32 v3, 3, v3
	v_mul_lo_u32 v1, v1, 10
	v_mul_lo_u32 v3, v3, 10
	v_sub_u32_e32 v1, v5, v1
	v_sub_u32_e32 v2, v2, v3
	v_add_u32_e32 v1, v2, v1
	v_subrev_co_u32_e64 v2, s[10:11], 10, v1
	s_nop 1
	v_cndmask_b32_e64 v2, v2, v1, s[10:11]
	s_or_b64 exec, exec, s[12:13]
	s_and_saveexec_b64 s[10:11], s[8:9]
	s_cbranch_execz .LBB594_250
.LBB594_297:
	s_mov_b32 s8, 0xcccccccd
	s_waitcnt vmcnt(0)
	v_mul_hi_u32 v1, v6, s8
	v_mul_hi_u32 v3, v2, s8
	v_lshrrev_b32_e32 v1, 3, v1
	v_lshrrev_b32_e32 v3, 3, v3
	v_mul_lo_u32 v1, v1, 10
	v_mul_lo_u32 v3, v3, 10
	v_sub_u32_e32 v1, v6, v1
	v_sub_u32_e32 v2, v2, v3
	v_add_u32_e32 v1, v2, v1
	v_subrev_co_u32_e64 v2, s[8:9], 10, v1
	s_nop 1
	v_cndmask_b32_e64 v2, v2, v1, s[8:9]
	s_or_b64 exec, exec, s[10:11]
	s_and_saveexec_b64 s[8:9], s[6:7]
	s_cbranch_execz .LBB594_251
.LBB594_298:
	s_mov_b32 s6, 0xcccccccd
	s_waitcnt vmcnt(0)
	v_mul_hi_u32 v1, v7, s6
	v_mul_hi_u32 v3, v2, s6
	v_lshrrev_b32_e32 v1, 3, v1
	v_lshrrev_b32_e32 v3, 3, v3
	v_mul_lo_u32 v1, v1, 10
	v_mul_lo_u32 v3, v3, 10
	v_sub_u32_e32 v1, v7, v1
	v_sub_u32_e32 v2, v2, v3
	v_add_u32_e32 v1, v2, v1
	v_subrev_co_u32_e64 v2, s[6:7], 10, v1
	s_nop 1
	v_cndmask_b32_e64 v2, v2, v1, s[6:7]
	s_or_b64 exec, exec, s[8:9]
	s_and_saveexec_b64 s[6:7], s[4:5]
	s_cbranch_execz .LBB594_252
.LBB594_299:
	s_mov_b32 s4, 0xcccccccd
	s_waitcnt vmcnt(0)
	v_mul_hi_u32 v1, v8, s4
	v_mul_hi_u32 v3, v2, s4
	v_lshrrev_b32_e32 v1, 3, v1
	v_lshrrev_b32_e32 v3, 3, v3
	v_mul_lo_u32 v1, v1, 10
	v_mul_lo_u32 v3, v3, 10
	v_sub_u32_e32 v1, v8, v1
	v_sub_u32_e32 v2, v2, v3
	v_add_u32_e32 v1, v2, v1
	v_subrev_co_u32_e64 v2, s[4:5], 10, v1
	s_nop 1
	v_cndmask_b32_e64 v2, v2, v1, s[4:5]
	s_or_b64 exec, exec, s[6:7]
	s_and_saveexec_b64 s[4:5], vcc
	s_cbranch_execnz .LBB594_253
	s_branch .LBB594_254
.LBB594_300:
	s_mov_b64 s[6:7], -1
                                        ; implicit-def: $vgpr2
.LBB594_301:
	s_and_b64 vcc, exec, s[6:7]
	s_cbranch_vccz .LBB594_334
; %bb.302:
	s_sub_i32 s12, s70, s4
	v_mov_b32_e32 v2, 0
	v_cmp_gt_u32_e32 vcc, s12, v0
	v_mov_b32_e32 v3, v2
	v_mov_b32_e32 v4, v2
	v_mov_b32_e32 v5, v2
	s_and_saveexec_b64 s[4:5], vcc
	s_cbranch_execz .LBB594_304
; %bb.303:
	s_waitcnt lgkmcnt(0)
	v_lshlrev_b32_e32 v1, 2, v0
	global_load_dword v4, v1, s[8:9]
	v_mov_b32_e32 v5, v2
	v_mov_b32_e32 v6, v2
	;; [unrolled: 1-line block ×3, first 2 shown]
	s_waitcnt vmcnt(0)
	v_mov_b64_e32 v[2:3], v[4:5]
	v_mov_b64_e32 v[4:5], v[6:7]
.LBB594_304:
	s_or_b64 exec, exec, s[4:5]
	s_waitcnt lgkmcnt(0)
	v_or_b32_e32 v1, 0x100, v0
	v_cmp_gt_u32_e64 s[6:7], s12, v1
	s_and_saveexec_b64 s[4:5], s[6:7]
	s_cbranch_execz .LBB594_306
; %bb.305:
	v_lshlrev_b32_e32 v1, 2, v0
	global_load_dword v3, v1, s[8:9] offset:1024
.LBB594_306:
	s_or_b64 exec, exec, s[4:5]
	v_or_b32_e32 v1, 0x200, v0
	v_cmp_gt_u32_e64 s[4:5], s12, v1
	s_and_saveexec_b64 s[10:11], s[4:5]
	s_cbranch_execz .LBB594_308
; %bb.307:
	v_lshlrev_b32_e32 v1, 2, v0
	global_load_dword v4, v1, s[8:9] offset:2048
.LBB594_308:
	s_or_b64 exec, exec, s[10:11]
	v_or_b32_e32 v1, 0x300, v0
	v_cmp_gt_u32_e32 vcc, s12, v1
	s_and_saveexec_b64 s[10:11], vcc
	s_cbranch_execnz .LBB594_467
; %bb.309:
	s_or_b64 exec, exec, s[10:11]
	s_and_saveexec_b64 s[8:9], s[6:7]
	s_cbranch_execnz .LBB594_468
.LBB594_310:
	s_or_b64 exec, exec, s[8:9]
	s_and_saveexec_b64 s[6:7], s[4:5]
	s_cbranch_execnz .LBB594_469
.LBB594_311:
	s_or_b64 exec, exec, s[6:7]
	s_and_saveexec_b64 s[4:5], vcc
	s_cbranch_execz .LBB594_313
.LBB594_312:
	s_mov_b32 s6, 0xcccccccd
	s_waitcnt vmcnt(0)
	v_mul_hi_u32 v1, v5, s6
	v_mul_hi_u32 v3, v2, s6
	v_lshrrev_b32_e32 v1, 3, v1
	v_lshrrev_b32_e32 v3, 3, v3
	v_mul_lo_u32 v1, v1, 10
	v_mul_lo_u32 v3, v3, 10
	v_sub_u32_e32 v1, v5, v1
	v_sub_u32_e32 v2, v2, v3
	v_add_u32_e32 v1, v2, v1
	v_subrev_co_u32_e32 v2, vcc, 10, v1
	s_nop 1
	v_cndmask_b32_e32 v2, v2, v1, vcc
.LBB594_313:
	s_or_b64 exec, exec, s[4:5]
	v_mbcnt_lo_u32_b32 v1, -1, 0
	v_mbcnt_hi_u32_b32 v1, -1, v1
	s_waitcnt vmcnt(0)
	v_and_b32_e32 v3, 63, v1
	v_cmp_ne_u32_e32 vcc, 63, v3
	s_min_u32 s6, s12, 0x100
	v_add_u32_e32 v6, 1, v3
	v_addc_co_u32_e32 v4, vcc, 0, v1, vcc
	v_lshlrev_b32_e32 v4, 2, v4
	ds_bpermute_b32 v5, v4, v2
	v_and_b32_e32 v4, 0xc0, v0
	v_sub_u32_e64 v4, s6, v4 clamp
	v_cmp_lt_u32_e32 vcc, v6, v4
	s_and_saveexec_b64 s[4:5], vcc
	s_xor_b64 s[4:5], exec, s[4:5]
	s_cbranch_execz .LBB594_315
; %bb.314:
	s_mov_b32 s7, 0xcccccccd
	s_waitcnt lgkmcnt(0)
	v_mul_hi_u32 v6, v5, s7
	v_lshrrev_b32_e32 v6, 3, v6
	v_mul_lo_u32 v6, v6, 10
	v_sub_u32_e32 v5, v5, v6
	v_mul_hi_u32 v6, v2, s7
	v_lshrrev_b32_e32 v6, 3, v6
	v_mul_lo_u32 v6, v6, 10
	v_sub_u32_e32 v2, v2, v6
	v_add_u32_e32 v2, v5, v2
	v_subrev_co_u32_e32 v5, vcc, 10, v2
	s_nop 1
	v_cndmask_b32_e32 v2, v5, v2, vcc
.LBB594_315:
	s_or_b64 exec, exec, s[4:5]
	v_cmp_gt_u32_e32 vcc, 62, v3
	v_add_u32_e32 v6, 2, v3
	s_waitcnt lgkmcnt(0)
	v_cndmask_b32_e64 v5, 0, 2, vcc
	v_add_lshl_u32 v5, v5, v1, 2
	ds_bpermute_b32 v5, v5, v2
	v_cmp_lt_u32_e32 vcc, v6, v4
	s_and_saveexec_b64 s[4:5], vcc
	s_cbranch_execz .LBB594_317
; %bb.316:
	s_mov_b32 s7, 0xcccccccd
	s_waitcnt lgkmcnt(0)
	v_mul_hi_u32 v6, v5, s7
	v_lshrrev_b32_e32 v6, 3, v6
	v_mul_lo_u32 v6, v6, 10
	v_sub_u32_e32 v5, v5, v6
	v_mul_hi_u32 v6, v2, s7
	v_lshrrev_b32_e32 v6, 3, v6
	v_mul_lo_u32 v6, v6, 10
	v_sub_u32_e32 v2, v2, v6
	v_add_u32_e32 v2, v5, v2
	v_subrev_co_u32_e32 v5, vcc, 10, v2
	s_nop 1
	v_cndmask_b32_e32 v2, v5, v2, vcc
.LBB594_317:
	s_or_b64 exec, exec, s[4:5]
	v_cmp_gt_u32_e32 vcc, 60, v3
	v_add_u32_e32 v6, 4, v3
	s_waitcnt lgkmcnt(0)
	v_cndmask_b32_e64 v5, 0, 4, vcc
	v_add_lshl_u32 v5, v5, v1, 2
	ds_bpermute_b32 v5, v5, v2
	v_cmp_lt_u32_e32 vcc, v6, v4
	s_and_saveexec_b64 s[4:5], vcc
	;; [unrolled: 26-line block ×4, first 2 shown]
	s_cbranch_execz .LBB594_323
; %bb.322:
	s_mov_b32 s7, 0xcccccccd
	s_waitcnt lgkmcnt(0)
	v_mul_hi_u32 v6, v5, s7
	v_lshrrev_b32_e32 v6, 3, v6
	v_mul_lo_u32 v6, v6, 10
	v_sub_u32_e32 v5, v5, v6
	v_mul_hi_u32 v6, v2, s7
	v_lshrrev_b32_e32 v6, 3, v6
	v_mul_lo_u32 v6, v6, 10
	v_sub_u32_e32 v2, v2, v6
	v_add_u32_e32 v2, v5, v2
	v_subrev_co_u32_e32 v5, vcc, 10, v2
	s_nop 1
	v_cndmask_b32_e32 v2, v5, v2, vcc
.LBB594_323:
	s_or_b64 exec, exec, s[4:5]
	s_waitcnt lgkmcnt(0)
	v_lshlrev_b32_e32 v5, 2, v1
	v_or_b32_e32 v6, 0x80, v5
	ds_bpermute_b32 v6, v6, v2
	v_add_u32_e32 v3, 32, v3
	v_cmp_lt_u32_e32 vcc, v3, v4
	s_and_saveexec_b64 s[4:5], vcc
	s_cbranch_execz .LBB594_325
; %bb.324:
	s_mov_b32 s7, 0xcccccccd
	s_waitcnt lgkmcnt(0)
	v_mul_hi_u32 v3, v6, s7
	v_mul_hi_u32 v4, v2, s7
	v_lshrrev_b32_e32 v3, 3, v3
	v_lshrrev_b32_e32 v4, 3, v4
	v_mul_lo_u32 v3, v3, 10
	v_mul_lo_u32 v4, v4, 10
	v_sub_u32_e32 v3, v6, v3
	v_sub_u32_e32 v2, v2, v4
	v_add_u32_e32 v2, v3, v2
	v_subrev_co_u32_e32 v3, vcc, 10, v2
	s_nop 1
	v_cndmask_b32_e32 v2, v3, v2, vcc
.LBB594_325:
	s_or_b64 exec, exec, s[4:5]
	v_cmp_eq_u32_e32 vcc, 0, v1
	s_and_saveexec_b64 s[4:5], vcc
; %bb.326:
	v_lshrrev_b32_e32 v3, 4, v0
	v_and_b32_e32 v3, 12, v3
	ds_write_b32 v3, v2
; %bb.327:
	s_or_b64 exec, exec, s[4:5]
	v_cmp_gt_u32_e32 vcc, 4, v0
	s_waitcnt lgkmcnt(0)
	s_barrier
	s_and_saveexec_b64 s[4:5], vcc
	s_cbranch_execz .LBB594_333
; %bb.328:
	ds_read_b32 v2, v5
	v_and_b32_e32 v3, 3, v1
	v_cmp_ne_u32_e32 vcc, 3, v3
	s_add_i32 s6, s6, 63
	s_lshr_b32 s8, s6, 6
	v_addc_co_u32_e32 v1, vcc, 0, v1, vcc
	v_lshlrev_b32_e32 v1, 2, v1
	s_waitcnt lgkmcnt(0)
	ds_bpermute_b32 v1, v1, v2
	v_add_u32_e32 v4, 1, v3
	v_cmp_gt_u32_e32 vcc, s8, v4
	s_and_saveexec_b64 s[6:7], vcc
	s_cbranch_execz .LBB594_330
; %bb.329:
	s_mov_b32 s9, 0xcccccccd
	s_waitcnt lgkmcnt(0)
	v_mul_hi_u32 v4, v1, s9
	v_lshrrev_b32_e32 v4, 3, v4
	v_mul_lo_u32 v4, v4, 10
	v_sub_u32_e32 v1, v1, v4
	v_mul_hi_u32 v4, v2, s9
	v_lshrrev_b32_e32 v4, 3, v4
	v_mul_lo_u32 v4, v4, 10
	v_sub_u32_e32 v2, v2, v4
	v_add_u32_e32 v1, v1, v2
	v_subrev_co_u32_e32 v2, vcc, 10, v1
	s_nop 1
	v_cndmask_b32_e32 v2, v2, v1, vcc
.LBB594_330:
	s_or_b64 exec, exec, s[6:7]
	s_waitcnt lgkmcnt(0)
	v_or_b32_e32 v1, 8, v5
	ds_bpermute_b32 v1, v1, v2
	v_add_u32_e32 v3, 2, v3
	v_cmp_gt_u32_e32 vcc, s8, v3
	s_and_saveexec_b64 s[6:7], vcc
	s_cbranch_execz .LBB594_332
; %bb.331:
	s_mov_b32 s8, 0xcccccccd
	s_waitcnt lgkmcnt(0)
	v_mul_hi_u32 v3, v1, s8
	v_lshrrev_b32_e32 v3, 3, v3
	v_mul_lo_u32 v3, v3, 10
	v_sub_u32_e32 v1, v1, v3
	v_mul_hi_u32 v3, v2, s8
	v_lshrrev_b32_e32 v3, 3, v3
	v_mul_lo_u32 v3, v3, 10
	v_sub_u32_e32 v2, v2, v3
	v_add_u32_e32 v1, v1, v2
	v_subrev_co_u32_e32 v2, vcc, 10, v1
	s_nop 1
	v_cndmask_b32_e32 v2, v2, v1, vcc
.LBB594_332:
	s_or_b64 exec, exec, s[6:7]
.LBB594_333:
	s_or_b64 exec, exec, s[4:5]
.LBB594_334:
	v_cmp_eq_u32_e32 vcc, 0, v0
                                        ; implicit-def: $vgpr1
	s_and_saveexec_b64 s[4:5], vcc
	s_xor_b64 s[4:5], exec, s[4:5]
	s_cbranch_execz .LBB594_338
; %bb.335:
	s_cmp_eq_u64 s[70:71], 0
	s_waitcnt lgkmcnt(0)
	v_mov_b32_e32 v1, s33
	s_cbranch_scc1 .LBB594_337
; %bb.336:
	s_mov_b32 s6, 0xcccccccd
	v_mul_hi_u32 v1, v2, s6
	s_mul_hi_u32 s6, s33, 0xcccccccd
	v_lshrrev_b32_e32 v1, 3, v1
	s_lshr_b32 s6, s6, 3
	v_mul_lo_u32 v1, v1, 10
	s_mul_i32 s6, s6, 10
	v_sub_u32_e32 v1, v2, v1
	s_sub_i32 s6, s33, s6
	v_add_u32_e32 v1, s6, v1
	v_subrev_co_u32_e32 v2, vcc, 10, v1
	s_nop 1
	v_cndmask_b32_e32 v1, v2, v1, vcc
.LBB594_337:
	s_or_b64 s[34:35], s[34:35], exec
.LBB594_338:
	s_or_b64 exec, exec, s[4:5]
	s_branch .LBB594_292
.LBB594_339:
	s_cmp_eq_u32 s76, 2
	s_cbranch_scc0 .LBB594_346
; %bb.340:
	s_mov_b32 s3, 0
	s_lshl_b32 s6, s2, 9
	s_mov_b32 s7, s3
	s_lshr_b64 s[8:9], s[70:71], 9
	s_lshl_b64 s[4:5], s[6:7], 2
	s_add_u32 s4, s68, s4
	s_addc_u32 s5, s69, s5
	s_cmp_lg_u64 s[8:9], s[2:3]
	s_cbranch_scc0 .LBB594_347
; %bb.341:
	s_waitcnt lgkmcnt(0)
	v_lshlrev_b32_e32 v1, 2, v0
	global_load_dword v2, v1, s[4:5] offset:1024
	global_load_dword v4, v1, s[4:5]
	s_mov_b32 s7, 0xcccccccd
	v_mbcnt_lo_u32_b32 v1, -1, 0
	v_mbcnt_hi_u32_b32 v1, -1, v1
	v_lshlrev_b32_e32 v3, 2, v1
	s_waitcnt vmcnt(1)
	v_mul_hi_u32 v5, v2, s7
	s_waitcnt vmcnt(0)
	v_mul_hi_u32 v6, v4, s7
	v_lshrrev_b32_e32 v5, 3, v5
	v_lshrrev_b32_e32 v6, 3, v6
	v_mul_lo_u32 v5, v5, 10
	v_mul_lo_u32 v6, v6, 10
	v_sub_u32_e32 v2, v2, v5
	v_sub_u32_e32 v4, v4, v6
	v_add_u32_e32 v2, v2, v4
	v_subrev_co_u32_e32 v4, vcc, 10, v2
	s_nop 1
	v_cndmask_b32_e32 v2, v4, v2, vcc
	v_mul_hi_u32 v5, v2, s7
	v_lshrrev_b32_e32 v5, 3, v5
	v_mov_b32_dpp v4, v2 quad_perm:[1,0,3,2] row_mask:0xf bank_mask:0xf bound_ctrl:1
	v_mul_hi_u32 v6, v4, s7
	v_mul_lo_u32 v5, v5, 10
	v_lshrrev_b32_e32 v6, 3, v6
	v_sub_u32_e32 v2, v2, v5
	v_mul_lo_u32 v5, v6, 10
	v_sub_u32_e32 v4, v4, v5
	v_add_u32_e32 v2, v2, v4
	v_subrev_co_u32_e32 v4, vcc, 10, v2
	s_nop 1
	v_cndmask_b32_e32 v2, v4, v2, vcc
	s_nop 1
	v_mov_b32_dpp v4, v2 quad_perm:[2,3,0,1] row_mask:0xf bank_mask:0xf bound_ctrl:1
	v_mul_hi_u32 v5, v4, s7
	v_lshrrev_b32_e32 v5, 3, v5
	v_mul_lo_u32 v5, v5, 10
	v_sub_u32_e32 v4, v4, v5
	v_add_u32_e32 v2, v2, v4
	v_subrev_co_u32_e32 v4, vcc, 10, v2
	s_nop 1
	v_cndmask_b32_e32 v2, v4, v2, vcc
	v_mul_hi_u32 v5, v2, s7
	v_lshrrev_b32_e32 v5, 3, v5
	v_mov_b32_dpp v4, v2 row_ror:4 row_mask:0xf bank_mask:0xf bound_ctrl:1
	v_mul_hi_u32 v6, v4, s7
	v_mul_lo_u32 v5, v5, 10
	v_lshrrev_b32_e32 v6, 3, v6
	v_sub_u32_e32 v2, v2, v5
	v_mul_lo_u32 v5, v6, 10
	v_sub_u32_e32 v4, v4, v5
	v_add_u32_e32 v2, v2, v4
	v_subrev_co_u32_e32 v4, vcc, 10, v2
	s_nop 1
	v_cndmask_b32_e32 v2, v4, v2, vcc
	v_mul_hi_u32 v5, v2, s7
	v_lshrrev_b32_e32 v5, 3, v5
	v_mov_b32_dpp v4, v2 row_ror:8 row_mask:0xf bank_mask:0xf bound_ctrl:1
	v_mul_hi_u32 v6, v4, s7
	v_mul_lo_u32 v5, v5, 10
	v_lshrrev_b32_e32 v6, 3, v6
	v_sub_u32_e32 v2, v2, v5
	v_mul_lo_u32 v5, v6, 10
	v_sub_u32_e32 v4, v4, v5
	v_add_u32_e32 v2, v2, v4
	v_subrev_co_u32_e32 v4, vcc, 10, v2
	s_nop 1
	v_cndmask_b32_e32 v2, v4, v2, vcc
	v_mul_hi_u32 v5, v2, s7
	v_lshrrev_b32_e32 v5, 3, v5
	v_mov_b32_dpp v4, v2 row_bcast:15 row_mask:0xf bank_mask:0xf bound_ctrl:1
	v_mul_hi_u32 v6, v4, s7
	v_mul_lo_u32 v5, v5, 10
	v_lshrrev_b32_e32 v6, 3, v6
	v_sub_u32_e32 v2, v2, v5
	v_mul_lo_u32 v5, v6, 10
	v_sub_u32_e32 v4, v4, v5
	v_add_u32_e32 v2, v2, v4
	v_subrev_co_u32_e32 v4, vcc, 10, v2
	s_nop 1
	v_cndmask_b32_e32 v2, v4, v2, vcc
	v_mul_hi_u32 v5, v2, s7
	v_lshrrev_b32_e32 v5, 3, v5
	v_mov_b32_dpp v4, v2 row_bcast:31 row_mask:0xf bank_mask:0xf bound_ctrl:1
	v_mul_hi_u32 v6, v4, s7
	v_mul_lo_u32 v5, v5, 10
	v_lshrrev_b32_e32 v6, 3, v6
	v_sub_u32_e32 v2, v2, v5
	v_mul_lo_u32 v5, v6, 10
	v_sub_u32_e32 v4, v4, v5
	v_add_u32_e32 v2, v2, v4
	v_subrev_co_u32_e32 v4, vcc, 10, v2
	s_nop 1
	v_cndmask_b32_e32 v2, v4, v2, vcc
	v_or_b32_e32 v4, 0xfc, v3
	ds_bpermute_b32 v2, v4, v2
	v_cmp_eq_u32_e32 vcc, 0, v1
	s_and_saveexec_b64 s[8:9], vcc
	s_cbranch_execz .LBB594_343
; %bb.342:
	v_lshrrev_b32_e32 v4, 4, v0
	v_and_b32_e32 v4, 12, v4
	s_waitcnt lgkmcnt(0)
	ds_write_b32 v4, v2 offset:48
.LBB594_343:
	s_or_b64 exec, exec, s[8:9]
	v_cmp_gt_u32_e32 vcc, 64, v0
	s_waitcnt lgkmcnt(0)
	s_barrier
	s_and_saveexec_b64 s[8:9], vcc
	s_cbranch_execz .LBB594_345
; %bb.344:
	v_and_b32_e32 v2, 3, v1
	v_lshlrev_b32_e32 v4, 2, v2
	ds_read_b32 v4, v4 offset:48
	v_cmp_ne_u32_e32 vcc, 3, v2
	s_waitcnt lgkmcnt(0)
	v_mul_hi_u32 v2, v4, s7
	v_addc_co_u32_e32 v1, vcc, 0, v1, vcc
	v_lshlrev_b32_e32 v1, 2, v1
	ds_bpermute_b32 v1, v1, v4
	v_lshrrev_b32_e32 v2, 3, v2
	v_mul_lo_u32 v2, v2, 10
	v_sub_u32_e32 v2, v4, v2
	s_waitcnt lgkmcnt(0)
	v_mul_hi_u32 v5, v1, s7
	v_lshrrev_b32_e32 v5, 3, v5
	v_mul_lo_u32 v5, v5, 10
	v_sub_u32_e32 v1, v1, v5
	v_add_u32_e32 v1, v1, v2
	v_subrev_co_u32_e32 v2, vcc, 10, v1
	s_nop 1
	v_cndmask_b32_e32 v1, v2, v1, vcc
	v_or_b32_e32 v2, 8, v3
	ds_bpermute_b32 v2, v2, v1
	s_waitcnt lgkmcnt(0)
	v_mul_hi_u32 v3, v2, s7
	v_lshrrev_b32_e32 v3, 3, v3
	v_mul_lo_u32 v3, v3, 10
	v_sub_u32_e32 v2, v2, v3
	v_add_u32_e32 v1, v1, v2
	v_subrev_co_u32_e32 v2, vcc, 10, v1
	s_nop 1
	v_cndmask_b32_e32 v2, v2, v1, vcc
.LBB594_345:
	s_or_b64 exec, exec, s[8:9]
	s_mov_b64 s[8:9], 0
	s_branch .LBB594_348
.LBB594_346:
                                        ; implicit-def: $vgpr1
	s_branch .LBB594_389
.LBB594_347:
	s_mov_b64 s[8:9], -1
                                        ; implicit-def: $vgpr2
.LBB594_348:
	s_and_b64 vcc, exec, s[8:9]
	s_cbranch_vccz .LBB594_376
; %bb.349:
	s_sub_i32 s8, s70, s6
	v_mov_b32_e32 v2, 0
	v_cmp_gt_u32_e32 vcc, s8, v0
	v_mov_b32_e32 v3, v2
	s_and_saveexec_b64 s[6:7], vcc
	s_cbranch_execz .LBB594_351
; %bb.350:
	s_waitcnt lgkmcnt(0)
	v_lshlrev_b32_e32 v1, 2, v0
	global_load_dword v4, v1, s[4:5]
	v_mov_b32_e32 v5, v2
	s_waitcnt vmcnt(0)
	v_mov_b64_e32 v[2:3], v[4:5]
.LBB594_351:
	s_or_b64 exec, exec, s[6:7]
	s_waitcnt lgkmcnt(0)
	v_or_b32_e32 v1, 0x100, v0
	v_cmp_gt_u32_e32 vcc, s8, v1
	s_and_saveexec_b64 s[6:7], vcc
	s_cbranch_execz .LBB594_353
; %bb.352:
	v_lshlrev_b32_e32 v1, 2, v0
	global_load_dword v3, v1, s[4:5] offset:1024
.LBB594_353:
	s_or_b64 exec, exec, s[6:7]
	s_and_saveexec_b64 s[4:5], vcc
	s_cbranch_execz .LBB594_355
; %bb.354:
	s_mov_b32 s6, 0xcccccccd
	s_waitcnt vmcnt(0)
	v_mul_hi_u32 v1, v3, s6
	v_lshrrev_b32_e32 v1, 3, v1
	v_mul_lo_u32 v1, v1, 10
	v_sub_u32_e32 v1, v3, v1
	v_mul_hi_u32 v3, v2, s6
	v_lshrrev_b32_e32 v3, 3, v3
	v_mul_lo_u32 v3, v3, 10
	v_sub_u32_e32 v2, v2, v3
	v_add_u32_e32 v1, v2, v1
	v_subrev_co_u32_e32 v2, vcc, 10, v1
	s_nop 1
	v_cndmask_b32_e32 v2, v2, v1, vcc
.LBB594_355:
	s_or_b64 exec, exec, s[4:5]
	v_mbcnt_lo_u32_b32 v1, -1, 0
	v_mbcnt_hi_u32_b32 v1, -1, v1
	s_waitcnt vmcnt(0)
	v_and_b32_e32 v3, 63, v1
	v_cmp_ne_u32_e32 vcc, 63, v3
	s_min_u32 s6, s8, 0x100
	v_add_u32_e32 v6, 1, v3
	v_addc_co_u32_e32 v4, vcc, 0, v1, vcc
	v_lshlrev_b32_e32 v4, 2, v4
	ds_bpermute_b32 v5, v4, v2
	v_and_b32_e32 v4, 0xc0, v0
	v_sub_u32_e64 v4, s6, v4 clamp
	v_cmp_lt_u32_e32 vcc, v6, v4
	s_and_saveexec_b64 s[4:5], vcc
	s_xor_b64 s[4:5], exec, s[4:5]
	s_cbranch_execz .LBB594_357
; %bb.356:
	s_mov_b32 s7, 0xcccccccd
	s_waitcnt lgkmcnt(0)
	v_mul_hi_u32 v6, v5, s7
	v_lshrrev_b32_e32 v6, 3, v6
	v_mul_lo_u32 v6, v6, 10
	v_sub_u32_e32 v5, v5, v6
	v_mul_hi_u32 v6, v2, s7
	v_lshrrev_b32_e32 v6, 3, v6
	v_mul_lo_u32 v6, v6, 10
	v_sub_u32_e32 v2, v2, v6
	v_add_u32_e32 v2, v5, v2
	v_subrev_co_u32_e32 v5, vcc, 10, v2
	s_nop 1
	v_cndmask_b32_e32 v2, v5, v2, vcc
.LBB594_357:
	s_or_b64 exec, exec, s[4:5]
	v_cmp_gt_u32_e32 vcc, 62, v3
	v_add_u32_e32 v6, 2, v3
	s_waitcnt lgkmcnt(0)
	v_cndmask_b32_e64 v5, 0, 2, vcc
	v_add_lshl_u32 v5, v5, v1, 2
	ds_bpermute_b32 v5, v5, v2
	v_cmp_lt_u32_e32 vcc, v6, v4
	s_and_saveexec_b64 s[4:5], vcc
	s_cbranch_execz .LBB594_359
; %bb.358:
	s_mov_b32 s7, 0xcccccccd
	s_waitcnt lgkmcnt(0)
	v_mul_hi_u32 v6, v5, s7
	v_lshrrev_b32_e32 v6, 3, v6
	v_mul_lo_u32 v6, v6, 10
	v_sub_u32_e32 v5, v5, v6
	v_mul_hi_u32 v6, v2, s7
	v_lshrrev_b32_e32 v6, 3, v6
	v_mul_lo_u32 v6, v6, 10
	v_sub_u32_e32 v2, v2, v6
	v_add_u32_e32 v2, v5, v2
	v_subrev_co_u32_e32 v5, vcc, 10, v2
	s_nop 1
	v_cndmask_b32_e32 v2, v5, v2, vcc
.LBB594_359:
	s_or_b64 exec, exec, s[4:5]
	v_cmp_gt_u32_e32 vcc, 60, v3
	v_add_u32_e32 v6, 4, v3
	s_waitcnt lgkmcnt(0)
	v_cndmask_b32_e64 v5, 0, 4, vcc
	v_add_lshl_u32 v5, v5, v1, 2
	ds_bpermute_b32 v5, v5, v2
	v_cmp_lt_u32_e32 vcc, v6, v4
	s_and_saveexec_b64 s[4:5], vcc
	;; [unrolled: 26-line block ×4, first 2 shown]
	s_cbranch_execz .LBB594_365
; %bb.364:
	s_mov_b32 s7, 0xcccccccd
	s_waitcnt lgkmcnt(0)
	v_mul_hi_u32 v6, v5, s7
	v_lshrrev_b32_e32 v6, 3, v6
	v_mul_lo_u32 v6, v6, 10
	v_sub_u32_e32 v5, v5, v6
	v_mul_hi_u32 v6, v2, s7
	v_lshrrev_b32_e32 v6, 3, v6
	v_mul_lo_u32 v6, v6, 10
	v_sub_u32_e32 v2, v2, v6
	v_add_u32_e32 v2, v5, v2
	v_subrev_co_u32_e32 v5, vcc, 10, v2
	s_nop 1
	v_cndmask_b32_e32 v2, v5, v2, vcc
.LBB594_365:
	s_or_b64 exec, exec, s[4:5]
	s_waitcnt lgkmcnt(0)
	v_lshlrev_b32_e32 v5, 2, v1
	v_or_b32_e32 v6, 0x80, v5
	ds_bpermute_b32 v6, v6, v2
	v_add_u32_e32 v3, 32, v3
	v_cmp_lt_u32_e32 vcc, v3, v4
	s_and_saveexec_b64 s[4:5], vcc
	s_cbranch_execz .LBB594_367
; %bb.366:
	s_mov_b32 s7, 0xcccccccd
	s_waitcnt lgkmcnt(0)
	v_mul_hi_u32 v3, v6, s7
	v_mul_hi_u32 v4, v2, s7
	v_lshrrev_b32_e32 v3, 3, v3
	v_lshrrev_b32_e32 v4, 3, v4
	v_mul_lo_u32 v3, v3, 10
	v_mul_lo_u32 v4, v4, 10
	v_sub_u32_e32 v3, v6, v3
	v_sub_u32_e32 v2, v2, v4
	v_add_u32_e32 v2, v3, v2
	v_subrev_co_u32_e32 v3, vcc, 10, v2
	s_nop 1
	v_cndmask_b32_e32 v2, v3, v2, vcc
.LBB594_367:
	s_or_b64 exec, exec, s[4:5]
	v_cmp_eq_u32_e32 vcc, 0, v1
	s_and_saveexec_b64 s[4:5], vcc
; %bb.368:
	v_lshrrev_b32_e32 v3, 4, v0
	v_and_b32_e32 v3, 12, v3
	ds_write_b32 v3, v2
; %bb.369:
	s_or_b64 exec, exec, s[4:5]
	v_cmp_gt_u32_e32 vcc, 4, v0
	s_waitcnt lgkmcnt(0)
	s_barrier
	s_and_saveexec_b64 s[4:5], vcc
	s_cbranch_execz .LBB594_375
; %bb.370:
	ds_read_b32 v2, v5
	v_and_b32_e32 v3, 3, v1
	v_cmp_ne_u32_e32 vcc, 3, v3
	s_add_i32 s6, s6, 63
	s_lshr_b32 s8, s6, 6
	v_addc_co_u32_e32 v1, vcc, 0, v1, vcc
	v_lshlrev_b32_e32 v1, 2, v1
	s_waitcnt lgkmcnt(0)
	ds_bpermute_b32 v1, v1, v2
	v_add_u32_e32 v4, 1, v3
	v_cmp_gt_u32_e32 vcc, s8, v4
	s_and_saveexec_b64 s[6:7], vcc
	s_cbranch_execz .LBB594_372
; %bb.371:
	s_mov_b32 s9, 0xcccccccd
	s_waitcnt lgkmcnt(0)
	v_mul_hi_u32 v4, v1, s9
	v_lshrrev_b32_e32 v4, 3, v4
	v_mul_lo_u32 v4, v4, 10
	v_sub_u32_e32 v1, v1, v4
	v_mul_hi_u32 v4, v2, s9
	v_lshrrev_b32_e32 v4, 3, v4
	v_mul_lo_u32 v4, v4, 10
	v_sub_u32_e32 v2, v2, v4
	v_add_u32_e32 v1, v1, v2
	v_subrev_co_u32_e32 v2, vcc, 10, v1
	s_nop 1
	v_cndmask_b32_e32 v2, v2, v1, vcc
.LBB594_372:
	s_or_b64 exec, exec, s[6:7]
	s_waitcnt lgkmcnt(0)
	v_or_b32_e32 v1, 8, v5
	ds_bpermute_b32 v1, v1, v2
	v_add_u32_e32 v3, 2, v3
	v_cmp_gt_u32_e32 vcc, s8, v3
	s_and_saveexec_b64 s[6:7], vcc
	s_cbranch_execz .LBB594_374
; %bb.373:
	s_mov_b32 s8, 0xcccccccd
	s_waitcnt lgkmcnt(0)
	v_mul_hi_u32 v3, v1, s8
	v_lshrrev_b32_e32 v3, 3, v3
	v_mul_lo_u32 v3, v3, 10
	v_sub_u32_e32 v1, v1, v3
	v_mul_hi_u32 v3, v2, s8
	v_lshrrev_b32_e32 v3, 3, v3
	v_mul_lo_u32 v3, v3, 10
	v_sub_u32_e32 v2, v2, v3
	v_add_u32_e32 v1, v1, v2
	v_subrev_co_u32_e32 v2, vcc, 10, v1
	s_nop 1
	v_cndmask_b32_e32 v2, v2, v1, vcc
.LBB594_374:
	s_or_b64 exec, exec, s[6:7]
.LBB594_375:
	s_or_b64 exec, exec, s[4:5]
.LBB594_376:
	v_cmp_eq_u32_e32 vcc, 0, v0
                                        ; implicit-def: $vgpr1
	s_and_saveexec_b64 s[4:5], vcc
	s_xor_b64 s[4:5], exec, s[4:5]
	s_cbranch_execz .LBB594_380
; %bb.377:
	s_cmp_eq_u64 s[70:71], 0
	s_waitcnt lgkmcnt(0)
	v_mov_b32_e32 v1, s33
	s_cbranch_scc1 .LBB594_379
; %bb.378:
	s_mov_b32 s6, 0xcccccccd
	v_mul_hi_u32 v1, v2, s6
	s_mul_hi_u32 s6, s33, 0xcccccccd
	v_lshrrev_b32_e32 v1, 3, v1
	s_lshr_b32 s6, s6, 3
	v_mul_lo_u32 v1, v1, 10
	s_mul_i32 s6, s6, 10
	v_sub_u32_e32 v1, v2, v1
	s_sub_i32 s6, s33, s6
	v_add_u32_e32 v1, s6, v1
	v_subrev_co_u32_e32 v2, vcc, 10, v1
	s_nop 1
	v_cndmask_b32_e32 v1, v2, v1, vcc
.LBB594_379:
	s_or_b64 s[34:35], s[34:35], exec
.LBB594_380:
	s_or_b64 exec, exec, s[4:5]
	s_branch .LBB594_389
.LBB594_381:
	s_cmp_eq_u32 s76, 1
	s_cbranch_scc0 .LBB594_388
; %bb.382:
	s_mov_b32 s5, 0
	s_lshl_b32 s4, s2, 8
	s_mov_b32 s3, s5
	s_lshr_b64 s[6:7], s[70:71], 8
	s_cmp_lg_u64 s[6:7], s[2:3]
	s_waitcnt lgkmcnt(0)
	v_mbcnt_lo_u32_b32 v1, -1, 0
	s_cbranch_scc0 .LBB594_392
; %bb.383:
	s_lshl_b64 s[6:7], s[4:5], 2
	s_add_u32 s6, s68, s6
	s_addc_u32 s7, s69, s7
	v_lshlrev_b32_e32 v2, 2, v0
	global_load_dword v2, v2, s[6:7]
	s_mov_b32 s6, 0xcccccccd
	v_mbcnt_hi_u32_b32 v3, -1, v1
	v_lshlrev_b32_e32 v4, 2, v3
	s_waitcnt vmcnt(0)
	v_mov_b32_dpp v5, v2 quad_perm:[1,0,3,2] row_mask:0xf bank_mask:0xf bound_ctrl:1
	v_mul_hi_u32 v6, v2, s6
	v_lshrrev_b32_e32 v6, 3, v6
	v_mul_hi_u32 v7, v5, s6
	v_mul_lo_u32 v6, v6, 10
	v_lshrrev_b32_e32 v7, 3, v7
	v_sub_u32_e32 v2, v2, v6
	v_mul_lo_u32 v6, v7, 10
	v_sub_u32_e32 v5, v5, v6
	v_add_u32_e32 v2, v5, v2
	v_subrev_co_u32_e32 v5, vcc, 10, v2
	s_nop 1
	v_cndmask_b32_e32 v2, v5, v2, vcc
	s_nop 1
	v_mov_b32_dpp v5, v2 quad_perm:[2,3,0,1] row_mask:0xf bank_mask:0xf bound_ctrl:1
	v_mul_hi_u32 v6, v5, s6
	v_lshrrev_b32_e32 v6, 3, v6
	v_mul_lo_u32 v6, v6, 10
	v_sub_u32_e32 v5, v5, v6
	v_add_u32_e32 v2, v2, v5
	v_subrev_co_u32_e32 v5, vcc, 10, v2
	s_nop 1
	v_cndmask_b32_e32 v2, v5, v2, vcc
	v_mul_hi_u32 v6, v2, s6
	v_lshrrev_b32_e32 v6, 3, v6
	v_mov_b32_dpp v5, v2 row_ror:4 row_mask:0xf bank_mask:0xf bound_ctrl:1
	v_mul_hi_u32 v7, v5, s6
	v_mul_lo_u32 v6, v6, 10
	v_lshrrev_b32_e32 v7, 3, v7
	v_sub_u32_e32 v2, v2, v6
	v_mul_lo_u32 v6, v7, 10
	v_sub_u32_e32 v5, v5, v6
	v_add_u32_e32 v2, v2, v5
	v_subrev_co_u32_e32 v5, vcc, 10, v2
	s_nop 1
	v_cndmask_b32_e32 v2, v5, v2, vcc
	v_mul_hi_u32 v6, v2, s6
	v_lshrrev_b32_e32 v6, 3, v6
	v_mov_b32_dpp v5, v2 row_ror:8 row_mask:0xf bank_mask:0xf bound_ctrl:1
	v_mul_hi_u32 v7, v5, s6
	v_mul_lo_u32 v6, v6, 10
	v_lshrrev_b32_e32 v7, 3, v7
	v_sub_u32_e32 v2, v2, v6
	v_mul_lo_u32 v6, v7, 10
	v_sub_u32_e32 v5, v5, v6
	v_add_u32_e32 v2, v2, v5
	v_subrev_co_u32_e32 v5, vcc, 10, v2
	s_nop 1
	v_cndmask_b32_e32 v2, v5, v2, vcc
	v_mul_hi_u32 v6, v2, s6
	v_lshrrev_b32_e32 v6, 3, v6
	v_mov_b32_dpp v5, v2 row_bcast:15 row_mask:0xf bank_mask:0xf bound_ctrl:1
	v_mul_hi_u32 v7, v5, s6
	v_mul_lo_u32 v6, v6, 10
	v_lshrrev_b32_e32 v7, 3, v7
	v_sub_u32_e32 v2, v2, v6
	v_mul_lo_u32 v6, v7, 10
	v_sub_u32_e32 v5, v5, v6
	v_add_u32_e32 v2, v2, v5
	v_subrev_co_u32_e32 v5, vcc, 10, v2
	s_nop 1
	v_cndmask_b32_e32 v2, v5, v2, vcc
	v_mul_hi_u32 v6, v2, s6
	v_lshrrev_b32_e32 v6, 3, v6
	v_mov_b32_dpp v5, v2 row_bcast:31 row_mask:0xf bank_mask:0xf bound_ctrl:1
	v_mul_hi_u32 v7, v5, s6
	v_mul_lo_u32 v6, v6, 10
	v_lshrrev_b32_e32 v7, 3, v7
	v_sub_u32_e32 v2, v2, v6
	v_mul_lo_u32 v6, v7, 10
	v_sub_u32_e32 v5, v5, v6
	v_add_u32_e32 v2, v2, v5
	v_subrev_co_u32_e32 v5, vcc, 10, v2
	s_nop 1
	v_cndmask_b32_e32 v2, v5, v2, vcc
	v_or_b32_e32 v5, 0xfc, v4
	ds_bpermute_b32 v2, v5, v2
	v_cmp_eq_u32_e32 vcc, 0, v3
	s_and_saveexec_b64 s[6:7], vcc
	s_cbranch_execz .LBB594_385
; %bb.384:
	v_lshrrev_b32_e32 v5, 4, v0
	v_and_b32_e32 v5, 12, v5
	s_waitcnt lgkmcnt(0)
	ds_write_b32 v5, v2 offset:32
.LBB594_385:
	s_or_b64 exec, exec, s[6:7]
	v_cmp_gt_u32_e32 vcc, 64, v0
	s_waitcnt lgkmcnt(0)
	s_barrier
	s_and_saveexec_b64 s[6:7], vcc
	s_cbranch_execz .LBB594_387
; %bb.386:
	v_and_b32_e32 v2, 3, v3
	v_lshlrev_b32_e32 v5, 2, v2
	ds_read_b32 v5, v5 offset:32
	v_cmp_ne_u32_e32 vcc, 3, v2
	s_mov_b32 s8, 0xcccccccd
	s_nop 0
	v_addc_co_u32_e32 v2, vcc, 0, v3, vcc
	v_lshlrev_b32_e32 v2, 2, v2
	s_waitcnt lgkmcnt(0)
	ds_bpermute_b32 v2, v2, v5
	v_mul_hi_u32 v3, v5, s8
	v_lshrrev_b32_e32 v3, 3, v3
	v_mul_lo_u32 v3, v3, 10
	v_sub_u32_e32 v3, v5, v3
	s_waitcnt lgkmcnt(0)
	v_mul_hi_u32 v6, v2, s8
	v_lshrrev_b32_e32 v6, 3, v6
	v_mul_lo_u32 v6, v6, 10
	v_sub_u32_e32 v2, v2, v6
	v_add_u32_e32 v2, v2, v3
	v_subrev_co_u32_e32 v3, vcc, 10, v2
	s_nop 1
	v_cndmask_b32_e32 v2, v3, v2, vcc
	v_or_b32_e32 v3, 8, v4
	ds_bpermute_b32 v3, v3, v2
	s_waitcnt lgkmcnt(0)
	v_mul_hi_u32 v4, v3, s8
	v_lshrrev_b32_e32 v4, 3, v4
	v_mul_lo_u32 v4, v4, 10
	v_sub_u32_e32 v3, v3, v4
	v_add_u32_e32 v2, v2, v3
	v_subrev_co_u32_e32 v3, vcc, 10, v2
	s_nop 1
	v_cndmask_b32_e32 v2, v3, v2, vcc
.LBB594_387:
	s_or_b64 exec, exec, s[6:7]
	s_branch .LBB594_416
.LBB594_388:
                                        ; implicit-def: $vgpr1
                                        ; implicit-def: $sgpr2_sgpr3
.LBB594_389:
	s_and_saveexec_b64 s[4:5], s[34:35]
	s_cbranch_execz .LBB594_391
.LBB594_390:
	s_load_dwordx2 s[0:1], s[0:1], 0x18
	s_lshl_b64 s[2:3], s[2:3], 2
	v_mov_b32_e32 v0, 0
	s_waitcnt lgkmcnt(0)
	s_add_u32 s0, s0, s2
	s_addc_u32 s1, s1, s3
	global_store_dword v0, v1, s[0:1]
.LBB594_391:
	s_endpgm
.LBB594_392:
                                        ; implicit-def: $vgpr2
	s_cbranch_execz .LBB594_416
; %bb.393:
	s_sub_i32 s8, s70, s4
	v_cmp_gt_u32_e32 vcc, s8, v0
                                        ; implicit-def: $vgpr2
	s_and_saveexec_b64 s[6:7], vcc
	s_cbranch_execz .LBB594_395
; %bb.394:
	s_lshl_b64 s[4:5], s[4:5], 2
	s_add_u32 s4, s68, s4
	s_addc_u32 s5, s69, s5
	v_lshlrev_b32_e32 v2, 2, v0
	global_load_dword v2, v2, s[4:5]
.LBB594_395:
	s_or_b64 exec, exec, s[6:7]
	v_mbcnt_hi_u32_b32 v1, -1, v1
	v_and_b32_e32 v3, 63, v1
	v_cmp_ne_u32_e32 vcc, 63, v3
	s_min_u32 s6, s8, 0x100
	v_add_u32_e32 v6, 1, v3
	v_addc_co_u32_e32 v4, vcc, 0, v1, vcc
	v_lshlrev_b32_e32 v4, 2, v4
	s_waitcnt vmcnt(0)
	ds_bpermute_b32 v5, v4, v2
	v_and_b32_e32 v4, 0xc0, v0
	v_sub_u32_e64 v4, s6, v4 clamp
	v_cmp_lt_u32_e32 vcc, v6, v4
	s_and_saveexec_b64 s[4:5], vcc
	s_cbranch_execz .LBB594_397
; %bb.396:
	s_mov_b32 s7, 0xcccccccd
	s_waitcnt lgkmcnt(0)
	v_mul_hi_u32 v6, v5, s7
	v_lshrrev_b32_e32 v6, 3, v6
	v_mul_lo_u32 v6, v6, 10
	v_sub_u32_e32 v5, v5, v6
	v_mul_hi_u32 v6, v2, s7
	v_lshrrev_b32_e32 v6, 3, v6
	v_mul_lo_u32 v6, v6, 10
	v_sub_u32_e32 v2, v2, v6
	v_add_u32_e32 v2, v5, v2
	v_subrev_co_u32_e32 v5, vcc, 10, v2
	s_nop 1
	v_cndmask_b32_e32 v2, v5, v2, vcc
.LBB594_397:
	s_or_b64 exec, exec, s[4:5]
	v_cmp_gt_u32_e32 vcc, 62, v3
	v_add_u32_e32 v6, 2, v3
	s_waitcnt lgkmcnt(0)
	v_cndmask_b32_e64 v5, 0, 2, vcc
	v_add_lshl_u32 v5, v5, v1, 2
	ds_bpermute_b32 v5, v5, v2
	v_cmp_lt_u32_e32 vcc, v6, v4
	s_and_saveexec_b64 s[4:5], vcc
	s_cbranch_execz .LBB594_399
; %bb.398:
	s_mov_b32 s7, 0xcccccccd
	s_waitcnt lgkmcnt(0)
	v_mul_hi_u32 v6, v5, s7
	v_lshrrev_b32_e32 v6, 3, v6
	v_mul_lo_u32 v6, v6, 10
	v_sub_u32_e32 v5, v5, v6
	v_mul_hi_u32 v6, v2, s7
	v_lshrrev_b32_e32 v6, 3, v6
	v_mul_lo_u32 v6, v6, 10
	v_sub_u32_e32 v2, v2, v6
	v_add_u32_e32 v2, v5, v2
	v_subrev_co_u32_e32 v5, vcc, 10, v2
	s_nop 1
	v_cndmask_b32_e32 v2, v5, v2, vcc
.LBB594_399:
	s_or_b64 exec, exec, s[4:5]
	v_cmp_gt_u32_e32 vcc, 60, v3
	v_add_u32_e32 v6, 4, v3
	s_waitcnt lgkmcnt(0)
	v_cndmask_b32_e64 v5, 0, 4, vcc
	v_add_lshl_u32 v5, v5, v1, 2
	ds_bpermute_b32 v5, v5, v2
	;; [unrolled: 26-line block ×4, first 2 shown]
	v_cmp_lt_u32_e32 vcc, v6, v4
	s_and_saveexec_b64 s[4:5], vcc
	s_cbranch_execz .LBB594_405
; %bb.404:
	s_mov_b32 s7, 0xcccccccd
	s_waitcnt lgkmcnt(0)
	v_mul_hi_u32 v6, v5, s7
	v_lshrrev_b32_e32 v6, 3, v6
	v_mul_lo_u32 v6, v6, 10
	v_sub_u32_e32 v5, v5, v6
	v_mul_hi_u32 v6, v2, s7
	v_lshrrev_b32_e32 v6, 3, v6
	v_mul_lo_u32 v6, v6, 10
	v_sub_u32_e32 v2, v2, v6
	v_add_u32_e32 v2, v5, v2
	v_subrev_co_u32_e32 v5, vcc, 10, v2
	s_nop 1
	v_cndmask_b32_e32 v2, v5, v2, vcc
.LBB594_405:
	s_or_b64 exec, exec, s[4:5]
	s_waitcnt lgkmcnt(0)
	v_lshlrev_b32_e32 v5, 2, v1
	v_or_b32_e32 v6, 0x80, v5
	ds_bpermute_b32 v6, v6, v2
	v_add_u32_e32 v3, 32, v3
	v_cmp_lt_u32_e32 vcc, v3, v4
	s_and_saveexec_b64 s[4:5], vcc
	s_cbranch_execz .LBB594_407
; %bb.406:
	s_mov_b32 s7, 0xcccccccd
	s_waitcnt lgkmcnt(0)
	v_mul_hi_u32 v3, v6, s7
	v_mul_hi_u32 v4, v2, s7
	v_lshrrev_b32_e32 v3, 3, v3
	v_lshrrev_b32_e32 v4, 3, v4
	v_mul_lo_u32 v3, v3, 10
	v_mul_lo_u32 v4, v4, 10
	v_sub_u32_e32 v3, v6, v3
	v_sub_u32_e32 v2, v2, v4
	v_add_u32_e32 v2, v3, v2
	v_subrev_co_u32_e32 v3, vcc, 10, v2
	s_nop 1
	v_cndmask_b32_e32 v2, v3, v2, vcc
.LBB594_407:
	s_or_b64 exec, exec, s[4:5]
	v_cmp_eq_u32_e32 vcc, 0, v1
	s_and_saveexec_b64 s[4:5], vcc
; %bb.408:
	v_lshrrev_b32_e32 v3, 4, v0
	v_and_b32_e32 v3, 12, v3
	ds_write_b32 v3, v2
; %bb.409:
	s_or_b64 exec, exec, s[4:5]
	v_cmp_gt_u32_e32 vcc, 4, v0
	s_waitcnt lgkmcnt(0)
	s_barrier
	s_and_saveexec_b64 s[4:5], vcc
	s_cbranch_execz .LBB594_415
; %bb.410:
	ds_read_b32 v2, v5
	v_and_b32_e32 v3, 3, v1
	v_cmp_ne_u32_e32 vcc, 3, v3
	s_add_i32 s6, s6, 63
	s_lshr_b32 s8, s6, 6
	v_addc_co_u32_e32 v1, vcc, 0, v1, vcc
	v_lshlrev_b32_e32 v1, 2, v1
	s_waitcnt lgkmcnt(0)
	ds_bpermute_b32 v1, v1, v2
	v_add_u32_e32 v4, 1, v3
	v_cmp_gt_u32_e32 vcc, s8, v4
	s_and_saveexec_b64 s[6:7], vcc
	s_cbranch_execz .LBB594_412
; %bb.411:
	s_mov_b32 s9, 0xcccccccd
	s_waitcnt lgkmcnt(0)
	v_mul_hi_u32 v4, v1, s9
	v_lshrrev_b32_e32 v4, 3, v4
	v_mul_lo_u32 v4, v4, 10
	v_sub_u32_e32 v1, v1, v4
	v_mul_hi_u32 v4, v2, s9
	v_lshrrev_b32_e32 v4, 3, v4
	v_mul_lo_u32 v4, v4, 10
	v_sub_u32_e32 v2, v2, v4
	v_add_u32_e32 v1, v1, v2
	v_subrev_co_u32_e32 v2, vcc, 10, v1
	s_nop 1
	v_cndmask_b32_e32 v2, v2, v1, vcc
.LBB594_412:
	s_or_b64 exec, exec, s[6:7]
	s_waitcnt lgkmcnt(0)
	v_or_b32_e32 v1, 8, v5
	ds_bpermute_b32 v1, v1, v2
	v_add_u32_e32 v3, 2, v3
	v_cmp_gt_u32_e32 vcc, s8, v3
	s_and_saveexec_b64 s[6:7], vcc
	s_cbranch_execz .LBB594_414
; %bb.413:
	s_mov_b32 s8, 0xcccccccd
	s_waitcnt lgkmcnt(0)
	v_mul_hi_u32 v3, v1, s8
	v_lshrrev_b32_e32 v3, 3, v3
	v_mul_lo_u32 v3, v3, 10
	v_sub_u32_e32 v1, v1, v3
	v_mul_hi_u32 v3, v2, s8
	v_lshrrev_b32_e32 v3, 3, v3
	v_mul_lo_u32 v3, v3, 10
	v_sub_u32_e32 v2, v2, v3
	v_add_u32_e32 v1, v1, v2
	v_subrev_co_u32_e32 v2, vcc, 10, v1
	s_nop 1
	v_cndmask_b32_e32 v2, v2, v1, vcc
.LBB594_414:
	s_or_b64 exec, exec, s[6:7]
.LBB594_415:
	s_or_b64 exec, exec, s[4:5]
.LBB594_416:
	v_cmp_eq_u32_e32 vcc, 0, v0
                                        ; implicit-def: $vgpr1
	s_and_saveexec_b64 s[4:5], vcc
	s_cbranch_execz .LBB594_420
; %bb.417:
	s_cmp_eq_u64 s[70:71], 0
	s_waitcnt lgkmcnt(0)
	v_mov_b32_e32 v1, s33
	s_cbranch_scc1 .LBB594_419
; %bb.418:
	s_mov_b32 s6, 0xcccccccd
	v_mul_hi_u32 v0, v2, s6
	s_mul_hi_u32 s6, s33, 0xcccccccd
	v_lshrrev_b32_e32 v0, 3, v0
	s_lshr_b32 s6, s6, 3
	v_mul_lo_u32 v0, v0, 10
	s_mul_i32 s6, s6, 10
	v_sub_u32_e32 v0, v2, v0
	s_sub_i32 s6, s33, s6
	v_add_u32_e32 v0, s6, v0
	v_subrev_co_u32_e32 v1, vcc, 10, v0
	s_nop 1
	v_cndmask_b32_e32 v1, v1, v0, vcc
.LBB594_419:
	s_or_b64 s[34:35], s[34:35], exec
.LBB594_420:
	s_or_b64 exec, exec, s[4:5]
	s_and_saveexec_b64 s[4:5], s[34:35]
	s_cbranch_execnz .LBB594_390
	s_branch .LBB594_391
.LBB594_421:
	v_lshlrev_b32_e32 v1, 2, v1
	global_load_dword v33, v1, s[72:73]
	s_or_b64 exec, exec, s[74:75]
	s_and_saveexec_b64 s[72:73], s[64:65]
	s_cbranch_execz .LBB594_88
.LBB594_422:
	s_mov_b32 s64, 0xcccccccd
	s_waitcnt vmcnt(0)
	v_mul_hi_u32 v1, v3, s64
	v_lshrrev_b32_e32 v1, 3, v1
	v_mul_lo_u32 v1, v1, 10
	v_sub_u32_e32 v1, v3, v1
	v_mul_hi_u32 v3, v2, s64
	v_lshrrev_b32_e32 v3, 3, v3
	v_mul_lo_u32 v3, v3, 10
	v_sub_u32_e32 v2, v2, v3
	v_add_u32_e32 v1, v1, v2
	v_subrev_co_u32_e64 v2, s[64:65], 10, v1
	s_nop 1
	v_cndmask_b32_e64 v2, v2, v1, s[64:65]
	s_or_b64 exec, exec, s[72:73]
	s_and_saveexec_b64 s[64:65], s[62:63]
	s_cbranch_execz .LBB594_89
.LBB594_423:
	s_mov_b32 s62, 0xcccccccd
	s_waitcnt vmcnt(0)
	v_mul_hi_u32 v1, v4, s62
	v_mul_hi_u32 v3, v2, s62
	v_lshrrev_b32_e32 v1, 3, v1
	v_lshrrev_b32_e32 v3, 3, v3
	v_mul_lo_u32 v1, v1, 10
	v_mul_lo_u32 v3, v3, 10
	v_sub_u32_e32 v1, v4, v1
	v_sub_u32_e32 v2, v2, v3
	v_add_u32_e32 v1, v2, v1
	v_subrev_co_u32_e64 v2, s[62:63], 10, v1
	s_nop 1
	v_cndmask_b32_e64 v2, v2, v1, s[62:63]
	s_or_b64 exec, exec, s[64:65]
	s_and_saveexec_b64 s[62:63], s[60:61]
	s_cbranch_execz .LBB594_90
.LBB594_424:
	s_mov_b32 s60, 0xcccccccd
	s_waitcnt vmcnt(0)
	v_mul_hi_u32 v1, v5, s60
	v_mul_hi_u32 v3, v2, s60
	v_lshrrev_b32_e32 v1, 3, v1
	v_lshrrev_b32_e32 v3, 3, v3
	v_mul_lo_u32 v1, v1, 10
	v_mul_lo_u32 v3, v3, 10
	v_sub_u32_e32 v1, v5, v1
	v_sub_u32_e32 v2, v2, v3
	v_add_u32_e32 v1, v2, v1
	v_subrev_co_u32_e64 v2, s[60:61], 10, v1
	s_nop 1
	v_cndmask_b32_e64 v2, v2, v1, s[60:61]
	s_or_b64 exec, exec, s[62:63]
	s_and_saveexec_b64 s[60:61], s[58:59]
	s_cbranch_execz .LBB594_91
.LBB594_425:
	s_mov_b32 s58, 0xcccccccd
	s_waitcnt vmcnt(0)
	v_mul_hi_u32 v1, v6, s58
	v_mul_hi_u32 v3, v2, s58
	v_lshrrev_b32_e32 v1, 3, v1
	v_lshrrev_b32_e32 v3, 3, v3
	v_mul_lo_u32 v1, v1, 10
	v_mul_lo_u32 v3, v3, 10
	v_sub_u32_e32 v1, v6, v1
	v_sub_u32_e32 v2, v2, v3
	v_add_u32_e32 v1, v2, v1
	v_subrev_co_u32_e64 v2, s[58:59], 10, v1
	s_nop 1
	v_cndmask_b32_e64 v2, v2, v1, s[58:59]
	s_or_b64 exec, exec, s[60:61]
	s_and_saveexec_b64 s[58:59], s[56:57]
	s_cbranch_execz .LBB594_92
.LBB594_426:
	s_mov_b32 s56, 0xcccccccd
	s_waitcnt vmcnt(0)
	v_mul_hi_u32 v1, v7, s56
	v_mul_hi_u32 v3, v2, s56
	v_lshrrev_b32_e32 v1, 3, v1
	v_lshrrev_b32_e32 v3, 3, v3
	v_mul_lo_u32 v1, v1, 10
	v_mul_lo_u32 v3, v3, 10
	v_sub_u32_e32 v1, v7, v1
	v_sub_u32_e32 v2, v2, v3
	v_add_u32_e32 v1, v2, v1
	v_subrev_co_u32_e64 v2, s[56:57], 10, v1
	s_nop 1
	v_cndmask_b32_e64 v2, v2, v1, s[56:57]
	s_or_b64 exec, exec, s[58:59]
	s_and_saveexec_b64 s[56:57], s[54:55]
	s_cbranch_execz .LBB594_93
.LBB594_427:
	s_mov_b32 s54, 0xcccccccd
	s_waitcnt vmcnt(0)
	v_mul_hi_u32 v1, v8, s54
	v_mul_hi_u32 v3, v2, s54
	v_lshrrev_b32_e32 v1, 3, v1
	v_lshrrev_b32_e32 v3, 3, v3
	v_mul_lo_u32 v1, v1, 10
	v_mul_lo_u32 v3, v3, 10
	v_sub_u32_e32 v1, v8, v1
	v_sub_u32_e32 v2, v2, v3
	v_add_u32_e32 v1, v2, v1
	v_subrev_co_u32_e64 v2, s[54:55], 10, v1
	s_nop 1
	v_cndmask_b32_e64 v2, v2, v1, s[54:55]
	s_or_b64 exec, exec, s[56:57]
	s_and_saveexec_b64 s[54:55], s[52:53]
	s_cbranch_execz .LBB594_94
.LBB594_428:
	s_mov_b32 s52, 0xcccccccd
	s_waitcnt vmcnt(0)
	v_mul_hi_u32 v1, v9, s52
	v_mul_hi_u32 v3, v2, s52
	v_lshrrev_b32_e32 v1, 3, v1
	v_lshrrev_b32_e32 v3, 3, v3
	v_mul_lo_u32 v1, v1, 10
	v_mul_lo_u32 v3, v3, 10
	v_sub_u32_e32 v1, v9, v1
	v_sub_u32_e32 v2, v2, v3
	v_add_u32_e32 v1, v2, v1
	v_subrev_co_u32_e64 v2, s[52:53], 10, v1
	s_nop 1
	v_cndmask_b32_e64 v2, v2, v1, s[52:53]
	s_or_b64 exec, exec, s[54:55]
	s_and_saveexec_b64 s[52:53], s[50:51]
	s_cbranch_execz .LBB594_95
.LBB594_429:
	s_mov_b32 s50, 0xcccccccd
	s_waitcnt vmcnt(0)
	v_mul_hi_u32 v1, v10, s50
	v_mul_hi_u32 v3, v2, s50
	v_lshrrev_b32_e32 v1, 3, v1
	v_lshrrev_b32_e32 v3, 3, v3
	v_mul_lo_u32 v1, v1, 10
	v_mul_lo_u32 v3, v3, 10
	v_sub_u32_e32 v1, v10, v1
	v_sub_u32_e32 v2, v2, v3
	v_add_u32_e32 v1, v2, v1
	v_subrev_co_u32_e64 v2, s[50:51], 10, v1
	s_nop 1
	v_cndmask_b32_e64 v2, v2, v1, s[50:51]
	s_or_b64 exec, exec, s[52:53]
	s_and_saveexec_b64 s[50:51], s[48:49]
	s_cbranch_execz .LBB594_96
.LBB594_430:
	s_mov_b32 s48, 0xcccccccd
	s_waitcnt vmcnt(0)
	v_mul_hi_u32 v1, v11, s48
	v_mul_hi_u32 v3, v2, s48
	v_lshrrev_b32_e32 v1, 3, v1
	v_lshrrev_b32_e32 v3, 3, v3
	v_mul_lo_u32 v1, v1, 10
	v_mul_lo_u32 v3, v3, 10
	v_sub_u32_e32 v1, v11, v1
	v_sub_u32_e32 v2, v2, v3
	v_add_u32_e32 v1, v2, v1
	v_subrev_co_u32_e64 v2, s[48:49], 10, v1
	s_nop 1
	v_cndmask_b32_e64 v2, v2, v1, s[48:49]
	s_or_b64 exec, exec, s[50:51]
	s_and_saveexec_b64 s[48:49], s[46:47]
	s_cbranch_execz .LBB594_97
.LBB594_431:
	s_mov_b32 s46, 0xcccccccd
	s_waitcnt vmcnt(0)
	v_mul_hi_u32 v1, v12, s46
	v_mul_hi_u32 v3, v2, s46
	v_lshrrev_b32_e32 v1, 3, v1
	v_lshrrev_b32_e32 v3, 3, v3
	v_mul_lo_u32 v1, v1, 10
	v_mul_lo_u32 v3, v3, 10
	v_sub_u32_e32 v1, v12, v1
	v_sub_u32_e32 v2, v2, v3
	v_add_u32_e32 v1, v2, v1
	v_subrev_co_u32_e64 v2, s[46:47], 10, v1
	s_nop 1
	v_cndmask_b32_e64 v2, v2, v1, s[46:47]
	s_or_b64 exec, exec, s[48:49]
	s_and_saveexec_b64 s[46:47], s[44:45]
	s_cbranch_execz .LBB594_98
.LBB594_432:
	s_mov_b32 s44, 0xcccccccd
	s_waitcnt vmcnt(0)
	v_mul_hi_u32 v1, v13, s44
	v_mul_hi_u32 v3, v2, s44
	v_lshrrev_b32_e32 v1, 3, v1
	v_lshrrev_b32_e32 v3, 3, v3
	v_mul_lo_u32 v1, v1, 10
	v_mul_lo_u32 v3, v3, 10
	v_sub_u32_e32 v1, v13, v1
	v_sub_u32_e32 v2, v2, v3
	v_add_u32_e32 v1, v2, v1
	v_subrev_co_u32_e64 v2, s[44:45], 10, v1
	s_nop 1
	v_cndmask_b32_e64 v2, v2, v1, s[44:45]
	s_or_b64 exec, exec, s[46:47]
	s_and_saveexec_b64 s[44:45], s[42:43]
	s_cbranch_execz .LBB594_99
.LBB594_433:
	s_mov_b32 s42, 0xcccccccd
	s_waitcnt vmcnt(0)
	v_mul_hi_u32 v1, v14, s42
	v_mul_hi_u32 v3, v2, s42
	v_lshrrev_b32_e32 v1, 3, v1
	v_lshrrev_b32_e32 v3, 3, v3
	v_mul_lo_u32 v1, v1, 10
	v_mul_lo_u32 v3, v3, 10
	v_sub_u32_e32 v1, v14, v1
	v_sub_u32_e32 v2, v2, v3
	v_add_u32_e32 v1, v2, v1
	v_subrev_co_u32_e64 v2, s[42:43], 10, v1
	s_nop 1
	v_cndmask_b32_e64 v2, v2, v1, s[42:43]
	s_or_b64 exec, exec, s[44:45]
	s_and_saveexec_b64 s[42:43], s[40:41]
	s_cbranch_execz .LBB594_100
.LBB594_434:
	s_mov_b32 s40, 0xcccccccd
	s_waitcnt vmcnt(0)
	v_mul_hi_u32 v1, v15, s40
	v_mul_hi_u32 v3, v2, s40
	v_lshrrev_b32_e32 v1, 3, v1
	v_lshrrev_b32_e32 v3, 3, v3
	v_mul_lo_u32 v1, v1, 10
	v_mul_lo_u32 v3, v3, 10
	v_sub_u32_e32 v1, v15, v1
	v_sub_u32_e32 v2, v2, v3
	v_add_u32_e32 v1, v2, v1
	v_subrev_co_u32_e64 v2, s[40:41], 10, v1
	s_nop 1
	v_cndmask_b32_e64 v2, v2, v1, s[40:41]
	s_or_b64 exec, exec, s[42:43]
	s_and_saveexec_b64 s[40:41], s[38:39]
	s_cbranch_execz .LBB594_101
.LBB594_435:
	s_mov_b32 s38, 0xcccccccd
	s_waitcnt vmcnt(0)
	v_mul_hi_u32 v1, v16, s38
	v_mul_hi_u32 v3, v2, s38
	v_lshrrev_b32_e32 v1, 3, v1
	v_lshrrev_b32_e32 v3, 3, v3
	v_mul_lo_u32 v1, v1, 10
	v_mul_lo_u32 v3, v3, 10
	v_sub_u32_e32 v1, v16, v1
	v_sub_u32_e32 v2, v2, v3
	v_add_u32_e32 v1, v2, v1
	v_subrev_co_u32_e64 v2, s[38:39], 10, v1
	s_nop 1
	v_cndmask_b32_e64 v2, v2, v1, s[38:39]
	s_or_b64 exec, exec, s[40:41]
	s_and_saveexec_b64 s[38:39], s[36:37]
	s_cbranch_execz .LBB594_102
.LBB594_436:
	s_mov_b32 s36, 0xcccccccd
	s_waitcnt vmcnt(0)
	v_mul_hi_u32 v1, v17, s36
	v_mul_hi_u32 v3, v2, s36
	v_lshrrev_b32_e32 v1, 3, v1
	v_lshrrev_b32_e32 v3, 3, v3
	v_mul_lo_u32 v1, v1, 10
	v_mul_lo_u32 v3, v3, 10
	v_sub_u32_e32 v1, v17, v1
	v_sub_u32_e32 v2, v2, v3
	v_add_u32_e32 v1, v2, v1
	v_subrev_co_u32_e64 v2, s[36:37], 10, v1
	s_nop 1
	v_cndmask_b32_e64 v2, v2, v1, s[36:37]
	s_or_b64 exec, exec, s[38:39]
	s_and_saveexec_b64 s[36:37], s[34:35]
	s_cbranch_execz .LBB594_103
.LBB594_437:
	s_mov_b32 s34, 0xcccccccd
	s_waitcnt vmcnt(0)
	v_mul_hi_u32 v1, v18, s34
	v_mul_hi_u32 v3, v2, s34
	v_lshrrev_b32_e32 v1, 3, v1
	v_lshrrev_b32_e32 v3, 3, v3
	v_mul_lo_u32 v1, v1, 10
	v_mul_lo_u32 v3, v3, 10
	v_sub_u32_e32 v1, v18, v1
	v_sub_u32_e32 v2, v2, v3
	v_add_u32_e32 v1, v2, v1
	v_subrev_co_u32_e64 v2, s[34:35], 10, v1
	s_nop 1
	v_cndmask_b32_e64 v2, v2, v1, s[34:35]
	s_or_b64 exec, exec, s[36:37]
	s_and_saveexec_b64 s[34:35], s[30:31]
	s_cbranch_execz .LBB594_104
.LBB594_438:
	s_mov_b32 s30, 0xcccccccd
	s_waitcnt vmcnt(0)
	v_mul_hi_u32 v1, v19, s30
	v_mul_hi_u32 v3, v2, s30
	v_lshrrev_b32_e32 v1, 3, v1
	v_lshrrev_b32_e32 v3, 3, v3
	v_mul_lo_u32 v1, v1, 10
	v_mul_lo_u32 v3, v3, 10
	v_sub_u32_e32 v1, v19, v1
	v_sub_u32_e32 v2, v2, v3
	v_add_u32_e32 v1, v2, v1
	v_subrev_co_u32_e64 v2, s[30:31], 10, v1
	s_nop 1
	v_cndmask_b32_e64 v2, v2, v1, s[30:31]
	s_or_b64 exec, exec, s[34:35]
	s_and_saveexec_b64 s[30:31], s[28:29]
	s_cbranch_execz .LBB594_105
.LBB594_439:
	s_mov_b32 s28, 0xcccccccd
	s_waitcnt vmcnt(0)
	v_mul_hi_u32 v1, v20, s28
	v_mul_hi_u32 v3, v2, s28
	v_lshrrev_b32_e32 v1, 3, v1
	v_lshrrev_b32_e32 v3, 3, v3
	v_mul_lo_u32 v1, v1, 10
	v_mul_lo_u32 v3, v3, 10
	v_sub_u32_e32 v1, v20, v1
	v_sub_u32_e32 v2, v2, v3
	v_add_u32_e32 v1, v2, v1
	v_subrev_co_u32_e64 v2, s[28:29], 10, v1
	s_nop 1
	v_cndmask_b32_e64 v2, v2, v1, s[28:29]
	s_or_b64 exec, exec, s[30:31]
	s_and_saveexec_b64 s[28:29], s[26:27]
	s_cbranch_execz .LBB594_106
.LBB594_440:
	s_mov_b32 s26, 0xcccccccd
	s_waitcnt vmcnt(0)
	v_mul_hi_u32 v1, v21, s26
	v_mul_hi_u32 v3, v2, s26
	v_lshrrev_b32_e32 v1, 3, v1
	v_lshrrev_b32_e32 v3, 3, v3
	v_mul_lo_u32 v1, v1, 10
	v_mul_lo_u32 v3, v3, 10
	v_sub_u32_e32 v1, v21, v1
	v_sub_u32_e32 v2, v2, v3
	v_add_u32_e32 v1, v2, v1
	v_subrev_co_u32_e64 v2, s[26:27], 10, v1
	s_nop 1
	v_cndmask_b32_e64 v2, v2, v1, s[26:27]
	s_or_b64 exec, exec, s[28:29]
	s_and_saveexec_b64 s[26:27], s[24:25]
	s_cbranch_execz .LBB594_107
.LBB594_441:
	s_mov_b32 s24, 0xcccccccd
	s_waitcnt vmcnt(0)
	v_mul_hi_u32 v1, v22, s24
	v_mul_hi_u32 v3, v2, s24
	v_lshrrev_b32_e32 v1, 3, v1
	v_lshrrev_b32_e32 v3, 3, v3
	v_mul_lo_u32 v1, v1, 10
	v_mul_lo_u32 v3, v3, 10
	v_sub_u32_e32 v1, v22, v1
	v_sub_u32_e32 v2, v2, v3
	v_add_u32_e32 v1, v2, v1
	v_subrev_co_u32_e64 v2, s[24:25], 10, v1
	s_nop 1
	v_cndmask_b32_e64 v2, v2, v1, s[24:25]
	s_or_b64 exec, exec, s[26:27]
	s_and_saveexec_b64 s[24:25], s[22:23]
	s_cbranch_execz .LBB594_108
.LBB594_442:
	s_mov_b32 s22, 0xcccccccd
	s_waitcnt vmcnt(0)
	v_mul_hi_u32 v1, v23, s22
	v_mul_hi_u32 v3, v2, s22
	v_lshrrev_b32_e32 v1, 3, v1
	v_lshrrev_b32_e32 v3, 3, v3
	v_mul_lo_u32 v1, v1, 10
	v_mul_lo_u32 v3, v3, 10
	v_sub_u32_e32 v1, v23, v1
	v_sub_u32_e32 v2, v2, v3
	v_add_u32_e32 v1, v2, v1
	v_subrev_co_u32_e64 v2, s[22:23], 10, v1
	s_nop 1
	v_cndmask_b32_e64 v2, v2, v1, s[22:23]
	s_or_b64 exec, exec, s[24:25]
	s_and_saveexec_b64 s[22:23], s[20:21]
	s_cbranch_execz .LBB594_109
.LBB594_443:
	s_mov_b32 s20, 0xcccccccd
	s_waitcnt vmcnt(0)
	v_mul_hi_u32 v1, v24, s20
	v_mul_hi_u32 v3, v2, s20
	v_lshrrev_b32_e32 v1, 3, v1
	v_lshrrev_b32_e32 v3, 3, v3
	v_mul_lo_u32 v1, v1, 10
	v_mul_lo_u32 v3, v3, 10
	v_sub_u32_e32 v1, v24, v1
	v_sub_u32_e32 v2, v2, v3
	v_add_u32_e32 v1, v2, v1
	v_subrev_co_u32_e64 v2, s[20:21], 10, v1
	s_nop 1
	v_cndmask_b32_e64 v2, v2, v1, s[20:21]
	s_or_b64 exec, exec, s[22:23]
	s_and_saveexec_b64 s[20:21], s[18:19]
	s_cbranch_execz .LBB594_110
.LBB594_444:
	s_mov_b32 s18, 0xcccccccd
	s_waitcnt vmcnt(0)
	v_mul_hi_u32 v1, v25, s18
	v_mul_hi_u32 v3, v2, s18
	v_lshrrev_b32_e32 v1, 3, v1
	v_lshrrev_b32_e32 v3, 3, v3
	v_mul_lo_u32 v1, v1, 10
	v_mul_lo_u32 v3, v3, 10
	v_sub_u32_e32 v1, v25, v1
	v_sub_u32_e32 v2, v2, v3
	v_add_u32_e32 v1, v2, v1
	v_subrev_co_u32_e64 v2, s[18:19], 10, v1
	s_nop 1
	v_cndmask_b32_e64 v2, v2, v1, s[18:19]
	s_or_b64 exec, exec, s[20:21]
	s_and_saveexec_b64 s[18:19], s[16:17]
	s_cbranch_execz .LBB594_111
.LBB594_445:
	s_mov_b32 s16, 0xcccccccd
	s_waitcnt vmcnt(0)
	v_mul_hi_u32 v1, v26, s16
	v_mul_hi_u32 v3, v2, s16
	v_lshrrev_b32_e32 v1, 3, v1
	v_lshrrev_b32_e32 v3, 3, v3
	v_mul_lo_u32 v1, v1, 10
	v_mul_lo_u32 v3, v3, 10
	v_sub_u32_e32 v1, v26, v1
	v_sub_u32_e32 v2, v2, v3
	v_add_u32_e32 v1, v2, v1
	v_subrev_co_u32_e64 v2, s[16:17], 10, v1
	s_nop 1
	v_cndmask_b32_e64 v2, v2, v1, s[16:17]
	s_or_b64 exec, exec, s[18:19]
	s_and_saveexec_b64 s[16:17], s[14:15]
	s_cbranch_execz .LBB594_112
.LBB594_446:
	s_mov_b32 s14, 0xcccccccd
	s_waitcnt vmcnt(0)
	v_mul_hi_u32 v1, v27, s14
	v_mul_hi_u32 v3, v2, s14
	v_lshrrev_b32_e32 v1, 3, v1
	v_lshrrev_b32_e32 v3, 3, v3
	v_mul_lo_u32 v1, v1, 10
	v_mul_lo_u32 v3, v3, 10
	v_sub_u32_e32 v1, v27, v1
	v_sub_u32_e32 v2, v2, v3
	v_add_u32_e32 v1, v2, v1
	v_subrev_co_u32_e64 v2, s[14:15], 10, v1
	s_nop 1
	v_cndmask_b32_e64 v2, v2, v1, s[14:15]
	s_or_b64 exec, exec, s[16:17]
	s_and_saveexec_b64 s[14:15], s[12:13]
	s_cbranch_execz .LBB594_113
.LBB594_447:
	s_mov_b32 s12, 0xcccccccd
	s_waitcnt vmcnt(0)
	v_mul_hi_u32 v1, v28, s12
	v_mul_hi_u32 v3, v2, s12
	v_lshrrev_b32_e32 v1, 3, v1
	v_lshrrev_b32_e32 v3, 3, v3
	v_mul_lo_u32 v1, v1, 10
	v_mul_lo_u32 v3, v3, 10
	v_sub_u32_e32 v1, v28, v1
	v_sub_u32_e32 v2, v2, v3
	v_add_u32_e32 v1, v2, v1
	v_subrev_co_u32_e64 v2, s[12:13], 10, v1
	s_nop 1
	v_cndmask_b32_e64 v2, v2, v1, s[12:13]
	s_or_b64 exec, exec, s[14:15]
	s_and_saveexec_b64 s[12:13], s[10:11]
	s_cbranch_execz .LBB594_114
.LBB594_448:
	s_mov_b32 s10, 0xcccccccd
	s_waitcnt vmcnt(0)
	v_mul_hi_u32 v1, v29, s10
	v_mul_hi_u32 v3, v2, s10
	v_lshrrev_b32_e32 v1, 3, v1
	v_lshrrev_b32_e32 v3, 3, v3
	v_mul_lo_u32 v1, v1, 10
	v_mul_lo_u32 v3, v3, 10
	v_sub_u32_e32 v1, v29, v1
	v_sub_u32_e32 v2, v2, v3
	v_add_u32_e32 v1, v2, v1
	v_subrev_co_u32_e64 v2, s[10:11], 10, v1
	s_nop 1
	v_cndmask_b32_e64 v2, v2, v1, s[10:11]
	s_or_b64 exec, exec, s[12:13]
	s_and_saveexec_b64 s[10:11], s[8:9]
	s_cbranch_execz .LBB594_115
.LBB594_449:
	s_mov_b32 s8, 0xcccccccd
	s_waitcnt vmcnt(0)
	v_mul_hi_u32 v1, v30, s8
	v_mul_hi_u32 v3, v2, s8
	v_lshrrev_b32_e32 v1, 3, v1
	v_lshrrev_b32_e32 v3, 3, v3
	v_mul_lo_u32 v1, v1, 10
	v_mul_lo_u32 v3, v3, 10
	v_sub_u32_e32 v1, v30, v1
	v_sub_u32_e32 v2, v2, v3
	v_add_u32_e32 v1, v2, v1
	v_subrev_co_u32_e64 v2, s[8:9], 10, v1
	s_nop 1
	v_cndmask_b32_e64 v2, v2, v1, s[8:9]
	s_or_b64 exec, exec, s[10:11]
	s_and_saveexec_b64 s[8:9], s[6:7]
	s_cbranch_execz .LBB594_116
.LBB594_450:
	s_mov_b32 s6, 0xcccccccd
	s_waitcnt vmcnt(0)
	v_mul_hi_u32 v1, v31, s6
	v_mul_hi_u32 v3, v2, s6
	v_lshrrev_b32_e32 v1, 3, v1
	v_lshrrev_b32_e32 v3, 3, v3
	v_mul_lo_u32 v1, v1, 10
	v_mul_lo_u32 v3, v3, 10
	v_sub_u32_e32 v1, v31, v1
	v_sub_u32_e32 v2, v2, v3
	v_add_u32_e32 v1, v2, v1
	v_subrev_co_u32_e64 v2, s[6:7], 10, v1
	s_nop 1
	v_cndmask_b32_e64 v2, v2, v1, s[6:7]
	s_or_b64 exec, exec, s[8:9]
	s_and_saveexec_b64 s[6:7], s[4:5]
	s_cbranch_execz .LBB594_117
.LBB594_451:
	s_mov_b32 s4, 0xcccccccd
	s_waitcnt vmcnt(0)
	v_mul_hi_u32 v1, v32, s4
	v_mul_hi_u32 v3, v2, s4
	v_lshrrev_b32_e32 v1, 3, v1
	v_lshrrev_b32_e32 v3, 3, v3
	v_mul_lo_u32 v1, v1, 10
	v_mul_lo_u32 v3, v3, 10
	v_sub_u32_e32 v1, v32, v1
	v_sub_u32_e32 v2, v2, v3
	v_add_u32_e32 v1, v2, v1
	v_subrev_co_u32_e64 v2, s[4:5], 10, v1
	s_nop 1
	v_cndmask_b32_e64 v2, v2, v1, s[4:5]
	s_or_b64 exec, exec, s[6:7]
	s_and_saveexec_b64 s[4:5], vcc
	s_cbranch_execnz .LBB594_118
	s_branch .LBB594_119
.LBB594_452:
	v_lshlrev_b32_e32 v1, 2, v1
	global_load_dword v17, v1, s[36:37]
	s_or_b64 exec, exec, s[38:39]
	s_and_saveexec_b64 s[36:37], s[30:31]
	s_cbranch_execz .LBB594_180
.LBB594_453:
	s_mov_b32 s30, 0xcccccccd
	s_waitcnt vmcnt(0)
	v_mul_hi_u32 v1, v3, s30
	v_lshrrev_b32_e32 v1, 3, v1
	v_mul_lo_u32 v1, v1, 10
	v_sub_u32_e32 v1, v3, v1
	v_mul_hi_u32 v3, v2, s30
	v_lshrrev_b32_e32 v3, 3, v3
	v_mul_lo_u32 v3, v3, 10
	v_sub_u32_e32 v2, v2, v3
	v_add_u32_e32 v1, v1, v2
	v_subrev_co_u32_e64 v2, s[30:31], 10, v1
	s_nop 1
	v_cndmask_b32_e64 v2, v2, v1, s[30:31]
	s_or_b64 exec, exec, s[36:37]
	s_and_saveexec_b64 s[30:31], s[28:29]
	s_cbranch_execz .LBB594_181
.LBB594_454:
	s_mov_b32 s28, 0xcccccccd
	s_waitcnt vmcnt(0)
	v_mul_hi_u32 v1, v4, s28
	v_mul_hi_u32 v3, v2, s28
	v_lshrrev_b32_e32 v1, 3, v1
	v_lshrrev_b32_e32 v3, 3, v3
	v_mul_lo_u32 v1, v1, 10
	v_mul_lo_u32 v3, v3, 10
	v_sub_u32_e32 v1, v4, v1
	v_sub_u32_e32 v2, v2, v3
	v_add_u32_e32 v1, v2, v1
	v_subrev_co_u32_e64 v2, s[28:29], 10, v1
	s_nop 1
	v_cndmask_b32_e64 v2, v2, v1, s[28:29]
	s_or_b64 exec, exec, s[30:31]
	s_and_saveexec_b64 s[28:29], s[26:27]
	s_cbranch_execz .LBB594_182
.LBB594_455:
	s_mov_b32 s26, 0xcccccccd
	s_waitcnt vmcnt(0)
	v_mul_hi_u32 v1, v5, s26
	v_mul_hi_u32 v3, v2, s26
	v_lshrrev_b32_e32 v1, 3, v1
	v_lshrrev_b32_e32 v3, 3, v3
	v_mul_lo_u32 v1, v1, 10
	v_mul_lo_u32 v3, v3, 10
	v_sub_u32_e32 v1, v5, v1
	v_sub_u32_e32 v2, v2, v3
	v_add_u32_e32 v1, v2, v1
	v_subrev_co_u32_e64 v2, s[26:27], 10, v1
	s_nop 1
	v_cndmask_b32_e64 v2, v2, v1, s[26:27]
	s_or_b64 exec, exec, s[28:29]
	s_and_saveexec_b64 s[26:27], s[24:25]
	s_cbranch_execz .LBB594_183
.LBB594_456:
	s_mov_b32 s24, 0xcccccccd
	s_waitcnt vmcnt(0)
	v_mul_hi_u32 v1, v6, s24
	v_mul_hi_u32 v3, v2, s24
	v_lshrrev_b32_e32 v1, 3, v1
	v_lshrrev_b32_e32 v3, 3, v3
	v_mul_lo_u32 v1, v1, 10
	v_mul_lo_u32 v3, v3, 10
	v_sub_u32_e32 v1, v6, v1
	v_sub_u32_e32 v2, v2, v3
	v_add_u32_e32 v1, v2, v1
	v_subrev_co_u32_e64 v2, s[24:25], 10, v1
	s_nop 1
	v_cndmask_b32_e64 v2, v2, v1, s[24:25]
	s_or_b64 exec, exec, s[26:27]
	s_and_saveexec_b64 s[24:25], s[22:23]
	s_cbranch_execz .LBB594_184
.LBB594_457:
	s_mov_b32 s22, 0xcccccccd
	s_waitcnt vmcnt(0)
	v_mul_hi_u32 v1, v7, s22
	v_mul_hi_u32 v3, v2, s22
	v_lshrrev_b32_e32 v1, 3, v1
	v_lshrrev_b32_e32 v3, 3, v3
	v_mul_lo_u32 v1, v1, 10
	v_mul_lo_u32 v3, v3, 10
	v_sub_u32_e32 v1, v7, v1
	v_sub_u32_e32 v2, v2, v3
	v_add_u32_e32 v1, v2, v1
	v_subrev_co_u32_e64 v2, s[22:23], 10, v1
	s_nop 1
	v_cndmask_b32_e64 v2, v2, v1, s[22:23]
	s_or_b64 exec, exec, s[24:25]
	s_and_saveexec_b64 s[22:23], s[20:21]
	s_cbranch_execz .LBB594_185
.LBB594_458:
	s_mov_b32 s20, 0xcccccccd
	s_waitcnt vmcnt(0)
	v_mul_hi_u32 v1, v8, s20
	v_mul_hi_u32 v3, v2, s20
	v_lshrrev_b32_e32 v1, 3, v1
	v_lshrrev_b32_e32 v3, 3, v3
	v_mul_lo_u32 v1, v1, 10
	v_mul_lo_u32 v3, v3, 10
	v_sub_u32_e32 v1, v8, v1
	v_sub_u32_e32 v2, v2, v3
	v_add_u32_e32 v1, v2, v1
	v_subrev_co_u32_e64 v2, s[20:21], 10, v1
	s_nop 1
	v_cndmask_b32_e64 v2, v2, v1, s[20:21]
	s_or_b64 exec, exec, s[22:23]
	s_and_saveexec_b64 s[20:21], s[18:19]
	s_cbranch_execz .LBB594_186
.LBB594_459:
	s_mov_b32 s18, 0xcccccccd
	s_waitcnt vmcnt(0)
	v_mul_hi_u32 v1, v9, s18
	v_mul_hi_u32 v3, v2, s18
	v_lshrrev_b32_e32 v1, 3, v1
	v_lshrrev_b32_e32 v3, 3, v3
	v_mul_lo_u32 v1, v1, 10
	v_mul_lo_u32 v3, v3, 10
	v_sub_u32_e32 v1, v9, v1
	v_sub_u32_e32 v2, v2, v3
	v_add_u32_e32 v1, v2, v1
	v_subrev_co_u32_e64 v2, s[18:19], 10, v1
	s_nop 1
	v_cndmask_b32_e64 v2, v2, v1, s[18:19]
	s_or_b64 exec, exec, s[20:21]
	s_and_saveexec_b64 s[18:19], s[16:17]
	s_cbranch_execz .LBB594_187
.LBB594_460:
	s_mov_b32 s16, 0xcccccccd
	s_waitcnt vmcnt(0)
	v_mul_hi_u32 v1, v10, s16
	v_mul_hi_u32 v3, v2, s16
	v_lshrrev_b32_e32 v1, 3, v1
	v_lshrrev_b32_e32 v3, 3, v3
	v_mul_lo_u32 v1, v1, 10
	v_mul_lo_u32 v3, v3, 10
	v_sub_u32_e32 v1, v10, v1
	v_sub_u32_e32 v2, v2, v3
	v_add_u32_e32 v1, v2, v1
	v_subrev_co_u32_e64 v2, s[16:17], 10, v1
	s_nop 1
	v_cndmask_b32_e64 v2, v2, v1, s[16:17]
	s_or_b64 exec, exec, s[18:19]
	s_and_saveexec_b64 s[16:17], s[14:15]
	s_cbranch_execz .LBB594_188
.LBB594_461:
	s_mov_b32 s14, 0xcccccccd
	s_waitcnt vmcnt(0)
	v_mul_hi_u32 v1, v11, s14
	v_mul_hi_u32 v3, v2, s14
	v_lshrrev_b32_e32 v1, 3, v1
	v_lshrrev_b32_e32 v3, 3, v3
	v_mul_lo_u32 v1, v1, 10
	v_mul_lo_u32 v3, v3, 10
	v_sub_u32_e32 v1, v11, v1
	v_sub_u32_e32 v2, v2, v3
	v_add_u32_e32 v1, v2, v1
	v_subrev_co_u32_e64 v2, s[14:15], 10, v1
	s_nop 1
	v_cndmask_b32_e64 v2, v2, v1, s[14:15]
	s_or_b64 exec, exec, s[16:17]
	s_and_saveexec_b64 s[14:15], s[12:13]
	s_cbranch_execz .LBB594_189
.LBB594_462:
	s_mov_b32 s12, 0xcccccccd
	s_waitcnt vmcnt(0)
	v_mul_hi_u32 v1, v12, s12
	v_mul_hi_u32 v3, v2, s12
	v_lshrrev_b32_e32 v1, 3, v1
	v_lshrrev_b32_e32 v3, 3, v3
	v_mul_lo_u32 v1, v1, 10
	v_mul_lo_u32 v3, v3, 10
	v_sub_u32_e32 v1, v12, v1
	v_sub_u32_e32 v2, v2, v3
	v_add_u32_e32 v1, v2, v1
	v_subrev_co_u32_e64 v2, s[12:13], 10, v1
	s_nop 1
	v_cndmask_b32_e64 v2, v2, v1, s[12:13]
	s_or_b64 exec, exec, s[14:15]
	s_and_saveexec_b64 s[12:13], s[10:11]
	s_cbranch_execz .LBB594_190
.LBB594_463:
	s_mov_b32 s10, 0xcccccccd
	s_waitcnt vmcnt(0)
	v_mul_hi_u32 v1, v13, s10
	v_mul_hi_u32 v3, v2, s10
	v_lshrrev_b32_e32 v1, 3, v1
	v_lshrrev_b32_e32 v3, 3, v3
	v_mul_lo_u32 v1, v1, 10
	v_mul_lo_u32 v3, v3, 10
	v_sub_u32_e32 v1, v13, v1
	v_sub_u32_e32 v2, v2, v3
	v_add_u32_e32 v1, v2, v1
	v_subrev_co_u32_e64 v2, s[10:11], 10, v1
	s_nop 1
	v_cndmask_b32_e64 v2, v2, v1, s[10:11]
	s_or_b64 exec, exec, s[12:13]
	s_and_saveexec_b64 s[10:11], s[8:9]
	s_cbranch_execz .LBB594_191
.LBB594_464:
	s_mov_b32 s8, 0xcccccccd
	s_waitcnt vmcnt(0)
	v_mul_hi_u32 v1, v14, s8
	v_mul_hi_u32 v3, v2, s8
	v_lshrrev_b32_e32 v1, 3, v1
	v_lshrrev_b32_e32 v3, 3, v3
	v_mul_lo_u32 v1, v1, 10
	v_mul_lo_u32 v3, v3, 10
	v_sub_u32_e32 v1, v14, v1
	v_sub_u32_e32 v2, v2, v3
	v_add_u32_e32 v1, v2, v1
	v_subrev_co_u32_e64 v2, s[8:9], 10, v1
	s_nop 1
	v_cndmask_b32_e64 v2, v2, v1, s[8:9]
	s_or_b64 exec, exec, s[10:11]
	s_and_saveexec_b64 s[8:9], s[6:7]
	s_cbranch_execz .LBB594_192
.LBB594_465:
	s_mov_b32 s6, 0xcccccccd
	s_waitcnt vmcnt(0)
	v_mul_hi_u32 v1, v15, s6
	v_mul_hi_u32 v3, v2, s6
	v_lshrrev_b32_e32 v1, 3, v1
	v_lshrrev_b32_e32 v3, 3, v3
	v_mul_lo_u32 v1, v1, 10
	v_mul_lo_u32 v3, v3, 10
	v_sub_u32_e32 v1, v15, v1
	v_sub_u32_e32 v2, v2, v3
	v_add_u32_e32 v1, v2, v1
	v_subrev_co_u32_e64 v2, s[6:7], 10, v1
	s_nop 1
	v_cndmask_b32_e64 v2, v2, v1, s[6:7]
	s_or_b64 exec, exec, s[8:9]
	s_and_saveexec_b64 s[6:7], s[4:5]
	s_cbranch_execz .LBB594_193
.LBB594_466:
	s_mov_b32 s4, 0xcccccccd
	s_waitcnt vmcnt(0)
	v_mul_hi_u32 v1, v16, s4
	v_mul_hi_u32 v3, v2, s4
	v_lshrrev_b32_e32 v1, 3, v1
	v_lshrrev_b32_e32 v3, 3, v3
	v_mul_lo_u32 v1, v1, 10
	v_mul_lo_u32 v3, v3, 10
	v_sub_u32_e32 v1, v16, v1
	v_sub_u32_e32 v2, v2, v3
	v_add_u32_e32 v1, v2, v1
	v_subrev_co_u32_e64 v2, s[4:5], 10, v1
	s_nop 1
	v_cndmask_b32_e64 v2, v2, v1, s[4:5]
	s_or_b64 exec, exec, s[6:7]
	s_and_saveexec_b64 s[4:5], vcc
	s_cbranch_execnz .LBB594_194
	s_branch .LBB594_195
.LBB594_467:
	v_lshlrev_b32_e32 v1, 2, v0
	global_load_dword v5, v1, s[8:9] offset:3072
	s_or_b64 exec, exec, s[10:11]
	s_and_saveexec_b64 s[8:9], s[6:7]
	s_cbranch_execz .LBB594_310
.LBB594_468:
	s_mov_b32 s6, 0xcccccccd
	s_waitcnt vmcnt(0)
	v_mul_hi_u32 v1, v3, s6
	v_lshrrev_b32_e32 v1, 3, v1
	v_mul_lo_u32 v1, v1, 10
	v_sub_u32_e32 v1, v3, v1
	v_mul_hi_u32 v3, v2, s6
	v_lshrrev_b32_e32 v3, 3, v3
	v_mul_lo_u32 v3, v3, 10
	v_sub_u32_e32 v2, v2, v3
	v_add_u32_e32 v1, v1, v2
	v_subrev_co_u32_e64 v2, s[6:7], 10, v1
	s_nop 1
	v_cndmask_b32_e64 v2, v2, v1, s[6:7]
	s_or_b64 exec, exec, s[8:9]
	s_and_saveexec_b64 s[6:7], s[4:5]
	s_cbranch_execz .LBB594_311
.LBB594_469:
	s_mov_b32 s4, 0xcccccccd
	s_waitcnt vmcnt(0)
	v_mul_hi_u32 v1, v4, s4
	v_mul_hi_u32 v3, v2, s4
	v_lshrrev_b32_e32 v1, 3, v1
	v_lshrrev_b32_e32 v3, 3, v3
	v_mul_lo_u32 v1, v1, 10
	v_mul_lo_u32 v3, v3, 10
	v_sub_u32_e32 v1, v4, v1
	v_sub_u32_e32 v2, v2, v3
	v_add_u32_e32 v1, v2, v1
	v_subrev_co_u32_e64 v2, s[4:5], 10, v1
	s_nop 1
	v_cndmask_b32_e64 v2, v2, v1, s[4:5]
	s_or_b64 exec, exec, s[6:7]
	s_and_saveexec_b64 s[4:5], vcc
	s_cbranch_execnz .LBB594_312
	s_branch .LBB594_313
	.section	.rodata,"a",@progbits
	.p2align	6, 0x0
	.amdhsa_kernel _ZN7rocprim17ROCPRIM_400000_NS6detail17trampoline_kernelINS0_14default_configENS1_22reduce_config_selectorIjEEZNS1_11reduce_implILb1ES3_PjS7_j11plus_mod_10IjEEE10hipError_tPvRmT1_T2_T3_mT4_P12ihipStream_tbEUlT_E1_NS1_11comp_targetILNS1_3genE0ELNS1_11target_archE4294967295ELNS1_3gpuE0ELNS1_3repE0EEENS1_30default_config_static_selectorELNS0_4arch9wavefront6targetE1EEEvSD_
		.amdhsa_group_segment_fixed_size 112
		.amdhsa_private_segment_fixed_size 0
		.amdhsa_kernarg_size 40
		.amdhsa_user_sgpr_count 2
		.amdhsa_user_sgpr_dispatch_ptr 0
		.amdhsa_user_sgpr_queue_ptr 0
		.amdhsa_user_sgpr_kernarg_segment_ptr 1
		.amdhsa_user_sgpr_dispatch_id 0
		.amdhsa_user_sgpr_kernarg_preload_length 0
		.amdhsa_user_sgpr_kernarg_preload_offset 0
		.amdhsa_user_sgpr_private_segment_size 0
		.amdhsa_uses_dynamic_stack 0
		.amdhsa_enable_private_segment 0
		.amdhsa_system_sgpr_workgroup_id_x 1
		.amdhsa_system_sgpr_workgroup_id_y 0
		.amdhsa_system_sgpr_workgroup_id_z 0
		.amdhsa_system_sgpr_workgroup_info 0
		.amdhsa_system_vgpr_workitem_id 0
		.amdhsa_next_free_vgpr 36
		.amdhsa_next_free_sgpr 78
		.amdhsa_accum_offset 36
		.amdhsa_reserve_vcc 1
		.amdhsa_float_round_mode_32 0
		.amdhsa_float_round_mode_16_64 0
		.amdhsa_float_denorm_mode_32 3
		.amdhsa_float_denorm_mode_16_64 3
		.amdhsa_dx10_clamp 1
		.amdhsa_ieee_mode 1
		.amdhsa_fp16_overflow 0
		.amdhsa_tg_split 0
		.amdhsa_exception_fp_ieee_invalid_op 0
		.amdhsa_exception_fp_denorm_src 0
		.amdhsa_exception_fp_ieee_div_zero 0
		.amdhsa_exception_fp_ieee_overflow 0
		.amdhsa_exception_fp_ieee_underflow 0
		.amdhsa_exception_fp_ieee_inexact 0
		.amdhsa_exception_int_div_zero 0
	.end_amdhsa_kernel
	.section	.text._ZN7rocprim17ROCPRIM_400000_NS6detail17trampoline_kernelINS0_14default_configENS1_22reduce_config_selectorIjEEZNS1_11reduce_implILb1ES3_PjS7_j11plus_mod_10IjEEE10hipError_tPvRmT1_T2_T3_mT4_P12ihipStream_tbEUlT_E1_NS1_11comp_targetILNS1_3genE0ELNS1_11target_archE4294967295ELNS1_3gpuE0ELNS1_3repE0EEENS1_30default_config_static_selectorELNS0_4arch9wavefront6targetE1EEEvSD_,"axG",@progbits,_ZN7rocprim17ROCPRIM_400000_NS6detail17trampoline_kernelINS0_14default_configENS1_22reduce_config_selectorIjEEZNS1_11reduce_implILb1ES3_PjS7_j11plus_mod_10IjEEE10hipError_tPvRmT1_T2_T3_mT4_P12ihipStream_tbEUlT_E1_NS1_11comp_targetILNS1_3genE0ELNS1_11target_archE4294967295ELNS1_3gpuE0ELNS1_3repE0EEENS1_30default_config_static_selectorELNS0_4arch9wavefront6targetE1EEEvSD_,comdat
.Lfunc_end594:
	.size	_ZN7rocprim17ROCPRIM_400000_NS6detail17trampoline_kernelINS0_14default_configENS1_22reduce_config_selectorIjEEZNS1_11reduce_implILb1ES3_PjS7_j11plus_mod_10IjEEE10hipError_tPvRmT1_T2_T3_mT4_P12ihipStream_tbEUlT_E1_NS1_11comp_targetILNS1_3genE0ELNS1_11target_archE4294967295ELNS1_3gpuE0ELNS1_3repE0EEENS1_30default_config_static_selectorELNS0_4arch9wavefront6targetE1EEEvSD_, .Lfunc_end594-_ZN7rocprim17ROCPRIM_400000_NS6detail17trampoline_kernelINS0_14default_configENS1_22reduce_config_selectorIjEEZNS1_11reduce_implILb1ES3_PjS7_j11plus_mod_10IjEEE10hipError_tPvRmT1_T2_T3_mT4_P12ihipStream_tbEUlT_E1_NS1_11comp_targetILNS1_3genE0ELNS1_11target_archE4294967295ELNS1_3gpuE0ELNS1_3repE0EEENS1_30default_config_static_selectorELNS0_4arch9wavefront6targetE1EEEvSD_
                                        ; -- End function
	.set _ZN7rocprim17ROCPRIM_400000_NS6detail17trampoline_kernelINS0_14default_configENS1_22reduce_config_selectorIjEEZNS1_11reduce_implILb1ES3_PjS7_j11plus_mod_10IjEEE10hipError_tPvRmT1_T2_T3_mT4_P12ihipStream_tbEUlT_E1_NS1_11comp_targetILNS1_3genE0ELNS1_11target_archE4294967295ELNS1_3gpuE0ELNS1_3repE0EEENS1_30default_config_static_selectorELNS0_4arch9wavefront6targetE1EEEvSD_.num_vgpr, 36
	.set _ZN7rocprim17ROCPRIM_400000_NS6detail17trampoline_kernelINS0_14default_configENS1_22reduce_config_selectorIjEEZNS1_11reduce_implILb1ES3_PjS7_j11plus_mod_10IjEEE10hipError_tPvRmT1_T2_T3_mT4_P12ihipStream_tbEUlT_E1_NS1_11comp_targetILNS1_3genE0ELNS1_11target_archE4294967295ELNS1_3gpuE0ELNS1_3repE0EEENS1_30default_config_static_selectorELNS0_4arch9wavefront6targetE1EEEvSD_.num_agpr, 0
	.set _ZN7rocprim17ROCPRIM_400000_NS6detail17trampoline_kernelINS0_14default_configENS1_22reduce_config_selectorIjEEZNS1_11reduce_implILb1ES3_PjS7_j11plus_mod_10IjEEE10hipError_tPvRmT1_T2_T3_mT4_P12ihipStream_tbEUlT_E1_NS1_11comp_targetILNS1_3genE0ELNS1_11target_archE4294967295ELNS1_3gpuE0ELNS1_3repE0EEENS1_30default_config_static_selectorELNS0_4arch9wavefront6targetE1EEEvSD_.numbered_sgpr, 78
	.set _ZN7rocprim17ROCPRIM_400000_NS6detail17trampoline_kernelINS0_14default_configENS1_22reduce_config_selectorIjEEZNS1_11reduce_implILb1ES3_PjS7_j11plus_mod_10IjEEE10hipError_tPvRmT1_T2_T3_mT4_P12ihipStream_tbEUlT_E1_NS1_11comp_targetILNS1_3genE0ELNS1_11target_archE4294967295ELNS1_3gpuE0ELNS1_3repE0EEENS1_30default_config_static_selectorELNS0_4arch9wavefront6targetE1EEEvSD_.num_named_barrier, 0
	.set _ZN7rocprim17ROCPRIM_400000_NS6detail17trampoline_kernelINS0_14default_configENS1_22reduce_config_selectorIjEEZNS1_11reduce_implILb1ES3_PjS7_j11plus_mod_10IjEEE10hipError_tPvRmT1_T2_T3_mT4_P12ihipStream_tbEUlT_E1_NS1_11comp_targetILNS1_3genE0ELNS1_11target_archE4294967295ELNS1_3gpuE0ELNS1_3repE0EEENS1_30default_config_static_selectorELNS0_4arch9wavefront6targetE1EEEvSD_.private_seg_size, 0
	.set _ZN7rocprim17ROCPRIM_400000_NS6detail17trampoline_kernelINS0_14default_configENS1_22reduce_config_selectorIjEEZNS1_11reduce_implILb1ES3_PjS7_j11plus_mod_10IjEEE10hipError_tPvRmT1_T2_T3_mT4_P12ihipStream_tbEUlT_E1_NS1_11comp_targetILNS1_3genE0ELNS1_11target_archE4294967295ELNS1_3gpuE0ELNS1_3repE0EEENS1_30default_config_static_selectorELNS0_4arch9wavefront6targetE1EEEvSD_.uses_vcc, 1
	.set _ZN7rocprim17ROCPRIM_400000_NS6detail17trampoline_kernelINS0_14default_configENS1_22reduce_config_selectorIjEEZNS1_11reduce_implILb1ES3_PjS7_j11plus_mod_10IjEEE10hipError_tPvRmT1_T2_T3_mT4_P12ihipStream_tbEUlT_E1_NS1_11comp_targetILNS1_3genE0ELNS1_11target_archE4294967295ELNS1_3gpuE0ELNS1_3repE0EEENS1_30default_config_static_selectorELNS0_4arch9wavefront6targetE1EEEvSD_.uses_flat_scratch, 0
	.set _ZN7rocprim17ROCPRIM_400000_NS6detail17trampoline_kernelINS0_14default_configENS1_22reduce_config_selectorIjEEZNS1_11reduce_implILb1ES3_PjS7_j11plus_mod_10IjEEE10hipError_tPvRmT1_T2_T3_mT4_P12ihipStream_tbEUlT_E1_NS1_11comp_targetILNS1_3genE0ELNS1_11target_archE4294967295ELNS1_3gpuE0ELNS1_3repE0EEENS1_30default_config_static_selectorELNS0_4arch9wavefront6targetE1EEEvSD_.has_dyn_sized_stack, 0
	.set _ZN7rocprim17ROCPRIM_400000_NS6detail17trampoline_kernelINS0_14default_configENS1_22reduce_config_selectorIjEEZNS1_11reduce_implILb1ES3_PjS7_j11plus_mod_10IjEEE10hipError_tPvRmT1_T2_T3_mT4_P12ihipStream_tbEUlT_E1_NS1_11comp_targetILNS1_3genE0ELNS1_11target_archE4294967295ELNS1_3gpuE0ELNS1_3repE0EEENS1_30default_config_static_selectorELNS0_4arch9wavefront6targetE1EEEvSD_.has_recursion, 0
	.set _ZN7rocprim17ROCPRIM_400000_NS6detail17trampoline_kernelINS0_14default_configENS1_22reduce_config_selectorIjEEZNS1_11reduce_implILb1ES3_PjS7_j11plus_mod_10IjEEE10hipError_tPvRmT1_T2_T3_mT4_P12ihipStream_tbEUlT_E1_NS1_11comp_targetILNS1_3genE0ELNS1_11target_archE4294967295ELNS1_3gpuE0ELNS1_3repE0EEENS1_30default_config_static_selectorELNS0_4arch9wavefront6targetE1EEEvSD_.has_indirect_call, 0
	.section	.AMDGPU.csdata,"",@progbits
; Kernel info:
; codeLenInByte = 25784
; TotalNumSgprs: 84
; NumVgprs: 36
; NumAgprs: 0
; TotalNumVgprs: 36
; ScratchSize: 0
; MemoryBound: 0
; FloatMode: 240
; IeeeMode: 1
; LDSByteSize: 112 bytes/workgroup (compile time only)
; SGPRBlocks: 10
; VGPRBlocks: 4
; NumSGPRsForWavesPerEU: 84
; NumVGPRsForWavesPerEU: 36
; AccumOffset: 36
; Occupancy: 8
; WaveLimiterHint : 1
; COMPUTE_PGM_RSRC2:SCRATCH_EN: 0
; COMPUTE_PGM_RSRC2:USER_SGPR: 2
; COMPUTE_PGM_RSRC2:TRAP_HANDLER: 0
; COMPUTE_PGM_RSRC2:TGID_X_EN: 1
; COMPUTE_PGM_RSRC2:TGID_Y_EN: 0
; COMPUTE_PGM_RSRC2:TGID_Z_EN: 0
; COMPUTE_PGM_RSRC2:TIDIG_COMP_CNT: 0
; COMPUTE_PGM_RSRC3_GFX90A:ACCUM_OFFSET: 8
; COMPUTE_PGM_RSRC3_GFX90A:TG_SPLIT: 0
	.section	.text._ZN7rocprim17ROCPRIM_400000_NS6detail17trampoline_kernelINS0_14default_configENS1_22reduce_config_selectorIjEEZNS1_11reduce_implILb1ES3_PjS7_j11plus_mod_10IjEEE10hipError_tPvRmT1_T2_T3_mT4_P12ihipStream_tbEUlT_E1_NS1_11comp_targetILNS1_3genE5ELNS1_11target_archE942ELNS1_3gpuE9ELNS1_3repE0EEENS1_30default_config_static_selectorELNS0_4arch9wavefront6targetE1EEEvSD_,"axG",@progbits,_ZN7rocprim17ROCPRIM_400000_NS6detail17trampoline_kernelINS0_14default_configENS1_22reduce_config_selectorIjEEZNS1_11reduce_implILb1ES3_PjS7_j11plus_mod_10IjEEE10hipError_tPvRmT1_T2_T3_mT4_P12ihipStream_tbEUlT_E1_NS1_11comp_targetILNS1_3genE5ELNS1_11target_archE942ELNS1_3gpuE9ELNS1_3repE0EEENS1_30default_config_static_selectorELNS0_4arch9wavefront6targetE1EEEvSD_,comdat
	.protected	_ZN7rocprim17ROCPRIM_400000_NS6detail17trampoline_kernelINS0_14default_configENS1_22reduce_config_selectorIjEEZNS1_11reduce_implILb1ES3_PjS7_j11plus_mod_10IjEEE10hipError_tPvRmT1_T2_T3_mT4_P12ihipStream_tbEUlT_E1_NS1_11comp_targetILNS1_3genE5ELNS1_11target_archE942ELNS1_3gpuE9ELNS1_3repE0EEENS1_30default_config_static_selectorELNS0_4arch9wavefront6targetE1EEEvSD_ ; -- Begin function _ZN7rocprim17ROCPRIM_400000_NS6detail17trampoline_kernelINS0_14default_configENS1_22reduce_config_selectorIjEEZNS1_11reduce_implILb1ES3_PjS7_j11plus_mod_10IjEEE10hipError_tPvRmT1_T2_T3_mT4_P12ihipStream_tbEUlT_E1_NS1_11comp_targetILNS1_3genE5ELNS1_11target_archE942ELNS1_3gpuE9ELNS1_3repE0EEENS1_30default_config_static_selectorELNS0_4arch9wavefront6targetE1EEEvSD_
	.globl	_ZN7rocprim17ROCPRIM_400000_NS6detail17trampoline_kernelINS0_14default_configENS1_22reduce_config_selectorIjEEZNS1_11reduce_implILb1ES3_PjS7_j11plus_mod_10IjEEE10hipError_tPvRmT1_T2_T3_mT4_P12ihipStream_tbEUlT_E1_NS1_11comp_targetILNS1_3genE5ELNS1_11target_archE942ELNS1_3gpuE9ELNS1_3repE0EEENS1_30default_config_static_selectorELNS0_4arch9wavefront6targetE1EEEvSD_
	.p2align	8
	.type	_ZN7rocprim17ROCPRIM_400000_NS6detail17trampoline_kernelINS0_14default_configENS1_22reduce_config_selectorIjEEZNS1_11reduce_implILb1ES3_PjS7_j11plus_mod_10IjEEE10hipError_tPvRmT1_T2_T3_mT4_P12ihipStream_tbEUlT_E1_NS1_11comp_targetILNS1_3genE5ELNS1_11target_archE942ELNS1_3gpuE9ELNS1_3repE0EEENS1_30default_config_static_selectorELNS0_4arch9wavefront6targetE1EEEvSD_,@function
_ZN7rocprim17ROCPRIM_400000_NS6detail17trampoline_kernelINS0_14default_configENS1_22reduce_config_selectorIjEEZNS1_11reduce_implILb1ES3_PjS7_j11plus_mod_10IjEEE10hipError_tPvRmT1_T2_T3_mT4_P12ihipStream_tbEUlT_E1_NS1_11comp_targetILNS1_3genE5ELNS1_11target_archE942ELNS1_3gpuE9ELNS1_3repE0EEENS1_30default_config_static_selectorELNS0_4arch9wavefront6targetE1EEEvSD_: ; @_ZN7rocprim17ROCPRIM_400000_NS6detail17trampoline_kernelINS0_14default_configENS1_22reduce_config_selectorIjEEZNS1_11reduce_implILb1ES3_PjS7_j11plus_mod_10IjEEE10hipError_tPvRmT1_T2_T3_mT4_P12ihipStream_tbEUlT_E1_NS1_11comp_targetILNS1_3genE5ELNS1_11target_archE942ELNS1_3gpuE9ELNS1_3repE0EEENS1_30default_config_static_selectorELNS0_4arch9wavefront6targetE1EEEvSD_
; %bb.0:
	.section	.rodata,"a",@progbits
	.p2align	6, 0x0
	.amdhsa_kernel _ZN7rocprim17ROCPRIM_400000_NS6detail17trampoline_kernelINS0_14default_configENS1_22reduce_config_selectorIjEEZNS1_11reduce_implILb1ES3_PjS7_j11plus_mod_10IjEEE10hipError_tPvRmT1_T2_T3_mT4_P12ihipStream_tbEUlT_E1_NS1_11comp_targetILNS1_3genE5ELNS1_11target_archE942ELNS1_3gpuE9ELNS1_3repE0EEENS1_30default_config_static_selectorELNS0_4arch9wavefront6targetE1EEEvSD_
		.amdhsa_group_segment_fixed_size 0
		.amdhsa_private_segment_fixed_size 0
		.amdhsa_kernarg_size 40
		.amdhsa_user_sgpr_count 2
		.amdhsa_user_sgpr_dispatch_ptr 0
		.amdhsa_user_sgpr_queue_ptr 0
		.amdhsa_user_sgpr_kernarg_segment_ptr 1
		.amdhsa_user_sgpr_dispatch_id 0
		.amdhsa_user_sgpr_kernarg_preload_length 0
		.amdhsa_user_sgpr_kernarg_preload_offset 0
		.amdhsa_user_sgpr_private_segment_size 0
		.amdhsa_uses_dynamic_stack 0
		.amdhsa_enable_private_segment 0
		.amdhsa_system_sgpr_workgroup_id_x 1
		.amdhsa_system_sgpr_workgroup_id_y 0
		.amdhsa_system_sgpr_workgroup_id_z 0
		.amdhsa_system_sgpr_workgroup_info 0
		.amdhsa_system_vgpr_workitem_id 0
		.amdhsa_next_free_vgpr 1
		.amdhsa_next_free_sgpr 0
		.amdhsa_accum_offset 4
		.amdhsa_reserve_vcc 0
		.amdhsa_float_round_mode_32 0
		.amdhsa_float_round_mode_16_64 0
		.amdhsa_float_denorm_mode_32 3
		.amdhsa_float_denorm_mode_16_64 3
		.amdhsa_dx10_clamp 1
		.amdhsa_ieee_mode 1
		.amdhsa_fp16_overflow 0
		.amdhsa_tg_split 0
		.amdhsa_exception_fp_ieee_invalid_op 0
		.amdhsa_exception_fp_denorm_src 0
		.amdhsa_exception_fp_ieee_div_zero 0
		.amdhsa_exception_fp_ieee_overflow 0
		.amdhsa_exception_fp_ieee_underflow 0
		.amdhsa_exception_fp_ieee_inexact 0
		.amdhsa_exception_int_div_zero 0
	.end_amdhsa_kernel
	.section	.text._ZN7rocprim17ROCPRIM_400000_NS6detail17trampoline_kernelINS0_14default_configENS1_22reduce_config_selectorIjEEZNS1_11reduce_implILb1ES3_PjS7_j11plus_mod_10IjEEE10hipError_tPvRmT1_T2_T3_mT4_P12ihipStream_tbEUlT_E1_NS1_11comp_targetILNS1_3genE5ELNS1_11target_archE942ELNS1_3gpuE9ELNS1_3repE0EEENS1_30default_config_static_selectorELNS0_4arch9wavefront6targetE1EEEvSD_,"axG",@progbits,_ZN7rocprim17ROCPRIM_400000_NS6detail17trampoline_kernelINS0_14default_configENS1_22reduce_config_selectorIjEEZNS1_11reduce_implILb1ES3_PjS7_j11plus_mod_10IjEEE10hipError_tPvRmT1_T2_T3_mT4_P12ihipStream_tbEUlT_E1_NS1_11comp_targetILNS1_3genE5ELNS1_11target_archE942ELNS1_3gpuE9ELNS1_3repE0EEENS1_30default_config_static_selectorELNS0_4arch9wavefront6targetE1EEEvSD_,comdat
.Lfunc_end595:
	.size	_ZN7rocprim17ROCPRIM_400000_NS6detail17trampoline_kernelINS0_14default_configENS1_22reduce_config_selectorIjEEZNS1_11reduce_implILb1ES3_PjS7_j11plus_mod_10IjEEE10hipError_tPvRmT1_T2_T3_mT4_P12ihipStream_tbEUlT_E1_NS1_11comp_targetILNS1_3genE5ELNS1_11target_archE942ELNS1_3gpuE9ELNS1_3repE0EEENS1_30default_config_static_selectorELNS0_4arch9wavefront6targetE1EEEvSD_, .Lfunc_end595-_ZN7rocprim17ROCPRIM_400000_NS6detail17trampoline_kernelINS0_14default_configENS1_22reduce_config_selectorIjEEZNS1_11reduce_implILb1ES3_PjS7_j11plus_mod_10IjEEE10hipError_tPvRmT1_T2_T3_mT4_P12ihipStream_tbEUlT_E1_NS1_11comp_targetILNS1_3genE5ELNS1_11target_archE942ELNS1_3gpuE9ELNS1_3repE0EEENS1_30default_config_static_selectorELNS0_4arch9wavefront6targetE1EEEvSD_
                                        ; -- End function
	.set _ZN7rocprim17ROCPRIM_400000_NS6detail17trampoline_kernelINS0_14default_configENS1_22reduce_config_selectorIjEEZNS1_11reduce_implILb1ES3_PjS7_j11plus_mod_10IjEEE10hipError_tPvRmT1_T2_T3_mT4_P12ihipStream_tbEUlT_E1_NS1_11comp_targetILNS1_3genE5ELNS1_11target_archE942ELNS1_3gpuE9ELNS1_3repE0EEENS1_30default_config_static_selectorELNS0_4arch9wavefront6targetE1EEEvSD_.num_vgpr, 0
	.set _ZN7rocprim17ROCPRIM_400000_NS6detail17trampoline_kernelINS0_14default_configENS1_22reduce_config_selectorIjEEZNS1_11reduce_implILb1ES3_PjS7_j11plus_mod_10IjEEE10hipError_tPvRmT1_T2_T3_mT4_P12ihipStream_tbEUlT_E1_NS1_11comp_targetILNS1_3genE5ELNS1_11target_archE942ELNS1_3gpuE9ELNS1_3repE0EEENS1_30default_config_static_selectorELNS0_4arch9wavefront6targetE1EEEvSD_.num_agpr, 0
	.set _ZN7rocprim17ROCPRIM_400000_NS6detail17trampoline_kernelINS0_14default_configENS1_22reduce_config_selectorIjEEZNS1_11reduce_implILb1ES3_PjS7_j11plus_mod_10IjEEE10hipError_tPvRmT1_T2_T3_mT4_P12ihipStream_tbEUlT_E1_NS1_11comp_targetILNS1_3genE5ELNS1_11target_archE942ELNS1_3gpuE9ELNS1_3repE0EEENS1_30default_config_static_selectorELNS0_4arch9wavefront6targetE1EEEvSD_.numbered_sgpr, 0
	.set _ZN7rocprim17ROCPRIM_400000_NS6detail17trampoline_kernelINS0_14default_configENS1_22reduce_config_selectorIjEEZNS1_11reduce_implILb1ES3_PjS7_j11plus_mod_10IjEEE10hipError_tPvRmT1_T2_T3_mT4_P12ihipStream_tbEUlT_E1_NS1_11comp_targetILNS1_3genE5ELNS1_11target_archE942ELNS1_3gpuE9ELNS1_3repE0EEENS1_30default_config_static_selectorELNS0_4arch9wavefront6targetE1EEEvSD_.num_named_barrier, 0
	.set _ZN7rocprim17ROCPRIM_400000_NS6detail17trampoline_kernelINS0_14default_configENS1_22reduce_config_selectorIjEEZNS1_11reduce_implILb1ES3_PjS7_j11plus_mod_10IjEEE10hipError_tPvRmT1_T2_T3_mT4_P12ihipStream_tbEUlT_E1_NS1_11comp_targetILNS1_3genE5ELNS1_11target_archE942ELNS1_3gpuE9ELNS1_3repE0EEENS1_30default_config_static_selectorELNS0_4arch9wavefront6targetE1EEEvSD_.private_seg_size, 0
	.set _ZN7rocprim17ROCPRIM_400000_NS6detail17trampoline_kernelINS0_14default_configENS1_22reduce_config_selectorIjEEZNS1_11reduce_implILb1ES3_PjS7_j11plus_mod_10IjEEE10hipError_tPvRmT1_T2_T3_mT4_P12ihipStream_tbEUlT_E1_NS1_11comp_targetILNS1_3genE5ELNS1_11target_archE942ELNS1_3gpuE9ELNS1_3repE0EEENS1_30default_config_static_selectorELNS0_4arch9wavefront6targetE1EEEvSD_.uses_vcc, 0
	.set _ZN7rocprim17ROCPRIM_400000_NS6detail17trampoline_kernelINS0_14default_configENS1_22reduce_config_selectorIjEEZNS1_11reduce_implILb1ES3_PjS7_j11plus_mod_10IjEEE10hipError_tPvRmT1_T2_T3_mT4_P12ihipStream_tbEUlT_E1_NS1_11comp_targetILNS1_3genE5ELNS1_11target_archE942ELNS1_3gpuE9ELNS1_3repE0EEENS1_30default_config_static_selectorELNS0_4arch9wavefront6targetE1EEEvSD_.uses_flat_scratch, 0
	.set _ZN7rocprim17ROCPRIM_400000_NS6detail17trampoline_kernelINS0_14default_configENS1_22reduce_config_selectorIjEEZNS1_11reduce_implILb1ES3_PjS7_j11plus_mod_10IjEEE10hipError_tPvRmT1_T2_T3_mT4_P12ihipStream_tbEUlT_E1_NS1_11comp_targetILNS1_3genE5ELNS1_11target_archE942ELNS1_3gpuE9ELNS1_3repE0EEENS1_30default_config_static_selectorELNS0_4arch9wavefront6targetE1EEEvSD_.has_dyn_sized_stack, 0
	.set _ZN7rocprim17ROCPRIM_400000_NS6detail17trampoline_kernelINS0_14default_configENS1_22reduce_config_selectorIjEEZNS1_11reduce_implILb1ES3_PjS7_j11plus_mod_10IjEEE10hipError_tPvRmT1_T2_T3_mT4_P12ihipStream_tbEUlT_E1_NS1_11comp_targetILNS1_3genE5ELNS1_11target_archE942ELNS1_3gpuE9ELNS1_3repE0EEENS1_30default_config_static_selectorELNS0_4arch9wavefront6targetE1EEEvSD_.has_recursion, 0
	.set _ZN7rocprim17ROCPRIM_400000_NS6detail17trampoline_kernelINS0_14default_configENS1_22reduce_config_selectorIjEEZNS1_11reduce_implILb1ES3_PjS7_j11plus_mod_10IjEEE10hipError_tPvRmT1_T2_T3_mT4_P12ihipStream_tbEUlT_E1_NS1_11comp_targetILNS1_3genE5ELNS1_11target_archE942ELNS1_3gpuE9ELNS1_3repE0EEENS1_30default_config_static_selectorELNS0_4arch9wavefront6targetE1EEEvSD_.has_indirect_call, 0
	.section	.AMDGPU.csdata,"",@progbits
; Kernel info:
; codeLenInByte = 0
; TotalNumSgprs: 6
; NumVgprs: 0
; NumAgprs: 0
; TotalNumVgprs: 0
; ScratchSize: 0
; MemoryBound: 0
; FloatMode: 240
; IeeeMode: 1
; LDSByteSize: 0 bytes/workgroup (compile time only)
; SGPRBlocks: 0
; VGPRBlocks: 0
; NumSGPRsForWavesPerEU: 6
; NumVGPRsForWavesPerEU: 1
; AccumOffset: 4
; Occupancy: 8
; WaveLimiterHint : 0
; COMPUTE_PGM_RSRC2:SCRATCH_EN: 0
; COMPUTE_PGM_RSRC2:USER_SGPR: 2
; COMPUTE_PGM_RSRC2:TRAP_HANDLER: 0
; COMPUTE_PGM_RSRC2:TGID_X_EN: 1
; COMPUTE_PGM_RSRC2:TGID_Y_EN: 0
; COMPUTE_PGM_RSRC2:TGID_Z_EN: 0
; COMPUTE_PGM_RSRC2:TIDIG_COMP_CNT: 0
; COMPUTE_PGM_RSRC3_GFX90A:ACCUM_OFFSET: 0
; COMPUTE_PGM_RSRC3_GFX90A:TG_SPLIT: 0
	.section	.text._ZN7rocprim17ROCPRIM_400000_NS6detail17trampoline_kernelINS0_14default_configENS1_22reduce_config_selectorIjEEZNS1_11reduce_implILb1ES3_PjS7_j11plus_mod_10IjEEE10hipError_tPvRmT1_T2_T3_mT4_P12ihipStream_tbEUlT_E1_NS1_11comp_targetILNS1_3genE4ELNS1_11target_archE910ELNS1_3gpuE8ELNS1_3repE0EEENS1_30default_config_static_selectorELNS0_4arch9wavefront6targetE1EEEvSD_,"axG",@progbits,_ZN7rocprim17ROCPRIM_400000_NS6detail17trampoline_kernelINS0_14default_configENS1_22reduce_config_selectorIjEEZNS1_11reduce_implILb1ES3_PjS7_j11plus_mod_10IjEEE10hipError_tPvRmT1_T2_T3_mT4_P12ihipStream_tbEUlT_E1_NS1_11comp_targetILNS1_3genE4ELNS1_11target_archE910ELNS1_3gpuE8ELNS1_3repE0EEENS1_30default_config_static_selectorELNS0_4arch9wavefront6targetE1EEEvSD_,comdat
	.protected	_ZN7rocprim17ROCPRIM_400000_NS6detail17trampoline_kernelINS0_14default_configENS1_22reduce_config_selectorIjEEZNS1_11reduce_implILb1ES3_PjS7_j11plus_mod_10IjEEE10hipError_tPvRmT1_T2_T3_mT4_P12ihipStream_tbEUlT_E1_NS1_11comp_targetILNS1_3genE4ELNS1_11target_archE910ELNS1_3gpuE8ELNS1_3repE0EEENS1_30default_config_static_selectorELNS0_4arch9wavefront6targetE1EEEvSD_ ; -- Begin function _ZN7rocprim17ROCPRIM_400000_NS6detail17trampoline_kernelINS0_14default_configENS1_22reduce_config_selectorIjEEZNS1_11reduce_implILb1ES3_PjS7_j11plus_mod_10IjEEE10hipError_tPvRmT1_T2_T3_mT4_P12ihipStream_tbEUlT_E1_NS1_11comp_targetILNS1_3genE4ELNS1_11target_archE910ELNS1_3gpuE8ELNS1_3repE0EEENS1_30default_config_static_selectorELNS0_4arch9wavefront6targetE1EEEvSD_
	.globl	_ZN7rocprim17ROCPRIM_400000_NS6detail17trampoline_kernelINS0_14default_configENS1_22reduce_config_selectorIjEEZNS1_11reduce_implILb1ES3_PjS7_j11plus_mod_10IjEEE10hipError_tPvRmT1_T2_T3_mT4_P12ihipStream_tbEUlT_E1_NS1_11comp_targetILNS1_3genE4ELNS1_11target_archE910ELNS1_3gpuE8ELNS1_3repE0EEENS1_30default_config_static_selectorELNS0_4arch9wavefront6targetE1EEEvSD_
	.p2align	8
	.type	_ZN7rocprim17ROCPRIM_400000_NS6detail17trampoline_kernelINS0_14default_configENS1_22reduce_config_selectorIjEEZNS1_11reduce_implILb1ES3_PjS7_j11plus_mod_10IjEEE10hipError_tPvRmT1_T2_T3_mT4_P12ihipStream_tbEUlT_E1_NS1_11comp_targetILNS1_3genE4ELNS1_11target_archE910ELNS1_3gpuE8ELNS1_3repE0EEENS1_30default_config_static_selectorELNS0_4arch9wavefront6targetE1EEEvSD_,@function
_ZN7rocprim17ROCPRIM_400000_NS6detail17trampoline_kernelINS0_14default_configENS1_22reduce_config_selectorIjEEZNS1_11reduce_implILb1ES3_PjS7_j11plus_mod_10IjEEE10hipError_tPvRmT1_T2_T3_mT4_P12ihipStream_tbEUlT_E1_NS1_11comp_targetILNS1_3genE4ELNS1_11target_archE910ELNS1_3gpuE8ELNS1_3repE0EEENS1_30default_config_static_selectorELNS0_4arch9wavefront6targetE1EEEvSD_: ; @_ZN7rocprim17ROCPRIM_400000_NS6detail17trampoline_kernelINS0_14default_configENS1_22reduce_config_selectorIjEEZNS1_11reduce_implILb1ES3_PjS7_j11plus_mod_10IjEEE10hipError_tPvRmT1_T2_T3_mT4_P12ihipStream_tbEUlT_E1_NS1_11comp_targetILNS1_3genE4ELNS1_11target_archE910ELNS1_3gpuE8ELNS1_3repE0EEENS1_30default_config_static_selectorELNS0_4arch9wavefront6targetE1EEEvSD_
; %bb.0:
	.section	.rodata,"a",@progbits
	.p2align	6, 0x0
	.amdhsa_kernel _ZN7rocprim17ROCPRIM_400000_NS6detail17trampoline_kernelINS0_14default_configENS1_22reduce_config_selectorIjEEZNS1_11reduce_implILb1ES3_PjS7_j11plus_mod_10IjEEE10hipError_tPvRmT1_T2_T3_mT4_P12ihipStream_tbEUlT_E1_NS1_11comp_targetILNS1_3genE4ELNS1_11target_archE910ELNS1_3gpuE8ELNS1_3repE0EEENS1_30default_config_static_selectorELNS0_4arch9wavefront6targetE1EEEvSD_
		.amdhsa_group_segment_fixed_size 0
		.amdhsa_private_segment_fixed_size 0
		.amdhsa_kernarg_size 40
		.amdhsa_user_sgpr_count 2
		.amdhsa_user_sgpr_dispatch_ptr 0
		.amdhsa_user_sgpr_queue_ptr 0
		.amdhsa_user_sgpr_kernarg_segment_ptr 1
		.amdhsa_user_sgpr_dispatch_id 0
		.amdhsa_user_sgpr_kernarg_preload_length 0
		.amdhsa_user_sgpr_kernarg_preload_offset 0
		.amdhsa_user_sgpr_private_segment_size 0
		.amdhsa_uses_dynamic_stack 0
		.amdhsa_enable_private_segment 0
		.amdhsa_system_sgpr_workgroup_id_x 1
		.amdhsa_system_sgpr_workgroup_id_y 0
		.amdhsa_system_sgpr_workgroup_id_z 0
		.amdhsa_system_sgpr_workgroup_info 0
		.amdhsa_system_vgpr_workitem_id 0
		.amdhsa_next_free_vgpr 1
		.amdhsa_next_free_sgpr 0
		.amdhsa_accum_offset 4
		.amdhsa_reserve_vcc 0
		.amdhsa_float_round_mode_32 0
		.amdhsa_float_round_mode_16_64 0
		.amdhsa_float_denorm_mode_32 3
		.amdhsa_float_denorm_mode_16_64 3
		.amdhsa_dx10_clamp 1
		.amdhsa_ieee_mode 1
		.amdhsa_fp16_overflow 0
		.amdhsa_tg_split 0
		.amdhsa_exception_fp_ieee_invalid_op 0
		.amdhsa_exception_fp_denorm_src 0
		.amdhsa_exception_fp_ieee_div_zero 0
		.amdhsa_exception_fp_ieee_overflow 0
		.amdhsa_exception_fp_ieee_underflow 0
		.amdhsa_exception_fp_ieee_inexact 0
		.amdhsa_exception_int_div_zero 0
	.end_amdhsa_kernel
	.section	.text._ZN7rocprim17ROCPRIM_400000_NS6detail17trampoline_kernelINS0_14default_configENS1_22reduce_config_selectorIjEEZNS1_11reduce_implILb1ES3_PjS7_j11plus_mod_10IjEEE10hipError_tPvRmT1_T2_T3_mT4_P12ihipStream_tbEUlT_E1_NS1_11comp_targetILNS1_3genE4ELNS1_11target_archE910ELNS1_3gpuE8ELNS1_3repE0EEENS1_30default_config_static_selectorELNS0_4arch9wavefront6targetE1EEEvSD_,"axG",@progbits,_ZN7rocprim17ROCPRIM_400000_NS6detail17trampoline_kernelINS0_14default_configENS1_22reduce_config_selectorIjEEZNS1_11reduce_implILb1ES3_PjS7_j11plus_mod_10IjEEE10hipError_tPvRmT1_T2_T3_mT4_P12ihipStream_tbEUlT_E1_NS1_11comp_targetILNS1_3genE4ELNS1_11target_archE910ELNS1_3gpuE8ELNS1_3repE0EEENS1_30default_config_static_selectorELNS0_4arch9wavefront6targetE1EEEvSD_,comdat
.Lfunc_end596:
	.size	_ZN7rocprim17ROCPRIM_400000_NS6detail17trampoline_kernelINS0_14default_configENS1_22reduce_config_selectorIjEEZNS1_11reduce_implILb1ES3_PjS7_j11plus_mod_10IjEEE10hipError_tPvRmT1_T2_T3_mT4_P12ihipStream_tbEUlT_E1_NS1_11comp_targetILNS1_3genE4ELNS1_11target_archE910ELNS1_3gpuE8ELNS1_3repE0EEENS1_30default_config_static_selectorELNS0_4arch9wavefront6targetE1EEEvSD_, .Lfunc_end596-_ZN7rocprim17ROCPRIM_400000_NS6detail17trampoline_kernelINS0_14default_configENS1_22reduce_config_selectorIjEEZNS1_11reduce_implILb1ES3_PjS7_j11plus_mod_10IjEEE10hipError_tPvRmT1_T2_T3_mT4_P12ihipStream_tbEUlT_E1_NS1_11comp_targetILNS1_3genE4ELNS1_11target_archE910ELNS1_3gpuE8ELNS1_3repE0EEENS1_30default_config_static_selectorELNS0_4arch9wavefront6targetE1EEEvSD_
                                        ; -- End function
	.set _ZN7rocprim17ROCPRIM_400000_NS6detail17trampoline_kernelINS0_14default_configENS1_22reduce_config_selectorIjEEZNS1_11reduce_implILb1ES3_PjS7_j11plus_mod_10IjEEE10hipError_tPvRmT1_T2_T3_mT4_P12ihipStream_tbEUlT_E1_NS1_11comp_targetILNS1_3genE4ELNS1_11target_archE910ELNS1_3gpuE8ELNS1_3repE0EEENS1_30default_config_static_selectorELNS0_4arch9wavefront6targetE1EEEvSD_.num_vgpr, 0
	.set _ZN7rocprim17ROCPRIM_400000_NS6detail17trampoline_kernelINS0_14default_configENS1_22reduce_config_selectorIjEEZNS1_11reduce_implILb1ES3_PjS7_j11plus_mod_10IjEEE10hipError_tPvRmT1_T2_T3_mT4_P12ihipStream_tbEUlT_E1_NS1_11comp_targetILNS1_3genE4ELNS1_11target_archE910ELNS1_3gpuE8ELNS1_3repE0EEENS1_30default_config_static_selectorELNS0_4arch9wavefront6targetE1EEEvSD_.num_agpr, 0
	.set _ZN7rocprim17ROCPRIM_400000_NS6detail17trampoline_kernelINS0_14default_configENS1_22reduce_config_selectorIjEEZNS1_11reduce_implILb1ES3_PjS7_j11plus_mod_10IjEEE10hipError_tPvRmT1_T2_T3_mT4_P12ihipStream_tbEUlT_E1_NS1_11comp_targetILNS1_3genE4ELNS1_11target_archE910ELNS1_3gpuE8ELNS1_3repE0EEENS1_30default_config_static_selectorELNS0_4arch9wavefront6targetE1EEEvSD_.numbered_sgpr, 0
	.set _ZN7rocprim17ROCPRIM_400000_NS6detail17trampoline_kernelINS0_14default_configENS1_22reduce_config_selectorIjEEZNS1_11reduce_implILb1ES3_PjS7_j11plus_mod_10IjEEE10hipError_tPvRmT1_T2_T3_mT4_P12ihipStream_tbEUlT_E1_NS1_11comp_targetILNS1_3genE4ELNS1_11target_archE910ELNS1_3gpuE8ELNS1_3repE0EEENS1_30default_config_static_selectorELNS0_4arch9wavefront6targetE1EEEvSD_.num_named_barrier, 0
	.set _ZN7rocprim17ROCPRIM_400000_NS6detail17trampoline_kernelINS0_14default_configENS1_22reduce_config_selectorIjEEZNS1_11reduce_implILb1ES3_PjS7_j11plus_mod_10IjEEE10hipError_tPvRmT1_T2_T3_mT4_P12ihipStream_tbEUlT_E1_NS1_11comp_targetILNS1_3genE4ELNS1_11target_archE910ELNS1_3gpuE8ELNS1_3repE0EEENS1_30default_config_static_selectorELNS0_4arch9wavefront6targetE1EEEvSD_.private_seg_size, 0
	.set _ZN7rocprim17ROCPRIM_400000_NS6detail17trampoline_kernelINS0_14default_configENS1_22reduce_config_selectorIjEEZNS1_11reduce_implILb1ES3_PjS7_j11plus_mod_10IjEEE10hipError_tPvRmT1_T2_T3_mT4_P12ihipStream_tbEUlT_E1_NS1_11comp_targetILNS1_3genE4ELNS1_11target_archE910ELNS1_3gpuE8ELNS1_3repE0EEENS1_30default_config_static_selectorELNS0_4arch9wavefront6targetE1EEEvSD_.uses_vcc, 0
	.set _ZN7rocprim17ROCPRIM_400000_NS6detail17trampoline_kernelINS0_14default_configENS1_22reduce_config_selectorIjEEZNS1_11reduce_implILb1ES3_PjS7_j11plus_mod_10IjEEE10hipError_tPvRmT1_T2_T3_mT4_P12ihipStream_tbEUlT_E1_NS1_11comp_targetILNS1_3genE4ELNS1_11target_archE910ELNS1_3gpuE8ELNS1_3repE0EEENS1_30default_config_static_selectorELNS0_4arch9wavefront6targetE1EEEvSD_.uses_flat_scratch, 0
	.set _ZN7rocprim17ROCPRIM_400000_NS6detail17trampoline_kernelINS0_14default_configENS1_22reduce_config_selectorIjEEZNS1_11reduce_implILb1ES3_PjS7_j11plus_mod_10IjEEE10hipError_tPvRmT1_T2_T3_mT4_P12ihipStream_tbEUlT_E1_NS1_11comp_targetILNS1_3genE4ELNS1_11target_archE910ELNS1_3gpuE8ELNS1_3repE0EEENS1_30default_config_static_selectorELNS0_4arch9wavefront6targetE1EEEvSD_.has_dyn_sized_stack, 0
	.set _ZN7rocprim17ROCPRIM_400000_NS6detail17trampoline_kernelINS0_14default_configENS1_22reduce_config_selectorIjEEZNS1_11reduce_implILb1ES3_PjS7_j11plus_mod_10IjEEE10hipError_tPvRmT1_T2_T3_mT4_P12ihipStream_tbEUlT_E1_NS1_11comp_targetILNS1_3genE4ELNS1_11target_archE910ELNS1_3gpuE8ELNS1_3repE0EEENS1_30default_config_static_selectorELNS0_4arch9wavefront6targetE1EEEvSD_.has_recursion, 0
	.set _ZN7rocprim17ROCPRIM_400000_NS6detail17trampoline_kernelINS0_14default_configENS1_22reduce_config_selectorIjEEZNS1_11reduce_implILb1ES3_PjS7_j11plus_mod_10IjEEE10hipError_tPvRmT1_T2_T3_mT4_P12ihipStream_tbEUlT_E1_NS1_11comp_targetILNS1_3genE4ELNS1_11target_archE910ELNS1_3gpuE8ELNS1_3repE0EEENS1_30default_config_static_selectorELNS0_4arch9wavefront6targetE1EEEvSD_.has_indirect_call, 0
	.section	.AMDGPU.csdata,"",@progbits
; Kernel info:
; codeLenInByte = 0
; TotalNumSgprs: 6
; NumVgprs: 0
; NumAgprs: 0
; TotalNumVgprs: 0
; ScratchSize: 0
; MemoryBound: 0
; FloatMode: 240
; IeeeMode: 1
; LDSByteSize: 0 bytes/workgroup (compile time only)
; SGPRBlocks: 0
; VGPRBlocks: 0
; NumSGPRsForWavesPerEU: 6
; NumVGPRsForWavesPerEU: 1
; AccumOffset: 4
; Occupancy: 8
; WaveLimiterHint : 0
; COMPUTE_PGM_RSRC2:SCRATCH_EN: 0
; COMPUTE_PGM_RSRC2:USER_SGPR: 2
; COMPUTE_PGM_RSRC2:TRAP_HANDLER: 0
; COMPUTE_PGM_RSRC2:TGID_X_EN: 1
; COMPUTE_PGM_RSRC2:TGID_Y_EN: 0
; COMPUTE_PGM_RSRC2:TGID_Z_EN: 0
; COMPUTE_PGM_RSRC2:TIDIG_COMP_CNT: 0
; COMPUTE_PGM_RSRC3_GFX90A:ACCUM_OFFSET: 0
; COMPUTE_PGM_RSRC3_GFX90A:TG_SPLIT: 0
	.section	.text._ZN7rocprim17ROCPRIM_400000_NS6detail17trampoline_kernelINS0_14default_configENS1_22reduce_config_selectorIjEEZNS1_11reduce_implILb1ES3_PjS7_j11plus_mod_10IjEEE10hipError_tPvRmT1_T2_T3_mT4_P12ihipStream_tbEUlT_E1_NS1_11comp_targetILNS1_3genE3ELNS1_11target_archE908ELNS1_3gpuE7ELNS1_3repE0EEENS1_30default_config_static_selectorELNS0_4arch9wavefront6targetE1EEEvSD_,"axG",@progbits,_ZN7rocprim17ROCPRIM_400000_NS6detail17trampoline_kernelINS0_14default_configENS1_22reduce_config_selectorIjEEZNS1_11reduce_implILb1ES3_PjS7_j11plus_mod_10IjEEE10hipError_tPvRmT1_T2_T3_mT4_P12ihipStream_tbEUlT_E1_NS1_11comp_targetILNS1_3genE3ELNS1_11target_archE908ELNS1_3gpuE7ELNS1_3repE0EEENS1_30default_config_static_selectorELNS0_4arch9wavefront6targetE1EEEvSD_,comdat
	.protected	_ZN7rocprim17ROCPRIM_400000_NS6detail17trampoline_kernelINS0_14default_configENS1_22reduce_config_selectorIjEEZNS1_11reduce_implILb1ES3_PjS7_j11plus_mod_10IjEEE10hipError_tPvRmT1_T2_T3_mT4_P12ihipStream_tbEUlT_E1_NS1_11comp_targetILNS1_3genE3ELNS1_11target_archE908ELNS1_3gpuE7ELNS1_3repE0EEENS1_30default_config_static_selectorELNS0_4arch9wavefront6targetE1EEEvSD_ ; -- Begin function _ZN7rocprim17ROCPRIM_400000_NS6detail17trampoline_kernelINS0_14default_configENS1_22reduce_config_selectorIjEEZNS1_11reduce_implILb1ES3_PjS7_j11plus_mod_10IjEEE10hipError_tPvRmT1_T2_T3_mT4_P12ihipStream_tbEUlT_E1_NS1_11comp_targetILNS1_3genE3ELNS1_11target_archE908ELNS1_3gpuE7ELNS1_3repE0EEENS1_30default_config_static_selectorELNS0_4arch9wavefront6targetE1EEEvSD_
	.globl	_ZN7rocprim17ROCPRIM_400000_NS6detail17trampoline_kernelINS0_14default_configENS1_22reduce_config_selectorIjEEZNS1_11reduce_implILb1ES3_PjS7_j11plus_mod_10IjEEE10hipError_tPvRmT1_T2_T3_mT4_P12ihipStream_tbEUlT_E1_NS1_11comp_targetILNS1_3genE3ELNS1_11target_archE908ELNS1_3gpuE7ELNS1_3repE0EEENS1_30default_config_static_selectorELNS0_4arch9wavefront6targetE1EEEvSD_
	.p2align	8
	.type	_ZN7rocprim17ROCPRIM_400000_NS6detail17trampoline_kernelINS0_14default_configENS1_22reduce_config_selectorIjEEZNS1_11reduce_implILb1ES3_PjS7_j11plus_mod_10IjEEE10hipError_tPvRmT1_T2_T3_mT4_P12ihipStream_tbEUlT_E1_NS1_11comp_targetILNS1_3genE3ELNS1_11target_archE908ELNS1_3gpuE7ELNS1_3repE0EEENS1_30default_config_static_selectorELNS0_4arch9wavefront6targetE1EEEvSD_,@function
_ZN7rocprim17ROCPRIM_400000_NS6detail17trampoline_kernelINS0_14default_configENS1_22reduce_config_selectorIjEEZNS1_11reduce_implILb1ES3_PjS7_j11plus_mod_10IjEEE10hipError_tPvRmT1_T2_T3_mT4_P12ihipStream_tbEUlT_E1_NS1_11comp_targetILNS1_3genE3ELNS1_11target_archE908ELNS1_3gpuE7ELNS1_3repE0EEENS1_30default_config_static_selectorELNS0_4arch9wavefront6targetE1EEEvSD_: ; @_ZN7rocprim17ROCPRIM_400000_NS6detail17trampoline_kernelINS0_14default_configENS1_22reduce_config_selectorIjEEZNS1_11reduce_implILb1ES3_PjS7_j11plus_mod_10IjEEE10hipError_tPvRmT1_T2_T3_mT4_P12ihipStream_tbEUlT_E1_NS1_11comp_targetILNS1_3genE3ELNS1_11target_archE908ELNS1_3gpuE7ELNS1_3repE0EEENS1_30default_config_static_selectorELNS0_4arch9wavefront6targetE1EEEvSD_
; %bb.0:
	.section	.rodata,"a",@progbits
	.p2align	6, 0x0
	.amdhsa_kernel _ZN7rocprim17ROCPRIM_400000_NS6detail17trampoline_kernelINS0_14default_configENS1_22reduce_config_selectorIjEEZNS1_11reduce_implILb1ES3_PjS7_j11plus_mod_10IjEEE10hipError_tPvRmT1_T2_T3_mT4_P12ihipStream_tbEUlT_E1_NS1_11comp_targetILNS1_3genE3ELNS1_11target_archE908ELNS1_3gpuE7ELNS1_3repE0EEENS1_30default_config_static_selectorELNS0_4arch9wavefront6targetE1EEEvSD_
		.amdhsa_group_segment_fixed_size 0
		.amdhsa_private_segment_fixed_size 0
		.amdhsa_kernarg_size 40
		.amdhsa_user_sgpr_count 2
		.amdhsa_user_sgpr_dispatch_ptr 0
		.amdhsa_user_sgpr_queue_ptr 0
		.amdhsa_user_sgpr_kernarg_segment_ptr 1
		.amdhsa_user_sgpr_dispatch_id 0
		.amdhsa_user_sgpr_kernarg_preload_length 0
		.amdhsa_user_sgpr_kernarg_preload_offset 0
		.amdhsa_user_sgpr_private_segment_size 0
		.amdhsa_uses_dynamic_stack 0
		.amdhsa_enable_private_segment 0
		.amdhsa_system_sgpr_workgroup_id_x 1
		.amdhsa_system_sgpr_workgroup_id_y 0
		.amdhsa_system_sgpr_workgroup_id_z 0
		.amdhsa_system_sgpr_workgroup_info 0
		.amdhsa_system_vgpr_workitem_id 0
		.amdhsa_next_free_vgpr 1
		.amdhsa_next_free_sgpr 0
		.amdhsa_accum_offset 4
		.amdhsa_reserve_vcc 0
		.amdhsa_float_round_mode_32 0
		.amdhsa_float_round_mode_16_64 0
		.amdhsa_float_denorm_mode_32 3
		.amdhsa_float_denorm_mode_16_64 3
		.amdhsa_dx10_clamp 1
		.amdhsa_ieee_mode 1
		.amdhsa_fp16_overflow 0
		.amdhsa_tg_split 0
		.amdhsa_exception_fp_ieee_invalid_op 0
		.amdhsa_exception_fp_denorm_src 0
		.amdhsa_exception_fp_ieee_div_zero 0
		.amdhsa_exception_fp_ieee_overflow 0
		.amdhsa_exception_fp_ieee_underflow 0
		.amdhsa_exception_fp_ieee_inexact 0
		.amdhsa_exception_int_div_zero 0
	.end_amdhsa_kernel
	.section	.text._ZN7rocprim17ROCPRIM_400000_NS6detail17trampoline_kernelINS0_14default_configENS1_22reduce_config_selectorIjEEZNS1_11reduce_implILb1ES3_PjS7_j11plus_mod_10IjEEE10hipError_tPvRmT1_T2_T3_mT4_P12ihipStream_tbEUlT_E1_NS1_11comp_targetILNS1_3genE3ELNS1_11target_archE908ELNS1_3gpuE7ELNS1_3repE0EEENS1_30default_config_static_selectorELNS0_4arch9wavefront6targetE1EEEvSD_,"axG",@progbits,_ZN7rocprim17ROCPRIM_400000_NS6detail17trampoline_kernelINS0_14default_configENS1_22reduce_config_selectorIjEEZNS1_11reduce_implILb1ES3_PjS7_j11plus_mod_10IjEEE10hipError_tPvRmT1_T2_T3_mT4_P12ihipStream_tbEUlT_E1_NS1_11comp_targetILNS1_3genE3ELNS1_11target_archE908ELNS1_3gpuE7ELNS1_3repE0EEENS1_30default_config_static_selectorELNS0_4arch9wavefront6targetE1EEEvSD_,comdat
.Lfunc_end597:
	.size	_ZN7rocprim17ROCPRIM_400000_NS6detail17trampoline_kernelINS0_14default_configENS1_22reduce_config_selectorIjEEZNS1_11reduce_implILb1ES3_PjS7_j11plus_mod_10IjEEE10hipError_tPvRmT1_T2_T3_mT4_P12ihipStream_tbEUlT_E1_NS1_11comp_targetILNS1_3genE3ELNS1_11target_archE908ELNS1_3gpuE7ELNS1_3repE0EEENS1_30default_config_static_selectorELNS0_4arch9wavefront6targetE1EEEvSD_, .Lfunc_end597-_ZN7rocprim17ROCPRIM_400000_NS6detail17trampoline_kernelINS0_14default_configENS1_22reduce_config_selectorIjEEZNS1_11reduce_implILb1ES3_PjS7_j11plus_mod_10IjEEE10hipError_tPvRmT1_T2_T3_mT4_P12ihipStream_tbEUlT_E1_NS1_11comp_targetILNS1_3genE3ELNS1_11target_archE908ELNS1_3gpuE7ELNS1_3repE0EEENS1_30default_config_static_selectorELNS0_4arch9wavefront6targetE1EEEvSD_
                                        ; -- End function
	.set _ZN7rocprim17ROCPRIM_400000_NS6detail17trampoline_kernelINS0_14default_configENS1_22reduce_config_selectorIjEEZNS1_11reduce_implILb1ES3_PjS7_j11plus_mod_10IjEEE10hipError_tPvRmT1_T2_T3_mT4_P12ihipStream_tbEUlT_E1_NS1_11comp_targetILNS1_3genE3ELNS1_11target_archE908ELNS1_3gpuE7ELNS1_3repE0EEENS1_30default_config_static_selectorELNS0_4arch9wavefront6targetE1EEEvSD_.num_vgpr, 0
	.set _ZN7rocprim17ROCPRIM_400000_NS6detail17trampoline_kernelINS0_14default_configENS1_22reduce_config_selectorIjEEZNS1_11reduce_implILb1ES3_PjS7_j11plus_mod_10IjEEE10hipError_tPvRmT1_T2_T3_mT4_P12ihipStream_tbEUlT_E1_NS1_11comp_targetILNS1_3genE3ELNS1_11target_archE908ELNS1_3gpuE7ELNS1_3repE0EEENS1_30default_config_static_selectorELNS0_4arch9wavefront6targetE1EEEvSD_.num_agpr, 0
	.set _ZN7rocprim17ROCPRIM_400000_NS6detail17trampoline_kernelINS0_14default_configENS1_22reduce_config_selectorIjEEZNS1_11reduce_implILb1ES3_PjS7_j11plus_mod_10IjEEE10hipError_tPvRmT1_T2_T3_mT4_P12ihipStream_tbEUlT_E1_NS1_11comp_targetILNS1_3genE3ELNS1_11target_archE908ELNS1_3gpuE7ELNS1_3repE0EEENS1_30default_config_static_selectorELNS0_4arch9wavefront6targetE1EEEvSD_.numbered_sgpr, 0
	.set _ZN7rocprim17ROCPRIM_400000_NS6detail17trampoline_kernelINS0_14default_configENS1_22reduce_config_selectorIjEEZNS1_11reduce_implILb1ES3_PjS7_j11plus_mod_10IjEEE10hipError_tPvRmT1_T2_T3_mT4_P12ihipStream_tbEUlT_E1_NS1_11comp_targetILNS1_3genE3ELNS1_11target_archE908ELNS1_3gpuE7ELNS1_3repE0EEENS1_30default_config_static_selectorELNS0_4arch9wavefront6targetE1EEEvSD_.num_named_barrier, 0
	.set _ZN7rocprim17ROCPRIM_400000_NS6detail17trampoline_kernelINS0_14default_configENS1_22reduce_config_selectorIjEEZNS1_11reduce_implILb1ES3_PjS7_j11plus_mod_10IjEEE10hipError_tPvRmT1_T2_T3_mT4_P12ihipStream_tbEUlT_E1_NS1_11comp_targetILNS1_3genE3ELNS1_11target_archE908ELNS1_3gpuE7ELNS1_3repE0EEENS1_30default_config_static_selectorELNS0_4arch9wavefront6targetE1EEEvSD_.private_seg_size, 0
	.set _ZN7rocprim17ROCPRIM_400000_NS6detail17trampoline_kernelINS0_14default_configENS1_22reduce_config_selectorIjEEZNS1_11reduce_implILb1ES3_PjS7_j11plus_mod_10IjEEE10hipError_tPvRmT1_T2_T3_mT4_P12ihipStream_tbEUlT_E1_NS1_11comp_targetILNS1_3genE3ELNS1_11target_archE908ELNS1_3gpuE7ELNS1_3repE0EEENS1_30default_config_static_selectorELNS0_4arch9wavefront6targetE1EEEvSD_.uses_vcc, 0
	.set _ZN7rocprim17ROCPRIM_400000_NS6detail17trampoline_kernelINS0_14default_configENS1_22reduce_config_selectorIjEEZNS1_11reduce_implILb1ES3_PjS7_j11plus_mod_10IjEEE10hipError_tPvRmT1_T2_T3_mT4_P12ihipStream_tbEUlT_E1_NS1_11comp_targetILNS1_3genE3ELNS1_11target_archE908ELNS1_3gpuE7ELNS1_3repE0EEENS1_30default_config_static_selectorELNS0_4arch9wavefront6targetE1EEEvSD_.uses_flat_scratch, 0
	.set _ZN7rocprim17ROCPRIM_400000_NS6detail17trampoline_kernelINS0_14default_configENS1_22reduce_config_selectorIjEEZNS1_11reduce_implILb1ES3_PjS7_j11plus_mod_10IjEEE10hipError_tPvRmT1_T2_T3_mT4_P12ihipStream_tbEUlT_E1_NS1_11comp_targetILNS1_3genE3ELNS1_11target_archE908ELNS1_3gpuE7ELNS1_3repE0EEENS1_30default_config_static_selectorELNS0_4arch9wavefront6targetE1EEEvSD_.has_dyn_sized_stack, 0
	.set _ZN7rocprim17ROCPRIM_400000_NS6detail17trampoline_kernelINS0_14default_configENS1_22reduce_config_selectorIjEEZNS1_11reduce_implILb1ES3_PjS7_j11plus_mod_10IjEEE10hipError_tPvRmT1_T2_T3_mT4_P12ihipStream_tbEUlT_E1_NS1_11comp_targetILNS1_3genE3ELNS1_11target_archE908ELNS1_3gpuE7ELNS1_3repE0EEENS1_30default_config_static_selectorELNS0_4arch9wavefront6targetE1EEEvSD_.has_recursion, 0
	.set _ZN7rocprim17ROCPRIM_400000_NS6detail17trampoline_kernelINS0_14default_configENS1_22reduce_config_selectorIjEEZNS1_11reduce_implILb1ES3_PjS7_j11plus_mod_10IjEEE10hipError_tPvRmT1_T2_T3_mT4_P12ihipStream_tbEUlT_E1_NS1_11comp_targetILNS1_3genE3ELNS1_11target_archE908ELNS1_3gpuE7ELNS1_3repE0EEENS1_30default_config_static_selectorELNS0_4arch9wavefront6targetE1EEEvSD_.has_indirect_call, 0
	.section	.AMDGPU.csdata,"",@progbits
; Kernel info:
; codeLenInByte = 0
; TotalNumSgprs: 6
; NumVgprs: 0
; NumAgprs: 0
; TotalNumVgprs: 0
; ScratchSize: 0
; MemoryBound: 0
; FloatMode: 240
; IeeeMode: 1
; LDSByteSize: 0 bytes/workgroup (compile time only)
; SGPRBlocks: 0
; VGPRBlocks: 0
; NumSGPRsForWavesPerEU: 6
; NumVGPRsForWavesPerEU: 1
; AccumOffset: 4
; Occupancy: 8
; WaveLimiterHint : 0
; COMPUTE_PGM_RSRC2:SCRATCH_EN: 0
; COMPUTE_PGM_RSRC2:USER_SGPR: 2
; COMPUTE_PGM_RSRC2:TRAP_HANDLER: 0
; COMPUTE_PGM_RSRC2:TGID_X_EN: 1
; COMPUTE_PGM_RSRC2:TGID_Y_EN: 0
; COMPUTE_PGM_RSRC2:TGID_Z_EN: 0
; COMPUTE_PGM_RSRC2:TIDIG_COMP_CNT: 0
; COMPUTE_PGM_RSRC3_GFX90A:ACCUM_OFFSET: 0
; COMPUTE_PGM_RSRC3_GFX90A:TG_SPLIT: 0
	.section	.text._ZN7rocprim17ROCPRIM_400000_NS6detail17trampoline_kernelINS0_14default_configENS1_22reduce_config_selectorIjEEZNS1_11reduce_implILb1ES3_PjS7_j11plus_mod_10IjEEE10hipError_tPvRmT1_T2_T3_mT4_P12ihipStream_tbEUlT_E1_NS1_11comp_targetILNS1_3genE2ELNS1_11target_archE906ELNS1_3gpuE6ELNS1_3repE0EEENS1_30default_config_static_selectorELNS0_4arch9wavefront6targetE1EEEvSD_,"axG",@progbits,_ZN7rocprim17ROCPRIM_400000_NS6detail17trampoline_kernelINS0_14default_configENS1_22reduce_config_selectorIjEEZNS1_11reduce_implILb1ES3_PjS7_j11plus_mod_10IjEEE10hipError_tPvRmT1_T2_T3_mT4_P12ihipStream_tbEUlT_E1_NS1_11comp_targetILNS1_3genE2ELNS1_11target_archE906ELNS1_3gpuE6ELNS1_3repE0EEENS1_30default_config_static_selectorELNS0_4arch9wavefront6targetE1EEEvSD_,comdat
	.protected	_ZN7rocprim17ROCPRIM_400000_NS6detail17trampoline_kernelINS0_14default_configENS1_22reduce_config_selectorIjEEZNS1_11reduce_implILb1ES3_PjS7_j11plus_mod_10IjEEE10hipError_tPvRmT1_T2_T3_mT4_P12ihipStream_tbEUlT_E1_NS1_11comp_targetILNS1_3genE2ELNS1_11target_archE906ELNS1_3gpuE6ELNS1_3repE0EEENS1_30default_config_static_selectorELNS0_4arch9wavefront6targetE1EEEvSD_ ; -- Begin function _ZN7rocprim17ROCPRIM_400000_NS6detail17trampoline_kernelINS0_14default_configENS1_22reduce_config_selectorIjEEZNS1_11reduce_implILb1ES3_PjS7_j11plus_mod_10IjEEE10hipError_tPvRmT1_T2_T3_mT4_P12ihipStream_tbEUlT_E1_NS1_11comp_targetILNS1_3genE2ELNS1_11target_archE906ELNS1_3gpuE6ELNS1_3repE0EEENS1_30default_config_static_selectorELNS0_4arch9wavefront6targetE1EEEvSD_
	.globl	_ZN7rocprim17ROCPRIM_400000_NS6detail17trampoline_kernelINS0_14default_configENS1_22reduce_config_selectorIjEEZNS1_11reduce_implILb1ES3_PjS7_j11plus_mod_10IjEEE10hipError_tPvRmT1_T2_T3_mT4_P12ihipStream_tbEUlT_E1_NS1_11comp_targetILNS1_3genE2ELNS1_11target_archE906ELNS1_3gpuE6ELNS1_3repE0EEENS1_30default_config_static_selectorELNS0_4arch9wavefront6targetE1EEEvSD_
	.p2align	8
	.type	_ZN7rocprim17ROCPRIM_400000_NS6detail17trampoline_kernelINS0_14default_configENS1_22reduce_config_selectorIjEEZNS1_11reduce_implILb1ES3_PjS7_j11plus_mod_10IjEEE10hipError_tPvRmT1_T2_T3_mT4_P12ihipStream_tbEUlT_E1_NS1_11comp_targetILNS1_3genE2ELNS1_11target_archE906ELNS1_3gpuE6ELNS1_3repE0EEENS1_30default_config_static_selectorELNS0_4arch9wavefront6targetE1EEEvSD_,@function
_ZN7rocprim17ROCPRIM_400000_NS6detail17trampoline_kernelINS0_14default_configENS1_22reduce_config_selectorIjEEZNS1_11reduce_implILb1ES3_PjS7_j11plus_mod_10IjEEE10hipError_tPvRmT1_T2_T3_mT4_P12ihipStream_tbEUlT_E1_NS1_11comp_targetILNS1_3genE2ELNS1_11target_archE906ELNS1_3gpuE6ELNS1_3repE0EEENS1_30default_config_static_selectorELNS0_4arch9wavefront6targetE1EEEvSD_: ; @_ZN7rocprim17ROCPRIM_400000_NS6detail17trampoline_kernelINS0_14default_configENS1_22reduce_config_selectorIjEEZNS1_11reduce_implILb1ES3_PjS7_j11plus_mod_10IjEEE10hipError_tPvRmT1_T2_T3_mT4_P12ihipStream_tbEUlT_E1_NS1_11comp_targetILNS1_3genE2ELNS1_11target_archE906ELNS1_3gpuE6ELNS1_3repE0EEENS1_30default_config_static_selectorELNS0_4arch9wavefront6targetE1EEEvSD_
; %bb.0:
	.section	.rodata,"a",@progbits
	.p2align	6, 0x0
	.amdhsa_kernel _ZN7rocprim17ROCPRIM_400000_NS6detail17trampoline_kernelINS0_14default_configENS1_22reduce_config_selectorIjEEZNS1_11reduce_implILb1ES3_PjS7_j11plus_mod_10IjEEE10hipError_tPvRmT1_T2_T3_mT4_P12ihipStream_tbEUlT_E1_NS1_11comp_targetILNS1_3genE2ELNS1_11target_archE906ELNS1_3gpuE6ELNS1_3repE0EEENS1_30default_config_static_selectorELNS0_4arch9wavefront6targetE1EEEvSD_
		.amdhsa_group_segment_fixed_size 0
		.amdhsa_private_segment_fixed_size 0
		.amdhsa_kernarg_size 40
		.amdhsa_user_sgpr_count 2
		.amdhsa_user_sgpr_dispatch_ptr 0
		.amdhsa_user_sgpr_queue_ptr 0
		.amdhsa_user_sgpr_kernarg_segment_ptr 1
		.amdhsa_user_sgpr_dispatch_id 0
		.amdhsa_user_sgpr_kernarg_preload_length 0
		.amdhsa_user_sgpr_kernarg_preload_offset 0
		.amdhsa_user_sgpr_private_segment_size 0
		.amdhsa_uses_dynamic_stack 0
		.amdhsa_enable_private_segment 0
		.amdhsa_system_sgpr_workgroup_id_x 1
		.amdhsa_system_sgpr_workgroup_id_y 0
		.amdhsa_system_sgpr_workgroup_id_z 0
		.amdhsa_system_sgpr_workgroup_info 0
		.amdhsa_system_vgpr_workitem_id 0
		.amdhsa_next_free_vgpr 1
		.amdhsa_next_free_sgpr 0
		.amdhsa_accum_offset 4
		.amdhsa_reserve_vcc 0
		.amdhsa_float_round_mode_32 0
		.amdhsa_float_round_mode_16_64 0
		.amdhsa_float_denorm_mode_32 3
		.amdhsa_float_denorm_mode_16_64 3
		.amdhsa_dx10_clamp 1
		.amdhsa_ieee_mode 1
		.amdhsa_fp16_overflow 0
		.amdhsa_tg_split 0
		.amdhsa_exception_fp_ieee_invalid_op 0
		.amdhsa_exception_fp_denorm_src 0
		.amdhsa_exception_fp_ieee_div_zero 0
		.amdhsa_exception_fp_ieee_overflow 0
		.amdhsa_exception_fp_ieee_underflow 0
		.amdhsa_exception_fp_ieee_inexact 0
		.amdhsa_exception_int_div_zero 0
	.end_amdhsa_kernel
	.section	.text._ZN7rocprim17ROCPRIM_400000_NS6detail17trampoline_kernelINS0_14default_configENS1_22reduce_config_selectorIjEEZNS1_11reduce_implILb1ES3_PjS7_j11plus_mod_10IjEEE10hipError_tPvRmT1_T2_T3_mT4_P12ihipStream_tbEUlT_E1_NS1_11comp_targetILNS1_3genE2ELNS1_11target_archE906ELNS1_3gpuE6ELNS1_3repE0EEENS1_30default_config_static_selectorELNS0_4arch9wavefront6targetE1EEEvSD_,"axG",@progbits,_ZN7rocprim17ROCPRIM_400000_NS6detail17trampoline_kernelINS0_14default_configENS1_22reduce_config_selectorIjEEZNS1_11reduce_implILb1ES3_PjS7_j11plus_mod_10IjEEE10hipError_tPvRmT1_T2_T3_mT4_P12ihipStream_tbEUlT_E1_NS1_11comp_targetILNS1_3genE2ELNS1_11target_archE906ELNS1_3gpuE6ELNS1_3repE0EEENS1_30default_config_static_selectorELNS0_4arch9wavefront6targetE1EEEvSD_,comdat
.Lfunc_end598:
	.size	_ZN7rocprim17ROCPRIM_400000_NS6detail17trampoline_kernelINS0_14default_configENS1_22reduce_config_selectorIjEEZNS1_11reduce_implILb1ES3_PjS7_j11plus_mod_10IjEEE10hipError_tPvRmT1_T2_T3_mT4_P12ihipStream_tbEUlT_E1_NS1_11comp_targetILNS1_3genE2ELNS1_11target_archE906ELNS1_3gpuE6ELNS1_3repE0EEENS1_30default_config_static_selectorELNS0_4arch9wavefront6targetE1EEEvSD_, .Lfunc_end598-_ZN7rocprim17ROCPRIM_400000_NS6detail17trampoline_kernelINS0_14default_configENS1_22reduce_config_selectorIjEEZNS1_11reduce_implILb1ES3_PjS7_j11plus_mod_10IjEEE10hipError_tPvRmT1_T2_T3_mT4_P12ihipStream_tbEUlT_E1_NS1_11comp_targetILNS1_3genE2ELNS1_11target_archE906ELNS1_3gpuE6ELNS1_3repE0EEENS1_30default_config_static_selectorELNS0_4arch9wavefront6targetE1EEEvSD_
                                        ; -- End function
	.set _ZN7rocprim17ROCPRIM_400000_NS6detail17trampoline_kernelINS0_14default_configENS1_22reduce_config_selectorIjEEZNS1_11reduce_implILb1ES3_PjS7_j11plus_mod_10IjEEE10hipError_tPvRmT1_T2_T3_mT4_P12ihipStream_tbEUlT_E1_NS1_11comp_targetILNS1_3genE2ELNS1_11target_archE906ELNS1_3gpuE6ELNS1_3repE0EEENS1_30default_config_static_selectorELNS0_4arch9wavefront6targetE1EEEvSD_.num_vgpr, 0
	.set _ZN7rocprim17ROCPRIM_400000_NS6detail17trampoline_kernelINS0_14default_configENS1_22reduce_config_selectorIjEEZNS1_11reduce_implILb1ES3_PjS7_j11plus_mod_10IjEEE10hipError_tPvRmT1_T2_T3_mT4_P12ihipStream_tbEUlT_E1_NS1_11comp_targetILNS1_3genE2ELNS1_11target_archE906ELNS1_3gpuE6ELNS1_3repE0EEENS1_30default_config_static_selectorELNS0_4arch9wavefront6targetE1EEEvSD_.num_agpr, 0
	.set _ZN7rocprim17ROCPRIM_400000_NS6detail17trampoline_kernelINS0_14default_configENS1_22reduce_config_selectorIjEEZNS1_11reduce_implILb1ES3_PjS7_j11plus_mod_10IjEEE10hipError_tPvRmT1_T2_T3_mT4_P12ihipStream_tbEUlT_E1_NS1_11comp_targetILNS1_3genE2ELNS1_11target_archE906ELNS1_3gpuE6ELNS1_3repE0EEENS1_30default_config_static_selectorELNS0_4arch9wavefront6targetE1EEEvSD_.numbered_sgpr, 0
	.set _ZN7rocprim17ROCPRIM_400000_NS6detail17trampoline_kernelINS0_14default_configENS1_22reduce_config_selectorIjEEZNS1_11reduce_implILb1ES3_PjS7_j11plus_mod_10IjEEE10hipError_tPvRmT1_T2_T3_mT4_P12ihipStream_tbEUlT_E1_NS1_11comp_targetILNS1_3genE2ELNS1_11target_archE906ELNS1_3gpuE6ELNS1_3repE0EEENS1_30default_config_static_selectorELNS0_4arch9wavefront6targetE1EEEvSD_.num_named_barrier, 0
	.set _ZN7rocprim17ROCPRIM_400000_NS6detail17trampoline_kernelINS0_14default_configENS1_22reduce_config_selectorIjEEZNS1_11reduce_implILb1ES3_PjS7_j11plus_mod_10IjEEE10hipError_tPvRmT1_T2_T3_mT4_P12ihipStream_tbEUlT_E1_NS1_11comp_targetILNS1_3genE2ELNS1_11target_archE906ELNS1_3gpuE6ELNS1_3repE0EEENS1_30default_config_static_selectorELNS0_4arch9wavefront6targetE1EEEvSD_.private_seg_size, 0
	.set _ZN7rocprim17ROCPRIM_400000_NS6detail17trampoline_kernelINS0_14default_configENS1_22reduce_config_selectorIjEEZNS1_11reduce_implILb1ES3_PjS7_j11plus_mod_10IjEEE10hipError_tPvRmT1_T2_T3_mT4_P12ihipStream_tbEUlT_E1_NS1_11comp_targetILNS1_3genE2ELNS1_11target_archE906ELNS1_3gpuE6ELNS1_3repE0EEENS1_30default_config_static_selectorELNS0_4arch9wavefront6targetE1EEEvSD_.uses_vcc, 0
	.set _ZN7rocprim17ROCPRIM_400000_NS6detail17trampoline_kernelINS0_14default_configENS1_22reduce_config_selectorIjEEZNS1_11reduce_implILb1ES3_PjS7_j11plus_mod_10IjEEE10hipError_tPvRmT1_T2_T3_mT4_P12ihipStream_tbEUlT_E1_NS1_11comp_targetILNS1_3genE2ELNS1_11target_archE906ELNS1_3gpuE6ELNS1_3repE0EEENS1_30default_config_static_selectorELNS0_4arch9wavefront6targetE1EEEvSD_.uses_flat_scratch, 0
	.set _ZN7rocprim17ROCPRIM_400000_NS6detail17trampoline_kernelINS0_14default_configENS1_22reduce_config_selectorIjEEZNS1_11reduce_implILb1ES3_PjS7_j11plus_mod_10IjEEE10hipError_tPvRmT1_T2_T3_mT4_P12ihipStream_tbEUlT_E1_NS1_11comp_targetILNS1_3genE2ELNS1_11target_archE906ELNS1_3gpuE6ELNS1_3repE0EEENS1_30default_config_static_selectorELNS0_4arch9wavefront6targetE1EEEvSD_.has_dyn_sized_stack, 0
	.set _ZN7rocprim17ROCPRIM_400000_NS6detail17trampoline_kernelINS0_14default_configENS1_22reduce_config_selectorIjEEZNS1_11reduce_implILb1ES3_PjS7_j11plus_mod_10IjEEE10hipError_tPvRmT1_T2_T3_mT4_P12ihipStream_tbEUlT_E1_NS1_11comp_targetILNS1_3genE2ELNS1_11target_archE906ELNS1_3gpuE6ELNS1_3repE0EEENS1_30default_config_static_selectorELNS0_4arch9wavefront6targetE1EEEvSD_.has_recursion, 0
	.set _ZN7rocprim17ROCPRIM_400000_NS6detail17trampoline_kernelINS0_14default_configENS1_22reduce_config_selectorIjEEZNS1_11reduce_implILb1ES3_PjS7_j11plus_mod_10IjEEE10hipError_tPvRmT1_T2_T3_mT4_P12ihipStream_tbEUlT_E1_NS1_11comp_targetILNS1_3genE2ELNS1_11target_archE906ELNS1_3gpuE6ELNS1_3repE0EEENS1_30default_config_static_selectorELNS0_4arch9wavefront6targetE1EEEvSD_.has_indirect_call, 0
	.section	.AMDGPU.csdata,"",@progbits
; Kernel info:
; codeLenInByte = 0
; TotalNumSgprs: 6
; NumVgprs: 0
; NumAgprs: 0
; TotalNumVgprs: 0
; ScratchSize: 0
; MemoryBound: 0
; FloatMode: 240
; IeeeMode: 1
; LDSByteSize: 0 bytes/workgroup (compile time only)
; SGPRBlocks: 0
; VGPRBlocks: 0
; NumSGPRsForWavesPerEU: 6
; NumVGPRsForWavesPerEU: 1
; AccumOffset: 4
; Occupancy: 8
; WaveLimiterHint : 0
; COMPUTE_PGM_RSRC2:SCRATCH_EN: 0
; COMPUTE_PGM_RSRC2:USER_SGPR: 2
; COMPUTE_PGM_RSRC2:TRAP_HANDLER: 0
; COMPUTE_PGM_RSRC2:TGID_X_EN: 1
; COMPUTE_PGM_RSRC2:TGID_Y_EN: 0
; COMPUTE_PGM_RSRC2:TGID_Z_EN: 0
; COMPUTE_PGM_RSRC2:TIDIG_COMP_CNT: 0
; COMPUTE_PGM_RSRC3_GFX90A:ACCUM_OFFSET: 0
; COMPUTE_PGM_RSRC3_GFX90A:TG_SPLIT: 0
	.section	.text._ZN7rocprim17ROCPRIM_400000_NS6detail17trampoline_kernelINS0_14default_configENS1_22reduce_config_selectorIjEEZNS1_11reduce_implILb1ES3_PjS7_j11plus_mod_10IjEEE10hipError_tPvRmT1_T2_T3_mT4_P12ihipStream_tbEUlT_E1_NS1_11comp_targetILNS1_3genE10ELNS1_11target_archE1201ELNS1_3gpuE5ELNS1_3repE0EEENS1_30default_config_static_selectorELNS0_4arch9wavefront6targetE1EEEvSD_,"axG",@progbits,_ZN7rocprim17ROCPRIM_400000_NS6detail17trampoline_kernelINS0_14default_configENS1_22reduce_config_selectorIjEEZNS1_11reduce_implILb1ES3_PjS7_j11plus_mod_10IjEEE10hipError_tPvRmT1_T2_T3_mT4_P12ihipStream_tbEUlT_E1_NS1_11comp_targetILNS1_3genE10ELNS1_11target_archE1201ELNS1_3gpuE5ELNS1_3repE0EEENS1_30default_config_static_selectorELNS0_4arch9wavefront6targetE1EEEvSD_,comdat
	.protected	_ZN7rocprim17ROCPRIM_400000_NS6detail17trampoline_kernelINS0_14default_configENS1_22reduce_config_selectorIjEEZNS1_11reduce_implILb1ES3_PjS7_j11plus_mod_10IjEEE10hipError_tPvRmT1_T2_T3_mT4_P12ihipStream_tbEUlT_E1_NS1_11comp_targetILNS1_3genE10ELNS1_11target_archE1201ELNS1_3gpuE5ELNS1_3repE0EEENS1_30default_config_static_selectorELNS0_4arch9wavefront6targetE1EEEvSD_ ; -- Begin function _ZN7rocprim17ROCPRIM_400000_NS6detail17trampoline_kernelINS0_14default_configENS1_22reduce_config_selectorIjEEZNS1_11reduce_implILb1ES3_PjS7_j11plus_mod_10IjEEE10hipError_tPvRmT1_T2_T3_mT4_P12ihipStream_tbEUlT_E1_NS1_11comp_targetILNS1_3genE10ELNS1_11target_archE1201ELNS1_3gpuE5ELNS1_3repE0EEENS1_30default_config_static_selectorELNS0_4arch9wavefront6targetE1EEEvSD_
	.globl	_ZN7rocprim17ROCPRIM_400000_NS6detail17trampoline_kernelINS0_14default_configENS1_22reduce_config_selectorIjEEZNS1_11reduce_implILb1ES3_PjS7_j11plus_mod_10IjEEE10hipError_tPvRmT1_T2_T3_mT4_P12ihipStream_tbEUlT_E1_NS1_11comp_targetILNS1_3genE10ELNS1_11target_archE1201ELNS1_3gpuE5ELNS1_3repE0EEENS1_30default_config_static_selectorELNS0_4arch9wavefront6targetE1EEEvSD_
	.p2align	8
	.type	_ZN7rocprim17ROCPRIM_400000_NS6detail17trampoline_kernelINS0_14default_configENS1_22reduce_config_selectorIjEEZNS1_11reduce_implILb1ES3_PjS7_j11plus_mod_10IjEEE10hipError_tPvRmT1_T2_T3_mT4_P12ihipStream_tbEUlT_E1_NS1_11comp_targetILNS1_3genE10ELNS1_11target_archE1201ELNS1_3gpuE5ELNS1_3repE0EEENS1_30default_config_static_selectorELNS0_4arch9wavefront6targetE1EEEvSD_,@function
_ZN7rocprim17ROCPRIM_400000_NS6detail17trampoline_kernelINS0_14default_configENS1_22reduce_config_selectorIjEEZNS1_11reduce_implILb1ES3_PjS7_j11plus_mod_10IjEEE10hipError_tPvRmT1_T2_T3_mT4_P12ihipStream_tbEUlT_E1_NS1_11comp_targetILNS1_3genE10ELNS1_11target_archE1201ELNS1_3gpuE5ELNS1_3repE0EEENS1_30default_config_static_selectorELNS0_4arch9wavefront6targetE1EEEvSD_: ; @_ZN7rocprim17ROCPRIM_400000_NS6detail17trampoline_kernelINS0_14default_configENS1_22reduce_config_selectorIjEEZNS1_11reduce_implILb1ES3_PjS7_j11plus_mod_10IjEEE10hipError_tPvRmT1_T2_T3_mT4_P12ihipStream_tbEUlT_E1_NS1_11comp_targetILNS1_3genE10ELNS1_11target_archE1201ELNS1_3gpuE5ELNS1_3repE0EEENS1_30default_config_static_selectorELNS0_4arch9wavefront6targetE1EEEvSD_
; %bb.0:
	.section	.rodata,"a",@progbits
	.p2align	6, 0x0
	.amdhsa_kernel _ZN7rocprim17ROCPRIM_400000_NS6detail17trampoline_kernelINS0_14default_configENS1_22reduce_config_selectorIjEEZNS1_11reduce_implILb1ES3_PjS7_j11plus_mod_10IjEEE10hipError_tPvRmT1_T2_T3_mT4_P12ihipStream_tbEUlT_E1_NS1_11comp_targetILNS1_3genE10ELNS1_11target_archE1201ELNS1_3gpuE5ELNS1_3repE0EEENS1_30default_config_static_selectorELNS0_4arch9wavefront6targetE1EEEvSD_
		.amdhsa_group_segment_fixed_size 0
		.amdhsa_private_segment_fixed_size 0
		.amdhsa_kernarg_size 40
		.amdhsa_user_sgpr_count 2
		.amdhsa_user_sgpr_dispatch_ptr 0
		.amdhsa_user_sgpr_queue_ptr 0
		.amdhsa_user_sgpr_kernarg_segment_ptr 1
		.amdhsa_user_sgpr_dispatch_id 0
		.amdhsa_user_sgpr_kernarg_preload_length 0
		.amdhsa_user_sgpr_kernarg_preload_offset 0
		.amdhsa_user_sgpr_private_segment_size 0
		.amdhsa_uses_dynamic_stack 0
		.amdhsa_enable_private_segment 0
		.amdhsa_system_sgpr_workgroup_id_x 1
		.amdhsa_system_sgpr_workgroup_id_y 0
		.amdhsa_system_sgpr_workgroup_id_z 0
		.amdhsa_system_sgpr_workgroup_info 0
		.amdhsa_system_vgpr_workitem_id 0
		.amdhsa_next_free_vgpr 1
		.amdhsa_next_free_sgpr 0
		.amdhsa_accum_offset 4
		.amdhsa_reserve_vcc 0
		.amdhsa_float_round_mode_32 0
		.amdhsa_float_round_mode_16_64 0
		.amdhsa_float_denorm_mode_32 3
		.amdhsa_float_denorm_mode_16_64 3
		.amdhsa_dx10_clamp 1
		.amdhsa_ieee_mode 1
		.amdhsa_fp16_overflow 0
		.amdhsa_tg_split 0
		.amdhsa_exception_fp_ieee_invalid_op 0
		.amdhsa_exception_fp_denorm_src 0
		.amdhsa_exception_fp_ieee_div_zero 0
		.amdhsa_exception_fp_ieee_overflow 0
		.amdhsa_exception_fp_ieee_underflow 0
		.amdhsa_exception_fp_ieee_inexact 0
		.amdhsa_exception_int_div_zero 0
	.end_amdhsa_kernel
	.section	.text._ZN7rocprim17ROCPRIM_400000_NS6detail17trampoline_kernelINS0_14default_configENS1_22reduce_config_selectorIjEEZNS1_11reduce_implILb1ES3_PjS7_j11plus_mod_10IjEEE10hipError_tPvRmT1_T2_T3_mT4_P12ihipStream_tbEUlT_E1_NS1_11comp_targetILNS1_3genE10ELNS1_11target_archE1201ELNS1_3gpuE5ELNS1_3repE0EEENS1_30default_config_static_selectorELNS0_4arch9wavefront6targetE1EEEvSD_,"axG",@progbits,_ZN7rocprim17ROCPRIM_400000_NS6detail17trampoline_kernelINS0_14default_configENS1_22reduce_config_selectorIjEEZNS1_11reduce_implILb1ES3_PjS7_j11plus_mod_10IjEEE10hipError_tPvRmT1_T2_T3_mT4_P12ihipStream_tbEUlT_E1_NS1_11comp_targetILNS1_3genE10ELNS1_11target_archE1201ELNS1_3gpuE5ELNS1_3repE0EEENS1_30default_config_static_selectorELNS0_4arch9wavefront6targetE1EEEvSD_,comdat
.Lfunc_end599:
	.size	_ZN7rocprim17ROCPRIM_400000_NS6detail17trampoline_kernelINS0_14default_configENS1_22reduce_config_selectorIjEEZNS1_11reduce_implILb1ES3_PjS7_j11plus_mod_10IjEEE10hipError_tPvRmT1_T2_T3_mT4_P12ihipStream_tbEUlT_E1_NS1_11comp_targetILNS1_3genE10ELNS1_11target_archE1201ELNS1_3gpuE5ELNS1_3repE0EEENS1_30default_config_static_selectorELNS0_4arch9wavefront6targetE1EEEvSD_, .Lfunc_end599-_ZN7rocprim17ROCPRIM_400000_NS6detail17trampoline_kernelINS0_14default_configENS1_22reduce_config_selectorIjEEZNS1_11reduce_implILb1ES3_PjS7_j11plus_mod_10IjEEE10hipError_tPvRmT1_T2_T3_mT4_P12ihipStream_tbEUlT_E1_NS1_11comp_targetILNS1_3genE10ELNS1_11target_archE1201ELNS1_3gpuE5ELNS1_3repE0EEENS1_30default_config_static_selectorELNS0_4arch9wavefront6targetE1EEEvSD_
                                        ; -- End function
	.set _ZN7rocprim17ROCPRIM_400000_NS6detail17trampoline_kernelINS0_14default_configENS1_22reduce_config_selectorIjEEZNS1_11reduce_implILb1ES3_PjS7_j11plus_mod_10IjEEE10hipError_tPvRmT1_T2_T3_mT4_P12ihipStream_tbEUlT_E1_NS1_11comp_targetILNS1_3genE10ELNS1_11target_archE1201ELNS1_3gpuE5ELNS1_3repE0EEENS1_30default_config_static_selectorELNS0_4arch9wavefront6targetE1EEEvSD_.num_vgpr, 0
	.set _ZN7rocprim17ROCPRIM_400000_NS6detail17trampoline_kernelINS0_14default_configENS1_22reduce_config_selectorIjEEZNS1_11reduce_implILb1ES3_PjS7_j11plus_mod_10IjEEE10hipError_tPvRmT1_T2_T3_mT4_P12ihipStream_tbEUlT_E1_NS1_11comp_targetILNS1_3genE10ELNS1_11target_archE1201ELNS1_3gpuE5ELNS1_3repE0EEENS1_30default_config_static_selectorELNS0_4arch9wavefront6targetE1EEEvSD_.num_agpr, 0
	.set _ZN7rocprim17ROCPRIM_400000_NS6detail17trampoline_kernelINS0_14default_configENS1_22reduce_config_selectorIjEEZNS1_11reduce_implILb1ES3_PjS7_j11plus_mod_10IjEEE10hipError_tPvRmT1_T2_T3_mT4_P12ihipStream_tbEUlT_E1_NS1_11comp_targetILNS1_3genE10ELNS1_11target_archE1201ELNS1_3gpuE5ELNS1_3repE0EEENS1_30default_config_static_selectorELNS0_4arch9wavefront6targetE1EEEvSD_.numbered_sgpr, 0
	.set _ZN7rocprim17ROCPRIM_400000_NS6detail17trampoline_kernelINS0_14default_configENS1_22reduce_config_selectorIjEEZNS1_11reduce_implILb1ES3_PjS7_j11plus_mod_10IjEEE10hipError_tPvRmT1_T2_T3_mT4_P12ihipStream_tbEUlT_E1_NS1_11comp_targetILNS1_3genE10ELNS1_11target_archE1201ELNS1_3gpuE5ELNS1_3repE0EEENS1_30default_config_static_selectorELNS0_4arch9wavefront6targetE1EEEvSD_.num_named_barrier, 0
	.set _ZN7rocprim17ROCPRIM_400000_NS6detail17trampoline_kernelINS0_14default_configENS1_22reduce_config_selectorIjEEZNS1_11reduce_implILb1ES3_PjS7_j11plus_mod_10IjEEE10hipError_tPvRmT1_T2_T3_mT4_P12ihipStream_tbEUlT_E1_NS1_11comp_targetILNS1_3genE10ELNS1_11target_archE1201ELNS1_3gpuE5ELNS1_3repE0EEENS1_30default_config_static_selectorELNS0_4arch9wavefront6targetE1EEEvSD_.private_seg_size, 0
	.set _ZN7rocprim17ROCPRIM_400000_NS6detail17trampoline_kernelINS0_14default_configENS1_22reduce_config_selectorIjEEZNS1_11reduce_implILb1ES3_PjS7_j11plus_mod_10IjEEE10hipError_tPvRmT1_T2_T3_mT4_P12ihipStream_tbEUlT_E1_NS1_11comp_targetILNS1_3genE10ELNS1_11target_archE1201ELNS1_3gpuE5ELNS1_3repE0EEENS1_30default_config_static_selectorELNS0_4arch9wavefront6targetE1EEEvSD_.uses_vcc, 0
	.set _ZN7rocprim17ROCPRIM_400000_NS6detail17trampoline_kernelINS0_14default_configENS1_22reduce_config_selectorIjEEZNS1_11reduce_implILb1ES3_PjS7_j11plus_mod_10IjEEE10hipError_tPvRmT1_T2_T3_mT4_P12ihipStream_tbEUlT_E1_NS1_11comp_targetILNS1_3genE10ELNS1_11target_archE1201ELNS1_3gpuE5ELNS1_3repE0EEENS1_30default_config_static_selectorELNS0_4arch9wavefront6targetE1EEEvSD_.uses_flat_scratch, 0
	.set _ZN7rocprim17ROCPRIM_400000_NS6detail17trampoline_kernelINS0_14default_configENS1_22reduce_config_selectorIjEEZNS1_11reduce_implILb1ES3_PjS7_j11plus_mod_10IjEEE10hipError_tPvRmT1_T2_T3_mT4_P12ihipStream_tbEUlT_E1_NS1_11comp_targetILNS1_3genE10ELNS1_11target_archE1201ELNS1_3gpuE5ELNS1_3repE0EEENS1_30default_config_static_selectorELNS0_4arch9wavefront6targetE1EEEvSD_.has_dyn_sized_stack, 0
	.set _ZN7rocprim17ROCPRIM_400000_NS6detail17trampoline_kernelINS0_14default_configENS1_22reduce_config_selectorIjEEZNS1_11reduce_implILb1ES3_PjS7_j11plus_mod_10IjEEE10hipError_tPvRmT1_T2_T3_mT4_P12ihipStream_tbEUlT_E1_NS1_11comp_targetILNS1_3genE10ELNS1_11target_archE1201ELNS1_3gpuE5ELNS1_3repE0EEENS1_30default_config_static_selectorELNS0_4arch9wavefront6targetE1EEEvSD_.has_recursion, 0
	.set _ZN7rocprim17ROCPRIM_400000_NS6detail17trampoline_kernelINS0_14default_configENS1_22reduce_config_selectorIjEEZNS1_11reduce_implILb1ES3_PjS7_j11plus_mod_10IjEEE10hipError_tPvRmT1_T2_T3_mT4_P12ihipStream_tbEUlT_E1_NS1_11comp_targetILNS1_3genE10ELNS1_11target_archE1201ELNS1_3gpuE5ELNS1_3repE0EEENS1_30default_config_static_selectorELNS0_4arch9wavefront6targetE1EEEvSD_.has_indirect_call, 0
	.section	.AMDGPU.csdata,"",@progbits
; Kernel info:
; codeLenInByte = 0
; TotalNumSgprs: 6
; NumVgprs: 0
; NumAgprs: 0
; TotalNumVgprs: 0
; ScratchSize: 0
; MemoryBound: 0
; FloatMode: 240
; IeeeMode: 1
; LDSByteSize: 0 bytes/workgroup (compile time only)
; SGPRBlocks: 0
; VGPRBlocks: 0
; NumSGPRsForWavesPerEU: 6
; NumVGPRsForWavesPerEU: 1
; AccumOffset: 4
; Occupancy: 8
; WaveLimiterHint : 0
; COMPUTE_PGM_RSRC2:SCRATCH_EN: 0
; COMPUTE_PGM_RSRC2:USER_SGPR: 2
; COMPUTE_PGM_RSRC2:TRAP_HANDLER: 0
; COMPUTE_PGM_RSRC2:TGID_X_EN: 1
; COMPUTE_PGM_RSRC2:TGID_Y_EN: 0
; COMPUTE_PGM_RSRC2:TGID_Z_EN: 0
; COMPUTE_PGM_RSRC2:TIDIG_COMP_CNT: 0
; COMPUTE_PGM_RSRC3_GFX90A:ACCUM_OFFSET: 0
; COMPUTE_PGM_RSRC3_GFX90A:TG_SPLIT: 0
	.section	.text._ZN7rocprim17ROCPRIM_400000_NS6detail17trampoline_kernelINS0_14default_configENS1_22reduce_config_selectorIjEEZNS1_11reduce_implILb1ES3_PjS7_j11plus_mod_10IjEEE10hipError_tPvRmT1_T2_T3_mT4_P12ihipStream_tbEUlT_E1_NS1_11comp_targetILNS1_3genE10ELNS1_11target_archE1200ELNS1_3gpuE4ELNS1_3repE0EEENS1_30default_config_static_selectorELNS0_4arch9wavefront6targetE1EEEvSD_,"axG",@progbits,_ZN7rocprim17ROCPRIM_400000_NS6detail17trampoline_kernelINS0_14default_configENS1_22reduce_config_selectorIjEEZNS1_11reduce_implILb1ES3_PjS7_j11plus_mod_10IjEEE10hipError_tPvRmT1_T2_T3_mT4_P12ihipStream_tbEUlT_E1_NS1_11comp_targetILNS1_3genE10ELNS1_11target_archE1200ELNS1_3gpuE4ELNS1_3repE0EEENS1_30default_config_static_selectorELNS0_4arch9wavefront6targetE1EEEvSD_,comdat
	.protected	_ZN7rocprim17ROCPRIM_400000_NS6detail17trampoline_kernelINS0_14default_configENS1_22reduce_config_selectorIjEEZNS1_11reduce_implILb1ES3_PjS7_j11plus_mod_10IjEEE10hipError_tPvRmT1_T2_T3_mT4_P12ihipStream_tbEUlT_E1_NS1_11comp_targetILNS1_3genE10ELNS1_11target_archE1200ELNS1_3gpuE4ELNS1_3repE0EEENS1_30default_config_static_selectorELNS0_4arch9wavefront6targetE1EEEvSD_ ; -- Begin function _ZN7rocprim17ROCPRIM_400000_NS6detail17trampoline_kernelINS0_14default_configENS1_22reduce_config_selectorIjEEZNS1_11reduce_implILb1ES3_PjS7_j11plus_mod_10IjEEE10hipError_tPvRmT1_T2_T3_mT4_P12ihipStream_tbEUlT_E1_NS1_11comp_targetILNS1_3genE10ELNS1_11target_archE1200ELNS1_3gpuE4ELNS1_3repE0EEENS1_30default_config_static_selectorELNS0_4arch9wavefront6targetE1EEEvSD_
	.globl	_ZN7rocprim17ROCPRIM_400000_NS6detail17trampoline_kernelINS0_14default_configENS1_22reduce_config_selectorIjEEZNS1_11reduce_implILb1ES3_PjS7_j11plus_mod_10IjEEE10hipError_tPvRmT1_T2_T3_mT4_P12ihipStream_tbEUlT_E1_NS1_11comp_targetILNS1_3genE10ELNS1_11target_archE1200ELNS1_3gpuE4ELNS1_3repE0EEENS1_30default_config_static_selectorELNS0_4arch9wavefront6targetE1EEEvSD_
	.p2align	8
	.type	_ZN7rocprim17ROCPRIM_400000_NS6detail17trampoline_kernelINS0_14default_configENS1_22reduce_config_selectorIjEEZNS1_11reduce_implILb1ES3_PjS7_j11plus_mod_10IjEEE10hipError_tPvRmT1_T2_T3_mT4_P12ihipStream_tbEUlT_E1_NS1_11comp_targetILNS1_3genE10ELNS1_11target_archE1200ELNS1_3gpuE4ELNS1_3repE0EEENS1_30default_config_static_selectorELNS0_4arch9wavefront6targetE1EEEvSD_,@function
_ZN7rocprim17ROCPRIM_400000_NS6detail17trampoline_kernelINS0_14default_configENS1_22reduce_config_selectorIjEEZNS1_11reduce_implILb1ES3_PjS7_j11plus_mod_10IjEEE10hipError_tPvRmT1_T2_T3_mT4_P12ihipStream_tbEUlT_E1_NS1_11comp_targetILNS1_3genE10ELNS1_11target_archE1200ELNS1_3gpuE4ELNS1_3repE0EEENS1_30default_config_static_selectorELNS0_4arch9wavefront6targetE1EEEvSD_: ; @_ZN7rocprim17ROCPRIM_400000_NS6detail17trampoline_kernelINS0_14default_configENS1_22reduce_config_selectorIjEEZNS1_11reduce_implILb1ES3_PjS7_j11plus_mod_10IjEEE10hipError_tPvRmT1_T2_T3_mT4_P12ihipStream_tbEUlT_E1_NS1_11comp_targetILNS1_3genE10ELNS1_11target_archE1200ELNS1_3gpuE4ELNS1_3repE0EEENS1_30default_config_static_selectorELNS0_4arch9wavefront6targetE1EEEvSD_
; %bb.0:
	.section	.rodata,"a",@progbits
	.p2align	6, 0x0
	.amdhsa_kernel _ZN7rocprim17ROCPRIM_400000_NS6detail17trampoline_kernelINS0_14default_configENS1_22reduce_config_selectorIjEEZNS1_11reduce_implILb1ES3_PjS7_j11plus_mod_10IjEEE10hipError_tPvRmT1_T2_T3_mT4_P12ihipStream_tbEUlT_E1_NS1_11comp_targetILNS1_3genE10ELNS1_11target_archE1200ELNS1_3gpuE4ELNS1_3repE0EEENS1_30default_config_static_selectorELNS0_4arch9wavefront6targetE1EEEvSD_
		.amdhsa_group_segment_fixed_size 0
		.amdhsa_private_segment_fixed_size 0
		.amdhsa_kernarg_size 40
		.amdhsa_user_sgpr_count 2
		.amdhsa_user_sgpr_dispatch_ptr 0
		.amdhsa_user_sgpr_queue_ptr 0
		.amdhsa_user_sgpr_kernarg_segment_ptr 1
		.amdhsa_user_sgpr_dispatch_id 0
		.amdhsa_user_sgpr_kernarg_preload_length 0
		.amdhsa_user_sgpr_kernarg_preload_offset 0
		.amdhsa_user_sgpr_private_segment_size 0
		.amdhsa_uses_dynamic_stack 0
		.amdhsa_enable_private_segment 0
		.amdhsa_system_sgpr_workgroup_id_x 1
		.amdhsa_system_sgpr_workgroup_id_y 0
		.amdhsa_system_sgpr_workgroup_id_z 0
		.amdhsa_system_sgpr_workgroup_info 0
		.amdhsa_system_vgpr_workitem_id 0
		.amdhsa_next_free_vgpr 1
		.amdhsa_next_free_sgpr 0
		.amdhsa_accum_offset 4
		.amdhsa_reserve_vcc 0
		.amdhsa_float_round_mode_32 0
		.amdhsa_float_round_mode_16_64 0
		.amdhsa_float_denorm_mode_32 3
		.amdhsa_float_denorm_mode_16_64 3
		.amdhsa_dx10_clamp 1
		.amdhsa_ieee_mode 1
		.amdhsa_fp16_overflow 0
		.amdhsa_tg_split 0
		.amdhsa_exception_fp_ieee_invalid_op 0
		.amdhsa_exception_fp_denorm_src 0
		.amdhsa_exception_fp_ieee_div_zero 0
		.amdhsa_exception_fp_ieee_overflow 0
		.amdhsa_exception_fp_ieee_underflow 0
		.amdhsa_exception_fp_ieee_inexact 0
		.amdhsa_exception_int_div_zero 0
	.end_amdhsa_kernel
	.section	.text._ZN7rocprim17ROCPRIM_400000_NS6detail17trampoline_kernelINS0_14default_configENS1_22reduce_config_selectorIjEEZNS1_11reduce_implILb1ES3_PjS7_j11plus_mod_10IjEEE10hipError_tPvRmT1_T2_T3_mT4_P12ihipStream_tbEUlT_E1_NS1_11comp_targetILNS1_3genE10ELNS1_11target_archE1200ELNS1_3gpuE4ELNS1_3repE0EEENS1_30default_config_static_selectorELNS0_4arch9wavefront6targetE1EEEvSD_,"axG",@progbits,_ZN7rocprim17ROCPRIM_400000_NS6detail17trampoline_kernelINS0_14default_configENS1_22reduce_config_selectorIjEEZNS1_11reduce_implILb1ES3_PjS7_j11plus_mod_10IjEEE10hipError_tPvRmT1_T2_T3_mT4_P12ihipStream_tbEUlT_E1_NS1_11comp_targetILNS1_3genE10ELNS1_11target_archE1200ELNS1_3gpuE4ELNS1_3repE0EEENS1_30default_config_static_selectorELNS0_4arch9wavefront6targetE1EEEvSD_,comdat
.Lfunc_end600:
	.size	_ZN7rocprim17ROCPRIM_400000_NS6detail17trampoline_kernelINS0_14default_configENS1_22reduce_config_selectorIjEEZNS1_11reduce_implILb1ES3_PjS7_j11plus_mod_10IjEEE10hipError_tPvRmT1_T2_T3_mT4_P12ihipStream_tbEUlT_E1_NS1_11comp_targetILNS1_3genE10ELNS1_11target_archE1200ELNS1_3gpuE4ELNS1_3repE0EEENS1_30default_config_static_selectorELNS0_4arch9wavefront6targetE1EEEvSD_, .Lfunc_end600-_ZN7rocprim17ROCPRIM_400000_NS6detail17trampoline_kernelINS0_14default_configENS1_22reduce_config_selectorIjEEZNS1_11reduce_implILb1ES3_PjS7_j11plus_mod_10IjEEE10hipError_tPvRmT1_T2_T3_mT4_P12ihipStream_tbEUlT_E1_NS1_11comp_targetILNS1_3genE10ELNS1_11target_archE1200ELNS1_3gpuE4ELNS1_3repE0EEENS1_30default_config_static_selectorELNS0_4arch9wavefront6targetE1EEEvSD_
                                        ; -- End function
	.set _ZN7rocprim17ROCPRIM_400000_NS6detail17trampoline_kernelINS0_14default_configENS1_22reduce_config_selectorIjEEZNS1_11reduce_implILb1ES3_PjS7_j11plus_mod_10IjEEE10hipError_tPvRmT1_T2_T3_mT4_P12ihipStream_tbEUlT_E1_NS1_11comp_targetILNS1_3genE10ELNS1_11target_archE1200ELNS1_3gpuE4ELNS1_3repE0EEENS1_30default_config_static_selectorELNS0_4arch9wavefront6targetE1EEEvSD_.num_vgpr, 0
	.set _ZN7rocprim17ROCPRIM_400000_NS6detail17trampoline_kernelINS0_14default_configENS1_22reduce_config_selectorIjEEZNS1_11reduce_implILb1ES3_PjS7_j11plus_mod_10IjEEE10hipError_tPvRmT1_T2_T3_mT4_P12ihipStream_tbEUlT_E1_NS1_11comp_targetILNS1_3genE10ELNS1_11target_archE1200ELNS1_3gpuE4ELNS1_3repE0EEENS1_30default_config_static_selectorELNS0_4arch9wavefront6targetE1EEEvSD_.num_agpr, 0
	.set _ZN7rocprim17ROCPRIM_400000_NS6detail17trampoline_kernelINS0_14default_configENS1_22reduce_config_selectorIjEEZNS1_11reduce_implILb1ES3_PjS7_j11plus_mod_10IjEEE10hipError_tPvRmT1_T2_T3_mT4_P12ihipStream_tbEUlT_E1_NS1_11comp_targetILNS1_3genE10ELNS1_11target_archE1200ELNS1_3gpuE4ELNS1_3repE0EEENS1_30default_config_static_selectorELNS0_4arch9wavefront6targetE1EEEvSD_.numbered_sgpr, 0
	.set _ZN7rocprim17ROCPRIM_400000_NS6detail17trampoline_kernelINS0_14default_configENS1_22reduce_config_selectorIjEEZNS1_11reduce_implILb1ES3_PjS7_j11plus_mod_10IjEEE10hipError_tPvRmT1_T2_T3_mT4_P12ihipStream_tbEUlT_E1_NS1_11comp_targetILNS1_3genE10ELNS1_11target_archE1200ELNS1_3gpuE4ELNS1_3repE0EEENS1_30default_config_static_selectorELNS0_4arch9wavefront6targetE1EEEvSD_.num_named_barrier, 0
	.set _ZN7rocprim17ROCPRIM_400000_NS6detail17trampoline_kernelINS0_14default_configENS1_22reduce_config_selectorIjEEZNS1_11reduce_implILb1ES3_PjS7_j11plus_mod_10IjEEE10hipError_tPvRmT1_T2_T3_mT4_P12ihipStream_tbEUlT_E1_NS1_11comp_targetILNS1_3genE10ELNS1_11target_archE1200ELNS1_3gpuE4ELNS1_3repE0EEENS1_30default_config_static_selectorELNS0_4arch9wavefront6targetE1EEEvSD_.private_seg_size, 0
	.set _ZN7rocprim17ROCPRIM_400000_NS6detail17trampoline_kernelINS0_14default_configENS1_22reduce_config_selectorIjEEZNS1_11reduce_implILb1ES3_PjS7_j11plus_mod_10IjEEE10hipError_tPvRmT1_T2_T3_mT4_P12ihipStream_tbEUlT_E1_NS1_11comp_targetILNS1_3genE10ELNS1_11target_archE1200ELNS1_3gpuE4ELNS1_3repE0EEENS1_30default_config_static_selectorELNS0_4arch9wavefront6targetE1EEEvSD_.uses_vcc, 0
	.set _ZN7rocprim17ROCPRIM_400000_NS6detail17trampoline_kernelINS0_14default_configENS1_22reduce_config_selectorIjEEZNS1_11reduce_implILb1ES3_PjS7_j11plus_mod_10IjEEE10hipError_tPvRmT1_T2_T3_mT4_P12ihipStream_tbEUlT_E1_NS1_11comp_targetILNS1_3genE10ELNS1_11target_archE1200ELNS1_3gpuE4ELNS1_3repE0EEENS1_30default_config_static_selectorELNS0_4arch9wavefront6targetE1EEEvSD_.uses_flat_scratch, 0
	.set _ZN7rocprim17ROCPRIM_400000_NS6detail17trampoline_kernelINS0_14default_configENS1_22reduce_config_selectorIjEEZNS1_11reduce_implILb1ES3_PjS7_j11plus_mod_10IjEEE10hipError_tPvRmT1_T2_T3_mT4_P12ihipStream_tbEUlT_E1_NS1_11comp_targetILNS1_3genE10ELNS1_11target_archE1200ELNS1_3gpuE4ELNS1_3repE0EEENS1_30default_config_static_selectorELNS0_4arch9wavefront6targetE1EEEvSD_.has_dyn_sized_stack, 0
	.set _ZN7rocprim17ROCPRIM_400000_NS6detail17trampoline_kernelINS0_14default_configENS1_22reduce_config_selectorIjEEZNS1_11reduce_implILb1ES3_PjS7_j11plus_mod_10IjEEE10hipError_tPvRmT1_T2_T3_mT4_P12ihipStream_tbEUlT_E1_NS1_11comp_targetILNS1_3genE10ELNS1_11target_archE1200ELNS1_3gpuE4ELNS1_3repE0EEENS1_30default_config_static_selectorELNS0_4arch9wavefront6targetE1EEEvSD_.has_recursion, 0
	.set _ZN7rocprim17ROCPRIM_400000_NS6detail17trampoline_kernelINS0_14default_configENS1_22reduce_config_selectorIjEEZNS1_11reduce_implILb1ES3_PjS7_j11plus_mod_10IjEEE10hipError_tPvRmT1_T2_T3_mT4_P12ihipStream_tbEUlT_E1_NS1_11comp_targetILNS1_3genE10ELNS1_11target_archE1200ELNS1_3gpuE4ELNS1_3repE0EEENS1_30default_config_static_selectorELNS0_4arch9wavefront6targetE1EEEvSD_.has_indirect_call, 0
	.section	.AMDGPU.csdata,"",@progbits
; Kernel info:
; codeLenInByte = 0
; TotalNumSgprs: 6
; NumVgprs: 0
; NumAgprs: 0
; TotalNumVgprs: 0
; ScratchSize: 0
; MemoryBound: 0
; FloatMode: 240
; IeeeMode: 1
; LDSByteSize: 0 bytes/workgroup (compile time only)
; SGPRBlocks: 0
; VGPRBlocks: 0
; NumSGPRsForWavesPerEU: 6
; NumVGPRsForWavesPerEU: 1
; AccumOffset: 4
; Occupancy: 8
; WaveLimiterHint : 0
; COMPUTE_PGM_RSRC2:SCRATCH_EN: 0
; COMPUTE_PGM_RSRC2:USER_SGPR: 2
; COMPUTE_PGM_RSRC2:TRAP_HANDLER: 0
; COMPUTE_PGM_RSRC2:TGID_X_EN: 1
; COMPUTE_PGM_RSRC2:TGID_Y_EN: 0
; COMPUTE_PGM_RSRC2:TGID_Z_EN: 0
; COMPUTE_PGM_RSRC2:TIDIG_COMP_CNT: 0
; COMPUTE_PGM_RSRC3_GFX90A:ACCUM_OFFSET: 0
; COMPUTE_PGM_RSRC3_GFX90A:TG_SPLIT: 0
	.section	.text._ZN7rocprim17ROCPRIM_400000_NS6detail17trampoline_kernelINS0_14default_configENS1_22reduce_config_selectorIjEEZNS1_11reduce_implILb1ES3_PjS7_j11plus_mod_10IjEEE10hipError_tPvRmT1_T2_T3_mT4_P12ihipStream_tbEUlT_E1_NS1_11comp_targetILNS1_3genE9ELNS1_11target_archE1100ELNS1_3gpuE3ELNS1_3repE0EEENS1_30default_config_static_selectorELNS0_4arch9wavefront6targetE1EEEvSD_,"axG",@progbits,_ZN7rocprim17ROCPRIM_400000_NS6detail17trampoline_kernelINS0_14default_configENS1_22reduce_config_selectorIjEEZNS1_11reduce_implILb1ES3_PjS7_j11plus_mod_10IjEEE10hipError_tPvRmT1_T2_T3_mT4_P12ihipStream_tbEUlT_E1_NS1_11comp_targetILNS1_3genE9ELNS1_11target_archE1100ELNS1_3gpuE3ELNS1_3repE0EEENS1_30default_config_static_selectorELNS0_4arch9wavefront6targetE1EEEvSD_,comdat
	.protected	_ZN7rocprim17ROCPRIM_400000_NS6detail17trampoline_kernelINS0_14default_configENS1_22reduce_config_selectorIjEEZNS1_11reduce_implILb1ES3_PjS7_j11plus_mod_10IjEEE10hipError_tPvRmT1_T2_T3_mT4_P12ihipStream_tbEUlT_E1_NS1_11comp_targetILNS1_3genE9ELNS1_11target_archE1100ELNS1_3gpuE3ELNS1_3repE0EEENS1_30default_config_static_selectorELNS0_4arch9wavefront6targetE1EEEvSD_ ; -- Begin function _ZN7rocprim17ROCPRIM_400000_NS6detail17trampoline_kernelINS0_14default_configENS1_22reduce_config_selectorIjEEZNS1_11reduce_implILb1ES3_PjS7_j11plus_mod_10IjEEE10hipError_tPvRmT1_T2_T3_mT4_P12ihipStream_tbEUlT_E1_NS1_11comp_targetILNS1_3genE9ELNS1_11target_archE1100ELNS1_3gpuE3ELNS1_3repE0EEENS1_30default_config_static_selectorELNS0_4arch9wavefront6targetE1EEEvSD_
	.globl	_ZN7rocprim17ROCPRIM_400000_NS6detail17trampoline_kernelINS0_14default_configENS1_22reduce_config_selectorIjEEZNS1_11reduce_implILb1ES3_PjS7_j11plus_mod_10IjEEE10hipError_tPvRmT1_T2_T3_mT4_P12ihipStream_tbEUlT_E1_NS1_11comp_targetILNS1_3genE9ELNS1_11target_archE1100ELNS1_3gpuE3ELNS1_3repE0EEENS1_30default_config_static_selectorELNS0_4arch9wavefront6targetE1EEEvSD_
	.p2align	8
	.type	_ZN7rocprim17ROCPRIM_400000_NS6detail17trampoline_kernelINS0_14default_configENS1_22reduce_config_selectorIjEEZNS1_11reduce_implILb1ES3_PjS7_j11plus_mod_10IjEEE10hipError_tPvRmT1_T2_T3_mT4_P12ihipStream_tbEUlT_E1_NS1_11comp_targetILNS1_3genE9ELNS1_11target_archE1100ELNS1_3gpuE3ELNS1_3repE0EEENS1_30default_config_static_selectorELNS0_4arch9wavefront6targetE1EEEvSD_,@function
_ZN7rocprim17ROCPRIM_400000_NS6detail17trampoline_kernelINS0_14default_configENS1_22reduce_config_selectorIjEEZNS1_11reduce_implILb1ES3_PjS7_j11plus_mod_10IjEEE10hipError_tPvRmT1_T2_T3_mT4_P12ihipStream_tbEUlT_E1_NS1_11comp_targetILNS1_3genE9ELNS1_11target_archE1100ELNS1_3gpuE3ELNS1_3repE0EEENS1_30default_config_static_selectorELNS0_4arch9wavefront6targetE1EEEvSD_: ; @_ZN7rocprim17ROCPRIM_400000_NS6detail17trampoline_kernelINS0_14default_configENS1_22reduce_config_selectorIjEEZNS1_11reduce_implILb1ES3_PjS7_j11plus_mod_10IjEEE10hipError_tPvRmT1_T2_T3_mT4_P12ihipStream_tbEUlT_E1_NS1_11comp_targetILNS1_3genE9ELNS1_11target_archE1100ELNS1_3gpuE3ELNS1_3repE0EEENS1_30default_config_static_selectorELNS0_4arch9wavefront6targetE1EEEvSD_
; %bb.0:
	.section	.rodata,"a",@progbits
	.p2align	6, 0x0
	.amdhsa_kernel _ZN7rocprim17ROCPRIM_400000_NS6detail17trampoline_kernelINS0_14default_configENS1_22reduce_config_selectorIjEEZNS1_11reduce_implILb1ES3_PjS7_j11plus_mod_10IjEEE10hipError_tPvRmT1_T2_T3_mT4_P12ihipStream_tbEUlT_E1_NS1_11comp_targetILNS1_3genE9ELNS1_11target_archE1100ELNS1_3gpuE3ELNS1_3repE0EEENS1_30default_config_static_selectorELNS0_4arch9wavefront6targetE1EEEvSD_
		.amdhsa_group_segment_fixed_size 0
		.amdhsa_private_segment_fixed_size 0
		.amdhsa_kernarg_size 40
		.amdhsa_user_sgpr_count 2
		.amdhsa_user_sgpr_dispatch_ptr 0
		.amdhsa_user_sgpr_queue_ptr 0
		.amdhsa_user_sgpr_kernarg_segment_ptr 1
		.amdhsa_user_sgpr_dispatch_id 0
		.amdhsa_user_sgpr_kernarg_preload_length 0
		.amdhsa_user_sgpr_kernarg_preload_offset 0
		.amdhsa_user_sgpr_private_segment_size 0
		.amdhsa_uses_dynamic_stack 0
		.amdhsa_enable_private_segment 0
		.amdhsa_system_sgpr_workgroup_id_x 1
		.amdhsa_system_sgpr_workgroup_id_y 0
		.amdhsa_system_sgpr_workgroup_id_z 0
		.amdhsa_system_sgpr_workgroup_info 0
		.amdhsa_system_vgpr_workitem_id 0
		.amdhsa_next_free_vgpr 1
		.amdhsa_next_free_sgpr 0
		.amdhsa_accum_offset 4
		.amdhsa_reserve_vcc 0
		.amdhsa_float_round_mode_32 0
		.amdhsa_float_round_mode_16_64 0
		.amdhsa_float_denorm_mode_32 3
		.amdhsa_float_denorm_mode_16_64 3
		.amdhsa_dx10_clamp 1
		.amdhsa_ieee_mode 1
		.amdhsa_fp16_overflow 0
		.amdhsa_tg_split 0
		.amdhsa_exception_fp_ieee_invalid_op 0
		.amdhsa_exception_fp_denorm_src 0
		.amdhsa_exception_fp_ieee_div_zero 0
		.amdhsa_exception_fp_ieee_overflow 0
		.amdhsa_exception_fp_ieee_underflow 0
		.amdhsa_exception_fp_ieee_inexact 0
		.amdhsa_exception_int_div_zero 0
	.end_amdhsa_kernel
	.section	.text._ZN7rocprim17ROCPRIM_400000_NS6detail17trampoline_kernelINS0_14default_configENS1_22reduce_config_selectorIjEEZNS1_11reduce_implILb1ES3_PjS7_j11plus_mod_10IjEEE10hipError_tPvRmT1_T2_T3_mT4_P12ihipStream_tbEUlT_E1_NS1_11comp_targetILNS1_3genE9ELNS1_11target_archE1100ELNS1_3gpuE3ELNS1_3repE0EEENS1_30default_config_static_selectorELNS0_4arch9wavefront6targetE1EEEvSD_,"axG",@progbits,_ZN7rocprim17ROCPRIM_400000_NS6detail17trampoline_kernelINS0_14default_configENS1_22reduce_config_selectorIjEEZNS1_11reduce_implILb1ES3_PjS7_j11plus_mod_10IjEEE10hipError_tPvRmT1_T2_T3_mT4_P12ihipStream_tbEUlT_E1_NS1_11comp_targetILNS1_3genE9ELNS1_11target_archE1100ELNS1_3gpuE3ELNS1_3repE0EEENS1_30default_config_static_selectorELNS0_4arch9wavefront6targetE1EEEvSD_,comdat
.Lfunc_end601:
	.size	_ZN7rocprim17ROCPRIM_400000_NS6detail17trampoline_kernelINS0_14default_configENS1_22reduce_config_selectorIjEEZNS1_11reduce_implILb1ES3_PjS7_j11plus_mod_10IjEEE10hipError_tPvRmT1_T2_T3_mT4_P12ihipStream_tbEUlT_E1_NS1_11comp_targetILNS1_3genE9ELNS1_11target_archE1100ELNS1_3gpuE3ELNS1_3repE0EEENS1_30default_config_static_selectorELNS0_4arch9wavefront6targetE1EEEvSD_, .Lfunc_end601-_ZN7rocprim17ROCPRIM_400000_NS6detail17trampoline_kernelINS0_14default_configENS1_22reduce_config_selectorIjEEZNS1_11reduce_implILb1ES3_PjS7_j11plus_mod_10IjEEE10hipError_tPvRmT1_T2_T3_mT4_P12ihipStream_tbEUlT_E1_NS1_11comp_targetILNS1_3genE9ELNS1_11target_archE1100ELNS1_3gpuE3ELNS1_3repE0EEENS1_30default_config_static_selectorELNS0_4arch9wavefront6targetE1EEEvSD_
                                        ; -- End function
	.set _ZN7rocprim17ROCPRIM_400000_NS6detail17trampoline_kernelINS0_14default_configENS1_22reduce_config_selectorIjEEZNS1_11reduce_implILb1ES3_PjS7_j11plus_mod_10IjEEE10hipError_tPvRmT1_T2_T3_mT4_P12ihipStream_tbEUlT_E1_NS1_11comp_targetILNS1_3genE9ELNS1_11target_archE1100ELNS1_3gpuE3ELNS1_3repE0EEENS1_30default_config_static_selectorELNS0_4arch9wavefront6targetE1EEEvSD_.num_vgpr, 0
	.set _ZN7rocprim17ROCPRIM_400000_NS6detail17trampoline_kernelINS0_14default_configENS1_22reduce_config_selectorIjEEZNS1_11reduce_implILb1ES3_PjS7_j11plus_mod_10IjEEE10hipError_tPvRmT1_T2_T3_mT4_P12ihipStream_tbEUlT_E1_NS1_11comp_targetILNS1_3genE9ELNS1_11target_archE1100ELNS1_3gpuE3ELNS1_3repE0EEENS1_30default_config_static_selectorELNS0_4arch9wavefront6targetE1EEEvSD_.num_agpr, 0
	.set _ZN7rocprim17ROCPRIM_400000_NS6detail17trampoline_kernelINS0_14default_configENS1_22reduce_config_selectorIjEEZNS1_11reduce_implILb1ES3_PjS7_j11plus_mod_10IjEEE10hipError_tPvRmT1_T2_T3_mT4_P12ihipStream_tbEUlT_E1_NS1_11comp_targetILNS1_3genE9ELNS1_11target_archE1100ELNS1_3gpuE3ELNS1_3repE0EEENS1_30default_config_static_selectorELNS0_4arch9wavefront6targetE1EEEvSD_.numbered_sgpr, 0
	.set _ZN7rocprim17ROCPRIM_400000_NS6detail17trampoline_kernelINS0_14default_configENS1_22reduce_config_selectorIjEEZNS1_11reduce_implILb1ES3_PjS7_j11plus_mod_10IjEEE10hipError_tPvRmT1_T2_T3_mT4_P12ihipStream_tbEUlT_E1_NS1_11comp_targetILNS1_3genE9ELNS1_11target_archE1100ELNS1_3gpuE3ELNS1_3repE0EEENS1_30default_config_static_selectorELNS0_4arch9wavefront6targetE1EEEvSD_.num_named_barrier, 0
	.set _ZN7rocprim17ROCPRIM_400000_NS6detail17trampoline_kernelINS0_14default_configENS1_22reduce_config_selectorIjEEZNS1_11reduce_implILb1ES3_PjS7_j11plus_mod_10IjEEE10hipError_tPvRmT1_T2_T3_mT4_P12ihipStream_tbEUlT_E1_NS1_11comp_targetILNS1_3genE9ELNS1_11target_archE1100ELNS1_3gpuE3ELNS1_3repE0EEENS1_30default_config_static_selectorELNS0_4arch9wavefront6targetE1EEEvSD_.private_seg_size, 0
	.set _ZN7rocprim17ROCPRIM_400000_NS6detail17trampoline_kernelINS0_14default_configENS1_22reduce_config_selectorIjEEZNS1_11reduce_implILb1ES3_PjS7_j11plus_mod_10IjEEE10hipError_tPvRmT1_T2_T3_mT4_P12ihipStream_tbEUlT_E1_NS1_11comp_targetILNS1_3genE9ELNS1_11target_archE1100ELNS1_3gpuE3ELNS1_3repE0EEENS1_30default_config_static_selectorELNS0_4arch9wavefront6targetE1EEEvSD_.uses_vcc, 0
	.set _ZN7rocprim17ROCPRIM_400000_NS6detail17trampoline_kernelINS0_14default_configENS1_22reduce_config_selectorIjEEZNS1_11reduce_implILb1ES3_PjS7_j11plus_mod_10IjEEE10hipError_tPvRmT1_T2_T3_mT4_P12ihipStream_tbEUlT_E1_NS1_11comp_targetILNS1_3genE9ELNS1_11target_archE1100ELNS1_3gpuE3ELNS1_3repE0EEENS1_30default_config_static_selectorELNS0_4arch9wavefront6targetE1EEEvSD_.uses_flat_scratch, 0
	.set _ZN7rocprim17ROCPRIM_400000_NS6detail17trampoline_kernelINS0_14default_configENS1_22reduce_config_selectorIjEEZNS1_11reduce_implILb1ES3_PjS7_j11plus_mod_10IjEEE10hipError_tPvRmT1_T2_T3_mT4_P12ihipStream_tbEUlT_E1_NS1_11comp_targetILNS1_3genE9ELNS1_11target_archE1100ELNS1_3gpuE3ELNS1_3repE0EEENS1_30default_config_static_selectorELNS0_4arch9wavefront6targetE1EEEvSD_.has_dyn_sized_stack, 0
	.set _ZN7rocprim17ROCPRIM_400000_NS6detail17trampoline_kernelINS0_14default_configENS1_22reduce_config_selectorIjEEZNS1_11reduce_implILb1ES3_PjS7_j11plus_mod_10IjEEE10hipError_tPvRmT1_T2_T3_mT4_P12ihipStream_tbEUlT_E1_NS1_11comp_targetILNS1_3genE9ELNS1_11target_archE1100ELNS1_3gpuE3ELNS1_3repE0EEENS1_30default_config_static_selectorELNS0_4arch9wavefront6targetE1EEEvSD_.has_recursion, 0
	.set _ZN7rocprim17ROCPRIM_400000_NS6detail17trampoline_kernelINS0_14default_configENS1_22reduce_config_selectorIjEEZNS1_11reduce_implILb1ES3_PjS7_j11plus_mod_10IjEEE10hipError_tPvRmT1_T2_T3_mT4_P12ihipStream_tbEUlT_E1_NS1_11comp_targetILNS1_3genE9ELNS1_11target_archE1100ELNS1_3gpuE3ELNS1_3repE0EEENS1_30default_config_static_selectorELNS0_4arch9wavefront6targetE1EEEvSD_.has_indirect_call, 0
	.section	.AMDGPU.csdata,"",@progbits
; Kernel info:
; codeLenInByte = 0
; TotalNumSgprs: 6
; NumVgprs: 0
; NumAgprs: 0
; TotalNumVgprs: 0
; ScratchSize: 0
; MemoryBound: 0
; FloatMode: 240
; IeeeMode: 1
; LDSByteSize: 0 bytes/workgroup (compile time only)
; SGPRBlocks: 0
; VGPRBlocks: 0
; NumSGPRsForWavesPerEU: 6
; NumVGPRsForWavesPerEU: 1
; AccumOffset: 4
; Occupancy: 8
; WaveLimiterHint : 0
; COMPUTE_PGM_RSRC2:SCRATCH_EN: 0
; COMPUTE_PGM_RSRC2:USER_SGPR: 2
; COMPUTE_PGM_RSRC2:TRAP_HANDLER: 0
; COMPUTE_PGM_RSRC2:TGID_X_EN: 1
; COMPUTE_PGM_RSRC2:TGID_Y_EN: 0
; COMPUTE_PGM_RSRC2:TGID_Z_EN: 0
; COMPUTE_PGM_RSRC2:TIDIG_COMP_CNT: 0
; COMPUTE_PGM_RSRC3_GFX90A:ACCUM_OFFSET: 0
; COMPUTE_PGM_RSRC3_GFX90A:TG_SPLIT: 0
	.section	.text._ZN7rocprim17ROCPRIM_400000_NS6detail17trampoline_kernelINS0_14default_configENS1_22reduce_config_selectorIjEEZNS1_11reduce_implILb1ES3_PjS7_j11plus_mod_10IjEEE10hipError_tPvRmT1_T2_T3_mT4_P12ihipStream_tbEUlT_E1_NS1_11comp_targetILNS1_3genE8ELNS1_11target_archE1030ELNS1_3gpuE2ELNS1_3repE0EEENS1_30default_config_static_selectorELNS0_4arch9wavefront6targetE1EEEvSD_,"axG",@progbits,_ZN7rocprim17ROCPRIM_400000_NS6detail17trampoline_kernelINS0_14default_configENS1_22reduce_config_selectorIjEEZNS1_11reduce_implILb1ES3_PjS7_j11plus_mod_10IjEEE10hipError_tPvRmT1_T2_T3_mT4_P12ihipStream_tbEUlT_E1_NS1_11comp_targetILNS1_3genE8ELNS1_11target_archE1030ELNS1_3gpuE2ELNS1_3repE0EEENS1_30default_config_static_selectorELNS0_4arch9wavefront6targetE1EEEvSD_,comdat
	.protected	_ZN7rocprim17ROCPRIM_400000_NS6detail17trampoline_kernelINS0_14default_configENS1_22reduce_config_selectorIjEEZNS1_11reduce_implILb1ES3_PjS7_j11plus_mod_10IjEEE10hipError_tPvRmT1_T2_T3_mT4_P12ihipStream_tbEUlT_E1_NS1_11comp_targetILNS1_3genE8ELNS1_11target_archE1030ELNS1_3gpuE2ELNS1_3repE0EEENS1_30default_config_static_selectorELNS0_4arch9wavefront6targetE1EEEvSD_ ; -- Begin function _ZN7rocprim17ROCPRIM_400000_NS6detail17trampoline_kernelINS0_14default_configENS1_22reduce_config_selectorIjEEZNS1_11reduce_implILb1ES3_PjS7_j11plus_mod_10IjEEE10hipError_tPvRmT1_T2_T3_mT4_P12ihipStream_tbEUlT_E1_NS1_11comp_targetILNS1_3genE8ELNS1_11target_archE1030ELNS1_3gpuE2ELNS1_3repE0EEENS1_30default_config_static_selectorELNS0_4arch9wavefront6targetE1EEEvSD_
	.globl	_ZN7rocprim17ROCPRIM_400000_NS6detail17trampoline_kernelINS0_14default_configENS1_22reduce_config_selectorIjEEZNS1_11reduce_implILb1ES3_PjS7_j11plus_mod_10IjEEE10hipError_tPvRmT1_T2_T3_mT4_P12ihipStream_tbEUlT_E1_NS1_11comp_targetILNS1_3genE8ELNS1_11target_archE1030ELNS1_3gpuE2ELNS1_3repE0EEENS1_30default_config_static_selectorELNS0_4arch9wavefront6targetE1EEEvSD_
	.p2align	8
	.type	_ZN7rocprim17ROCPRIM_400000_NS6detail17trampoline_kernelINS0_14default_configENS1_22reduce_config_selectorIjEEZNS1_11reduce_implILb1ES3_PjS7_j11plus_mod_10IjEEE10hipError_tPvRmT1_T2_T3_mT4_P12ihipStream_tbEUlT_E1_NS1_11comp_targetILNS1_3genE8ELNS1_11target_archE1030ELNS1_3gpuE2ELNS1_3repE0EEENS1_30default_config_static_selectorELNS0_4arch9wavefront6targetE1EEEvSD_,@function
_ZN7rocprim17ROCPRIM_400000_NS6detail17trampoline_kernelINS0_14default_configENS1_22reduce_config_selectorIjEEZNS1_11reduce_implILb1ES3_PjS7_j11plus_mod_10IjEEE10hipError_tPvRmT1_T2_T3_mT4_P12ihipStream_tbEUlT_E1_NS1_11comp_targetILNS1_3genE8ELNS1_11target_archE1030ELNS1_3gpuE2ELNS1_3repE0EEENS1_30default_config_static_selectorELNS0_4arch9wavefront6targetE1EEEvSD_: ; @_ZN7rocprim17ROCPRIM_400000_NS6detail17trampoline_kernelINS0_14default_configENS1_22reduce_config_selectorIjEEZNS1_11reduce_implILb1ES3_PjS7_j11plus_mod_10IjEEE10hipError_tPvRmT1_T2_T3_mT4_P12ihipStream_tbEUlT_E1_NS1_11comp_targetILNS1_3genE8ELNS1_11target_archE1030ELNS1_3gpuE2ELNS1_3repE0EEENS1_30default_config_static_selectorELNS0_4arch9wavefront6targetE1EEEvSD_
; %bb.0:
	.section	.rodata,"a",@progbits
	.p2align	6, 0x0
	.amdhsa_kernel _ZN7rocprim17ROCPRIM_400000_NS6detail17trampoline_kernelINS0_14default_configENS1_22reduce_config_selectorIjEEZNS1_11reduce_implILb1ES3_PjS7_j11plus_mod_10IjEEE10hipError_tPvRmT1_T2_T3_mT4_P12ihipStream_tbEUlT_E1_NS1_11comp_targetILNS1_3genE8ELNS1_11target_archE1030ELNS1_3gpuE2ELNS1_3repE0EEENS1_30default_config_static_selectorELNS0_4arch9wavefront6targetE1EEEvSD_
		.amdhsa_group_segment_fixed_size 0
		.amdhsa_private_segment_fixed_size 0
		.amdhsa_kernarg_size 40
		.amdhsa_user_sgpr_count 2
		.amdhsa_user_sgpr_dispatch_ptr 0
		.amdhsa_user_sgpr_queue_ptr 0
		.amdhsa_user_sgpr_kernarg_segment_ptr 1
		.amdhsa_user_sgpr_dispatch_id 0
		.amdhsa_user_sgpr_kernarg_preload_length 0
		.amdhsa_user_sgpr_kernarg_preload_offset 0
		.amdhsa_user_sgpr_private_segment_size 0
		.amdhsa_uses_dynamic_stack 0
		.amdhsa_enable_private_segment 0
		.amdhsa_system_sgpr_workgroup_id_x 1
		.amdhsa_system_sgpr_workgroup_id_y 0
		.amdhsa_system_sgpr_workgroup_id_z 0
		.amdhsa_system_sgpr_workgroup_info 0
		.amdhsa_system_vgpr_workitem_id 0
		.amdhsa_next_free_vgpr 1
		.amdhsa_next_free_sgpr 0
		.amdhsa_accum_offset 4
		.amdhsa_reserve_vcc 0
		.amdhsa_float_round_mode_32 0
		.amdhsa_float_round_mode_16_64 0
		.amdhsa_float_denorm_mode_32 3
		.amdhsa_float_denorm_mode_16_64 3
		.amdhsa_dx10_clamp 1
		.amdhsa_ieee_mode 1
		.amdhsa_fp16_overflow 0
		.amdhsa_tg_split 0
		.amdhsa_exception_fp_ieee_invalid_op 0
		.amdhsa_exception_fp_denorm_src 0
		.amdhsa_exception_fp_ieee_div_zero 0
		.amdhsa_exception_fp_ieee_overflow 0
		.amdhsa_exception_fp_ieee_underflow 0
		.amdhsa_exception_fp_ieee_inexact 0
		.amdhsa_exception_int_div_zero 0
	.end_amdhsa_kernel
	.section	.text._ZN7rocprim17ROCPRIM_400000_NS6detail17trampoline_kernelINS0_14default_configENS1_22reduce_config_selectorIjEEZNS1_11reduce_implILb1ES3_PjS7_j11plus_mod_10IjEEE10hipError_tPvRmT1_T2_T3_mT4_P12ihipStream_tbEUlT_E1_NS1_11comp_targetILNS1_3genE8ELNS1_11target_archE1030ELNS1_3gpuE2ELNS1_3repE0EEENS1_30default_config_static_selectorELNS0_4arch9wavefront6targetE1EEEvSD_,"axG",@progbits,_ZN7rocprim17ROCPRIM_400000_NS6detail17trampoline_kernelINS0_14default_configENS1_22reduce_config_selectorIjEEZNS1_11reduce_implILb1ES3_PjS7_j11plus_mod_10IjEEE10hipError_tPvRmT1_T2_T3_mT4_P12ihipStream_tbEUlT_E1_NS1_11comp_targetILNS1_3genE8ELNS1_11target_archE1030ELNS1_3gpuE2ELNS1_3repE0EEENS1_30default_config_static_selectorELNS0_4arch9wavefront6targetE1EEEvSD_,comdat
.Lfunc_end602:
	.size	_ZN7rocprim17ROCPRIM_400000_NS6detail17trampoline_kernelINS0_14default_configENS1_22reduce_config_selectorIjEEZNS1_11reduce_implILb1ES3_PjS7_j11plus_mod_10IjEEE10hipError_tPvRmT1_T2_T3_mT4_P12ihipStream_tbEUlT_E1_NS1_11comp_targetILNS1_3genE8ELNS1_11target_archE1030ELNS1_3gpuE2ELNS1_3repE0EEENS1_30default_config_static_selectorELNS0_4arch9wavefront6targetE1EEEvSD_, .Lfunc_end602-_ZN7rocprim17ROCPRIM_400000_NS6detail17trampoline_kernelINS0_14default_configENS1_22reduce_config_selectorIjEEZNS1_11reduce_implILb1ES3_PjS7_j11plus_mod_10IjEEE10hipError_tPvRmT1_T2_T3_mT4_P12ihipStream_tbEUlT_E1_NS1_11comp_targetILNS1_3genE8ELNS1_11target_archE1030ELNS1_3gpuE2ELNS1_3repE0EEENS1_30default_config_static_selectorELNS0_4arch9wavefront6targetE1EEEvSD_
                                        ; -- End function
	.set _ZN7rocprim17ROCPRIM_400000_NS6detail17trampoline_kernelINS0_14default_configENS1_22reduce_config_selectorIjEEZNS1_11reduce_implILb1ES3_PjS7_j11plus_mod_10IjEEE10hipError_tPvRmT1_T2_T3_mT4_P12ihipStream_tbEUlT_E1_NS1_11comp_targetILNS1_3genE8ELNS1_11target_archE1030ELNS1_3gpuE2ELNS1_3repE0EEENS1_30default_config_static_selectorELNS0_4arch9wavefront6targetE1EEEvSD_.num_vgpr, 0
	.set _ZN7rocprim17ROCPRIM_400000_NS6detail17trampoline_kernelINS0_14default_configENS1_22reduce_config_selectorIjEEZNS1_11reduce_implILb1ES3_PjS7_j11plus_mod_10IjEEE10hipError_tPvRmT1_T2_T3_mT4_P12ihipStream_tbEUlT_E1_NS1_11comp_targetILNS1_3genE8ELNS1_11target_archE1030ELNS1_3gpuE2ELNS1_3repE0EEENS1_30default_config_static_selectorELNS0_4arch9wavefront6targetE1EEEvSD_.num_agpr, 0
	.set _ZN7rocprim17ROCPRIM_400000_NS6detail17trampoline_kernelINS0_14default_configENS1_22reduce_config_selectorIjEEZNS1_11reduce_implILb1ES3_PjS7_j11plus_mod_10IjEEE10hipError_tPvRmT1_T2_T3_mT4_P12ihipStream_tbEUlT_E1_NS1_11comp_targetILNS1_3genE8ELNS1_11target_archE1030ELNS1_3gpuE2ELNS1_3repE0EEENS1_30default_config_static_selectorELNS0_4arch9wavefront6targetE1EEEvSD_.numbered_sgpr, 0
	.set _ZN7rocprim17ROCPRIM_400000_NS6detail17trampoline_kernelINS0_14default_configENS1_22reduce_config_selectorIjEEZNS1_11reduce_implILb1ES3_PjS7_j11plus_mod_10IjEEE10hipError_tPvRmT1_T2_T3_mT4_P12ihipStream_tbEUlT_E1_NS1_11comp_targetILNS1_3genE8ELNS1_11target_archE1030ELNS1_3gpuE2ELNS1_3repE0EEENS1_30default_config_static_selectorELNS0_4arch9wavefront6targetE1EEEvSD_.num_named_barrier, 0
	.set _ZN7rocprim17ROCPRIM_400000_NS6detail17trampoline_kernelINS0_14default_configENS1_22reduce_config_selectorIjEEZNS1_11reduce_implILb1ES3_PjS7_j11plus_mod_10IjEEE10hipError_tPvRmT1_T2_T3_mT4_P12ihipStream_tbEUlT_E1_NS1_11comp_targetILNS1_3genE8ELNS1_11target_archE1030ELNS1_3gpuE2ELNS1_3repE0EEENS1_30default_config_static_selectorELNS0_4arch9wavefront6targetE1EEEvSD_.private_seg_size, 0
	.set _ZN7rocprim17ROCPRIM_400000_NS6detail17trampoline_kernelINS0_14default_configENS1_22reduce_config_selectorIjEEZNS1_11reduce_implILb1ES3_PjS7_j11plus_mod_10IjEEE10hipError_tPvRmT1_T2_T3_mT4_P12ihipStream_tbEUlT_E1_NS1_11comp_targetILNS1_3genE8ELNS1_11target_archE1030ELNS1_3gpuE2ELNS1_3repE0EEENS1_30default_config_static_selectorELNS0_4arch9wavefront6targetE1EEEvSD_.uses_vcc, 0
	.set _ZN7rocprim17ROCPRIM_400000_NS6detail17trampoline_kernelINS0_14default_configENS1_22reduce_config_selectorIjEEZNS1_11reduce_implILb1ES3_PjS7_j11plus_mod_10IjEEE10hipError_tPvRmT1_T2_T3_mT4_P12ihipStream_tbEUlT_E1_NS1_11comp_targetILNS1_3genE8ELNS1_11target_archE1030ELNS1_3gpuE2ELNS1_3repE0EEENS1_30default_config_static_selectorELNS0_4arch9wavefront6targetE1EEEvSD_.uses_flat_scratch, 0
	.set _ZN7rocprim17ROCPRIM_400000_NS6detail17trampoline_kernelINS0_14default_configENS1_22reduce_config_selectorIjEEZNS1_11reduce_implILb1ES3_PjS7_j11plus_mod_10IjEEE10hipError_tPvRmT1_T2_T3_mT4_P12ihipStream_tbEUlT_E1_NS1_11comp_targetILNS1_3genE8ELNS1_11target_archE1030ELNS1_3gpuE2ELNS1_3repE0EEENS1_30default_config_static_selectorELNS0_4arch9wavefront6targetE1EEEvSD_.has_dyn_sized_stack, 0
	.set _ZN7rocprim17ROCPRIM_400000_NS6detail17trampoline_kernelINS0_14default_configENS1_22reduce_config_selectorIjEEZNS1_11reduce_implILb1ES3_PjS7_j11plus_mod_10IjEEE10hipError_tPvRmT1_T2_T3_mT4_P12ihipStream_tbEUlT_E1_NS1_11comp_targetILNS1_3genE8ELNS1_11target_archE1030ELNS1_3gpuE2ELNS1_3repE0EEENS1_30default_config_static_selectorELNS0_4arch9wavefront6targetE1EEEvSD_.has_recursion, 0
	.set _ZN7rocprim17ROCPRIM_400000_NS6detail17trampoline_kernelINS0_14default_configENS1_22reduce_config_selectorIjEEZNS1_11reduce_implILb1ES3_PjS7_j11plus_mod_10IjEEE10hipError_tPvRmT1_T2_T3_mT4_P12ihipStream_tbEUlT_E1_NS1_11comp_targetILNS1_3genE8ELNS1_11target_archE1030ELNS1_3gpuE2ELNS1_3repE0EEENS1_30default_config_static_selectorELNS0_4arch9wavefront6targetE1EEEvSD_.has_indirect_call, 0
	.section	.AMDGPU.csdata,"",@progbits
; Kernel info:
; codeLenInByte = 0
; TotalNumSgprs: 6
; NumVgprs: 0
; NumAgprs: 0
; TotalNumVgprs: 0
; ScratchSize: 0
; MemoryBound: 0
; FloatMode: 240
; IeeeMode: 1
; LDSByteSize: 0 bytes/workgroup (compile time only)
; SGPRBlocks: 0
; VGPRBlocks: 0
; NumSGPRsForWavesPerEU: 6
; NumVGPRsForWavesPerEU: 1
; AccumOffset: 4
; Occupancy: 8
; WaveLimiterHint : 0
; COMPUTE_PGM_RSRC2:SCRATCH_EN: 0
; COMPUTE_PGM_RSRC2:USER_SGPR: 2
; COMPUTE_PGM_RSRC2:TRAP_HANDLER: 0
; COMPUTE_PGM_RSRC2:TGID_X_EN: 1
; COMPUTE_PGM_RSRC2:TGID_Y_EN: 0
; COMPUTE_PGM_RSRC2:TGID_Z_EN: 0
; COMPUTE_PGM_RSRC2:TIDIG_COMP_CNT: 0
; COMPUTE_PGM_RSRC3_GFX90A:ACCUM_OFFSET: 0
; COMPUTE_PGM_RSRC3_GFX90A:TG_SPLIT: 0
	.section	.text._ZN7rocprim17ROCPRIM_400000_NS6detail17trampoline_kernelINS0_14default_configENS1_22reduce_config_selectorIjEEZNS1_11reduce_implILb1ES3_N6thrust23THRUST_200600_302600_NS6detail15normal_iteratorINS8_10device_ptrIjEEEEPjj11plus_mod_10IjEEE10hipError_tPvRmT1_T2_T3_mT4_P12ihipStream_tbEUlT_E0_NS1_11comp_targetILNS1_3genE0ELNS1_11target_archE4294967295ELNS1_3gpuE0ELNS1_3repE0EEENS1_30default_config_static_selectorELNS0_4arch9wavefront6targetE1EEEvSK_,"axG",@progbits,_ZN7rocprim17ROCPRIM_400000_NS6detail17trampoline_kernelINS0_14default_configENS1_22reduce_config_selectorIjEEZNS1_11reduce_implILb1ES3_N6thrust23THRUST_200600_302600_NS6detail15normal_iteratorINS8_10device_ptrIjEEEEPjj11plus_mod_10IjEEE10hipError_tPvRmT1_T2_T3_mT4_P12ihipStream_tbEUlT_E0_NS1_11comp_targetILNS1_3genE0ELNS1_11target_archE4294967295ELNS1_3gpuE0ELNS1_3repE0EEENS1_30default_config_static_selectorELNS0_4arch9wavefront6targetE1EEEvSK_,comdat
	.protected	_ZN7rocprim17ROCPRIM_400000_NS6detail17trampoline_kernelINS0_14default_configENS1_22reduce_config_selectorIjEEZNS1_11reduce_implILb1ES3_N6thrust23THRUST_200600_302600_NS6detail15normal_iteratorINS8_10device_ptrIjEEEEPjj11plus_mod_10IjEEE10hipError_tPvRmT1_T2_T3_mT4_P12ihipStream_tbEUlT_E0_NS1_11comp_targetILNS1_3genE0ELNS1_11target_archE4294967295ELNS1_3gpuE0ELNS1_3repE0EEENS1_30default_config_static_selectorELNS0_4arch9wavefront6targetE1EEEvSK_ ; -- Begin function _ZN7rocprim17ROCPRIM_400000_NS6detail17trampoline_kernelINS0_14default_configENS1_22reduce_config_selectorIjEEZNS1_11reduce_implILb1ES3_N6thrust23THRUST_200600_302600_NS6detail15normal_iteratorINS8_10device_ptrIjEEEEPjj11plus_mod_10IjEEE10hipError_tPvRmT1_T2_T3_mT4_P12ihipStream_tbEUlT_E0_NS1_11comp_targetILNS1_3genE0ELNS1_11target_archE4294967295ELNS1_3gpuE0ELNS1_3repE0EEENS1_30default_config_static_selectorELNS0_4arch9wavefront6targetE1EEEvSK_
	.globl	_ZN7rocprim17ROCPRIM_400000_NS6detail17trampoline_kernelINS0_14default_configENS1_22reduce_config_selectorIjEEZNS1_11reduce_implILb1ES3_N6thrust23THRUST_200600_302600_NS6detail15normal_iteratorINS8_10device_ptrIjEEEEPjj11plus_mod_10IjEEE10hipError_tPvRmT1_T2_T3_mT4_P12ihipStream_tbEUlT_E0_NS1_11comp_targetILNS1_3genE0ELNS1_11target_archE4294967295ELNS1_3gpuE0ELNS1_3repE0EEENS1_30default_config_static_selectorELNS0_4arch9wavefront6targetE1EEEvSK_
	.p2align	8
	.type	_ZN7rocprim17ROCPRIM_400000_NS6detail17trampoline_kernelINS0_14default_configENS1_22reduce_config_selectorIjEEZNS1_11reduce_implILb1ES3_N6thrust23THRUST_200600_302600_NS6detail15normal_iteratorINS8_10device_ptrIjEEEEPjj11plus_mod_10IjEEE10hipError_tPvRmT1_T2_T3_mT4_P12ihipStream_tbEUlT_E0_NS1_11comp_targetILNS1_3genE0ELNS1_11target_archE4294967295ELNS1_3gpuE0ELNS1_3repE0EEENS1_30default_config_static_selectorELNS0_4arch9wavefront6targetE1EEEvSK_,@function
_ZN7rocprim17ROCPRIM_400000_NS6detail17trampoline_kernelINS0_14default_configENS1_22reduce_config_selectorIjEEZNS1_11reduce_implILb1ES3_N6thrust23THRUST_200600_302600_NS6detail15normal_iteratorINS8_10device_ptrIjEEEEPjj11plus_mod_10IjEEE10hipError_tPvRmT1_T2_T3_mT4_P12ihipStream_tbEUlT_E0_NS1_11comp_targetILNS1_3genE0ELNS1_11target_archE4294967295ELNS1_3gpuE0ELNS1_3repE0EEENS1_30default_config_static_selectorELNS0_4arch9wavefront6targetE1EEEvSK_: ; @_ZN7rocprim17ROCPRIM_400000_NS6detail17trampoline_kernelINS0_14default_configENS1_22reduce_config_selectorIjEEZNS1_11reduce_implILb1ES3_N6thrust23THRUST_200600_302600_NS6detail15normal_iteratorINS8_10device_ptrIjEEEEPjj11plus_mod_10IjEEE10hipError_tPvRmT1_T2_T3_mT4_P12ihipStream_tbEUlT_E0_NS1_11comp_targetILNS1_3genE0ELNS1_11target_archE4294967295ELNS1_3gpuE0ELNS1_3repE0EEENS1_30default_config_static_selectorELNS0_4arch9wavefront6targetE1EEEvSK_
; %bb.0:
	s_load_dwordx8 s[4:11], s[0:1], 0x0
	s_load_dwordx4 s[12:15], s[0:1], 0x20
	v_lshlrev_b32_e32 v6, 2, v0
	v_mbcnt_lo_u32_b32 v1, -1, 0
	s_waitcnt lgkmcnt(0)
	s_lshl_b64 s[6:7], s[6:7], 2
	s_add_u32 s18, s4, s6
	s_addc_u32 s19, s5, s7
	s_lshl_b32 s4, s2, 10
	s_mov_b32 s5, 0
	s_lshr_b64 s[16:17], s[8:9], 10
	s_lshl_b64 s[6:7], s[4:5], 2
	s_add_u32 s6, s18, s6
	s_mov_b32 s3, s5
	s_addc_u32 s7, s19, s7
	s_cmp_lg_u64 s[16:17], s[2:3]
	s_cbranch_scc0 .LBB603_6
; %bb.1:
	v_mov_b32_e32 v7, 0
	v_lshl_add_u64 v[2:3], s[6:7], 0, v[6:7]
	flat_load_dword v5, v[2:3] offset:1024
	flat_load_dword v7, v[2:3]
	flat_load_dword v8, v[2:3] offset:2048
	flat_load_dword v9, v[2:3] offset:3072
	s_mov_b32 s5, 0xcccccccd
	v_mbcnt_hi_u32_b32 v3, -1, v1
	v_lshlrev_b32_e32 v4, 2, v3
	s_waitcnt vmcnt(0) lgkmcnt(0)
	v_mul_hi_u32 v2, v5, s5
	v_mul_hi_u32 v10, v7, s5
	v_lshrrev_b32_e32 v2, 3, v2
	v_lshrrev_b32_e32 v10, 3, v10
	v_mul_lo_u32 v2, v2, 10
	v_mul_lo_u32 v10, v10, 10
	v_sub_u32_e32 v2, v5, v2
	v_sub_u32_e32 v5, v7, v10
	v_add_u32_e32 v2, v2, v5
	v_subrev_co_u32_e32 v5, vcc, 10, v2
	v_mul_hi_u32 v11, v8, s5
	s_nop 0
	v_cndmask_b32_e32 v2, v5, v2, vcc
	v_mul_hi_u32 v5, v2, s5
	v_lshrrev_b32_e32 v11, 3, v11
	v_lshrrev_b32_e32 v5, 3, v5
	v_mul_lo_u32 v11, v11, 10
	v_mul_lo_u32 v5, v5, 10
	v_sub_u32_e32 v7, v8, v11
	v_sub_u32_e32 v2, v2, v5
	v_add_u32_e32 v2, v2, v7
	v_subrev_co_u32_e32 v5, vcc, 10, v2
	v_mul_hi_u32 v12, v9, s5
	s_nop 0
	v_cndmask_b32_e32 v2, v5, v2, vcc
	v_mul_hi_u32 v5, v2, s5
	v_lshrrev_b32_e32 v12, 3, v12
	v_lshrrev_b32_e32 v5, 3, v5
	v_mul_lo_u32 v12, v12, 10
	v_mul_lo_u32 v5, v5, 10
	v_sub_u32_e32 v8, v9, v12
	v_sub_u32_e32 v2, v2, v5
	v_add_u32_e32 v2, v2, v8
	v_subrev_co_u32_e32 v5, vcc, 10, v2
	s_nop 1
	v_cndmask_b32_e32 v2, v5, v2, vcc
	v_mul_hi_u32 v7, v2, s5
	v_lshrrev_b32_e32 v7, 3, v7
	v_mov_b32_dpp v5, v2 quad_perm:[1,0,3,2] row_mask:0xf bank_mask:0xf bound_ctrl:1
	v_mul_hi_u32 v8, v5, s5
	v_mul_lo_u32 v7, v7, 10
	v_lshrrev_b32_e32 v8, 3, v8
	v_sub_u32_e32 v2, v2, v7
	v_mul_lo_u32 v7, v8, 10
	v_sub_u32_e32 v5, v5, v7
	v_add_u32_e32 v2, v2, v5
	v_subrev_co_u32_e32 v5, vcc, 10, v2
	s_nop 1
	v_cndmask_b32_e32 v2, v5, v2, vcc
	s_nop 1
	v_mov_b32_dpp v5, v2 quad_perm:[2,3,0,1] row_mask:0xf bank_mask:0xf bound_ctrl:1
	v_mul_hi_u32 v7, v5, s5
	v_lshrrev_b32_e32 v7, 3, v7
	v_mul_lo_u32 v7, v7, 10
	v_sub_u32_e32 v5, v5, v7
	v_add_u32_e32 v2, v2, v5
	v_subrev_co_u32_e32 v5, vcc, 10, v2
	s_nop 1
	v_cndmask_b32_e32 v2, v5, v2, vcc
	v_mul_hi_u32 v7, v2, s5
	v_lshrrev_b32_e32 v7, 3, v7
	v_mov_b32_dpp v5, v2 row_ror:4 row_mask:0xf bank_mask:0xf bound_ctrl:1
	v_mul_hi_u32 v8, v5, s5
	v_mul_lo_u32 v7, v7, 10
	v_lshrrev_b32_e32 v8, 3, v8
	v_sub_u32_e32 v2, v2, v7
	v_mul_lo_u32 v7, v8, 10
	v_sub_u32_e32 v5, v5, v7
	v_add_u32_e32 v2, v2, v5
	v_subrev_co_u32_e32 v5, vcc, 10, v2
	s_nop 1
	v_cndmask_b32_e32 v2, v5, v2, vcc
	v_mul_hi_u32 v7, v2, s5
	v_lshrrev_b32_e32 v7, 3, v7
	v_mov_b32_dpp v5, v2 row_ror:8 row_mask:0xf bank_mask:0xf bound_ctrl:1
	v_mul_hi_u32 v8, v5, s5
	v_mul_lo_u32 v7, v7, 10
	v_lshrrev_b32_e32 v8, 3, v8
	v_sub_u32_e32 v2, v2, v7
	v_mul_lo_u32 v7, v8, 10
	v_sub_u32_e32 v5, v5, v7
	v_add_u32_e32 v2, v2, v5
	v_subrev_co_u32_e32 v5, vcc, 10, v2
	s_nop 1
	v_cndmask_b32_e32 v2, v5, v2, vcc
	v_mul_hi_u32 v7, v2, s5
	v_lshrrev_b32_e32 v7, 3, v7
	v_mov_b32_dpp v5, v2 row_bcast:15 row_mask:0xf bank_mask:0xf bound_ctrl:1
	v_mul_hi_u32 v8, v5, s5
	v_mul_lo_u32 v7, v7, 10
	v_lshrrev_b32_e32 v8, 3, v8
	v_sub_u32_e32 v2, v2, v7
	v_mul_lo_u32 v7, v8, 10
	v_sub_u32_e32 v5, v5, v7
	v_add_u32_e32 v2, v2, v5
	v_subrev_co_u32_e32 v5, vcc, 10, v2
	s_nop 1
	v_cndmask_b32_e32 v2, v5, v2, vcc
	v_mul_hi_u32 v7, v2, s5
	v_lshrrev_b32_e32 v7, 3, v7
	v_mov_b32_dpp v5, v2 row_bcast:31 row_mask:0xf bank_mask:0xf bound_ctrl:1
	v_mul_hi_u32 v8, v5, s5
	v_mul_lo_u32 v7, v7, 10
	v_lshrrev_b32_e32 v8, 3, v8
	v_sub_u32_e32 v2, v2, v7
	v_mul_lo_u32 v7, v8, 10
	v_sub_u32_e32 v5, v5, v7
	v_add_u32_e32 v2, v2, v5
	v_subrev_co_u32_e32 v5, vcc, 10, v2
	s_nop 1
	v_cndmask_b32_e32 v2, v5, v2, vcc
	v_or_b32_e32 v5, 0xfc, v4
	ds_bpermute_b32 v2, v5, v2
	v_cmp_eq_u32_e32 vcc, 0, v3
	s_and_saveexec_b64 s[16:17], vcc
	s_cbranch_execz .LBB603_3
; %bb.2:
	v_lshrrev_b32_e32 v5, 4, v0
	v_and_b32_e32 v5, 12, v5
	s_waitcnt lgkmcnt(0)
	ds_write_b32 v5, v2 offset:16
.LBB603_3:
	s_or_b64 exec, exec, s[16:17]
	v_cmp_gt_u32_e32 vcc, 64, v0
	s_waitcnt lgkmcnt(0)
	s_barrier
	s_and_saveexec_b64 s[16:17], vcc
	s_cbranch_execz .LBB603_5
; %bb.4:
	v_and_b32_e32 v2, 3, v3
	v_lshlrev_b32_e32 v5, 2, v2
	ds_read_b32 v5, v5 offset:16
	v_cmp_ne_u32_e32 vcc, 3, v2
	s_nop 1
	v_addc_co_u32_e32 v2, vcc, 0, v3, vcc
	v_lshlrev_b32_e32 v2, 2, v2
	s_waitcnt lgkmcnt(0)
	ds_bpermute_b32 v2, v2, v5
	v_mul_hi_u32 v3, v5, s5
	v_lshrrev_b32_e32 v3, 3, v3
	v_mul_lo_u32 v3, v3, 10
	v_sub_u32_e32 v3, v5, v3
	s_waitcnt lgkmcnt(0)
	v_mul_hi_u32 v7, v2, s5
	v_lshrrev_b32_e32 v7, 3, v7
	v_mul_lo_u32 v7, v7, 10
	v_sub_u32_e32 v2, v2, v7
	v_add_u32_e32 v2, v2, v3
	v_subrev_co_u32_e32 v3, vcc, 10, v2
	s_nop 1
	v_cndmask_b32_e32 v2, v3, v2, vcc
	v_or_b32_e32 v3, 8, v4
	ds_bpermute_b32 v3, v3, v2
	s_waitcnt lgkmcnt(0)
	v_mul_hi_u32 v4, v3, s5
	v_lshrrev_b32_e32 v4, 3, v4
	v_mul_lo_u32 v4, v4, 10
	v_sub_u32_e32 v3, v3, v4
	v_add_u32_e32 v2, v2, v3
	v_subrev_co_u32_e32 v3, vcc, 10, v2
	s_nop 1
	v_cndmask_b32_e32 v2, v3, v2, vcc
.LBB603_5:
	s_or_b64 exec, exec, s[16:17]
	s_load_dword s18, s[0:1], 0x30
	s_branch .LBB603_39
.LBB603_6:
                                        ; implicit-def: $vgpr2
	s_load_dword s18, s[0:1], 0x30
	s_cbranch_execz .LBB603_39
; %bb.7:
	s_sub_i32 s19, s8, s4
	v_mov_b32_e32 v2, 0
	v_cmp_gt_u32_e32 vcc, s19, v0
	v_mov_b32_e32 v3, v2
	v_mov_b32_e32 v4, v2
	v_mov_b32_e32 v5, v2
	s_and_saveexec_b64 s[0:1], vcc
	s_cbranch_execz .LBB603_9
; %bb.8:
	v_mov_b32_e32 v7, v2
	v_lshl_add_u64 v[4:5], s[6:7], 0, v[6:7]
	flat_load_dword v8, v[4:5]
	v_mov_b32_e32 v9, v2
	v_mov_b32_e32 v10, v2
	v_mov_b32_e32 v11, v2
	s_waitcnt vmcnt(0) lgkmcnt(0)
	v_mov_b64_e32 v[2:3], v[8:9]
	v_mov_b64_e32 v[4:5], v[10:11]
.LBB603_9:
	s_or_b64 exec, exec, s[0:1]
	v_or_b32_e32 v7, 0x100, v0
	v_cmp_gt_u32_e64 s[4:5], s19, v7
	s_and_saveexec_b64 s[0:1], s[4:5]
	s_cbranch_execz .LBB603_11
; %bb.10:
	v_mov_b32_e32 v7, 0
	v_lshl_add_u64 v[8:9], s[6:7], 0, v[6:7]
	flat_load_dword v3, v[8:9] offset:1024
.LBB603_11:
	s_or_b64 exec, exec, s[0:1]
	v_or_b32_e32 v7, 0x200, v0
	v_cmp_gt_u32_e64 s[0:1], s19, v7
	s_and_saveexec_b64 s[16:17], s[0:1]
	s_cbranch_execz .LBB603_13
; %bb.12:
	v_mov_b32_e32 v7, 0
	v_lshl_add_u64 v[8:9], s[6:7], 0, v[6:7]
	flat_load_dword v4, v[8:9] offset:2048
.LBB603_13:
	s_or_b64 exec, exec, s[16:17]
	v_or_b32_e32 v7, 0x300, v0
	v_cmp_gt_u32_e32 vcc, s19, v7
	s_and_saveexec_b64 s[16:17], vcc
	s_cbranch_execnz .LBB603_42
; %bb.14:
	s_or_b64 exec, exec, s[16:17]
	s_and_saveexec_b64 s[6:7], s[4:5]
	s_cbranch_execnz .LBB603_43
.LBB603_15:
	s_or_b64 exec, exec, s[6:7]
	s_and_saveexec_b64 s[4:5], s[0:1]
	s_cbranch_execnz .LBB603_44
.LBB603_16:
	s_or_b64 exec, exec, s[4:5]
	s_and_saveexec_b64 s[0:1], vcc
	s_cbranch_execz .LBB603_18
.LBB603_17:
	s_mov_b32 s4, 0xcccccccd
	s_waitcnt vmcnt(0) lgkmcnt(0)
	v_mul_hi_u32 v3, v5, s4
	v_mul_hi_u32 v4, v2, s4
	v_lshrrev_b32_e32 v3, 3, v3
	v_lshrrev_b32_e32 v4, 3, v4
	v_mul_lo_u32 v3, v3, 10
	v_mul_lo_u32 v4, v4, 10
	v_sub_u32_e32 v3, v5, v3
	v_sub_u32_e32 v2, v2, v4
	v_add_u32_e32 v2, v2, v3
	v_subrev_co_u32_e32 v3, vcc, 10, v2
	s_nop 1
	v_cndmask_b32_e32 v2, v3, v2, vcc
.LBB603_18:
	s_or_b64 exec, exec, s[0:1]
	v_mbcnt_hi_u32_b32 v1, -1, v1
	s_waitcnt vmcnt(0) lgkmcnt(0)
	v_and_b32_e32 v3, 63, v1
	v_cmp_ne_u32_e32 vcc, 63, v3
	s_min_u32 s4, s19, 0x100
	v_add_u32_e32 v6, 1, v3
	v_addc_co_u32_e32 v4, vcc, 0, v1, vcc
	v_lshlrev_b32_e32 v4, 2, v4
	ds_bpermute_b32 v5, v4, v2
	v_and_b32_e32 v4, 0xc0, v0
	v_sub_u32_e64 v4, s4, v4 clamp
	v_cmp_lt_u32_e32 vcc, v6, v4
	s_and_saveexec_b64 s[0:1], vcc
	s_xor_b64 s[0:1], exec, s[0:1]
	s_cbranch_execz .LBB603_20
; %bb.19:
	s_mov_b32 s5, 0xcccccccd
	s_waitcnt lgkmcnt(0)
	v_mul_hi_u32 v6, v5, s5
	v_lshrrev_b32_e32 v6, 3, v6
	v_mul_lo_u32 v6, v6, 10
	v_sub_u32_e32 v5, v5, v6
	v_mul_hi_u32 v6, v2, s5
	v_lshrrev_b32_e32 v6, 3, v6
	v_mul_lo_u32 v6, v6, 10
	v_sub_u32_e32 v2, v2, v6
	v_add_u32_e32 v2, v5, v2
	v_subrev_co_u32_e32 v5, vcc, 10, v2
	s_nop 1
	v_cndmask_b32_e32 v2, v5, v2, vcc
.LBB603_20:
	s_or_b64 exec, exec, s[0:1]
	v_cmp_gt_u32_e32 vcc, 62, v3
	v_add_u32_e32 v6, 2, v3
	s_waitcnt lgkmcnt(0)
	v_cndmask_b32_e64 v5, 0, 2, vcc
	v_add_lshl_u32 v5, v5, v1, 2
	ds_bpermute_b32 v5, v5, v2
	v_cmp_lt_u32_e32 vcc, v6, v4
	s_and_saveexec_b64 s[0:1], vcc
	s_cbranch_execz .LBB603_22
; %bb.21:
	s_mov_b32 s5, 0xcccccccd
	s_waitcnt lgkmcnt(0)
	v_mul_hi_u32 v6, v5, s5
	v_lshrrev_b32_e32 v6, 3, v6
	v_mul_lo_u32 v6, v6, 10
	v_sub_u32_e32 v5, v5, v6
	v_mul_hi_u32 v6, v2, s5
	v_lshrrev_b32_e32 v6, 3, v6
	v_mul_lo_u32 v6, v6, 10
	v_sub_u32_e32 v2, v2, v6
	v_add_u32_e32 v2, v5, v2
	v_subrev_co_u32_e32 v5, vcc, 10, v2
	s_nop 1
	v_cndmask_b32_e32 v2, v5, v2, vcc
.LBB603_22:
	s_or_b64 exec, exec, s[0:1]
	v_cmp_gt_u32_e32 vcc, 60, v3
	v_add_u32_e32 v6, 4, v3
	s_waitcnt lgkmcnt(0)
	v_cndmask_b32_e64 v5, 0, 4, vcc
	v_add_lshl_u32 v5, v5, v1, 2
	ds_bpermute_b32 v5, v5, v2
	v_cmp_lt_u32_e32 vcc, v6, v4
	s_and_saveexec_b64 s[0:1], vcc
	;; [unrolled: 26-line block ×4, first 2 shown]
	s_cbranch_execz .LBB603_28
; %bb.27:
	s_mov_b32 s5, 0xcccccccd
	s_waitcnt lgkmcnt(0)
	v_mul_hi_u32 v6, v5, s5
	v_lshrrev_b32_e32 v6, 3, v6
	v_mul_lo_u32 v6, v6, 10
	v_sub_u32_e32 v5, v5, v6
	v_mul_hi_u32 v6, v2, s5
	v_lshrrev_b32_e32 v6, 3, v6
	v_mul_lo_u32 v6, v6, 10
	v_sub_u32_e32 v2, v2, v6
	v_add_u32_e32 v2, v5, v2
	v_subrev_co_u32_e32 v5, vcc, 10, v2
	s_nop 1
	v_cndmask_b32_e32 v2, v5, v2, vcc
.LBB603_28:
	s_or_b64 exec, exec, s[0:1]
	s_waitcnt lgkmcnt(0)
	v_lshlrev_b32_e32 v5, 2, v1
	v_or_b32_e32 v6, 0x80, v5
	ds_bpermute_b32 v6, v6, v2
	v_add_u32_e32 v3, 32, v3
	v_cmp_lt_u32_e32 vcc, v3, v4
	s_and_saveexec_b64 s[0:1], vcc
	s_cbranch_execz .LBB603_30
; %bb.29:
	s_mov_b32 s5, 0xcccccccd
	s_waitcnt lgkmcnt(0)
	v_mul_hi_u32 v3, v6, s5
	v_mul_hi_u32 v4, v2, s5
	v_lshrrev_b32_e32 v3, 3, v3
	v_lshrrev_b32_e32 v4, 3, v4
	v_mul_lo_u32 v3, v3, 10
	v_mul_lo_u32 v4, v4, 10
	v_sub_u32_e32 v3, v6, v3
	v_sub_u32_e32 v2, v2, v4
	v_add_u32_e32 v2, v3, v2
	v_subrev_co_u32_e32 v3, vcc, 10, v2
	s_nop 1
	v_cndmask_b32_e32 v2, v3, v2, vcc
.LBB603_30:
	s_or_b64 exec, exec, s[0:1]
	v_cmp_eq_u32_e32 vcc, 0, v1
	s_and_saveexec_b64 s[0:1], vcc
; %bb.31:
	v_lshrrev_b32_e32 v3, 4, v0
	v_and_b32_e32 v3, 12, v3
	ds_write_b32 v3, v2
; %bb.32:
	s_or_b64 exec, exec, s[0:1]
	v_cmp_gt_u32_e32 vcc, 4, v0
	s_waitcnt lgkmcnt(0)
	s_barrier
	s_and_saveexec_b64 s[0:1], vcc
	s_cbranch_execz .LBB603_38
; %bb.33:
	ds_read_b32 v2, v5
	v_and_b32_e32 v3, 3, v1
	v_cmp_ne_u32_e32 vcc, 3, v3
	s_add_i32 s4, s4, 63
	s_lshr_b32 s6, s4, 6
	v_addc_co_u32_e32 v1, vcc, 0, v1, vcc
	v_lshlrev_b32_e32 v1, 2, v1
	s_waitcnt lgkmcnt(0)
	ds_bpermute_b32 v1, v1, v2
	v_add_u32_e32 v4, 1, v3
	v_cmp_gt_u32_e32 vcc, s6, v4
	s_and_saveexec_b64 s[4:5], vcc
	s_cbranch_execz .LBB603_35
; %bb.34:
	s_mov_b32 s7, 0xcccccccd
	s_waitcnt lgkmcnt(0)
	v_mul_hi_u32 v4, v1, s7
	v_lshrrev_b32_e32 v4, 3, v4
	v_mul_lo_u32 v4, v4, 10
	v_sub_u32_e32 v1, v1, v4
	v_mul_hi_u32 v4, v2, s7
	v_lshrrev_b32_e32 v4, 3, v4
	v_mul_lo_u32 v4, v4, 10
	v_sub_u32_e32 v2, v2, v4
	v_add_u32_e32 v1, v1, v2
	v_subrev_co_u32_e32 v2, vcc, 10, v1
	s_nop 1
	v_cndmask_b32_e32 v2, v2, v1, vcc
.LBB603_35:
	s_or_b64 exec, exec, s[4:5]
	s_waitcnt lgkmcnt(0)
	v_or_b32_e32 v1, 8, v5
	ds_bpermute_b32 v1, v1, v2
	v_add_u32_e32 v3, 2, v3
	v_cmp_gt_u32_e32 vcc, s6, v3
	s_and_saveexec_b64 s[4:5], vcc
	s_cbranch_execz .LBB603_37
; %bb.36:
	s_mov_b32 s6, 0xcccccccd
	s_waitcnt lgkmcnt(0)
	v_mul_hi_u32 v3, v1, s6
	v_lshrrev_b32_e32 v3, 3, v3
	v_mul_lo_u32 v3, v3, 10
	v_sub_u32_e32 v1, v1, v3
	v_mul_hi_u32 v3, v2, s6
	v_lshrrev_b32_e32 v3, 3, v3
	v_mul_lo_u32 v3, v3, 10
	v_sub_u32_e32 v2, v2, v3
	v_add_u32_e32 v1, v1, v2
	v_subrev_co_u32_e32 v2, vcc, 10, v1
	s_nop 1
	v_cndmask_b32_e32 v2, v2, v1, vcc
.LBB603_37:
	s_or_b64 exec, exec, s[4:5]
.LBB603_38:
	s_or_b64 exec, exec, s[0:1]
.LBB603_39:
	v_cmp_eq_u32_e32 vcc, 0, v0
	s_and_saveexec_b64 s[0:1], vcc
	s_cbranch_execnz .LBB603_41
; %bb.40:
	s_endpgm
.LBB603_41:
	s_mul_i32 s0, s14, s13
	s_mul_hi_u32 s1, s14, s12
	s_add_i32 s0, s1, s0
	s_mul_i32 s1, s15, s12
	s_add_i32 s1, s0, s1
	s_mul_i32 s0, s14, s12
	s_lshl_b64 s[0:1], s[0:1], 2
	s_add_u32 s4, s10, s0
	s_addc_u32 s5, s11, s1
	s_cmp_eq_u64 s[8:9], 0
	s_cselect_b64 vcc, -1, 0
	s_lshl_b64 s[0:1], s[2:3], 2
	s_waitcnt lgkmcnt(0)
	v_mov_b32_e32 v0, s18
	s_add_u32 s0, s4, s0
	v_cndmask_b32_e32 v0, v2, v0, vcc
	s_addc_u32 s1, s5, s1
	v_mov_b32_e32 v1, 0
	global_store_dword v1, v0, s[0:1]
	s_endpgm
.LBB603_42:
	v_mov_b32_e32 v7, 0
	v_lshl_add_u64 v[6:7], s[6:7], 0, v[6:7]
	flat_load_dword v5, v[6:7] offset:3072
	s_or_b64 exec, exec, s[16:17]
	s_and_saveexec_b64 s[6:7], s[4:5]
	s_cbranch_execz .LBB603_15
.LBB603_43:
	s_mov_b32 s4, 0xcccccccd
	s_waitcnt vmcnt(0) lgkmcnt(0)
	v_mul_hi_u32 v6, v3, s4
	v_lshrrev_b32_e32 v6, 3, v6
	v_mul_lo_u32 v6, v6, 10
	v_sub_u32_e32 v3, v3, v6
	v_mul_hi_u32 v6, v2, s4
	v_lshrrev_b32_e32 v6, 3, v6
	v_mul_lo_u32 v6, v6, 10
	v_sub_u32_e32 v2, v2, v6
	v_add_u32_e32 v2, v3, v2
	v_subrev_co_u32_e64 v3, s[4:5], 10, v2
	s_nop 1
	v_cndmask_b32_e64 v2, v3, v2, s[4:5]
	s_or_b64 exec, exec, s[6:7]
	s_and_saveexec_b64 s[4:5], s[0:1]
	s_cbranch_execz .LBB603_16
.LBB603_44:
	s_mov_b32 s0, 0xcccccccd
	s_waitcnt vmcnt(0) lgkmcnt(0)
	v_mul_hi_u32 v3, v4, s0
	v_lshrrev_b32_e32 v3, 3, v3
	v_mul_lo_u32 v3, v3, 10
	v_sub_u32_e32 v3, v4, v3
	v_mul_hi_u32 v4, v2, s0
	v_lshrrev_b32_e32 v4, 3, v4
	v_mul_lo_u32 v4, v4, 10
	v_sub_u32_e32 v2, v2, v4
	v_add_u32_e32 v2, v2, v3
	v_subrev_co_u32_e64 v3, s[0:1], 10, v2
	s_nop 1
	v_cndmask_b32_e64 v2, v3, v2, s[0:1]
	s_or_b64 exec, exec, s[4:5]
	s_and_saveexec_b64 s[0:1], vcc
	s_cbranch_execnz .LBB603_17
	s_branch .LBB603_18
	.section	.rodata,"a",@progbits
	.p2align	6, 0x0
	.amdhsa_kernel _ZN7rocprim17ROCPRIM_400000_NS6detail17trampoline_kernelINS0_14default_configENS1_22reduce_config_selectorIjEEZNS1_11reduce_implILb1ES3_N6thrust23THRUST_200600_302600_NS6detail15normal_iteratorINS8_10device_ptrIjEEEEPjj11plus_mod_10IjEEE10hipError_tPvRmT1_T2_T3_mT4_P12ihipStream_tbEUlT_E0_NS1_11comp_targetILNS1_3genE0ELNS1_11target_archE4294967295ELNS1_3gpuE0ELNS1_3repE0EEENS1_30default_config_static_selectorELNS0_4arch9wavefront6targetE1EEEvSK_
		.amdhsa_group_segment_fixed_size 32
		.amdhsa_private_segment_fixed_size 0
		.amdhsa_kernarg_size 56
		.amdhsa_user_sgpr_count 2
		.amdhsa_user_sgpr_dispatch_ptr 0
		.amdhsa_user_sgpr_queue_ptr 0
		.amdhsa_user_sgpr_kernarg_segment_ptr 1
		.amdhsa_user_sgpr_dispatch_id 0
		.amdhsa_user_sgpr_kernarg_preload_length 0
		.amdhsa_user_sgpr_kernarg_preload_offset 0
		.amdhsa_user_sgpr_private_segment_size 0
		.amdhsa_uses_dynamic_stack 0
		.amdhsa_enable_private_segment 0
		.amdhsa_system_sgpr_workgroup_id_x 1
		.amdhsa_system_sgpr_workgroup_id_y 0
		.amdhsa_system_sgpr_workgroup_id_z 0
		.amdhsa_system_sgpr_workgroup_info 0
		.amdhsa_system_vgpr_workitem_id 0
		.amdhsa_next_free_vgpr 13
		.amdhsa_next_free_sgpr 20
		.amdhsa_accum_offset 16
		.amdhsa_reserve_vcc 1
		.amdhsa_float_round_mode_32 0
		.amdhsa_float_round_mode_16_64 0
		.amdhsa_float_denorm_mode_32 3
		.amdhsa_float_denorm_mode_16_64 3
		.amdhsa_dx10_clamp 1
		.amdhsa_ieee_mode 1
		.amdhsa_fp16_overflow 0
		.amdhsa_tg_split 0
		.amdhsa_exception_fp_ieee_invalid_op 0
		.amdhsa_exception_fp_denorm_src 0
		.amdhsa_exception_fp_ieee_div_zero 0
		.amdhsa_exception_fp_ieee_overflow 0
		.amdhsa_exception_fp_ieee_underflow 0
		.amdhsa_exception_fp_ieee_inexact 0
		.amdhsa_exception_int_div_zero 0
	.end_amdhsa_kernel
	.section	.text._ZN7rocprim17ROCPRIM_400000_NS6detail17trampoline_kernelINS0_14default_configENS1_22reduce_config_selectorIjEEZNS1_11reduce_implILb1ES3_N6thrust23THRUST_200600_302600_NS6detail15normal_iteratorINS8_10device_ptrIjEEEEPjj11plus_mod_10IjEEE10hipError_tPvRmT1_T2_T3_mT4_P12ihipStream_tbEUlT_E0_NS1_11comp_targetILNS1_3genE0ELNS1_11target_archE4294967295ELNS1_3gpuE0ELNS1_3repE0EEENS1_30default_config_static_selectorELNS0_4arch9wavefront6targetE1EEEvSK_,"axG",@progbits,_ZN7rocprim17ROCPRIM_400000_NS6detail17trampoline_kernelINS0_14default_configENS1_22reduce_config_selectorIjEEZNS1_11reduce_implILb1ES3_N6thrust23THRUST_200600_302600_NS6detail15normal_iteratorINS8_10device_ptrIjEEEEPjj11plus_mod_10IjEEE10hipError_tPvRmT1_T2_T3_mT4_P12ihipStream_tbEUlT_E0_NS1_11comp_targetILNS1_3genE0ELNS1_11target_archE4294967295ELNS1_3gpuE0ELNS1_3repE0EEENS1_30default_config_static_selectorELNS0_4arch9wavefront6targetE1EEEvSK_,comdat
.Lfunc_end603:
	.size	_ZN7rocprim17ROCPRIM_400000_NS6detail17trampoline_kernelINS0_14default_configENS1_22reduce_config_selectorIjEEZNS1_11reduce_implILb1ES3_N6thrust23THRUST_200600_302600_NS6detail15normal_iteratorINS8_10device_ptrIjEEEEPjj11plus_mod_10IjEEE10hipError_tPvRmT1_T2_T3_mT4_P12ihipStream_tbEUlT_E0_NS1_11comp_targetILNS1_3genE0ELNS1_11target_archE4294967295ELNS1_3gpuE0ELNS1_3repE0EEENS1_30default_config_static_selectorELNS0_4arch9wavefront6targetE1EEEvSK_, .Lfunc_end603-_ZN7rocprim17ROCPRIM_400000_NS6detail17trampoline_kernelINS0_14default_configENS1_22reduce_config_selectorIjEEZNS1_11reduce_implILb1ES3_N6thrust23THRUST_200600_302600_NS6detail15normal_iteratorINS8_10device_ptrIjEEEEPjj11plus_mod_10IjEEE10hipError_tPvRmT1_T2_T3_mT4_P12ihipStream_tbEUlT_E0_NS1_11comp_targetILNS1_3genE0ELNS1_11target_archE4294967295ELNS1_3gpuE0ELNS1_3repE0EEENS1_30default_config_static_selectorELNS0_4arch9wavefront6targetE1EEEvSK_
                                        ; -- End function
	.set _ZN7rocprim17ROCPRIM_400000_NS6detail17trampoline_kernelINS0_14default_configENS1_22reduce_config_selectorIjEEZNS1_11reduce_implILb1ES3_N6thrust23THRUST_200600_302600_NS6detail15normal_iteratorINS8_10device_ptrIjEEEEPjj11plus_mod_10IjEEE10hipError_tPvRmT1_T2_T3_mT4_P12ihipStream_tbEUlT_E0_NS1_11comp_targetILNS1_3genE0ELNS1_11target_archE4294967295ELNS1_3gpuE0ELNS1_3repE0EEENS1_30default_config_static_selectorELNS0_4arch9wavefront6targetE1EEEvSK_.num_vgpr, 13
	.set _ZN7rocprim17ROCPRIM_400000_NS6detail17trampoline_kernelINS0_14default_configENS1_22reduce_config_selectorIjEEZNS1_11reduce_implILb1ES3_N6thrust23THRUST_200600_302600_NS6detail15normal_iteratorINS8_10device_ptrIjEEEEPjj11plus_mod_10IjEEE10hipError_tPvRmT1_T2_T3_mT4_P12ihipStream_tbEUlT_E0_NS1_11comp_targetILNS1_3genE0ELNS1_11target_archE4294967295ELNS1_3gpuE0ELNS1_3repE0EEENS1_30default_config_static_selectorELNS0_4arch9wavefront6targetE1EEEvSK_.num_agpr, 0
	.set _ZN7rocprim17ROCPRIM_400000_NS6detail17trampoline_kernelINS0_14default_configENS1_22reduce_config_selectorIjEEZNS1_11reduce_implILb1ES3_N6thrust23THRUST_200600_302600_NS6detail15normal_iteratorINS8_10device_ptrIjEEEEPjj11plus_mod_10IjEEE10hipError_tPvRmT1_T2_T3_mT4_P12ihipStream_tbEUlT_E0_NS1_11comp_targetILNS1_3genE0ELNS1_11target_archE4294967295ELNS1_3gpuE0ELNS1_3repE0EEENS1_30default_config_static_selectorELNS0_4arch9wavefront6targetE1EEEvSK_.numbered_sgpr, 20
	.set _ZN7rocprim17ROCPRIM_400000_NS6detail17trampoline_kernelINS0_14default_configENS1_22reduce_config_selectorIjEEZNS1_11reduce_implILb1ES3_N6thrust23THRUST_200600_302600_NS6detail15normal_iteratorINS8_10device_ptrIjEEEEPjj11plus_mod_10IjEEE10hipError_tPvRmT1_T2_T3_mT4_P12ihipStream_tbEUlT_E0_NS1_11comp_targetILNS1_3genE0ELNS1_11target_archE4294967295ELNS1_3gpuE0ELNS1_3repE0EEENS1_30default_config_static_selectorELNS0_4arch9wavefront6targetE1EEEvSK_.num_named_barrier, 0
	.set _ZN7rocprim17ROCPRIM_400000_NS6detail17trampoline_kernelINS0_14default_configENS1_22reduce_config_selectorIjEEZNS1_11reduce_implILb1ES3_N6thrust23THRUST_200600_302600_NS6detail15normal_iteratorINS8_10device_ptrIjEEEEPjj11plus_mod_10IjEEE10hipError_tPvRmT1_T2_T3_mT4_P12ihipStream_tbEUlT_E0_NS1_11comp_targetILNS1_3genE0ELNS1_11target_archE4294967295ELNS1_3gpuE0ELNS1_3repE0EEENS1_30default_config_static_selectorELNS0_4arch9wavefront6targetE1EEEvSK_.private_seg_size, 0
	.set _ZN7rocprim17ROCPRIM_400000_NS6detail17trampoline_kernelINS0_14default_configENS1_22reduce_config_selectorIjEEZNS1_11reduce_implILb1ES3_N6thrust23THRUST_200600_302600_NS6detail15normal_iteratorINS8_10device_ptrIjEEEEPjj11plus_mod_10IjEEE10hipError_tPvRmT1_T2_T3_mT4_P12ihipStream_tbEUlT_E0_NS1_11comp_targetILNS1_3genE0ELNS1_11target_archE4294967295ELNS1_3gpuE0ELNS1_3repE0EEENS1_30default_config_static_selectorELNS0_4arch9wavefront6targetE1EEEvSK_.uses_vcc, 1
	.set _ZN7rocprim17ROCPRIM_400000_NS6detail17trampoline_kernelINS0_14default_configENS1_22reduce_config_selectorIjEEZNS1_11reduce_implILb1ES3_N6thrust23THRUST_200600_302600_NS6detail15normal_iteratorINS8_10device_ptrIjEEEEPjj11plus_mod_10IjEEE10hipError_tPvRmT1_T2_T3_mT4_P12ihipStream_tbEUlT_E0_NS1_11comp_targetILNS1_3genE0ELNS1_11target_archE4294967295ELNS1_3gpuE0ELNS1_3repE0EEENS1_30default_config_static_selectorELNS0_4arch9wavefront6targetE1EEEvSK_.uses_flat_scratch, 0
	.set _ZN7rocprim17ROCPRIM_400000_NS6detail17trampoline_kernelINS0_14default_configENS1_22reduce_config_selectorIjEEZNS1_11reduce_implILb1ES3_N6thrust23THRUST_200600_302600_NS6detail15normal_iteratorINS8_10device_ptrIjEEEEPjj11plus_mod_10IjEEE10hipError_tPvRmT1_T2_T3_mT4_P12ihipStream_tbEUlT_E0_NS1_11comp_targetILNS1_3genE0ELNS1_11target_archE4294967295ELNS1_3gpuE0ELNS1_3repE0EEENS1_30default_config_static_selectorELNS0_4arch9wavefront6targetE1EEEvSK_.has_dyn_sized_stack, 0
	.set _ZN7rocprim17ROCPRIM_400000_NS6detail17trampoline_kernelINS0_14default_configENS1_22reduce_config_selectorIjEEZNS1_11reduce_implILb1ES3_N6thrust23THRUST_200600_302600_NS6detail15normal_iteratorINS8_10device_ptrIjEEEEPjj11plus_mod_10IjEEE10hipError_tPvRmT1_T2_T3_mT4_P12ihipStream_tbEUlT_E0_NS1_11comp_targetILNS1_3genE0ELNS1_11target_archE4294967295ELNS1_3gpuE0ELNS1_3repE0EEENS1_30default_config_static_selectorELNS0_4arch9wavefront6targetE1EEEvSK_.has_recursion, 0
	.set _ZN7rocprim17ROCPRIM_400000_NS6detail17trampoline_kernelINS0_14default_configENS1_22reduce_config_selectorIjEEZNS1_11reduce_implILb1ES3_N6thrust23THRUST_200600_302600_NS6detail15normal_iteratorINS8_10device_ptrIjEEEEPjj11plus_mod_10IjEEE10hipError_tPvRmT1_T2_T3_mT4_P12ihipStream_tbEUlT_E0_NS1_11comp_targetILNS1_3genE0ELNS1_11target_archE4294967295ELNS1_3gpuE0ELNS1_3repE0EEENS1_30default_config_static_selectorELNS0_4arch9wavefront6targetE1EEEvSK_.has_indirect_call, 0
	.section	.AMDGPU.csdata,"",@progbits
; Kernel info:
; codeLenInByte = 2756
; TotalNumSgprs: 26
; NumVgprs: 13
; NumAgprs: 0
; TotalNumVgprs: 13
; ScratchSize: 0
; MemoryBound: 0
; FloatMode: 240
; IeeeMode: 1
; LDSByteSize: 32 bytes/workgroup (compile time only)
; SGPRBlocks: 3
; VGPRBlocks: 1
; NumSGPRsForWavesPerEU: 26
; NumVGPRsForWavesPerEU: 13
; AccumOffset: 16
; Occupancy: 8
; WaveLimiterHint : 1
; COMPUTE_PGM_RSRC2:SCRATCH_EN: 0
; COMPUTE_PGM_RSRC2:USER_SGPR: 2
; COMPUTE_PGM_RSRC2:TRAP_HANDLER: 0
; COMPUTE_PGM_RSRC2:TGID_X_EN: 1
; COMPUTE_PGM_RSRC2:TGID_Y_EN: 0
; COMPUTE_PGM_RSRC2:TGID_Z_EN: 0
; COMPUTE_PGM_RSRC2:TIDIG_COMP_CNT: 0
; COMPUTE_PGM_RSRC3_GFX90A:ACCUM_OFFSET: 3
; COMPUTE_PGM_RSRC3_GFX90A:TG_SPLIT: 0
	.section	.text._ZN7rocprim17ROCPRIM_400000_NS6detail17trampoline_kernelINS0_14default_configENS1_22reduce_config_selectorIjEEZNS1_11reduce_implILb1ES3_N6thrust23THRUST_200600_302600_NS6detail15normal_iteratorINS8_10device_ptrIjEEEEPjj11plus_mod_10IjEEE10hipError_tPvRmT1_T2_T3_mT4_P12ihipStream_tbEUlT_E0_NS1_11comp_targetILNS1_3genE5ELNS1_11target_archE942ELNS1_3gpuE9ELNS1_3repE0EEENS1_30default_config_static_selectorELNS0_4arch9wavefront6targetE1EEEvSK_,"axG",@progbits,_ZN7rocprim17ROCPRIM_400000_NS6detail17trampoline_kernelINS0_14default_configENS1_22reduce_config_selectorIjEEZNS1_11reduce_implILb1ES3_N6thrust23THRUST_200600_302600_NS6detail15normal_iteratorINS8_10device_ptrIjEEEEPjj11plus_mod_10IjEEE10hipError_tPvRmT1_T2_T3_mT4_P12ihipStream_tbEUlT_E0_NS1_11comp_targetILNS1_3genE5ELNS1_11target_archE942ELNS1_3gpuE9ELNS1_3repE0EEENS1_30default_config_static_selectorELNS0_4arch9wavefront6targetE1EEEvSK_,comdat
	.protected	_ZN7rocprim17ROCPRIM_400000_NS6detail17trampoline_kernelINS0_14default_configENS1_22reduce_config_selectorIjEEZNS1_11reduce_implILb1ES3_N6thrust23THRUST_200600_302600_NS6detail15normal_iteratorINS8_10device_ptrIjEEEEPjj11plus_mod_10IjEEE10hipError_tPvRmT1_T2_T3_mT4_P12ihipStream_tbEUlT_E0_NS1_11comp_targetILNS1_3genE5ELNS1_11target_archE942ELNS1_3gpuE9ELNS1_3repE0EEENS1_30default_config_static_selectorELNS0_4arch9wavefront6targetE1EEEvSK_ ; -- Begin function _ZN7rocprim17ROCPRIM_400000_NS6detail17trampoline_kernelINS0_14default_configENS1_22reduce_config_selectorIjEEZNS1_11reduce_implILb1ES3_N6thrust23THRUST_200600_302600_NS6detail15normal_iteratorINS8_10device_ptrIjEEEEPjj11plus_mod_10IjEEE10hipError_tPvRmT1_T2_T3_mT4_P12ihipStream_tbEUlT_E0_NS1_11comp_targetILNS1_3genE5ELNS1_11target_archE942ELNS1_3gpuE9ELNS1_3repE0EEENS1_30default_config_static_selectorELNS0_4arch9wavefront6targetE1EEEvSK_
	.globl	_ZN7rocprim17ROCPRIM_400000_NS6detail17trampoline_kernelINS0_14default_configENS1_22reduce_config_selectorIjEEZNS1_11reduce_implILb1ES3_N6thrust23THRUST_200600_302600_NS6detail15normal_iteratorINS8_10device_ptrIjEEEEPjj11plus_mod_10IjEEE10hipError_tPvRmT1_T2_T3_mT4_P12ihipStream_tbEUlT_E0_NS1_11comp_targetILNS1_3genE5ELNS1_11target_archE942ELNS1_3gpuE9ELNS1_3repE0EEENS1_30default_config_static_selectorELNS0_4arch9wavefront6targetE1EEEvSK_
	.p2align	8
	.type	_ZN7rocprim17ROCPRIM_400000_NS6detail17trampoline_kernelINS0_14default_configENS1_22reduce_config_selectorIjEEZNS1_11reduce_implILb1ES3_N6thrust23THRUST_200600_302600_NS6detail15normal_iteratorINS8_10device_ptrIjEEEEPjj11plus_mod_10IjEEE10hipError_tPvRmT1_T2_T3_mT4_P12ihipStream_tbEUlT_E0_NS1_11comp_targetILNS1_3genE5ELNS1_11target_archE942ELNS1_3gpuE9ELNS1_3repE0EEENS1_30default_config_static_selectorELNS0_4arch9wavefront6targetE1EEEvSK_,@function
_ZN7rocprim17ROCPRIM_400000_NS6detail17trampoline_kernelINS0_14default_configENS1_22reduce_config_selectorIjEEZNS1_11reduce_implILb1ES3_N6thrust23THRUST_200600_302600_NS6detail15normal_iteratorINS8_10device_ptrIjEEEEPjj11plus_mod_10IjEEE10hipError_tPvRmT1_T2_T3_mT4_P12ihipStream_tbEUlT_E0_NS1_11comp_targetILNS1_3genE5ELNS1_11target_archE942ELNS1_3gpuE9ELNS1_3repE0EEENS1_30default_config_static_selectorELNS0_4arch9wavefront6targetE1EEEvSK_: ; @_ZN7rocprim17ROCPRIM_400000_NS6detail17trampoline_kernelINS0_14default_configENS1_22reduce_config_selectorIjEEZNS1_11reduce_implILb1ES3_N6thrust23THRUST_200600_302600_NS6detail15normal_iteratorINS8_10device_ptrIjEEEEPjj11plus_mod_10IjEEE10hipError_tPvRmT1_T2_T3_mT4_P12ihipStream_tbEUlT_E0_NS1_11comp_targetILNS1_3genE5ELNS1_11target_archE942ELNS1_3gpuE9ELNS1_3repE0EEENS1_30default_config_static_selectorELNS0_4arch9wavefront6targetE1EEEvSK_
; %bb.0:
	.section	.rodata,"a",@progbits
	.p2align	6, 0x0
	.amdhsa_kernel _ZN7rocprim17ROCPRIM_400000_NS6detail17trampoline_kernelINS0_14default_configENS1_22reduce_config_selectorIjEEZNS1_11reduce_implILb1ES3_N6thrust23THRUST_200600_302600_NS6detail15normal_iteratorINS8_10device_ptrIjEEEEPjj11plus_mod_10IjEEE10hipError_tPvRmT1_T2_T3_mT4_P12ihipStream_tbEUlT_E0_NS1_11comp_targetILNS1_3genE5ELNS1_11target_archE942ELNS1_3gpuE9ELNS1_3repE0EEENS1_30default_config_static_selectorELNS0_4arch9wavefront6targetE1EEEvSK_
		.amdhsa_group_segment_fixed_size 0
		.amdhsa_private_segment_fixed_size 0
		.amdhsa_kernarg_size 56
		.amdhsa_user_sgpr_count 2
		.amdhsa_user_sgpr_dispatch_ptr 0
		.amdhsa_user_sgpr_queue_ptr 0
		.amdhsa_user_sgpr_kernarg_segment_ptr 1
		.amdhsa_user_sgpr_dispatch_id 0
		.amdhsa_user_sgpr_kernarg_preload_length 0
		.amdhsa_user_sgpr_kernarg_preload_offset 0
		.amdhsa_user_sgpr_private_segment_size 0
		.amdhsa_uses_dynamic_stack 0
		.amdhsa_enable_private_segment 0
		.amdhsa_system_sgpr_workgroup_id_x 1
		.amdhsa_system_sgpr_workgroup_id_y 0
		.amdhsa_system_sgpr_workgroup_id_z 0
		.amdhsa_system_sgpr_workgroup_info 0
		.amdhsa_system_vgpr_workitem_id 0
		.amdhsa_next_free_vgpr 1
		.amdhsa_next_free_sgpr 0
		.amdhsa_accum_offset 4
		.amdhsa_reserve_vcc 0
		.amdhsa_float_round_mode_32 0
		.amdhsa_float_round_mode_16_64 0
		.amdhsa_float_denorm_mode_32 3
		.amdhsa_float_denorm_mode_16_64 3
		.amdhsa_dx10_clamp 1
		.amdhsa_ieee_mode 1
		.amdhsa_fp16_overflow 0
		.amdhsa_tg_split 0
		.amdhsa_exception_fp_ieee_invalid_op 0
		.amdhsa_exception_fp_denorm_src 0
		.amdhsa_exception_fp_ieee_div_zero 0
		.amdhsa_exception_fp_ieee_overflow 0
		.amdhsa_exception_fp_ieee_underflow 0
		.amdhsa_exception_fp_ieee_inexact 0
		.amdhsa_exception_int_div_zero 0
	.end_amdhsa_kernel
	.section	.text._ZN7rocprim17ROCPRIM_400000_NS6detail17trampoline_kernelINS0_14default_configENS1_22reduce_config_selectorIjEEZNS1_11reduce_implILb1ES3_N6thrust23THRUST_200600_302600_NS6detail15normal_iteratorINS8_10device_ptrIjEEEEPjj11plus_mod_10IjEEE10hipError_tPvRmT1_T2_T3_mT4_P12ihipStream_tbEUlT_E0_NS1_11comp_targetILNS1_3genE5ELNS1_11target_archE942ELNS1_3gpuE9ELNS1_3repE0EEENS1_30default_config_static_selectorELNS0_4arch9wavefront6targetE1EEEvSK_,"axG",@progbits,_ZN7rocprim17ROCPRIM_400000_NS6detail17trampoline_kernelINS0_14default_configENS1_22reduce_config_selectorIjEEZNS1_11reduce_implILb1ES3_N6thrust23THRUST_200600_302600_NS6detail15normal_iteratorINS8_10device_ptrIjEEEEPjj11plus_mod_10IjEEE10hipError_tPvRmT1_T2_T3_mT4_P12ihipStream_tbEUlT_E0_NS1_11comp_targetILNS1_3genE5ELNS1_11target_archE942ELNS1_3gpuE9ELNS1_3repE0EEENS1_30default_config_static_selectorELNS0_4arch9wavefront6targetE1EEEvSK_,comdat
.Lfunc_end604:
	.size	_ZN7rocprim17ROCPRIM_400000_NS6detail17trampoline_kernelINS0_14default_configENS1_22reduce_config_selectorIjEEZNS1_11reduce_implILb1ES3_N6thrust23THRUST_200600_302600_NS6detail15normal_iteratorINS8_10device_ptrIjEEEEPjj11plus_mod_10IjEEE10hipError_tPvRmT1_T2_T3_mT4_P12ihipStream_tbEUlT_E0_NS1_11comp_targetILNS1_3genE5ELNS1_11target_archE942ELNS1_3gpuE9ELNS1_3repE0EEENS1_30default_config_static_selectorELNS0_4arch9wavefront6targetE1EEEvSK_, .Lfunc_end604-_ZN7rocprim17ROCPRIM_400000_NS6detail17trampoline_kernelINS0_14default_configENS1_22reduce_config_selectorIjEEZNS1_11reduce_implILb1ES3_N6thrust23THRUST_200600_302600_NS6detail15normal_iteratorINS8_10device_ptrIjEEEEPjj11plus_mod_10IjEEE10hipError_tPvRmT1_T2_T3_mT4_P12ihipStream_tbEUlT_E0_NS1_11comp_targetILNS1_3genE5ELNS1_11target_archE942ELNS1_3gpuE9ELNS1_3repE0EEENS1_30default_config_static_selectorELNS0_4arch9wavefront6targetE1EEEvSK_
                                        ; -- End function
	.set _ZN7rocprim17ROCPRIM_400000_NS6detail17trampoline_kernelINS0_14default_configENS1_22reduce_config_selectorIjEEZNS1_11reduce_implILb1ES3_N6thrust23THRUST_200600_302600_NS6detail15normal_iteratorINS8_10device_ptrIjEEEEPjj11plus_mod_10IjEEE10hipError_tPvRmT1_T2_T3_mT4_P12ihipStream_tbEUlT_E0_NS1_11comp_targetILNS1_3genE5ELNS1_11target_archE942ELNS1_3gpuE9ELNS1_3repE0EEENS1_30default_config_static_selectorELNS0_4arch9wavefront6targetE1EEEvSK_.num_vgpr, 0
	.set _ZN7rocprim17ROCPRIM_400000_NS6detail17trampoline_kernelINS0_14default_configENS1_22reduce_config_selectorIjEEZNS1_11reduce_implILb1ES3_N6thrust23THRUST_200600_302600_NS6detail15normal_iteratorINS8_10device_ptrIjEEEEPjj11plus_mod_10IjEEE10hipError_tPvRmT1_T2_T3_mT4_P12ihipStream_tbEUlT_E0_NS1_11comp_targetILNS1_3genE5ELNS1_11target_archE942ELNS1_3gpuE9ELNS1_3repE0EEENS1_30default_config_static_selectorELNS0_4arch9wavefront6targetE1EEEvSK_.num_agpr, 0
	.set _ZN7rocprim17ROCPRIM_400000_NS6detail17trampoline_kernelINS0_14default_configENS1_22reduce_config_selectorIjEEZNS1_11reduce_implILb1ES3_N6thrust23THRUST_200600_302600_NS6detail15normal_iteratorINS8_10device_ptrIjEEEEPjj11plus_mod_10IjEEE10hipError_tPvRmT1_T2_T3_mT4_P12ihipStream_tbEUlT_E0_NS1_11comp_targetILNS1_3genE5ELNS1_11target_archE942ELNS1_3gpuE9ELNS1_3repE0EEENS1_30default_config_static_selectorELNS0_4arch9wavefront6targetE1EEEvSK_.numbered_sgpr, 0
	.set _ZN7rocprim17ROCPRIM_400000_NS6detail17trampoline_kernelINS0_14default_configENS1_22reduce_config_selectorIjEEZNS1_11reduce_implILb1ES3_N6thrust23THRUST_200600_302600_NS6detail15normal_iteratorINS8_10device_ptrIjEEEEPjj11plus_mod_10IjEEE10hipError_tPvRmT1_T2_T3_mT4_P12ihipStream_tbEUlT_E0_NS1_11comp_targetILNS1_3genE5ELNS1_11target_archE942ELNS1_3gpuE9ELNS1_3repE0EEENS1_30default_config_static_selectorELNS0_4arch9wavefront6targetE1EEEvSK_.num_named_barrier, 0
	.set _ZN7rocprim17ROCPRIM_400000_NS6detail17trampoline_kernelINS0_14default_configENS1_22reduce_config_selectorIjEEZNS1_11reduce_implILb1ES3_N6thrust23THRUST_200600_302600_NS6detail15normal_iteratorINS8_10device_ptrIjEEEEPjj11plus_mod_10IjEEE10hipError_tPvRmT1_T2_T3_mT4_P12ihipStream_tbEUlT_E0_NS1_11comp_targetILNS1_3genE5ELNS1_11target_archE942ELNS1_3gpuE9ELNS1_3repE0EEENS1_30default_config_static_selectorELNS0_4arch9wavefront6targetE1EEEvSK_.private_seg_size, 0
	.set _ZN7rocprim17ROCPRIM_400000_NS6detail17trampoline_kernelINS0_14default_configENS1_22reduce_config_selectorIjEEZNS1_11reduce_implILb1ES3_N6thrust23THRUST_200600_302600_NS6detail15normal_iteratorINS8_10device_ptrIjEEEEPjj11plus_mod_10IjEEE10hipError_tPvRmT1_T2_T3_mT4_P12ihipStream_tbEUlT_E0_NS1_11comp_targetILNS1_3genE5ELNS1_11target_archE942ELNS1_3gpuE9ELNS1_3repE0EEENS1_30default_config_static_selectorELNS0_4arch9wavefront6targetE1EEEvSK_.uses_vcc, 0
	.set _ZN7rocprim17ROCPRIM_400000_NS6detail17trampoline_kernelINS0_14default_configENS1_22reduce_config_selectorIjEEZNS1_11reduce_implILb1ES3_N6thrust23THRUST_200600_302600_NS6detail15normal_iteratorINS8_10device_ptrIjEEEEPjj11plus_mod_10IjEEE10hipError_tPvRmT1_T2_T3_mT4_P12ihipStream_tbEUlT_E0_NS1_11comp_targetILNS1_3genE5ELNS1_11target_archE942ELNS1_3gpuE9ELNS1_3repE0EEENS1_30default_config_static_selectorELNS0_4arch9wavefront6targetE1EEEvSK_.uses_flat_scratch, 0
	.set _ZN7rocprim17ROCPRIM_400000_NS6detail17trampoline_kernelINS0_14default_configENS1_22reduce_config_selectorIjEEZNS1_11reduce_implILb1ES3_N6thrust23THRUST_200600_302600_NS6detail15normal_iteratorINS8_10device_ptrIjEEEEPjj11plus_mod_10IjEEE10hipError_tPvRmT1_T2_T3_mT4_P12ihipStream_tbEUlT_E0_NS1_11comp_targetILNS1_3genE5ELNS1_11target_archE942ELNS1_3gpuE9ELNS1_3repE0EEENS1_30default_config_static_selectorELNS0_4arch9wavefront6targetE1EEEvSK_.has_dyn_sized_stack, 0
	.set _ZN7rocprim17ROCPRIM_400000_NS6detail17trampoline_kernelINS0_14default_configENS1_22reduce_config_selectorIjEEZNS1_11reduce_implILb1ES3_N6thrust23THRUST_200600_302600_NS6detail15normal_iteratorINS8_10device_ptrIjEEEEPjj11plus_mod_10IjEEE10hipError_tPvRmT1_T2_T3_mT4_P12ihipStream_tbEUlT_E0_NS1_11comp_targetILNS1_3genE5ELNS1_11target_archE942ELNS1_3gpuE9ELNS1_3repE0EEENS1_30default_config_static_selectorELNS0_4arch9wavefront6targetE1EEEvSK_.has_recursion, 0
	.set _ZN7rocprim17ROCPRIM_400000_NS6detail17trampoline_kernelINS0_14default_configENS1_22reduce_config_selectorIjEEZNS1_11reduce_implILb1ES3_N6thrust23THRUST_200600_302600_NS6detail15normal_iteratorINS8_10device_ptrIjEEEEPjj11plus_mod_10IjEEE10hipError_tPvRmT1_T2_T3_mT4_P12ihipStream_tbEUlT_E0_NS1_11comp_targetILNS1_3genE5ELNS1_11target_archE942ELNS1_3gpuE9ELNS1_3repE0EEENS1_30default_config_static_selectorELNS0_4arch9wavefront6targetE1EEEvSK_.has_indirect_call, 0
	.section	.AMDGPU.csdata,"",@progbits
; Kernel info:
; codeLenInByte = 0
; TotalNumSgprs: 6
; NumVgprs: 0
; NumAgprs: 0
; TotalNumVgprs: 0
; ScratchSize: 0
; MemoryBound: 0
; FloatMode: 240
; IeeeMode: 1
; LDSByteSize: 0 bytes/workgroup (compile time only)
; SGPRBlocks: 0
; VGPRBlocks: 0
; NumSGPRsForWavesPerEU: 6
; NumVGPRsForWavesPerEU: 1
; AccumOffset: 4
; Occupancy: 8
; WaveLimiterHint : 0
; COMPUTE_PGM_RSRC2:SCRATCH_EN: 0
; COMPUTE_PGM_RSRC2:USER_SGPR: 2
; COMPUTE_PGM_RSRC2:TRAP_HANDLER: 0
; COMPUTE_PGM_RSRC2:TGID_X_EN: 1
; COMPUTE_PGM_RSRC2:TGID_Y_EN: 0
; COMPUTE_PGM_RSRC2:TGID_Z_EN: 0
; COMPUTE_PGM_RSRC2:TIDIG_COMP_CNT: 0
; COMPUTE_PGM_RSRC3_GFX90A:ACCUM_OFFSET: 0
; COMPUTE_PGM_RSRC3_GFX90A:TG_SPLIT: 0
	.section	.text._ZN7rocprim17ROCPRIM_400000_NS6detail17trampoline_kernelINS0_14default_configENS1_22reduce_config_selectorIjEEZNS1_11reduce_implILb1ES3_N6thrust23THRUST_200600_302600_NS6detail15normal_iteratorINS8_10device_ptrIjEEEEPjj11plus_mod_10IjEEE10hipError_tPvRmT1_T2_T3_mT4_P12ihipStream_tbEUlT_E0_NS1_11comp_targetILNS1_3genE4ELNS1_11target_archE910ELNS1_3gpuE8ELNS1_3repE0EEENS1_30default_config_static_selectorELNS0_4arch9wavefront6targetE1EEEvSK_,"axG",@progbits,_ZN7rocprim17ROCPRIM_400000_NS6detail17trampoline_kernelINS0_14default_configENS1_22reduce_config_selectorIjEEZNS1_11reduce_implILb1ES3_N6thrust23THRUST_200600_302600_NS6detail15normal_iteratorINS8_10device_ptrIjEEEEPjj11plus_mod_10IjEEE10hipError_tPvRmT1_T2_T3_mT4_P12ihipStream_tbEUlT_E0_NS1_11comp_targetILNS1_3genE4ELNS1_11target_archE910ELNS1_3gpuE8ELNS1_3repE0EEENS1_30default_config_static_selectorELNS0_4arch9wavefront6targetE1EEEvSK_,comdat
	.protected	_ZN7rocprim17ROCPRIM_400000_NS6detail17trampoline_kernelINS0_14default_configENS1_22reduce_config_selectorIjEEZNS1_11reduce_implILb1ES3_N6thrust23THRUST_200600_302600_NS6detail15normal_iteratorINS8_10device_ptrIjEEEEPjj11plus_mod_10IjEEE10hipError_tPvRmT1_T2_T3_mT4_P12ihipStream_tbEUlT_E0_NS1_11comp_targetILNS1_3genE4ELNS1_11target_archE910ELNS1_3gpuE8ELNS1_3repE0EEENS1_30default_config_static_selectorELNS0_4arch9wavefront6targetE1EEEvSK_ ; -- Begin function _ZN7rocprim17ROCPRIM_400000_NS6detail17trampoline_kernelINS0_14default_configENS1_22reduce_config_selectorIjEEZNS1_11reduce_implILb1ES3_N6thrust23THRUST_200600_302600_NS6detail15normal_iteratorINS8_10device_ptrIjEEEEPjj11plus_mod_10IjEEE10hipError_tPvRmT1_T2_T3_mT4_P12ihipStream_tbEUlT_E0_NS1_11comp_targetILNS1_3genE4ELNS1_11target_archE910ELNS1_3gpuE8ELNS1_3repE0EEENS1_30default_config_static_selectorELNS0_4arch9wavefront6targetE1EEEvSK_
	.globl	_ZN7rocprim17ROCPRIM_400000_NS6detail17trampoline_kernelINS0_14default_configENS1_22reduce_config_selectorIjEEZNS1_11reduce_implILb1ES3_N6thrust23THRUST_200600_302600_NS6detail15normal_iteratorINS8_10device_ptrIjEEEEPjj11plus_mod_10IjEEE10hipError_tPvRmT1_T2_T3_mT4_P12ihipStream_tbEUlT_E0_NS1_11comp_targetILNS1_3genE4ELNS1_11target_archE910ELNS1_3gpuE8ELNS1_3repE0EEENS1_30default_config_static_selectorELNS0_4arch9wavefront6targetE1EEEvSK_
	.p2align	8
	.type	_ZN7rocprim17ROCPRIM_400000_NS6detail17trampoline_kernelINS0_14default_configENS1_22reduce_config_selectorIjEEZNS1_11reduce_implILb1ES3_N6thrust23THRUST_200600_302600_NS6detail15normal_iteratorINS8_10device_ptrIjEEEEPjj11plus_mod_10IjEEE10hipError_tPvRmT1_T2_T3_mT4_P12ihipStream_tbEUlT_E0_NS1_11comp_targetILNS1_3genE4ELNS1_11target_archE910ELNS1_3gpuE8ELNS1_3repE0EEENS1_30default_config_static_selectorELNS0_4arch9wavefront6targetE1EEEvSK_,@function
_ZN7rocprim17ROCPRIM_400000_NS6detail17trampoline_kernelINS0_14default_configENS1_22reduce_config_selectorIjEEZNS1_11reduce_implILb1ES3_N6thrust23THRUST_200600_302600_NS6detail15normal_iteratorINS8_10device_ptrIjEEEEPjj11plus_mod_10IjEEE10hipError_tPvRmT1_T2_T3_mT4_P12ihipStream_tbEUlT_E0_NS1_11comp_targetILNS1_3genE4ELNS1_11target_archE910ELNS1_3gpuE8ELNS1_3repE0EEENS1_30default_config_static_selectorELNS0_4arch9wavefront6targetE1EEEvSK_: ; @_ZN7rocprim17ROCPRIM_400000_NS6detail17trampoline_kernelINS0_14default_configENS1_22reduce_config_selectorIjEEZNS1_11reduce_implILb1ES3_N6thrust23THRUST_200600_302600_NS6detail15normal_iteratorINS8_10device_ptrIjEEEEPjj11plus_mod_10IjEEE10hipError_tPvRmT1_T2_T3_mT4_P12ihipStream_tbEUlT_E0_NS1_11comp_targetILNS1_3genE4ELNS1_11target_archE910ELNS1_3gpuE8ELNS1_3repE0EEENS1_30default_config_static_selectorELNS0_4arch9wavefront6targetE1EEEvSK_
; %bb.0:
	.section	.rodata,"a",@progbits
	.p2align	6, 0x0
	.amdhsa_kernel _ZN7rocprim17ROCPRIM_400000_NS6detail17trampoline_kernelINS0_14default_configENS1_22reduce_config_selectorIjEEZNS1_11reduce_implILb1ES3_N6thrust23THRUST_200600_302600_NS6detail15normal_iteratorINS8_10device_ptrIjEEEEPjj11plus_mod_10IjEEE10hipError_tPvRmT1_T2_T3_mT4_P12ihipStream_tbEUlT_E0_NS1_11comp_targetILNS1_3genE4ELNS1_11target_archE910ELNS1_3gpuE8ELNS1_3repE0EEENS1_30default_config_static_selectorELNS0_4arch9wavefront6targetE1EEEvSK_
		.amdhsa_group_segment_fixed_size 0
		.amdhsa_private_segment_fixed_size 0
		.amdhsa_kernarg_size 56
		.amdhsa_user_sgpr_count 2
		.amdhsa_user_sgpr_dispatch_ptr 0
		.amdhsa_user_sgpr_queue_ptr 0
		.amdhsa_user_sgpr_kernarg_segment_ptr 1
		.amdhsa_user_sgpr_dispatch_id 0
		.amdhsa_user_sgpr_kernarg_preload_length 0
		.amdhsa_user_sgpr_kernarg_preload_offset 0
		.amdhsa_user_sgpr_private_segment_size 0
		.amdhsa_uses_dynamic_stack 0
		.amdhsa_enable_private_segment 0
		.amdhsa_system_sgpr_workgroup_id_x 1
		.amdhsa_system_sgpr_workgroup_id_y 0
		.amdhsa_system_sgpr_workgroup_id_z 0
		.amdhsa_system_sgpr_workgroup_info 0
		.amdhsa_system_vgpr_workitem_id 0
		.amdhsa_next_free_vgpr 1
		.amdhsa_next_free_sgpr 0
		.amdhsa_accum_offset 4
		.amdhsa_reserve_vcc 0
		.amdhsa_float_round_mode_32 0
		.amdhsa_float_round_mode_16_64 0
		.amdhsa_float_denorm_mode_32 3
		.amdhsa_float_denorm_mode_16_64 3
		.amdhsa_dx10_clamp 1
		.amdhsa_ieee_mode 1
		.amdhsa_fp16_overflow 0
		.amdhsa_tg_split 0
		.amdhsa_exception_fp_ieee_invalid_op 0
		.amdhsa_exception_fp_denorm_src 0
		.amdhsa_exception_fp_ieee_div_zero 0
		.amdhsa_exception_fp_ieee_overflow 0
		.amdhsa_exception_fp_ieee_underflow 0
		.amdhsa_exception_fp_ieee_inexact 0
		.amdhsa_exception_int_div_zero 0
	.end_amdhsa_kernel
	.section	.text._ZN7rocprim17ROCPRIM_400000_NS6detail17trampoline_kernelINS0_14default_configENS1_22reduce_config_selectorIjEEZNS1_11reduce_implILb1ES3_N6thrust23THRUST_200600_302600_NS6detail15normal_iteratorINS8_10device_ptrIjEEEEPjj11plus_mod_10IjEEE10hipError_tPvRmT1_T2_T3_mT4_P12ihipStream_tbEUlT_E0_NS1_11comp_targetILNS1_3genE4ELNS1_11target_archE910ELNS1_3gpuE8ELNS1_3repE0EEENS1_30default_config_static_selectorELNS0_4arch9wavefront6targetE1EEEvSK_,"axG",@progbits,_ZN7rocprim17ROCPRIM_400000_NS6detail17trampoline_kernelINS0_14default_configENS1_22reduce_config_selectorIjEEZNS1_11reduce_implILb1ES3_N6thrust23THRUST_200600_302600_NS6detail15normal_iteratorINS8_10device_ptrIjEEEEPjj11plus_mod_10IjEEE10hipError_tPvRmT1_T2_T3_mT4_P12ihipStream_tbEUlT_E0_NS1_11comp_targetILNS1_3genE4ELNS1_11target_archE910ELNS1_3gpuE8ELNS1_3repE0EEENS1_30default_config_static_selectorELNS0_4arch9wavefront6targetE1EEEvSK_,comdat
.Lfunc_end605:
	.size	_ZN7rocprim17ROCPRIM_400000_NS6detail17trampoline_kernelINS0_14default_configENS1_22reduce_config_selectorIjEEZNS1_11reduce_implILb1ES3_N6thrust23THRUST_200600_302600_NS6detail15normal_iteratorINS8_10device_ptrIjEEEEPjj11plus_mod_10IjEEE10hipError_tPvRmT1_T2_T3_mT4_P12ihipStream_tbEUlT_E0_NS1_11comp_targetILNS1_3genE4ELNS1_11target_archE910ELNS1_3gpuE8ELNS1_3repE0EEENS1_30default_config_static_selectorELNS0_4arch9wavefront6targetE1EEEvSK_, .Lfunc_end605-_ZN7rocprim17ROCPRIM_400000_NS6detail17trampoline_kernelINS0_14default_configENS1_22reduce_config_selectorIjEEZNS1_11reduce_implILb1ES3_N6thrust23THRUST_200600_302600_NS6detail15normal_iteratorINS8_10device_ptrIjEEEEPjj11plus_mod_10IjEEE10hipError_tPvRmT1_T2_T3_mT4_P12ihipStream_tbEUlT_E0_NS1_11comp_targetILNS1_3genE4ELNS1_11target_archE910ELNS1_3gpuE8ELNS1_3repE0EEENS1_30default_config_static_selectorELNS0_4arch9wavefront6targetE1EEEvSK_
                                        ; -- End function
	.set _ZN7rocprim17ROCPRIM_400000_NS6detail17trampoline_kernelINS0_14default_configENS1_22reduce_config_selectorIjEEZNS1_11reduce_implILb1ES3_N6thrust23THRUST_200600_302600_NS6detail15normal_iteratorINS8_10device_ptrIjEEEEPjj11plus_mod_10IjEEE10hipError_tPvRmT1_T2_T3_mT4_P12ihipStream_tbEUlT_E0_NS1_11comp_targetILNS1_3genE4ELNS1_11target_archE910ELNS1_3gpuE8ELNS1_3repE0EEENS1_30default_config_static_selectorELNS0_4arch9wavefront6targetE1EEEvSK_.num_vgpr, 0
	.set _ZN7rocprim17ROCPRIM_400000_NS6detail17trampoline_kernelINS0_14default_configENS1_22reduce_config_selectorIjEEZNS1_11reduce_implILb1ES3_N6thrust23THRUST_200600_302600_NS6detail15normal_iteratorINS8_10device_ptrIjEEEEPjj11plus_mod_10IjEEE10hipError_tPvRmT1_T2_T3_mT4_P12ihipStream_tbEUlT_E0_NS1_11comp_targetILNS1_3genE4ELNS1_11target_archE910ELNS1_3gpuE8ELNS1_3repE0EEENS1_30default_config_static_selectorELNS0_4arch9wavefront6targetE1EEEvSK_.num_agpr, 0
	.set _ZN7rocprim17ROCPRIM_400000_NS6detail17trampoline_kernelINS0_14default_configENS1_22reduce_config_selectorIjEEZNS1_11reduce_implILb1ES3_N6thrust23THRUST_200600_302600_NS6detail15normal_iteratorINS8_10device_ptrIjEEEEPjj11plus_mod_10IjEEE10hipError_tPvRmT1_T2_T3_mT4_P12ihipStream_tbEUlT_E0_NS1_11comp_targetILNS1_3genE4ELNS1_11target_archE910ELNS1_3gpuE8ELNS1_3repE0EEENS1_30default_config_static_selectorELNS0_4arch9wavefront6targetE1EEEvSK_.numbered_sgpr, 0
	.set _ZN7rocprim17ROCPRIM_400000_NS6detail17trampoline_kernelINS0_14default_configENS1_22reduce_config_selectorIjEEZNS1_11reduce_implILb1ES3_N6thrust23THRUST_200600_302600_NS6detail15normal_iteratorINS8_10device_ptrIjEEEEPjj11plus_mod_10IjEEE10hipError_tPvRmT1_T2_T3_mT4_P12ihipStream_tbEUlT_E0_NS1_11comp_targetILNS1_3genE4ELNS1_11target_archE910ELNS1_3gpuE8ELNS1_3repE0EEENS1_30default_config_static_selectorELNS0_4arch9wavefront6targetE1EEEvSK_.num_named_barrier, 0
	.set _ZN7rocprim17ROCPRIM_400000_NS6detail17trampoline_kernelINS0_14default_configENS1_22reduce_config_selectorIjEEZNS1_11reduce_implILb1ES3_N6thrust23THRUST_200600_302600_NS6detail15normal_iteratorINS8_10device_ptrIjEEEEPjj11plus_mod_10IjEEE10hipError_tPvRmT1_T2_T3_mT4_P12ihipStream_tbEUlT_E0_NS1_11comp_targetILNS1_3genE4ELNS1_11target_archE910ELNS1_3gpuE8ELNS1_3repE0EEENS1_30default_config_static_selectorELNS0_4arch9wavefront6targetE1EEEvSK_.private_seg_size, 0
	.set _ZN7rocprim17ROCPRIM_400000_NS6detail17trampoline_kernelINS0_14default_configENS1_22reduce_config_selectorIjEEZNS1_11reduce_implILb1ES3_N6thrust23THRUST_200600_302600_NS6detail15normal_iteratorINS8_10device_ptrIjEEEEPjj11plus_mod_10IjEEE10hipError_tPvRmT1_T2_T3_mT4_P12ihipStream_tbEUlT_E0_NS1_11comp_targetILNS1_3genE4ELNS1_11target_archE910ELNS1_3gpuE8ELNS1_3repE0EEENS1_30default_config_static_selectorELNS0_4arch9wavefront6targetE1EEEvSK_.uses_vcc, 0
	.set _ZN7rocprim17ROCPRIM_400000_NS6detail17trampoline_kernelINS0_14default_configENS1_22reduce_config_selectorIjEEZNS1_11reduce_implILb1ES3_N6thrust23THRUST_200600_302600_NS6detail15normal_iteratorINS8_10device_ptrIjEEEEPjj11plus_mod_10IjEEE10hipError_tPvRmT1_T2_T3_mT4_P12ihipStream_tbEUlT_E0_NS1_11comp_targetILNS1_3genE4ELNS1_11target_archE910ELNS1_3gpuE8ELNS1_3repE0EEENS1_30default_config_static_selectorELNS0_4arch9wavefront6targetE1EEEvSK_.uses_flat_scratch, 0
	.set _ZN7rocprim17ROCPRIM_400000_NS6detail17trampoline_kernelINS0_14default_configENS1_22reduce_config_selectorIjEEZNS1_11reduce_implILb1ES3_N6thrust23THRUST_200600_302600_NS6detail15normal_iteratorINS8_10device_ptrIjEEEEPjj11plus_mod_10IjEEE10hipError_tPvRmT1_T2_T3_mT4_P12ihipStream_tbEUlT_E0_NS1_11comp_targetILNS1_3genE4ELNS1_11target_archE910ELNS1_3gpuE8ELNS1_3repE0EEENS1_30default_config_static_selectorELNS0_4arch9wavefront6targetE1EEEvSK_.has_dyn_sized_stack, 0
	.set _ZN7rocprim17ROCPRIM_400000_NS6detail17trampoline_kernelINS0_14default_configENS1_22reduce_config_selectorIjEEZNS1_11reduce_implILb1ES3_N6thrust23THRUST_200600_302600_NS6detail15normal_iteratorINS8_10device_ptrIjEEEEPjj11plus_mod_10IjEEE10hipError_tPvRmT1_T2_T3_mT4_P12ihipStream_tbEUlT_E0_NS1_11comp_targetILNS1_3genE4ELNS1_11target_archE910ELNS1_3gpuE8ELNS1_3repE0EEENS1_30default_config_static_selectorELNS0_4arch9wavefront6targetE1EEEvSK_.has_recursion, 0
	.set _ZN7rocprim17ROCPRIM_400000_NS6detail17trampoline_kernelINS0_14default_configENS1_22reduce_config_selectorIjEEZNS1_11reduce_implILb1ES3_N6thrust23THRUST_200600_302600_NS6detail15normal_iteratorINS8_10device_ptrIjEEEEPjj11plus_mod_10IjEEE10hipError_tPvRmT1_T2_T3_mT4_P12ihipStream_tbEUlT_E0_NS1_11comp_targetILNS1_3genE4ELNS1_11target_archE910ELNS1_3gpuE8ELNS1_3repE0EEENS1_30default_config_static_selectorELNS0_4arch9wavefront6targetE1EEEvSK_.has_indirect_call, 0
	.section	.AMDGPU.csdata,"",@progbits
; Kernel info:
; codeLenInByte = 0
; TotalNumSgprs: 6
; NumVgprs: 0
; NumAgprs: 0
; TotalNumVgprs: 0
; ScratchSize: 0
; MemoryBound: 0
; FloatMode: 240
; IeeeMode: 1
; LDSByteSize: 0 bytes/workgroup (compile time only)
; SGPRBlocks: 0
; VGPRBlocks: 0
; NumSGPRsForWavesPerEU: 6
; NumVGPRsForWavesPerEU: 1
; AccumOffset: 4
; Occupancy: 8
; WaveLimiterHint : 0
; COMPUTE_PGM_RSRC2:SCRATCH_EN: 0
; COMPUTE_PGM_RSRC2:USER_SGPR: 2
; COMPUTE_PGM_RSRC2:TRAP_HANDLER: 0
; COMPUTE_PGM_RSRC2:TGID_X_EN: 1
; COMPUTE_PGM_RSRC2:TGID_Y_EN: 0
; COMPUTE_PGM_RSRC2:TGID_Z_EN: 0
; COMPUTE_PGM_RSRC2:TIDIG_COMP_CNT: 0
; COMPUTE_PGM_RSRC3_GFX90A:ACCUM_OFFSET: 0
; COMPUTE_PGM_RSRC3_GFX90A:TG_SPLIT: 0
	.section	.text._ZN7rocprim17ROCPRIM_400000_NS6detail17trampoline_kernelINS0_14default_configENS1_22reduce_config_selectorIjEEZNS1_11reduce_implILb1ES3_N6thrust23THRUST_200600_302600_NS6detail15normal_iteratorINS8_10device_ptrIjEEEEPjj11plus_mod_10IjEEE10hipError_tPvRmT1_T2_T3_mT4_P12ihipStream_tbEUlT_E0_NS1_11comp_targetILNS1_3genE3ELNS1_11target_archE908ELNS1_3gpuE7ELNS1_3repE0EEENS1_30default_config_static_selectorELNS0_4arch9wavefront6targetE1EEEvSK_,"axG",@progbits,_ZN7rocprim17ROCPRIM_400000_NS6detail17trampoline_kernelINS0_14default_configENS1_22reduce_config_selectorIjEEZNS1_11reduce_implILb1ES3_N6thrust23THRUST_200600_302600_NS6detail15normal_iteratorINS8_10device_ptrIjEEEEPjj11plus_mod_10IjEEE10hipError_tPvRmT1_T2_T3_mT4_P12ihipStream_tbEUlT_E0_NS1_11comp_targetILNS1_3genE3ELNS1_11target_archE908ELNS1_3gpuE7ELNS1_3repE0EEENS1_30default_config_static_selectorELNS0_4arch9wavefront6targetE1EEEvSK_,comdat
	.protected	_ZN7rocprim17ROCPRIM_400000_NS6detail17trampoline_kernelINS0_14default_configENS1_22reduce_config_selectorIjEEZNS1_11reduce_implILb1ES3_N6thrust23THRUST_200600_302600_NS6detail15normal_iteratorINS8_10device_ptrIjEEEEPjj11plus_mod_10IjEEE10hipError_tPvRmT1_T2_T3_mT4_P12ihipStream_tbEUlT_E0_NS1_11comp_targetILNS1_3genE3ELNS1_11target_archE908ELNS1_3gpuE7ELNS1_3repE0EEENS1_30default_config_static_selectorELNS0_4arch9wavefront6targetE1EEEvSK_ ; -- Begin function _ZN7rocprim17ROCPRIM_400000_NS6detail17trampoline_kernelINS0_14default_configENS1_22reduce_config_selectorIjEEZNS1_11reduce_implILb1ES3_N6thrust23THRUST_200600_302600_NS6detail15normal_iteratorINS8_10device_ptrIjEEEEPjj11plus_mod_10IjEEE10hipError_tPvRmT1_T2_T3_mT4_P12ihipStream_tbEUlT_E0_NS1_11comp_targetILNS1_3genE3ELNS1_11target_archE908ELNS1_3gpuE7ELNS1_3repE0EEENS1_30default_config_static_selectorELNS0_4arch9wavefront6targetE1EEEvSK_
	.globl	_ZN7rocprim17ROCPRIM_400000_NS6detail17trampoline_kernelINS0_14default_configENS1_22reduce_config_selectorIjEEZNS1_11reduce_implILb1ES3_N6thrust23THRUST_200600_302600_NS6detail15normal_iteratorINS8_10device_ptrIjEEEEPjj11plus_mod_10IjEEE10hipError_tPvRmT1_T2_T3_mT4_P12ihipStream_tbEUlT_E0_NS1_11comp_targetILNS1_3genE3ELNS1_11target_archE908ELNS1_3gpuE7ELNS1_3repE0EEENS1_30default_config_static_selectorELNS0_4arch9wavefront6targetE1EEEvSK_
	.p2align	8
	.type	_ZN7rocprim17ROCPRIM_400000_NS6detail17trampoline_kernelINS0_14default_configENS1_22reduce_config_selectorIjEEZNS1_11reduce_implILb1ES3_N6thrust23THRUST_200600_302600_NS6detail15normal_iteratorINS8_10device_ptrIjEEEEPjj11plus_mod_10IjEEE10hipError_tPvRmT1_T2_T3_mT4_P12ihipStream_tbEUlT_E0_NS1_11comp_targetILNS1_3genE3ELNS1_11target_archE908ELNS1_3gpuE7ELNS1_3repE0EEENS1_30default_config_static_selectorELNS0_4arch9wavefront6targetE1EEEvSK_,@function
_ZN7rocprim17ROCPRIM_400000_NS6detail17trampoline_kernelINS0_14default_configENS1_22reduce_config_selectorIjEEZNS1_11reduce_implILb1ES3_N6thrust23THRUST_200600_302600_NS6detail15normal_iteratorINS8_10device_ptrIjEEEEPjj11plus_mod_10IjEEE10hipError_tPvRmT1_T2_T3_mT4_P12ihipStream_tbEUlT_E0_NS1_11comp_targetILNS1_3genE3ELNS1_11target_archE908ELNS1_3gpuE7ELNS1_3repE0EEENS1_30default_config_static_selectorELNS0_4arch9wavefront6targetE1EEEvSK_: ; @_ZN7rocprim17ROCPRIM_400000_NS6detail17trampoline_kernelINS0_14default_configENS1_22reduce_config_selectorIjEEZNS1_11reduce_implILb1ES3_N6thrust23THRUST_200600_302600_NS6detail15normal_iteratorINS8_10device_ptrIjEEEEPjj11plus_mod_10IjEEE10hipError_tPvRmT1_T2_T3_mT4_P12ihipStream_tbEUlT_E0_NS1_11comp_targetILNS1_3genE3ELNS1_11target_archE908ELNS1_3gpuE7ELNS1_3repE0EEENS1_30default_config_static_selectorELNS0_4arch9wavefront6targetE1EEEvSK_
; %bb.0:
	.section	.rodata,"a",@progbits
	.p2align	6, 0x0
	.amdhsa_kernel _ZN7rocprim17ROCPRIM_400000_NS6detail17trampoline_kernelINS0_14default_configENS1_22reduce_config_selectorIjEEZNS1_11reduce_implILb1ES3_N6thrust23THRUST_200600_302600_NS6detail15normal_iteratorINS8_10device_ptrIjEEEEPjj11plus_mod_10IjEEE10hipError_tPvRmT1_T2_T3_mT4_P12ihipStream_tbEUlT_E0_NS1_11comp_targetILNS1_3genE3ELNS1_11target_archE908ELNS1_3gpuE7ELNS1_3repE0EEENS1_30default_config_static_selectorELNS0_4arch9wavefront6targetE1EEEvSK_
		.amdhsa_group_segment_fixed_size 0
		.amdhsa_private_segment_fixed_size 0
		.amdhsa_kernarg_size 56
		.amdhsa_user_sgpr_count 2
		.amdhsa_user_sgpr_dispatch_ptr 0
		.amdhsa_user_sgpr_queue_ptr 0
		.amdhsa_user_sgpr_kernarg_segment_ptr 1
		.amdhsa_user_sgpr_dispatch_id 0
		.amdhsa_user_sgpr_kernarg_preload_length 0
		.amdhsa_user_sgpr_kernarg_preload_offset 0
		.amdhsa_user_sgpr_private_segment_size 0
		.amdhsa_uses_dynamic_stack 0
		.amdhsa_enable_private_segment 0
		.amdhsa_system_sgpr_workgroup_id_x 1
		.amdhsa_system_sgpr_workgroup_id_y 0
		.amdhsa_system_sgpr_workgroup_id_z 0
		.amdhsa_system_sgpr_workgroup_info 0
		.amdhsa_system_vgpr_workitem_id 0
		.amdhsa_next_free_vgpr 1
		.amdhsa_next_free_sgpr 0
		.amdhsa_accum_offset 4
		.amdhsa_reserve_vcc 0
		.amdhsa_float_round_mode_32 0
		.amdhsa_float_round_mode_16_64 0
		.amdhsa_float_denorm_mode_32 3
		.amdhsa_float_denorm_mode_16_64 3
		.amdhsa_dx10_clamp 1
		.amdhsa_ieee_mode 1
		.amdhsa_fp16_overflow 0
		.amdhsa_tg_split 0
		.amdhsa_exception_fp_ieee_invalid_op 0
		.amdhsa_exception_fp_denorm_src 0
		.amdhsa_exception_fp_ieee_div_zero 0
		.amdhsa_exception_fp_ieee_overflow 0
		.amdhsa_exception_fp_ieee_underflow 0
		.amdhsa_exception_fp_ieee_inexact 0
		.amdhsa_exception_int_div_zero 0
	.end_amdhsa_kernel
	.section	.text._ZN7rocprim17ROCPRIM_400000_NS6detail17trampoline_kernelINS0_14default_configENS1_22reduce_config_selectorIjEEZNS1_11reduce_implILb1ES3_N6thrust23THRUST_200600_302600_NS6detail15normal_iteratorINS8_10device_ptrIjEEEEPjj11plus_mod_10IjEEE10hipError_tPvRmT1_T2_T3_mT4_P12ihipStream_tbEUlT_E0_NS1_11comp_targetILNS1_3genE3ELNS1_11target_archE908ELNS1_3gpuE7ELNS1_3repE0EEENS1_30default_config_static_selectorELNS0_4arch9wavefront6targetE1EEEvSK_,"axG",@progbits,_ZN7rocprim17ROCPRIM_400000_NS6detail17trampoline_kernelINS0_14default_configENS1_22reduce_config_selectorIjEEZNS1_11reduce_implILb1ES3_N6thrust23THRUST_200600_302600_NS6detail15normal_iteratorINS8_10device_ptrIjEEEEPjj11plus_mod_10IjEEE10hipError_tPvRmT1_T2_T3_mT4_P12ihipStream_tbEUlT_E0_NS1_11comp_targetILNS1_3genE3ELNS1_11target_archE908ELNS1_3gpuE7ELNS1_3repE0EEENS1_30default_config_static_selectorELNS0_4arch9wavefront6targetE1EEEvSK_,comdat
.Lfunc_end606:
	.size	_ZN7rocprim17ROCPRIM_400000_NS6detail17trampoline_kernelINS0_14default_configENS1_22reduce_config_selectorIjEEZNS1_11reduce_implILb1ES3_N6thrust23THRUST_200600_302600_NS6detail15normal_iteratorINS8_10device_ptrIjEEEEPjj11plus_mod_10IjEEE10hipError_tPvRmT1_T2_T3_mT4_P12ihipStream_tbEUlT_E0_NS1_11comp_targetILNS1_3genE3ELNS1_11target_archE908ELNS1_3gpuE7ELNS1_3repE0EEENS1_30default_config_static_selectorELNS0_4arch9wavefront6targetE1EEEvSK_, .Lfunc_end606-_ZN7rocprim17ROCPRIM_400000_NS6detail17trampoline_kernelINS0_14default_configENS1_22reduce_config_selectorIjEEZNS1_11reduce_implILb1ES3_N6thrust23THRUST_200600_302600_NS6detail15normal_iteratorINS8_10device_ptrIjEEEEPjj11plus_mod_10IjEEE10hipError_tPvRmT1_T2_T3_mT4_P12ihipStream_tbEUlT_E0_NS1_11comp_targetILNS1_3genE3ELNS1_11target_archE908ELNS1_3gpuE7ELNS1_3repE0EEENS1_30default_config_static_selectorELNS0_4arch9wavefront6targetE1EEEvSK_
                                        ; -- End function
	.set _ZN7rocprim17ROCPRIM_400000_NS6detail17trampoline_kernelINS0_14default_configENS1_22reduce_config_selectorIjEEZNS1_11reduce_implILb1ES3_N6thrust23THRUST_200600_302600_NS6detail15normal_iteratorINS8_10device_ptrIjEEEEPjj11plus_mod_10IjEEE10hipError_tPvRmT1_T2_T3_mT4_P12ihipStream_tbEUlT_E0_NS1_11comp_targetILNS1_3genE3ELNS1_11target_archE908ELNS1_3gpuE7ELNS1_3repE0EEENS1_30default_config_static_selectorELNS0_4arch9wavefront6targetE1EEEvSK_.num_vgpr, 0
	.set _ZN7rocprim17ROCPRIM_400000_NS6detail17trampoline_kernelINS0_14default_configENS1_22reduce_config_selectorIjEEZNS1_11reduce_implILb1ES3_N6thrust23THRUST_200600_302600_NS6detail15normal_iteratorINS8_10device_ptrIjEEEEPjj11plus_mod_10IjEEE10hipError_tPvRmT1_T2_T3_mT4_P12ihipStream_tbEUlT_E0_NS1_11comp_targetILNS1_3genE3ELNS1_11target_archE908ELNS1_3gpuE7ELNS1_3repE0EEENS1_30default_config_static_selectorELNS0_4arch9wavefront6targetE1EEEvSK_.num_agpr, 0
	.set _ZN7rocprim17ROCPRIM_400000_NS6detail17trampoline_kernelINS0_14default_configENS1_22reduce_config_selectorIjEEZNS1_11reduce_implILb1ES3_N6thrust23THRUST_200600_302600_NS6detail15normal_iteratorINS8_10device_ptrIjEEEEPjj11plus_mod_10IjEEE10hipError_tPvRmT1_T2_T3_mT4_P12ihipStream_tbEUlT_E0_NS1_11comp_targetILNS1_3genE3ELNS1_11target_archE908ELNS1_3gpuE7ELNS1_3repE0EEENS1_30default_config_static_selectorELNS0_4arch9wavefront6targetE1EEEvSK_.numbered_sgpr, 0
	.set _ZN7rocprim17ROCPRIM_400000_NS6detail17trampoline_kernelINS0_14default_configENS1_22reduce_config_selectorIjEEZNS1_11reduce_implILb1ES3_N6thrust23THRUST_200600_302600_NS6detail15normal_iteratorINS8_10device_ptrIjEEEEPjj11plus_mod_10IjEEE10hipError_tPvRmT1_T2_T3_mT4_P12ihipStream_tbEUlT_E0_NS1_11comp_targetILNS1_3genE3ELNS1_11target_archE908ELNS1_3gpuE7ELNS1_3repE0EEENS1_30default_config_static_selectorELNS0_4arch9wavefront6targetE1EEEvSK_.num_named_barrier, 0
	.set _ZN7rocprim17ROCPRIM_400000_NS6detail17trampoline_kernelINS0_14default_configENS1_22reduce_config_selectorIjEEZNS1_11reduce_implILb1ES3_N6thrust23THRUST_200600_302600_NS6detail15normal_iteratorINS8_10device_ptrIjEEEEPjj11plus_mod_10IjEEE10hipError_tPvRmT1_T2_T3_mT4_P12ihipStream_tbEUlT_E0_NS1_11comp_targetILNS1_3genE3ELNS1_11target_archE908ELNS1_3gpuE7ELNS1_3repE0EEENS1_30default_config_static_selectorELNS0_4arch9wavefront6targetE1EEEvSK_.private_seg_size, 0
	.set _ZN7rocprim17ROCPRIM_400000_NS6detail17trampoline_kernelINS0_14default_configENS1_22reduce_config_selectorIjEEZNS1_11reduce_implILb1ES3_N6thrust23THRUST_200600_302600_NS6detail15normal_iteratorINS8_10device_ptrIjEEEEPjj11plus_mod_10IjEEE10hipError_tPvRmT1_T2_T3_mT4_P12ihipStream_tbEUlT_E0_NS1_11comp_targetILNS1_3genE3ELNS1_11target_archE908ELNS1_3gpuE7ELNS1_3repE0EEENS1_30default_config_static_selectorELNS0_4arch9wavefront6targetE1EEEvSK_.uses_vcc, 0
	.set _ZN7rocprim17ROCPRIM_400000_NS6detail17trampoline_kernelINS0_14default_configENS1_22reduce_config_selectorIjEEZNS1_11reduce_implILb1ES3_N6thrust23THRUST_200600_302600_NS6detail15normal_iteratorINS8_10device_ptrIjEEEEPjj11plus_mod_10IjEEE10hipError_tPvRmT1_T2_T3_mT4_P12ihipStream_tbEUlT_E0_NS1_11comp_targetILNS1_3genE3ELNS1_11target_archE908ELNS1_3gpuE7ELNS1_3repE0EEENS1_30default_config_static_selectorELNS0_4arch9wavefront6targetE1EEEvSK_.uses_flat_scratch, 0
	.set _ZN7rocprim17ROCPRIM_400000_NS6detail17trampoline_kernelINS0_14default_configENS1_22reduce_config_selectorIjEEZNS1_11reduce_implILb1ES3_N6thrust23THRUST_200600_302600_NS6detail15normal_iteratorINS8_10device_ptrIjEEEEPjj11plus_mod_10IjEEE10hipError_tPvRmT1_T2_T3_mT4_P12ihipStream_tbEUlT_E0_NS1_11comp_targetILNS1_3genE3ELNS1_11target_archE908ELNS1_3gpuE7ELNS1_3repE0EEENS1_30default_config_static_selectorELNS0_4arch9wavefront6targetE1EEEvSK_.has_dyn_sized_stack, 0
	.set _ZN7rocprim17ROCPRIM_400000_NS6detail17trampoline_kernelINS0_14default_configENS1_22reduce_config_selectorIjEEZNS1_11reduce_implILb1ES3_N6thrust23THRUST_200600_302600_NS6detail15normal_iteratorINS8_10device_ptrIjEEEEPjj11plus_mod_10IjEEE10hipError_tPvRmT1_T2_T3_mT4_P12ihipStream_tbEUlT_E0_NS1_11comp_targetILNS1_3genE3ELNS1_11target_archE908ELNS1_3gpuE7ELNS1_3repE0EEENS1_30default_config_static_selectorELNS0_4arch9wavefront6targetE1EEEvSK_.has_recursion, 0
	.set _ZN7rocprim17ROCPRIM_400000_NS6detail17trampoline_kernelINS0_14default_configENS1_22reduce_config_selectorIjEEZNS1_11reduce_implILb1ES3_N6thrust23THRUST_200600_302600_NS6detail15normal_iteratorINS8_10device_ptrIjEEEEPjj11plus_mod_10IjEEE10hipError_tPvRmT1_T2_T3_mT4_P12ihipStream_tbEUlT_E0_NS1_11comp_targetILNS1_3genE3ELNS1_11target_archE908ELNS1_3gpuE7ELNS1_3repE0EEENS1_30default_config_static_selectorELNS0_4arch9wavefront6targetE1EEEvSK_.has_indirect_call, 0
	.section	.AMDGPU.csdata,"",@progbits
; Kernel info:
; codeLenInByte = 0
; TotalNumSgprs: 6
; NumVgprs: 0
; NumAgprs: 0
; TotalNumVgprs: 0
; ScratchSize: 0
; MemoryBound: 0
; FloatMode: 240
; IeeeMode: 1
; LDSByteSize: 0 bytes/workgroup (compile time only)
; SGPRBlocks: 0
; VGPRBlocks: 0
; NumSGPRsForWavesPerEU: 6
; NumVGPRsForWavesPerEU: 1
; AccumOffset: 4
; Occupancy: 8
; WaveLimiterHint : 0
; COMPUTE_PGM_RSRC2:SCRATCH_EN: 0
; COMPUTE_PGM_RSRC2:USER_SGPR: 2
; COMPUTE_PGM_RSRC2:TRAP_HANDLER: 0
; COMPUTE_PGM_RSRC2:TGID_X_EN: 1
; COMPUTE_PGM_RSRC2:TGID_Y_EN: 0
; COMPUTE_PGM_RSRC2:TGID_Z_EN: 0
; COMPUTE_PGM_RSRC2:TIDIG_COMP_CNT: 0
; COMPUTE_PGM_RSRC3_GFX90A:ACCUM_OFFSET: 0
; COMPUTE_PGM_RSRC3_GFX90A:TG_SPLIT: 0
	.section	.text._ZN7rocprim17ROCPRIM_400000_NS6detail17trampoline_kernelINS0_14default_configENS1_22reduce_config_selectorIjEEZNS1_11reduce_implILb1ES3_N6thrust23THRUST_200600_302600_NS6detail15normal_iteratorINS8_10device_ptrIjEEEEPjj11plus_mod_10IjEEE10hipError_tPvRmT1_T2_T3_mT4_P12ihipStream_tbEUlT_E0_NS1_11comp_targetILNS1_3genE2ELNS1_11target_archE906ELNS1_3gpuE6ELNS1_3repE0EEENS1_30default_config_static_selectorELNS0_4arch9wavefront6targetE1EEEvSK_,"axG",@progbits,_ZN7rocprim17ROCPRIM_400000_NS6detail17trampoline_kernelINS0_14default_configENS1_22reduce_config_selectorIjEEZNS1_11reduce_implILb1ES3_N6thrust23THRUST_200600_302600_NS6detail15normal_iteratorINS8_10device_ptrIjEEEEPjj11plus_mod_10IjEEE10hipError_tPvRmT1_T2_T3_mT4_P12ihipStream_tbEUlT_E0_NS1_11comp_targetILNS1_3genE2ELNS1_11target_archE906ELNS1_3gpuE6ELNS1_3repE0EEENS1_30default_config_static_selectorELNS0_4arch9wavefront6targetE1EEEvSK_,comdat
	.protected	_ZN7rocprim17ROCPRIM_400000_NS6detail17trampoline_kernelINS0_14default_configENS1_22reduce_config_selectorIjEEZNS1_11reduce_implILb1ES3_N6thrust23THRUST_200600_302600_NS6detail15normal_iteratorINS8_10device_ptrIjEEEEPjj11plus_mod_10IjEEE10hipError_tPvRmT1_T2_T3_mT4_P12ihipStream_tbEUlT_E0_NS1_11comp_targetILNS1_3genE2ELNS1_11target_archE906ELNS1_3gpuE6ELNS1_3repE0EEENS1_30default_config_static_selectorELNS0_4arch9wavefront6targetE1EEEvSK_ ; -- Begin function _ZN7rocprim17ROCPRIM_400000_NS6detail17trampoline_kernelINS0_14default_configENS1_22reduce_config_selectorIjEEZNS1_11reduce_implILb1ES3_N6thrust23THRUST_200600_302600_NS6detail15normal_iteratorINS8_10device_ptrIjEEEEPjj11plus_mod_10IjEEE10hipError_tPvRmT1_T2_T3_mT4_P12ihipStream_tbEUlT_E0_NS1_11comp_targetILNS1_3genE2ELNS1_11target_archE906ELNS1_3gpuE6ELNS1_3repE0EEENS1_30default_config_static_selectorELNS0_4arch9wavefront6targetE1EEEvSK_
	.globl	_ZN7rocprim17ROCPRIM_400000_NS6detail17trampoline_kernelINS0_14default_configENS1_22reduce_config_selectorIjEEZNS1_11reduce_implILb1ES3_N6thrust23THRUST_200600_302600_NS6detail15normal_iteratorINS8_10device_ptrIjEEEEPjj11plus_mod_10IjEEE10hipError_tPvRmT1_T2_T3_mT4_P12ihipStream_tbEUlT_E0_NS1_11comp_targetILNS1_3genE2ELNS1_11target_archE906ELNS1_3gpuE6ELNS1_3repE0EEENS1_30default_config_static_selectorELNS0_4arch9wavefront6targetE1EEEvSK_
	.p2align	8
	.type	_ZN7rocprim17ROCPRIM_400000_NS6detail17trampoline_kernelINS0_14default_configENS1_22reduce_config_selectorIjEEZNS1_11reduce_implILb1ES3_N6thrust23THRUST_200600_302600_NS6detail15normal_iteratorINS8_10device_ptrIjEEEEPjj11plus_mod_10IjEEE10hipError_tPvRmT1_T2_T3_mT4_P12ihipStream_tbEUlT_E0_NS1_11comp_targetILNS1_3genE2ELNS1_11target_archE906ELNS1_3gpuE6ELNS1_3repE0EEENS1_30default_config_static_selectorELNS0_4arch9wavefront6targetE1EEEvSK_,@function
_ZN7rocprim17ROCPRIM_400000_NS6detail17trampoline_kernelINS0_14default_configENS1_22reduce_config_selectorIjEEZNS1_11reduce_implILb1ES3_N6thrust23THRUST_200600_302600_NS6detail15normal_iteratorINS8_10device_ptrIjEEEEPjj11plus_mod_10IjEEE10hipError_tPvRmT1_T2_T3_mT4_P12ihipStream_tbEUlT_E0_NS1_11comp_targetILNS1_3genE2ELNS1_11target_archE906ELNS1_3gpuE6ELNS1_3repE0EEENS1_30default_config_static_selectorELNS0_4arch9wavefront6targetE1EEEvSK_: ; @_ZN7rocprim17ROCPRIM_400000_NS6detail17trampoline_kernelINS0_14default_configENS1_22reduce_config_selectorIjEEZNS1_11reduce_implILb1ES3_N6thrust23THRUST_200600_302600_NS6detail15normal_iteratorINS8_10device_ptrIjEEEEPjj11plus_mod_10IjEEE10hipError_tPvRmT1_T2_T3_mT4_P12ihipStream_tbEUlT_E0_NS1_11comp_targetILNS1_3genE2ELNS1_11target_archE906ELNS1_3gpuE6ELNS1_3repE0EEENS1_30default_config_static_selectorELNS0_4arch9wavefront6targetE1EEEvSK_
; %bb.0:
	.section	.rodata,"a",@progbits
	.p2align	6, 0x0
	.amdhsa_kernel _ZN7rocprim17ROCPRIM_400000_NS6detail17trampoline_kernelINS0_14default_configENS1_22reduce_config_selectorIjEEZNS1_11reduce_implILb1ES3_N6thrust23THRUST_200600_302600_NS6detail15normal_iteratorINS8_10device_ptrIjEEEEPjj11plus_mod_10IjEEE10hipError_tPvRmT1_T2_T3_mT4_P12ihipStream_tbEUlT_E0_NS1_11comp_targetILNS1_3genE2ELNS1_11target_archE906ELNS1_3gpuE6ELNS1_3repE0EEENS1_30default_config_static_selectorELNS0_4arch9wavefront6targetE1EEEvSK_
		.amdhsa_group_segment_fixed_size 0
		.amdhsa_private_segment_fixed_size 0
		.amdhsa_kernarg_size 56
		.amdhsa_user_sgpr_count 2
		.amdhsa_user_sgpr_dispatch_ptr 0
		.amdhsa_user_sgpr_queue_ptr 0
		.amdhsa_user_sgpr_kernarg_segment_ptr 1
		.amdhsa_user_sgpr_dispatch_id 0
		.amdhsa_user_sgpr_kernarg_preload_length 0
		.amdhsa_user_sgpr_kernarg_preload_offset 0
		.amdhsa_user_sgpr_private_segment_size 0
		.amdhsa_uses_dynamic_stack 0
		.amdhsa_enable_private_segment 0
		.amdhsa_system_sgpr_workgroup_id_x 1
		.amdhsa_system_sgpr_workgroup_id_y 0
		.amdhsa_system_sgpr_workgroup_id_z 0
		.amdhsa_system_sgpr_workgroup_info 0
		.amdhsa_system_vgpr_workitem_id 0
		.amdhsa_next_free_vgpr 1
		.amdhsa_next_free_sgpr 0
		.amdhsa_accum_offset 4
		.amdhsa_reserve_vcc 0
		.amdhsa_float_round_mode_32 0
		.amdhsa_float_round_mode_16_64 0
		.amdhsa_float_denorm_mode_32 3
		.amdhsa_float_denorm_mode_16_64 3
		.amdhsa_dx10_clamp 1
		.amdhsa_ieee_mode 1
		.amdhsa_fp16_overflow 0
		.amdhsa_tg_split 0
		.amdhsa_exception_fp_ieee_invalid_op 0
		.amdhsa_exception_fp_denorm_src 0
		.amdhsa_exception_fp_ieee_div_zero 0
		.amdhsa_exception_fp_ieee_overflow 0
		.amdhsa_exception_fp_ieee_underflow 0
		.amdhsa_exception_fp_ieee_inexact 0
		.amdhsa_exception_int_div_zero 0
	.end_amdhsa_kernel
	.section	.text._ZN7rocprim17ROCPRIM_400000_NS6detail17trampoline_kernelINS0_14default_configENS1_22reduce_config_selectorIjEEZNS1_11reduce_implILb1ES3_N6thrust23THRUST_200600_302600_NS6detail15normal_iteratorINS8_10device_ptrIjEEEEPjj11plus_mod_10IjEEE10hipError_tPvRmT1_T2_T3_mT4_P12ihipStream_tbEUlT_E0_NS1_11comp_targetILNS1_3genE2ELNS1_11target_archE906ELNS1_3gpuE6ELNS1_3repE0EEENS1_30default_config_static_selectorELNS0_4arch9wavefront6targetE1EEEvSK_,"axG",@progbits,_ZN7rocprim17ROCPRIM_400000_NS6detail17trampoline_kernelINS0_14default_configENS1_22reduce_config_selectorIjEEZNS1_11reduce_implILb1ES3_N6thrust23THRUST_200600_302600_NS6detail15normal_iteratorINS8_10device_ptrIjEEEEPjj11plus_mod_10IjEEE10hipError_tPvRmT1_T2_T3_mT4_P12ihipStream_tbEUlT_E0_NS1_11comp_targetILNS1_3genE2ELNS1_11target_archE906ELNS1_3gpuE6ELNS1_3repE0EEENS1_30default_config_static_selectorELNS0_4arch9wavefront6targetE1EEEvSK_,comdat
.Lfunc_end607:
	.size	_ZN7rocprim17ROCPRIM_400000_NS6detail17trampoline_kernelINS0_14default_configENS1_22reduce_config_selectorIjEEZNS1_11reduce_implILb1ES3_N6thrust23THRUST_200600_302600_NS6detail15normal_iteratorINS8_10device_ptrIjEEEEPjj11plus_mod_10IjEEE10hipError_tPvRmT1_T2_T3_mT4_P12ihipStream_tbEUlT_E0_NS1_11comp_targetILNS1_3genE2ELNS1_11target_archE906ELNS1_3gpuE6ELNS1_3repE0EEENS1_30default_config_static_selectorELNS0_4arch9wavefront6targetE1EEEvSK_, .Lfunc_end607-_ZN7rocprim17ROCPRIM_400000_NS6detail17trampoline_kernelINS0_14default_configENS1_22reduce_config_selectorIjEEZNS1_11reduce_implILb1ES3_N6thrust23THRUST_200600_302600_NS6detail15normal_iteratorINS8_10device_ptrIjEEEEPjj11plus_mod_10IjEEE10hipError_tPvRmT1_T2_T3_mT4_P12ihipStream_tbEUlT_E0_NS1_11comp_targetILNS1_3genE2ELNS1_11target_archE906ELNS1_3gpuE6ELNS1_3repE0EEENS1_30default_config_static_selectorELNS0_4arch9wavefront6targetE1EEEvSK_
                                        ; -- End function
	.set _ZN7rocprim17ROCPRIM_400000_NS6detail17trampoline_kernelINS0_14default_configENS1_22reduce_config_selectorIjEEZNS1_11reduce_implILb1ES3_N6thrust23THRUST_200600_302600_NS6detail15normal_iteratorINS8_10device_ptrIjEEEEPjj11plus_mod_10IjEEE10hipError_tPvRmT1_T2_T3_mT4_P12ihipStream_tbEUlT_E0_NS1_11comp_targetILNS1_3genE2ELNS1_11target_archE906ELNS1_3gpuE6ELNS1_3repE0EEENS1_30default_config_static_selectorELNS0_4arch9wavefront6targetE1EEEvSK_.num_vgpr, 0
	.set _ZN7rocprim17ROCPRIM_400000_NS6detail17trampoline_kernelINS0_14default_configENS1_22reduce_config_selectorIjEEZNS1_11reduce_implILb1ES3_N6thrust23THRUST_200600_302600_NS6detail15normal_iteratorINS8_10device_ptrIjEEEEPjj11plus_mod_10IjEEE10hipError_tPvRmT1_T2_T3_mT4_P12ihipStream_tbEUlT_E0_NS1_11comp_targetILNS1_3genE2ELNS1_11target_archE906ELNS1_3gpuE6ELNS1_3repE0EEENS1_30default_config_static_selectorELNS0_4arch9wavefront6targetE1EEEvSK_.num_agpr, 0
	.set _ZN7rocprim17ROCPRIM_400000_NS6detail17trampoline_kernelINS0_14default_configENS1_22reduce_config_selectorIjEEZNS1_11reduce_implILb1ES3_N6thrust23THRUST_200600_302600_NS6detail15normal_iteratorINS8_10device_ptrIjEEEEPjj11plus_mod_10IjEEE10hipError_tPvRmT1_T2_T3_mT4_P12ihipStream_tbEUlT_E0_NS1_11comp_targetILNS1_3genE2ELNS1_11target_archE906ELNS1_3gpuE6ELNS1_3repE0EEENS1_30default_config_static_selectorELNS0_4arch9wavefront6targetE1EEEvSK_.numbered_sgpr, 0
	.set _ZN7rocprim17ROCPRIM_400000_NS6detail17trampoline_kernelINS0_14default_configENS1_22reduce_config_selectorIjEEZNS1_11reduce_implILb1ES3_N6thrust23THRUST_200600_302600_NS6detail15normal_iteratorINS8_10device_ptrIjEEEEPjj11plus_mod_10IjEEE10hipError_tPvRmT1_T2_T3_mT4_P12ihipStream_tbEUlT_E0_NS1_11comp_targetILNS1_3genE2ELNS1_11target_archE906ELNS1_3gpuE6ELNS1_3repE0EEENS1_30default_config_static_selectorELNS0_4arch9wavefront6targetE1EEEvSK_.num_named_barrier, 0
	.set _ZN7rocprim17ROCPRIM_400000_NS6detail17trampoline_kernelINS0_14default_configENS1_22reduce_config_selectorIjEEZNS1_11reduce_implILb1ES3_N6thrust23THRUST_200600_302600_NS6detail15normal_iteratorINS8_10device_ptrIjEEEEPjj11plus_mod_10IjEEE10hipError_tPvRmT1_T2_T3_mT4_P12ihipStream_tbEUlT_E0_NS1_11comp_targetILNS1_3genE2ELNS1_11target_archE906ELNS1_3gpuE6ELNS1_3repE0EEENS1_30default_config_static_selectorELNS0_4arch9wavefront6targetE1EEEvSK_.private_seg_size, 0
	.set _ZN7rocprim17ROCPRIM_400000_NS6detail17trampoline_kernelINS0_14default_configENS1_22reduce_config_selectorIjEEZNS1_11reduce_implILb1ES3_N6thrust23THRUST_200600_302600_NS6detail15normal_iteratorINS8_10device_ptrIjEEEEPjj11plus_mod_10IjEEE10hipError_tPvRmT1_T2_T3_mT4_P12ihipStream_tbEUlT_E0_NS1_11comp_targetILNS1_3genE2ELNS1_11target_archE906ELNS1_3gpuE6ELNS1_3repE0EEENS1_30default_config_static_selectorELNS0_4arch9wavefront6targetE1EEEvSK_.uses_vcc, 0
	.set _ZN7rocprim17ROCPRIM_400000_NS6detail17trampoline_kernelINS0_14default_configENS1_22reduce_config_selectorIjEEZNS1_11reduce_implILb1ES3_N6thrust23THRUST_200600_302600_NS6detail15normal_iteratorINS8_10device_ptrIjEEEEPjj11plus_mod_10IjEEE10hipError_tPvRmT1_T2_T3_mT4_P12ihipStream_tbEUlT_E0_NS1_11comp_targetILNS1_3genE2ELNS1_11target_archE906ELNS1_3gpuE6ELNS1_3repE0EEENS1_30default_config_static_selectorELNS0_4arch9wavefront6targetE1EEEvSK_.uses_flat_scratch, 0
	.set _ZN7rocprim17ROCPRIM_400000_NS6detail17trampoline_kernelINS0_14default_configENS1_22reduce_config_selectorIjEEZNS1_11reduce_implILb1ES3_N6thrust23THRUST_200600_302600_NS6detail15normal_iteratorINS8_10device_ptrIjEEEEPjj11plus_mod_10IjEEE10hipError_tPvRmT1_T2_T3_mT4_P12ihipStream_tbEUlT_E0_NS1_11comp_targetILNS1_3genE2ELNS1_11target_archE906ELNS1_3gpuE6ELNS1_3repE0EEENS1_30default_config_static_selectorELNS0_4arch9wavefront6targetE1EEEvSK_.has_dyn_sized_stack, 0
	.set _ZN7rocprim17ROCPRIM_400000_NS6detail17trampoline_kernelINS0_14default_configENS1_22reduce_config_selectorIjEEZNS1_11reduce_implILb1ES3_N6thrust23THRUST_200600_302600_NS6detail15normal_iteratorINS8_10device_ptrIjEEEEPjj11plus_mod_10IjEEE10hipError_tPvRmT1_T2_T3_mT4_P12ihipStream_tbEUlT_E0_NS1_11comp_targetILNS1_3genE2ELNS1_11target_archE906ELNS1_3gpuE6ELNS1_3repE0EEENS1_30default_config_static_selectorELNS0_4arch9wavefront6targetE1EEEvSK_.has_recursion, 0
	.set _ZN7rocprim17ROCPRIM_400000_NS6detail17trampoline_kernelINS0_14default_configENS1_22reduce_config_selectorIjEEZNS1_11reduce_implILb1ES3_N6thrust23THRUST_200600_302600_NS6detail15normal_iteratorINS8_10device_ptrIjEEEEPjj11plus_mod_10IjEEE10hipError_tPvRmT1_T2_T3_mT4_P12ihipStream_tbEUlT_E0_NS1_11comp_targetILNS1_3genE2ELNS1_11target_archE906ELNS1_3gpuE6ELNS1_3repE0EEENS1_30default_config_static_selectorELNS0_4arch9wavefront6targetE1EEEvSK_.has_indirect_call, 0
	.section	.AMDGPU.csdata,"",@progbits
; Kernel info:
; codeLenInByte = 0
; TotalNumSgprs: 6
; NumVgprs: 0
; NumAgprs: 0
; TotalNumVgprs: 0
; ScratchSize: 0
; MemoryBound: 0
; FloatMode: 240
; IeeeMode: 1
; LDSByteSize: 0 bytes/workgroup (compile time only)
; SGPRBlocks: 0
; VGPRBlocks: 0
; NumSGPRsForWavesPerEU: 6
; NumVGPRsForWavesPerEU: 1
; AccumOffset: 4
; Occupancy: 8
; WaveLimiterHint : 0
; COMPUTE_PGM_RSRC2:SCRATCH_EN: 0
; COMPUTE_PGM_RSRC2:USER_SGPR: 2
; COMPUTE_PGM_RSRC2:TRAP_HANDLER: 0
; COMPUTE_PGM_RSRC2:TGID_X_EN: 1
; COMPUTE_PGM_RSRC2:TGID_Y_EN: 0
; COMPUTE_PGM_RSRC2:TGID_Z_EN: 0
; COMPUTE_PGM_RSRC2:TIDIG_COMP_CNT: 0
; COMPUTE_PGM_RSRC3_GFX90A:ACCUM_OFFSET: 0
; COMPUTE_PGM_RSRC3_GFX90A:TG_SPLIT: 0
	.section	.text._ZN7rocprim17ROCPRIM_400000_NS6detail17trampoline_kernelINS0_14default_configENS1_22reduce_config_selectorIjEEZNS1_11reduce_implILb1ES3_N6thrust23THRUST_200600_302600_NS6detail15normal_iteratorINS8_10device_ptrIjEEEEPjj11plus_mod_10IjEEE10hipError_tPvRmT1_T2_T3_mT4_P12ihipStream_tbEUlT_E0_NS1_11comp_targetILNS1_3genE10ELNS1_11target_archE1201ELNS1_3gpuE5ELNS1_3repE0EEENS1_30default_config_static_selectorELNS0_4arch9wavefront6targetE1EEEvSK_,"axG",@progbits,_ZN7rocprim17ROCPRIM_400000_NS6detail17trampoline_kernelINS0_14default_configENS1_22reduce_config_selectorIjEEZNS1_11reduce_implILb1ES3_N6thrust23THRUST_200600_302600_NS6detail15normal_iteratorINS8_10device_ptrIjEEEEPjj11plus_mod_10IjEEE10hipError_tPvRmT1_T2_T3_mT4_P12ihipStream_tbEUlT_E0_NS1_11comp_targetILNS1_3genE10ELNS1_11target_archE1201ELNS1_3gpuE5ELNS1_3repE0EEENS1_30default_config_static_selectorELNS0_4arch9wavefront6targetE1EEEvSK_,comdat
	.protected	_ZN7rocprim17ROCPRIM_400000_NS6detail17trampoline_kernelINS0_14default_configENS1_22reduce_config_selectorIjEEZNS1_11reduce_implILb1ES3_N6thrust23THRUST_200600_302600_NS6detail15normal_iteratorINS8_10device_ptrIjEEEEPjj11plus_mod_10IjEEE10hipError_tPvRmT1_T2_T3_mT4_P12ihipStream_tbEUlT_E0_NS1_11comp_targetILNS1_3genE10ELNS1_11target_archE1201ELNS1_3gpuE5ELNS1_3repE0EEENS1_30default_config_static_selectorELNS0_4arch9wavefront6targetE1EEEvSK_ ; -- Begin function _ZN7rocprim17ROCPRIM_400000_NS6detail17trampoline_kernelINS0_14default_configENS1_22reduce_config_selectorIjEEZNS1_11reduce_implILb1ES3_N6thrust23THRUST_200600_302600_NS6detail15normal_iteratorINS8_10device_ptrIjEEEEPjj11plus_mod_10IjEEE10hipError_tPvRmT1_T2_T3_mT4_P12ihipStream_tbEUlT_E0_NS1_11comp_targetILNS1_3genE10ELNS1_11target_archE1201ELNS1_3gpuE5ELNS1_3repE0EEENS1_30default_config_static_selectorELNS0_4arch9wavefront6targetE1EEEvSK_
	.globl	_ZN7rocprim17ROCPRIM_400000_NS6detail17trampoline_kernelINS0_14default_configENS1_22reduce_config_selectorIjEEZNS1_11reduce_implILb1ES3_N6thrust23THRUST_200600_302600_NS6detail15normal_iteratorINS8_10device_ptrIjEEEEPjj11plus_mod_10IjEEE10hipError_tPvRmT1_T2_T3_mT4_P12ihipStream_tbEUlT_E0_NS1_11comp_targetILNS1_3genE10ELNS1_11target_archE1201ELNS1_3gpuE5ELNS1_3repE0EEENS1_30default_config_static_selectorELNS0_4arch9wavefront6targetE1EEEvSK_
	.p2align	8
	.type	_ZN7rocprim17ROCPRIM_400000_NS6detail17trampoline_kernelINS0_14default_configENS1_22reduce_config_selectorIjEEZNS1_11reduce_implILb1ES3_N6thrust23THRUST_200600_302600_NS6detail15normal_iteratorINS8_10device_ptrIjEEEEPjj11plus_mod_10IjEEE10hipError_tPvRmT1_T2_T3_mT4_P12ihipStream_tbEUlT_E0_NS1_11comp_targetILNS1_3genE10ELNS1_11target_archE1201ELNS1_3gpuE5ELNS1_3repE0EEENS1_30default_config_static_selectorELNS0_4arch9wavefront6targetE1EEEvSK_,@function
_ZN7rocprim17ROCPRIM_400000_NS6detail17trampoline_kernelINS0_14default_configENS1_22reduce_config_selectorIjEEZNS1_11reduce_implILb1ES3_N6thrust23THRUST_200600_302600_NS6detail15normal_iteratorINS8_10device_ptrIjEEEEPjj11plus_mod_10IjEEE10hipError_tPvRmT1_T2_T3_mT4_P12ihipStream_tbEUlT_E0_NS1_11comp_targetILNS1_3genE10ELNS1_11target_archE1201ELNS1_3gpuE5ELNS1_3repE0EEENS1_30default_config_static_selectorELNS0_4arch9wavefront6targetE1EEEvSK_: ; @_ZN7rocprim17ROCPRIM_400000_NS6detail17trampoline_kernelINS0_14default_configENS1_22reduce_config_selectorIjEEZNS1_11reduce_implILb1ES3_N6thrust23THRUST_200600_302600_NS6detail15normal_iteratorINS8_10device_ptrIjEEEEPjj11plus_mod_10IjEEE10hipError_tPvRmT1_T2_T3_mT4_P12ihipStream_tbEUlT_E0_NS1_11comp_targetILNS1_3genE10ELNS1_11target_archE1201ELNS1_3gpuE5ELNS1_3repE0EEENS1_30default_config_static_selectorELNS0_4arch9wavefront6targetE1EEEvSK_
; %bb.0:
	.section	.rodata,"a",@progbits
	.p2align	6, 0x0
	.amdhsa_kernel _ZN7rocprim17ROCPRIM_400000_NS6detail17trampoline_kernelINS0_14default_configENS1_22reduce_config_selectorIjEEZNS1_11reduce_implILb1ES3_N6thrust23THRUST_200600_302600_NS6detail15normal_iteratorINS8_10device_ptrIjEEEEPjj11plus_mod_10IjEEE10hipError_tPvRmT1_T2_T3_mT4_P12ihipStream_tbEUlT_E0_NS1_11comp_targetILNS1_3genE10ELNS1_11target_archE1201ELNS1_3gpuE5ELNS1_3repE0EEENS1_30default_config_static_selectorELNS0_4arch9wavefront6targetE1EEEvSK_
		.amdhsa_group_segment_fixed_size 0
		.amdhsa_private_segment_fixed_size 0
		.amdhsa_kernarg_size 56
		.amdhsa_user_sgpr_count 2
		.amdhsa_user_sgpr_dispatch_ptr 0
		.amdhsa_user_sgpr_queue_ptr 0
		.amdhsa_user_sgpr_kernarg_segment_ptr 1
		.amdhsa_user_sgpr_dispatch_id 0
		.amdhsa_user_sgpr_kernarg_preload_length 0
		.amdhsa_user_sgpr_kernarg_preload_offset 0
		.amdhsa_user_sgpr_private_segment_size 0
		.amdhsa_uses_dynamic_stack 0
		.amdhsa_enable_private_segment 0
		.amdhsa_system_sgpr_workgroup_id_x 1
		.amdhsa_system_sgpr_workgroup_id_y 0
		.amdhsa_system_sgpr_workgroup_id_z 0
		.amdhsa_system_sgpr_workgroup_info 0
		.amdhsa_system_vgpr_workitem_id 0
		.amdhsa_next_free_vgpr 1
		.amdhsa_next_free_sgpr 0
		.amdhsa_accum_offset 4
		.amdhsa_reserve_vcc 0
		.amdhsa_float_round_mode_32 0
		.amdhsa_float_round_mode_16_64 0
		.amdhsa_float_denorm_mode_32 3
		.amdhsa_float_denorm_mode_16_64 3
		.amdhsa_dx10_clamp 1
		.amdhsa_ieee_mode 1
		.amdhsa_fp16_overflow 0
		.amdhsa_tg_split 0
		.amdhsa_exception_fp_ieee_invalid_op 0
		.amdhsa_exception_fp_denorm_src 0
		.amdhsa_exception_fp_ieee_div_zero 0
		.amdhsa_exception_fp_ieee_overflow 0
		.amdhsa_exception_fp_ieee_underflow 0
		.amdhsa_exception_fp_ieee_inexact 0
		.amdhsa_exception_int_div_zero 0
	.end_amdhsa_kernel
	.section	.text._ZN7rocprim17ROCPRIM_400000_NS6detail17trampoline_kernelINS0_14default_configENS1_22reduce_config_selectorIjEEZNS1_11reduce_implILb1ES3_N6thrust23THRUST_200600_302600_NS6detail15normal_iteratorINS8_10device_ptrIjEEEEPjj11plus_mod_10IjEEE10hipError_tPvRmT1_T2_T3_mT4_P12ihipStream_tbEUlT_E0_NS1_11comp_targetILNS1_3genE10ELNS1_11target_archE1201ELNS1_3gpuE5ELNS1_3repE0EEENS1_30default_config_static_selectorELNS0_4arch9wavefront6targetE1EEEvSK_,"axG",@progbits,_ZN7rocprim17ROCPRIM_400000_NS6detail17trampoline_kernelINS0_14default_configENS1_22reduce_config_selectorIjEEZNS1_11reduce_implILb1ES3_N6thrust23THRUST_200600_302600_NS6detail15normal_iteratorINS8_10device_ptrIjEEEEPjj11plus_mod_10IjEEE10hipError_tPvRmT1_T2_T3_mT4_P12ihipStream_tbEUlT_E0_NS1_11comp_targetILNS1_3genE10ELNS1_11target_archE1201ELNS1_3gpuE5ELNS1_3repE0EEENS1_30default_config_static_selectorELNS0_4arch9wavefront6targetE1EEEvSK_,comdat
.Lfunc_end608:
	.size	_ZN7rocprim17ROCPRIM_400000_NS6detail17trampoline_kernelINS0_14default_configENS1_22reduce_config_selectorIjEEZNS1_11reduce_implILb1ES3_N6thrust23THRUST_200600_302600_NS6detail15normal_iteratorINS8_10device_ptrIjEEEEPjj11plus_mod_10IjEEE10hipError_tPvRmT1_T2_T3_mT4_P12ihipStream_tbEUlT_E0_NS1_11comp_targetILNS1_3genE10ELNS1_11target_archE1201ELNS1_3gpuE5ELNS1_3repE0EEENS1_30default_config_static_selectorELNS0_4arch9wavefront6targetE1EEEvSK_, .Lfunc_end608-_ZN7rocprim17ROCPRIM_400000_NS6detail17trampoline_kernelINS0_14default_configENS1_22reduce_config_selectorIjEEZNS1_11reduce_implILb1ES3_N6thrust23THRUST_200600_302600_NS6detail15normal_iteratorINS8_10device_ptrIjEEEEPjj11plus_mod_10IjEEE10hipError_tPvRmT1_T2_T3_mT4_P12ihipStream_tbEUlT_E0_NS1_11comp_targetILNS1_3genE10ELNS1_11target_archE1201ELNS1_3gpuE5ELNS1_3repE0EEENS1_30default_config_static_selectorELNS0_4arch9wavefront6targetE1EEEvSK_
                                        ; -- End function
	.set _ZN7rocprim17ROCPRIM_400000_NS6detail17trampoline_kernelINS0_14default_configENS1_22reduce_config_selectorIjEEZNS1_11reduce_implILb1ES3_N6thrust23THRUST_200600_302600_NS6detail15normal_iteratorINS8_10device_ptrIjEEEEPjj11plus_mod_10IjEEE10hipError_tPvRmT1_T2_T3_mT4_P12ihipStream_tbEUlT_E0_NS1_11comp_targetILNS1_3genE10ELNS1_11target_archE1201ELNS1_3gpuE5ELNS1_3repE0EEENS1_30default_config_static_selectorELNS0_4arch9wavefront6targetE1EEEvSK_.num_vgpr, 0
	.set _ZN7rocprim17ROCPRIM_400000_NS6detail17trampoline_kernelINS0_14default_configENS1_22reduce_config_selectorIjEEZNS1_11reduce_implILb1ES3_N6thrust23THRUST_200600_302600_NS6detail15normal_iteratorINS8_10device_ptrIjEEEEPjj11plus_mod_10IjEEE10hipError_tPvRmT1_T2_T3_mT4_P12ihipStream_tbEUlT_E0_NS1_11comp_targetILNS1_3genE10ELNS1_11target_archE1201ELNS1_3gpuE5ELNS1_3repE0EEENS1_30default_config_static_selectorELNS0_4arch9wavefront6targetE1EEEvSK_.num_agpr, 0
	.set _ZN7rocprim17ROCPRIM_400000_NS6detail17trampoline_kernelINS0_14default_configENS1_22reduce_config_selectorIjEEZNS1_11reduce_implILb1ES3_N6thrust23THRUST_200600_302600_NS6detail15normal_iteratorINS8_10device_ptrIjEEEEPjj11plus_mod_10IjEEE10hipError_tPvRmT1_T2_T3_mT4_P12ihipStream_tbEUlT_E0_NS1_11comp_targetILNS1_3genE10ELNS1_11target_archE1201ELNS1_3gpuE5ELNS1_3repE0EEENS1_30default_config_static_selectorELNS0_4arch9wavefront6targetE1EEEvSK_.numbered_sgpr, 0
	.set _ZN7rocprim17ROCPRIM_400000_NS6detail17trampoline_kernelINS0_14default_configENS1_22reduce_config_selectorIjEEZNS1_11reduce_implILb1ES3_N6thrust23THRUST_200600_302600_NS6detail15normal_iteratorINS8_10device_ptrIjEEEEPjj11plus_mod_10IjEEE10hipError_tPvRmT1_T2_T3_mT4_P12ihipStream_tbEUlT_E0_NS1_11comp_targetILNS1_3genE10ELNS1_11target_archE1201ELNS1_3gpuE5ELNS1_3repE0EEENS1_30default_config_static_selectorELNS0_4arch9wavefront6targetE1EEEvSK_.num_named_barrier, 0
	.set _ZN7rocprim17ROCPRIM_400000_NS6detail17trampoline_kernelINS0_14default_configENS1_22reduce_config_selectorIjEEZNS1_11reduce_implILb1ES3_N6thrust23THRUST_200600_302600_NS6detail15normal_iteratorINS8_10device_ptrIjEEEEPjj11plus_mod_10IjEEE10hipError_tPvRmT1_T2_T3_mT4_P12ihipStream_tbEUlT_E0_NS1_11comp_targetILNS1_3genE10ELNS1_11target_archE1201ELNS1_3gpuE5ELNS1_3repE0EEENS1_30default_config_static_selectorELNS0_4arch9wavefront6targetE1EEEvSK_.private_seg_size, 0
	.set _ZN7rocprim17ROCPRIM_400000_NS6detail17trampoline_kernelINS0_14default_configENS1_22reduce_config_selectorIjEEZNS1_11reduce_implILb1ES3_N6thrust23THRUST_200600_302600_NS6detail15normal_iteratorINS8_10device_ptrIjEEEEPjj11plus_mod_10IjEEE10hipError_tPvRmT1_T2_T3_mT4_P12ihipStream_tbEUlT_E0_NS1_11comp_targetILNS1_3genE10ELNS1_11target_archE1201ELNS1_3gpuE5ELNS1_3repE0EEENS1_30default_config_static_selectorELNS0_4arch9wavefront6targetE1EEEvSK_.uses_vcc, 0
	.set _ZN7rocprim17ROCPRIM_400000_NS6detail17trampoline_kernelINS0_14default_configENS1_22reduce_config_selectorIjEEZNS1_11reduce_implILb1ES3_N6thrust23THRUST_200600_302600_NS6detail15normal_iteratorINS8_10device_ptrIjEEEEPjj11plus_mod_10IjEEE10hipError_tPvRmT1_T2_T3_mT4_P12ihipStream_tbEUlT_E0_NS1_11comp_targetILNS1_3genE10ELNS1_11target_archE1201ELNS1_3gpuE5ELNS1_3repE0EEENS1_30default_config_static_selectorELNS0_4arch9wavefront6targetE1EEEvSK_.uses_flat_scratch, 0
	.set _ZN7rocprim17ROCPRIM_400000_NS6detail17trampoline_kernelINS0_14default_configENS1_22reduce_config_selectorIjEEZNS1_11reduce_implILb1ES3_N6thrust23THRUST_200600_302600_NS6detail15normal_iteratorINS8_10device_ptrIjEEEEPjj11plus_mod_10IjEEE10hipError_tPvRmT1_T2_T3_mT4_P12ihipStream_tbEUlT_E0_NS1_11comp_targetILNS1_3genE10ELNS1_11target_archE1201ELNS1_3gpuE5ELNS1_3repE0EEENS1_30default_config_static_selectorELNS0_4arch9wavefront6targetE1EEEvSK_.has_dyn_sized_stack, 0
	.set _ZN7rocprim17ROCPRIM_400000_NS6detail17trampoline_kernelINS0_14default_configENS1_22reduce_config_selectorIjEEZNS1_11reduce_implILb1ES3_N6thrust23THRUST_200600_302600_NS6detail15normal_iteratorINS8_10device_ptrIjEEEEPjj11plus_mod_10IjEEE10hipError_tPvRmT1_T2_T3_mT4_P12ihipStream_tbEUlT_E0_NS1_11comp_targetILNS1_3genE10ELNS1_11target_archE1201ELNS1_3gpuE5ELNS1_3repE0EEENS1_30default_config_static_selectorELNS0_4arch9wavefront6targetE1EEEvSK_.has_recursion, 0
	.set _ZN7rocprim17ROCPRIM_400000_NS6detail17trampoline_kernelINS0_14default_configENS1_22reduce_config_selectorIjEEZNS1_11reduce_implILb1ES3_N6thrust23THRUST_200600_302600_NS6detail15normal_iteratorINS8_10device_ptrIjEEEEPjj11plus_mod_10IjEEE10hipError_tPvRmT1_T2_T3_mT4_P12ihipStream_tbEUlT_E0_NS1_11comp_targetILNS1_3genE10ELNS1_11target_archE1201ELNS1_3gpuE5ELNS1_3repE0EEENS1_30default_config_static_selectorELNS0_4arch9wavefront6targetE1EEEvSK_.has_indirect_call, 0
	.section	.AMDGPU.csdata,"",@progbits
; Kernel info:
; codeLenInByte = 0
; TotalNumSgprs: 6
; NumVgprs: 0
; NumAgprs: 0
; TotalNumVgprs: 0
; ScratchSize: 0
; MemoryBound: 0
; FloatMode: 240
; IeeeMode: 1
; LDSByteSize: 0 bytes/workgroup (compile time only)
; SGPRBlocks: 0
; VGPRBlocks: 0
; NumSGPRsForWavesPerEU: 6
; NumVGPRsForWavesPerEU: 1
; AccumOffset: 4
; Occupancy: 8
; WaveLimiterHint : 0
; COMPUTE_PGM_RSRC2:SCRATCH_EN: 0
; COMPUTE_PGM_RSRC2:USER_SGPR: 2
; COMPUTE_PGM_RSRC2:TRAP_HANDLER: 0
; COMPUTE_PGM_RSRC2:TGID_X_EN: 1
; COMPUTE_PGM_RSRC2:TGID_Y_EN: 0
; COMPUTE_PGM_RSRC2:TGID_Z_EN: 0
; COMPUTE_PGM_RSRC2:TIDIG_COMP_CNT: 0
; COMPUTE_PGM_RSRC3_GFX90A:ACCUM_OFFSET: 0
; COMPUTE_PGM_RSRC3_GFX90A:TG_SPLIT: 0
	.section	.text._ZN7rocprim17ROCPRIM_400000_NS6detail17trampoline_kernelINS0_14default_configENS1_22reduce_config_selectorIjEEZNS1_11reduce_implILb1ES3_N6thrust23THRUST_200600_302600_NS6detail15normal_iteratorINS8_10device_ptrIjEEEEPjj11plus_mod_10IjEEE10hipError_tPvRmT1_T2_T3_mT4_P12ihipStream_tbEUlT_E0_NS1_11comp_targetILNS1_3genE10ELNS1_11target_archE1200ELNS1_3gpuE4ELNS1_3repE0EEENS1_30default_config_static_selectorELNS0_4arch9wavefront6targetE1EEEvSK_,"axG",@progbits,_ZN7rocprim17ROCPRIM_400000_NS6detail17trampoline_kernelINS0_14default_configENS1_22reduce_config_selectorIjEEZNS1_11reduce_implILb1ES3_N6thrust23THRUST_200600_302600_NS6detail15normal_iteratorINS8_10device_ptrIjEEEEPjj11plus_mod_10IjEEE10hipError_tPvRmT1_T2_T3_mT4_P12ihipStream_tbEUlT_E0_NS1_11comp_targetILNS1_3genE10ELNS1_11target_archE1200ELNS1_3gpuE4ELNS1_3repE0EEENS1_30default_config_static_selectorELNS0_4arch9wavefront6targetE1EEEvSK_,comdat
	.protected	_ZN7rocprim17ROCPRIM_400000_NS6detail17trampoline_kernelINS0_14default_configENS1_22reduce_config_selectorIjEEZNS1_11reduce_implILb1ES3_N6thrust23THRUST_200600_302600_NS6detail15normal_iteratorINS8_10device_ptrIjEEEEPjj11plus_mod_10IjEEE10hipError_tPvRmT1_T2_T3_mT4_P12ihipStream_tbEUlT_E0_NS1_11comp_targetILNS1_3genE10ELNS1_11target_archE1200ELNS1_3gpuE4ELNS1_3repE0EEENS1_30default_config_static_selectorELNS0_4arch9wavefront6targetE1EEEvSK_ ; -- Begin function _ZN7rocprim17ROCPRIM_400000_NS6detail17trampoline_kernelINS0_14default_configENS1_22reduce_config_selectorIjEEZNS1_11reduce_implILb1ES3_N6thrust23THRUST_200600_302600_NS6detail15normal_iteratorINS8_10device_ptrIjEEEEPjj11plus_mod_10IjEEE10hipError_tPvRmT1_T2_T3_mT4_P12ihipStream_tbEUlT_E0_NS1_11comp_targetILNS1_3genE10ELNS1_11target_archE1200ELNS1_3gpuE4ELNS1_3repE0EEENS1_30default_config_static_selectorELNS0_4arch9wavefront6targetE1EEEvSK_
	.globl	_ZN7rocprim17ROCPRIM_400000_NS6detail17trampoline_kernelINS0_14default_configENS1_22reduce_config_selectorIjEEZNS1_11reduce_implILb1ES3_N6thrust23THRUST_200600_302600_NS6detail15normal_iteratorINS8_10device_ptrIjEEEEPjj11plus_mod_10IjEEE10hipError_tPvRmT1_T2_T3_mT4_P12ihipStream_tbEUlT_E0_NS1_11comp_targetILNS1_3genE10ELNS1_11target_archE1200ELNS1_3gpuE4ELNS1_3repE0EEENS1_30default_config_static_selectorELNS0_4arch9wavefront6targetE1EEEvSK_
	.p2align	8
	.type	_ZN7rocprim17ROCPRIM_400000_NS6detail17trampoline_kernelINS0_14default_configENS1_22reduce_config_selectorIjEEZNS1_11reduce_implILb1ES3_N6thrust23THRUST_200600_302600_NS6detail15normal_iteratorINS8_10device_ptrIjEEEEPjj11plus_mod_10IjEEE10hipError_tPvRmT1_T2_T3_mT4_P12ihipStream_tbEUlT_E0_NS1_11comp_targetILNS1_3genE10ELNS1_11target_archE1200ELNS1_3gpuE4ELNS1_3repE0EEENS1_30default_config_static_selectorELNS0_4arch9wavefront6targetE1EEEvSK_,@function
_ZN7rocprim17ROCPRIM_400000_NS6detail17trampoline_kernelINS0_14default_configENS1_22reduce_config_selectorIjEEZNS1_11reduce_implILb1ES3_N6thrust23THRUST_200600_302600_NS6detail15normal_iteratorINS8_10device_ptrIjEEEEPjj11plus_mod_10IjEEE10hipError_tPvRmT1_T2_T3_mT4_P12ihipStream_tbEUlT_E0_NS1_11comp_targetILNS1_3genE10ELNS1_11target_archE1200ELNS1_3gpuE4ELNS1_3repE0EEENS1_30default_config_static_selectorELNS0_4arch9wavefront6targetE1EEEvSK_: ; @_ZN7rocprim17ROCPRIM_400000_NS6detail17trampoline_kernelINS0_14default_configENS1_22reduce_config_selectorIjEEZNS1_11reduce_implILb1ES3_N6thrust23THRUST_200600_302600_NS6detail15normal_iteratorINS8_10device_ptrIjEEEEPjj11plus_mod_10IjEEE10hipError_tPvRmT1_T2_T3_mT4_P12ihipStream_tbEUlT_E0_NS1_11comp_targetILNS1_3genE10ELNS1_11target_archE1200ELNS1_3gpuE4ELNS1_3repE0EEENS1_30default_config_static_selectorELNS0_4arch9wavefront6targetE1EEEvSK_
; %bb.0:
	.section	.rodata,"a",@progbits
	.p2align	6, 0x0
	.amdhsa_kernel _ZN7rocprim17ROCPRIM_400000_NS6detail17trampoline_kernelINS0_14default_configENS1_22reduce_config_selectorIjEEZNS1_11reduce_implILb1ES3_N6thrust23THRUST_200600_302600_NS6detail15normal_iteratorINS8_10device_ptrIjEEEEPjj11plus_mod_10IjEEE10hipError_tPvRmT1_T2_T3_mT4_P12ihipStream_tbEUlT_E0_NS1_11comp_targetILNS1_3genE10ELNS1_11target_archE1200ELNS1_3gpuE4ELNS1_3repE0EEENS1_30default_config_static_selectorELNS0_4arch9wavefront6targetE1EEEvSK_
		.amdhsa_group_segment_fixed_size 0
		.amdhsa_private_segment_fixed_size 0
		.amdhsa_kernarg_size 56
		.amdhsa_user_sgpr_count 2
		.amdhsa_user_sgpr_dispatch_ptr 0
		.amdhsa_user_sgpr_queue_ptr 0
		.amdhsa_user_sgpr_kernarg_segment_ptr 1
		.amdhsa_user_sgpr_dispatch_id 0
		.amdhsa_user_sgpr_kernarg_preload_length 0
		.amdhsa_user_sgpr_kernarg_preload_offset 0
		.amdhsa_user_sgpr_private_segment_size 0
		.amdhsa_uses_dynamic_stack 0
		.amdhsa_enable_private_segment 0
		.amdhsa_system_sgpr_workgroup_id_x 1
		.amdhsa_system_sgpr_workgroup_id_y 0
		.amdhsa_system_sgpr_workgroup_id_z 0
		.amdhsa_system_sgpr_workgroup_info 0
		.amdhsa_system_vgpr_workitem_id 0
		.amdhsa_next_free_vgpr 1
		.amdhsa_next_free_sgpr 0
		.amdhsa_accum_offset 4
		.amdhsa_reserve_vcc 0
		.amdhsa_float_round_mode_32 0
		.amdhsa_float_round_mode_16_64 0
		.amdhsa_float_denorm_mode_32 3
		.amdhsa_float_denorm_mode_16_64 3
		.amdhsa_dx10_clamp 1
		.amdhsa_ieee_mode 1
		.amdhsa_fp16_overflow 0
		.amdhsa_tg_split 0
		.amdhsa_exception_fp_ieee_invalid_op 0
		.amdhsa_exception_fp_denorm_src 0
		.amdhsa_exception_fp_ieee_div_zero 0
		.amdhsa_exception_fp_ieee_overflow 0
		.amdhsa_exception_fp_ieee_underflow 0
		.amdhsa_exception_fp_ieee_inexact 0
		.amdhsa_exception_int_div_zero 0
	.end_amdhsa_kernel
	.section	.text._ZN7rocprim17ROCPRIM_400000_NS6detail17trampoline_kernelINS0_14default_configENS1_22reduce_config_selectorIjEEZNS1_11reduce_implILb1ES3_N6thrust23THRUST_200600_302600_NS6detail15normal_iteratorINS8_10device_ptrIjEEEEPjj11plus_mod_10IjEEE10hipError_tPvRmT1_T2_T3_mT4_P12ihipStream_tbEUlT_E0_NS1_11comp_targetILNS1_3genE10ELNS1_11target_archE1200ELNS1_3gpuE4ELNS1_3repE0EEENS1_30default_config_static_selectorELNS0_4arch9wavefront6targetE1EEEvSK_,"axG",@progbits,_ZN7rocprim17ROCPRIM_400000_NS6detail17trampoline_kernelINS0_14default_configENS1_22reduce_config_selectorIjEEZNS1_11reduce_implILb1ES3_N6thrust23THRUST_200600_302600_NS6detail15normal_iteratorINS8_10device_ptrIjEEEEPjj11plus_mod_10IjEEE10hipError_tPvRmT1_T2_T3_mT4_P12ihipStream_tbEUlT_E0_NS1_11comp_targetILNS1_3genE10ELNS1_11target_archE1200ELNS1_3gpuE4ELNS1_3repE0EEENS1_30default_config_static_selectorELNS0_4arch9wavefront6targetE1EEEvSK_,comdat
.Lfunc_end609:
	.size	_ZN7rocprim17ROCPRIM_400000_NS6detail17trampoline_kernelINS0_14default_configENS1_22reduce_config_selectorIjEEZNS1_11reduce_implILb1ES3_N6thrust23THRUST_200600_302600_NS6detail15normal_iteratorINS8_10device_ptrIjEEEEPjj11plus_mod_10IjEEE10hipError_tPvRmT1_T2_T3_mT4_P12ihipStream_tbEUlT_E0_NS1_11comp_targetILNS1_3genE10ELNS1_11target_archE1200ELNS1_3gpuE4ELNS1_3repE0EEENS1_30default_config_static_selectorELNS0_4arch9wavefront6targetE1EEEvSK_, .Lfunc_end609-_ZN7rocprim17ROCPRIM_400000_NS6detail17trampoline_kernelINS0_14default_configENS1_22reduce_config_selectorIjEEZNS1_11reduce_implILb1ES3_N6thrust23THRUST_200600_302600_NS6detail15normal_iteratorINS8_10device_ptrIjEEEEPjj11plus_mod_10IjEEE10hipError_tPvRmT1_T2_T3_mT4_P12ihipStream_tbEUlT_E0_NS1_11comp_targetILNS1_3genE10ELNS1_11target_archE1200ELNS1_3gpuE4ELNS1_3repE0EEENS1_30default_config_static_selectorELNS0_4arch9wavefront6targetE1EEEvSK_
                                        ; -- End function
	.set _ZN7rocprim17ROCPRIM_400000_NS6detail17trampoline_kernelINS0_14default_configENS1_22reduce_config_selectorIjEEZNS1_11reduce_implILb1ES3_N6thrust23THRUST_200600_302600_NS6detail15normal_iteratorINS8_10device_ptrIjEEEEPjj11plus_mod_10IjEEE10hipError_tPvRmT1_T2_T3_mT4_P12ihipStream_tbEUlT_E0_NS1_11comp_targetILNS1_3genE10ELNS1_11target_archE1200ELNS1_3gpuE4ELNS1_3repE0EEENS1_30default_config_static_selectorELNS0_4arch9wavefront6targetE1EEEvSK_.num_vgpr, 0
	.set _ZN7rocprim17ROCPRIM_400000_NS6detail17trampoline_kernelINS0_14default_configENS1_22reduce_config_selectorIjEEZNS1_11reduce_implILb1ES3_N6thrust23THRUST_200600_302600_NS6detail15normal_iteratorINS8_10device_ptrIjEEEEPjj11plus_mod_10IjEEE10hipError_tPvRmT1_T2_T3_mT4_P12ihipStream_tbEUlT_E0_NS1_11comp_targetILNS1_3genE10ELNS1_11target_archE1200ELNS1_3gpuE4ELNS1_3repE0EEENS1_30default_config_static_selectorELNS0_4arch9wavefront6targetE1EEEvSK_.num_agpr, 0
	.set _ZN7rocprim17ROCPRIM_400000_NS6detail17trampoline_kernelINS0_14default_configENS1_22reduce_config_selectorIjEEZNS1_11reduce_implILb1ES3_N6thrust23THRUST_200600_302600_NS6detail15normal_iteratorINS8_10device_ptrIjEEEEPjj11plus_mod_10IjEEE10hipError_tPvRmT1_T2_T3_mT4_P12ihipStream_tbEUlT_E0_NS1_11comp_targetILNS1_3genE10ELNS1_11target_archE1200ELNS1_3gpuE4ELNS1_3repE0EEENS1_30default_config_static_selectorELNS0_4arch9wavefront6targetE1EEEvSK_.numbered_sgpr, 0
	.set _ZN7rocprim17ROCPRIM_400000_NS6detail17trampoline_kernelINS0_14default_configENS1_22reduce_config_selectorIjEEZNS1_11reduce_implILb1ES3_N6thrust23THRUST_200600_302600_NS6detail15normal_iteratorINS8_10device_ptrIjEEEEPjj11plus_mod_10IjEEE10hipError_tPvRmT1_T2_T3_mT4_P12ihipStream_tbEUlT_E0_NS1_11comp_targetILNS1_3genE10ELNS1_11target_archE1200ELNS1_3gpuE4ELNS1_3repE0EEENS1_30default_config_static_selectorELNS0_4arch9wavefront6targetE1EEEvSK_.num_named_barrier, 0
	.set _ZN7rocprim17ROCPRIM_400000_NS6detail17trampoline_kernelINS0_14default_configENS1_22reduce_config_selectorIjEEZNS1_11reduce_implILb1ES3_N6thrust23THRUST_200600_302600_NS6detail15normal_iteratorINS8_10device_ptrIjEEEEPjj11plus_mod_10IjEEE10hipError_tPvRmT1_T2_T3_mT4_P12ihipStream_tbEUlT_E0_NS1_11comp_targetILNS1_3genE10ELNS1_11target_archE1200ELNS1_3gpuE4ELNS1_3repE0EEENS1_30default_config_static_selectorELNS0_4arch9wavefront6targetE1EEEvSK_.private_seg_size, 0
	.set _ZN7rocprim17ROCPRIM_400000_NS6detail17trampoline_kernelINS0_14default_configENS1_22reduce_config_selectorIjEEZNS1_11reduce_implILb1ES3_N6thrust23THRUST_200600_302600_NS6detail15normal_iteratorINS8_10device_ptrIjEEEEPjj11plus_mod_10IjEEE10hipError_tPvRmT1_T2_T3_mT4_P12ihipStream_tbEUlT_E0_NS1_11comp_targetILNS1_3genE10ELNS1_11target_archE1200ELNS1_3gpuE4ELNS1_3repE0EEENS1_30default_config_static_selectorELNS0_4arch9wavefront6targetE1EEEvSK_.uses_vcc, 0
	.set _ZN7rocprim17ROCPRIM_400000_NS6detail17trampoline_kernelINS0_14default_configENS1_22reduce_config_selectorIjEEZNS1_11reduce_implILb1ES3_N6thrust23THRUST_200600_302600_NS6detail15normal_iteratorINS8_10device_ptrIjEEEEPjj11plus_mod_10IjEEE10hipError_tPvRmT1_T2_T3_mT4_P12ihipStream_tbEUlT_E0_NS1_11comp_targetILNS1_3genE10ELNS1_11target_archE1200ELNS1_3gpuE4ELNS1_3repE0EEENS1_30default_config_static_selectorELNS0_4arch9wavefront6targetE1EEEvSK_.uses_flat_scratch, 0
	.set _ZN7rocprim17ROCPRIM_400000_NS6detail17trampoline_kernelINS0_14default_configENS1_22reduce_config_selectorIjEEZNS1_11reduce_implILb1ES3_N6thrust23THRUST_200600_302600_NS6detail15normal_iteratorINS8_10device_ptrIjEEEEPjj11plus_mod_10IjEEE10hipError_tPvRmT1_T2_T3_mT4_P12ihipStream_tbEUlT_E0_NS1_11comp_targetILNS1_3genE10ELNS1_11target_archE1200ELNS1_3gpuE4ELNS1_3repE0EEENS1_30default_config_static_selectorELNS0_4arch9wavefront6targetE1EEEvSK_.has_dyn_sized_stack, 0
	.set _ZN7rocprim17ROCPRIM_400000_NS6detail17trampoline_kernelINS0_14default_configENS1_22reduce_config_selectorIjEEZNS1_11reduce_implILb1ES3_N6thrust23THRUST_200600_302600_NS6detail15normal_iteratorINS8_10device_ptrIjEEEEPjj11plus_mod_10IjEEE10hipError_tPvRmT1_T2_T3_mT4_P12ihipStream_tbEUlT_E0_NS1_11comp_targetILNS1_3genE10ELNS1_11target_archE1200ELNS1_3gpuE4ELNS1_3repE0EEENS1_30default_config_static_selectorELNS0_4arch9wavefront6targetE1EEEvSK_.has_recursion, 0
	.set _ZN7rocprim17ROCPRIM_400000_NS6detail17trampoline_kernelINS0_14default_configENS1_22reduce_config_selectorIjEEZNS1_11reduce_implILb1ES3_N6thrust23THRUST_200600_302600_NS6detail15normal_iteratorINS8_10device_ptrIjEEEEPjj11plus_mod_10IjEEE10hipError_tPvRmT1_T2_T3_mT4_P12ihipStream_tbEUlT_E0_NS1_11comp_targetILNS1_3genE10ELNS1_11target_archE1200ELNS1_3gpuE4ELNS1_3repE0EEENS1_30default_config_static_selectorELNS0_4arch9wavefront6targetE1EEEvSK_.has_indirect_call, 0
	.section	.AMDGPU.csdata,"",@progbits
; Kernel info:
; codeLenInByte = 0
; TotalNumSgprs: 6
; NumVgprs: 0
; NumAgprs: 0
; TotalNumVgprs: 0
; ScratchSize: 0
; MemoryBound: 0
; FloatMode: 240
; IeeeMode: 1
; LDSByteSize: 0 bytes/workgroup (compile time only)
; SGPRBlocks: 0
; VGPRBlocks: 0
; NumSGPRsForWavesPerEU: 6
; NumVGPRsForWavesPerEU: 1
; AccumOffset: 4
; Occupancy: 8
; WaveLimiterHint : 0
; COMPUTE_PGM_RSRC2:SCRATCH_EN: 0
; COMPUTE_PGM_RSRC2:USER_SGPR: 2
; COMPUTE_PGM_RSRC2:TRAP_HANDLER: 0
; COMPUTE_PGM_RSRC2:TGID_X_EN: 1
; COMPUTE_PGM_RSRC2:TGID_Y_EN: 0
; COMPUTE_PGM_RSRC2:TGID_Z_EN: 0
; COMPUTE_PGM_RSRC2:TIDIG_COMP_CNT: 0
; COMPUTE_PGM_RSRC3_GFX90A:ACCUM_OFFSET: 0
; COMPUTE_PGM_RSRC3_GFX90A:TG_SPLIT: 0
	.section	.text._ZN7rocprim17ROCPRIM_400000_NS6detail17trampoline_kernelINS0_14default_configENS1_22reduce_config_selectorIjEEZNS1_11reduce_implILb1ES3_N6thrust23THRUST_200600_302600_NS6detail15normal_iteratorINS8_10device_ptrIjEEEEPjj11plus_mod_10IjEEE10hipError_tPvRmT1_T2_T3_mT4_P12ihipStream_tbEUlT_E0_NS1_11comp_targetILNS1_3genE9ELNS1_11target_archE1100ELNS1_3gpuE3ELNS1_3repE0EEENS1_30default_config_static_selectorELNS0_4arch9wavefront6targetE1EEEvSK_,"axG",@progbits,_ZN7rocprim17ROCPRIM_400000_NS6detail17trampoline_kernelINS0_14default_configENS1_22reduce_config_selectorIjEEZNS1_11reduce_implILb1ES3_N6thrust23THRUST_200600_302600_NS6detail15normal_iteratorINS8_10device_ptrIjEEEEPjj11plus_mod_10IjEEE10hipError_tPvRmT1_T2_T3_mT4_P12ihipStream_tbEUlT_E0_NS1_11comp_targetILNS1_3genE9ELNS1_11target_archE1100ELNS1_3gpuE3ELNS1_3repE0EEENS1_30default_config_static_selectorELNS0_4arch9wavefront6targetE1EEEvSK_,comdat
	.protected	_ZN7rocprim17ROCPRIM_400000_NS6detail17trampoline_kernelINS0_14default_configENS1_22reduce_config_selectorIjEEZNS1_11reduce_implILb1ES3_N6thrust23THRUST_200600_302600_NS6detail15normal_iteratorINS8_10device_ptrIjEEEEPjj11plus_mod_10IjEEE10hipError_tPvRmT1_T2_T3_mT4_P12ihipStream_tbEUlT_E0_NS1_11comp_targetILNS1_3genE9ELNS1_11target_archE1100ELNS1_3gpuE3ELNS1_3repE0EEENS1_30default_config_static_selectorELNS0_4arch9wavefront6targetE1EEEvSK_ ; -- Begin function _ZN7rocprim17ROCPRIM_400000_NS6detail17trampoline_kernelINS0_14default_configENS1_22reduce_config_selectorIjEEZNS1_11reduce_implILb1ES3_N6thrust23THRUST_200600_302600_NS6detail15normal_iteratorINS8_10device_ptrIjEEEEPjj11plus_mod_10IjEEE10hipError_tPvRmT1_T2_T3_mT4_P12ihipStream_tbEUlT_E0_NS1_11comp_targetILNS1_3genE9ELNS1_11target_archE1100ELNS1_3gpuE3ELNS1_3repE0EEENS1_30default_config_static_selectorELNS0_4arch9wavefront6targetE1EEEvSK_
	.globl	_ZN7rocprim17ROCPRIM_400000_NS6detail17trampoline_kernelINS0_14default_configENS1_22reduce_config_selectorIjEEZNS1_11reduce_implILb1ES3_N6thrust23THRUST_200600_302600_NS6detail15normal_iteratorINS8_10device_ptrIjEEEEPjj11plus_mod_10IjEEE10hipError_tPvRmT1_T2_T3_mT4_P12ihipStream_tbEUlT_E0_NS1_11comp_targetILNS1_3genE9ELNS1_11target_archE1100ELNS1_3gpuE3ELNS1_3repE0EEENS1_30default_config_static_selectorELNS0_4arch9wavefront6targetE1EEEvSK_
	.p2align	8
	.type	_ZN7rocprim17ROCPRIM_400000_NS6detail17trampoline_kernelINS0_14default_configENS1_22reduce_config_selectorIjEEZNS1_11reduce_implILb1ES3_N6thrust23THRUST_200600_302600_NS6detail15normal_iteratorINS8_10device_ptrIjEEEEPjj11plus_mod_10IjEEE10hipError_tPvRmT1_T2_T3_mT4_P12ihipStream_tbEUlT_E0_NS1_11comp_targetILNS1_3genE9ELNS1_11target_archE1100ELNS1_3gpuE3ELNS1_3repE0EEENS1_30default_config_static_selectorELNS0_4arch9wavefront6targetE1EEEvSK_,@function
_ZN7rocprim17ROCPRIM_400000_NS6detail17trampoline_kernelINS0_14default_configENS1_22reduce_config_selectorIjEEZNS1_11reduce_implILb1ES3_N6thrust23THRUST_200600_302600_NS6detail15normal_iteratorINS8_10device_ptrIjEEEEPjj11plus_mod_10IjEEE10hipError_tPvRmT1_T2_T3_mT4_P12ihipStream_tbEUlT_E0_NS1_11comp_targetILNS1_3genE9ELNS1_11target_archE1100ELNS1_3gpuE3ELNS1_3repE0EEENS1_30default_config_static_selectorELNS0_4arch9wavefront6targetE1EEEvSK_: ; @_ZN7rocprim17ROCPRIM_400000_NS6detail17trampoline_kernelINS0_14default_configENS1_22reduce_config_selectorIjEEZNS1_11reduce_implILb1ES3_N6thrust23THRUST_200600_302600_NS6detail15normal_iteratorINS8_10device_ptrIjEEEEPjj11plus_mod_10IjEEE10hipError_tPvRmT1_T2_T3_mT4_P12ihipStream_tbEUlT_E0_NS1_11comp_targetILNS1_3genE9ELNS1_11target_archE1100ELNS1_3gpuE3ELNS1_3repE0EEENS1_30default_config_static_selectorELNS0_4arch9wavefront6targetE1EEEvSK_
; %bb.0:
	.section	.rodata,"a",@progbits
	.p2align	6, 0x0
	.amdhsa_kernel _ZN7rocprim17ROCPRIM_400000_NS6detail17trampoline_kernelINS0_14default_configENS1_22reduce_config_selectorIjEEZNS1_11reduce_implILb1ES3_N6thrust23THRUST_200600_302600_NS6detail15normal_iteratorINS8_10device_ptrIjEEEEPjj11plus_mod_10IjEEE10hipError_tPvRmT1_T2_T3_mT4_P12ihipStream_tbEUlT_E0_NS1_11comp_targetILNS1_3genE9ELNS1_11target_archE1100ELNS1_3gpuE3ELNS1_3repE0EEENS1_30default_config_static_selectorELNS0_4arch9wavefront6targetE1EEEvSK_
		.amdhsa_group_segment_fixed_size 0
		.amdhsa_private_segment_fixed_size 0
		.amdhsa_kernarg_size 56
		.amdhsa_user_sgpr_count 2
		.amdhsa_user_sgpr_dispatch_ptr 0
		.amdhsa_user_sgpr_queue_ptr 0
		.amdhsa_user_sgpr_kernarg_segment_ptr 1
		.amdhsa_user_sgpr_dispatch_id 0
		.amdhsa_user_sgpr_kernarg_preload_length 0
		.amdhsa_user_sgpr_kernarg_preload_offset 0
		.amdhsa_user_sgpr_private_segment_size 0
		.amdhsa_uses_dynamic_stack 0
		.amdhsa_enable_private_segment 0
		.amdhsa_system_sgpr_workgroup_id_x 1
		.amdhsa_system_sgpr_workgroup_id_y 0
		.amdhsa_system_sgpr_workgroup_id_z 0
		.amdhsa_system_sgpr_workgroup_info 0
		.amdhsa_system_vgpr_workitem_id 0
		.amdhsa_next_free_vgpr 1
		.amdhsa_next_free_sgpr 0
		.amdhsa_accum_offset 4
		.amdhsa_reserve_vcc 0
		.amdhsa_float_round_mode_32 0
		.amdhsa_float_round_mode_16_64 0
		.amdhsa_float_denorm_mode_32 3
		.amdhsa_float_denorm_mode_16_64 3
		.amdhsa_dx10_clamp 1
		.amdhsa_ieee_mode 1
		.amdhsa_fp16_overflow 0
		.amdhsa_tg_split 0
		.amdhsa_exception_fp_ieee_invalid_op 0
		.amdhsa_exception_fp_denorm_src 0
		.amdhsa_exception_fp_ieee_div_zero 0
		.amdhsa_exception_fp_ieee_overflow 0
		.amdhsa_exception_fp_ieee_underflow 0
		.amdhsa_exception_fp_ieee_inexact 0
		.amdhsa_exception_int_div_zero 0
	.end_amdhsa_kernel
	.section	.text._ZN7rocprim17ROCPRIM_400000_NS6detail17trampoline_kernelINS0_14default_configENS1_22reduce_config_selectorIjEEZNS1_11reduce_implILb1ES3_N6thrust23THRUST_200600_302600_NS6detail15normal_iteratorINS8_10device_ptrIjEEEEPjj11plus_mod_10IjEEE10hipError_tPvRmT1_T2_T3_mT4_P12ihipStream_tbEUlT_E0_NS1_11comp_targetILNS1_3genE9ELNS1_11target_archE1100ELNS1_3gpuE3ELNS1_3repE0EEENS1_30default_config_static_selectorELNS0_4arch9wavefront6targetE1EEEvSK_,"axG",@progbits,_ZN7rocprim17ROCPRIM_400000_NS6detail17trampoline_kernelINS0_14default_configENS1_22reduce_config_selectorIjEEZNS1_11reduce_implILb1ES3_N6thrust23THRUST_200600_302600_NS6detail15normal_iteratorINS8_10device_ptrIjEEEEPjj11plus_mod_10IjEEE10hipError_tPvRmT1_T2_T3_mT4_P12ihipStream_tbEUlT_E0_NS1_11comp_targetILNS1_3genE9ELNS1_11target_archE1100ELNS1_3gpuE3ELNS1_3repE0EEENS1_30default_config_static_selectorELNS0_4arch9wavefront6targetE1EEEvSK_,comdat
.Lfunc_end610:
	.size	_ZN7rocprim17ROCPRIM_400000_NS6detail17trampoline_kernelINS0_14default_configENS1_22reduce_config_selectorIjEEZNS1_11reduce_implILb1ES3_N6thrust23THRUST_200600_302600_NS6detail15normal_iteratorINS8_10device_ptrIjEEEEPjj11plus_mod_10IjEEE10hipError_tPvRmT1_T2_T3_mT4_P12ihipStream_tbEUlT_E0_NS1_11comp_targetILNS1_3genE9ELNS1_11target_archE1100ELNS1_3gpuE3ELNS1_3repE0EEENS1_30default_config_static_selectorELNS0_4arch9wavefront6targetE1EEEvSK_, .Lfunc_end610-_ZN7rocprim17ROCPRIM_400000_NS6detail17trampoline_kernelINS0_14default_configENS1_22reduce_config_selectorIjEEZNS1_11reduce_implILb1ES3_N6thrust23THRUST_200600_302600_NS6detail15normal_iteratorINS8_10device_ptrIjEEEEPjj11plus_mod_10IjEEE10hipError_tPvRmT1_T2_T3_mT4_P12ihipStream_tbEUlT_E0_NS1_11comp_targetILNS1_3genE9ELNS1_11target_archE1100ELNS1_3gpuE3ELNS1_3repE0EEENS1_30default_config_static_selectorELNS0_4arch9wavefront6targetE1EEEvSK_
                                        ; -- End function
	.set _ZN7rocprim17ROCPRIM_400000_NS6detail17trampoline_kernelINS0_14default_configENS1_22reduce_config_selectorIjEEZNS1_11reduce_implILb1ES3_N6thrust23THRUST_200600_302600_NS6detail15normal_iteratorINS8_10device_ptrIjEEEEPjj11plus_mod_10IjEEE10hipError_tPvRmT1_T2_T3_mT4_P12ihipStream_tbEUlT_E0_NS1_11comp_targetILNS1_3genE9ELNS1_11target_archE1100ELNS1_3gpuE3ELNS1_3repE0EEENS1_30default_config_static_selectorELNS0_4arch9wavefront6targetE1EEEvSK_.num_vgpr, 0
	.set _ZN7rocprim17ROCPRIM_400000_NS6detail17trampoline_kernelINS0_14default_configENS1_22reduce_config_selectorIjEEZNS1_11reduce_implILb1ES3_N6thrust23THRUST_200600_302600_NS6detail15normal_iteratorINS8_10device_ptrIjEEEEPjj11plus_mod_10IjEEE10hipError_tPvRmT1_T2_T3_mT4_P12ihipStream_tbEUlT_E0_NS1_11comp_targetILNS1_3genE9ELNS1_11target_archE1100ELNS1_3gpuE3ELNS1_3repE0EEENS1_30default_config_static_selectorELNS0_4arch9wavefront6targetE1EEEvSK_.num_agpr, 0
	.set _ZN7rocprim17ROCPRIM_400000_NS6detail17trampoline_kernelINS0_14default_configENS1_22reduce_config_selectorIjEEZNS1_11reduce_implILb1ES3_N6thrust23THRUST_200600_302600_NS6detail15normal_iteratorINS8_10device_ptrIjEEEEPjj11plus_mod_10IjEEE10hipError_tPvRmT1_T2_T3_mT4_P12ihipStream_tbEUlT_E0_NS1_11comp_targetILNS1_3genE9ELNS1_11target_archE1100ELNS1_3gpuE3ELNS1_3repE0EEENS1_30default_config_static_selectorELNS0_4arch9wavefront6targetE1EEEvSK_.numbered_sgpr, 0
	.set _ZN7rocprim17ROCPRIM_400000_NS6detail17trampoline_kernelINS0_14default_configENS1_22reduce_config_selectorIjEEZNS1_11reduce_implILb1ES3_N6thrust23THRUST_200600_302600_NS6detail15normal_iteratorINS8_10device_ptrIjEEEEPjj11plus_mod_10IjEEE10hipError_tPvRmT1_T2_T3_mT4_P12ihipStream_tbEUlT_E0_NS1_11comp_targetILNS1_3genE9ELNS1_11target_archE1100ELNS1_3gpuE3ELNS1_3repE0EEENS1_30default_config_static_selectorELNS0_4arch9wavefront6targetE1EEEvSK_.num_named_barrier, 0
	.set _ZN7rocprim17ROCPRIM_400000_NS6detail17trampoline_kernelINS0_14default_configENS1_22reduce_config_selectorIjEEZNS1_11reduce_implILb1ES3_N6thrust23THRUST_200600_302600_NS6detail15normal_iteratorINS8_10device_ptrIjEEEEPjj11plus_mod_10IjEEE10hipError_tPvRmT1_T2_T3_mT4_P12ihipStream_tbEUlT_E0_NS1_11comp_targetILNS1_3genE9ELNS1_11target_archE1100ELNS1_3gpuE3ELNS1_3repE0EEENS1_30default_config_static_selectorELNS0_4arch9wavefront6targetE1EEEvSK_.private_seg_size, 0
	.set _ZN7rocprim17ROCPRIM_400000_NS6detail17trampoline_kernelINS0_14default_configENS1_22reduce_config_selectorIjEEZNS1_11reduce_implILb1ES3_N6thrust23THRUST_200600_302600_NS6detail15normal_iteratorINS8_10device_ptrIjEEEEPjj11plus_mod_10IjEEE10hipError_tPvRmT1_T2_T3_mT4_P12ihipStream_tbEUlT_E0_NS1_11comp_targetILNS1_3genE9ELNS1_11target_archE1100ELNS1_3gpuE3ELNS1_3repE0EEENS1_30default_config_static_selectorELNS0_4arch9wavefront6targetE1EEEvSK_.uses_vcc, 0
	.set _ZN7rocprim17ROCPRIM_400000_NS6detail17trampoline_kernelINS0_14default_configENS1_22reduce_config_selectorIjEEZNS1_11reduce_implILb1ES3_N6thrust23THRUST_200600_302600_NS6detail15normal_iteratorINS8_10device_ptrIjEEEEPjj11plus_mod_10IjEEE10hipError_tPvRmT1_T2_T3_mT4_P12ihipStream_tbEUlT_E0_NS1_11comp_targetILNS1_3genE9ELNS1_11target_archE1100ELNS1_3gpuE3ELNS1_3repE0EEENS1_30default_config_static_selectorELNS0_4arch9wavefront6targetE1EEEvSK_.uses_flat_scratch, 0
	.set _ZN7rocprim17ROCPRIM_400000_NS6detail17trampoline_kernelINS0_14default_configENS1_22reduce_config_selectorIjEEZNS1_11reduce_implILb1ES3_N6thrust23THRUST_200600_302600_NS6detail15normal_iteratorINS8_10device_ptrIjEEEEPjj11plus_mod_10IjEEE10hipError_tPvRmT1_T2_T3_mT4_P12ihipStream_tbEUlT_E0_NS1_11comp_targetILNS1_3genE9ELNS1_11target_archE1100ELNS1_3gpuE3ELNS1_3repE0EEENS1_30default_config_static_selectorELNS0_4arch9wavefront6targetE1EEEvSK_.has_dyn_sized_stack, 0
	.set _ZN7rocprim17ROCPRIM_400000_NS6detail17trampoline_kernelINS0_14default_configENS1_22reduce_config_selectorIjEEZNS1_11reduce_implILb1ES3_N6thrust23THRUST_200600_302600_NS6detail15normal_iteratorINS8_10device_ptrIjEEEEPjj11plus_mod_10IjEEE10hipError_tPvRmT1_T2_T3_mT4_P12ihipStream_tbEUlT_E0_NS1_11comp_targetILNS1_3genE9ELNS1_11target_archE1100ELNS1_3gpuE3ELNS1_3repE0EEENS1_30default_config_static_selectorELNS0_4arch9wavefront6targetE1EEEvSK_.has_recursion, 0
	.set _ZN7rocprim17ROCPRIM_400000_NS6detail17trampoline_kernelINS0_14default_configENS1_22reduce_config_selectorIjEEZNS1_11reduce_implILb1ES3_N6thrust23THRUST_200600_302600_NS6detail15normal_iteratorINS8_10device_ptrIjEEEEPjj11plus_mod_10IjEEE10hipError_tPvRmT1_T2_T3_mT4_P12ihipStream_tbEUlT_E0_NS1_11comp_targetILNS1_3genE9ELNS1_11target_archE1100ELNS1_3gpuE3ELNS1_3repE0EEENS1_30default_config_static_selectorELNS0_4arch9wavefront6targetE1EEEvSK_.has_indirect_call, 0
	.section	.AMDGPU.csdata,"",@progbits
; Kernel info:
; codeLenInByte = 0
; TotalNumSgprs: 6
; NumVgprs: 0
; NumAgprs: 0
; TotalNumVgprs: 0
; ScratchSize: 0
; MemoryBound: 0
; FloatMode: 240
; IeeeMode: 1
; LDSByteSize: 0 bytes/workgroup (compile time only)
; SGPRBlocks: 0
; VGPRBlocks: 0
; NumSGPRsForWavesPerEU: 6
; NumVGPRsForWavesPerEU: 1
; AccumOffset: 4
; Occupancy: 8
; WaveLimiterHint : 0
; COMPUTE_PGM_RSRC2:SCRATCH_EN: 0
; COMPUTE_PGM_RSRC2:USER_SGPR: 2
; COMPUTE_PGM_RSRC2:TRAP_HANDLER: 0
; COMPUTE_PGM_RSRC2:TGID_X_EN: 1
; COMPUTE_PGM_RSRC2:TGID_Y_EN: 0
; COMPUTE_PGM_RSRC2:TGID_Z_EN: 0
; COMPUTE_PGM_RSRC2:TIDIG_COMP_CNT: 0
; COMPUTE_PGM_RSRC3_GFX90A:ACCUM_OFFSET: 0
; COMPUTE_PGM_RSRC3_GFX90A:TG_SPLIT: 0
	.section	.text._ZN7rocprim17ROCPRIM_400000_NS6detail17trampoline_kernelINS0_14default_configENS1_22reduce_config_selectorIjEEZNS1_11reduce_implILb1ES3_N6thrust23THRUST_200600_302600_NS6detail15normal_iteratorINS8_10device_ptrIjEEEEPjj11plus_mod_10IjEEE10hipError_tPvRmT1_T2_T3_mT4_P12ihipStream_tbEUlT_E0_NS1_11comp_targetILNS1_3genE8ELNS1_11target_archE1030ELNS1_3gpuE2ELNS1_3repE0EEENS1_30default_config_static_selectorELNS0_4arch9wavefront6targetE1EEEvSK_,"axG",@progbits,_ZN7rocprim17ROCPRIM_400000_NS6detail17trampoline_kernelINS0_14default_configENS1_22reduce_config_selectorIjEEZNS1_11reduce_implILb1ES3_N6thrust23THRUST_200600_302600_NS6detail15normal_iteratorINS8_10device_ptrIjEEEEPjj11plus_mod_10IjEEE10hipError_tPvRmT1_T2_T3_mT4_P12ihipStream_tbEUlT_E0_NS1_11comp_targetILNS1_3genE8ELNS1_11target_archE1030ELNS1_3gpuE2ELNS1_3repE0EEENS1_30default_config_static_selectorELNS0_4arch9wavefront6targetE1EEEvSK_,comdat
	.protected	_ZN7rocprim17ROCPRIM_400000_NS6detail17trampoline_kernelINS0_14default_configENS1_22reduce_config_selectorIjEEZNS1_11reduce_implILb1ES3_N6thrust23THRUST_200600_302600_NS6detail15normal_iteratorINS8_10device_ptrIjEEEEPjj11plus_mod_10IjEEE10hipError_tPvRmT1_T2_T3_mT4_P12ihipStream_tbEUlT_E0_NS1_11comp_targetILNS1_3genE8ELNS1_11target_archE1030ELNS1_3gpuE2ELNS1_3repE0EEENS1_30default_config_static_selectorELNS0_4arch9wavefront6targetE1EEEvSK_ ; -- Begin function _ZN7rocprim17ROCPRIM_400000_NS6detail17trampoline_kernelINS0_14default_configENS1_22reduce_config_selectorIjEEZNS1_11reduce_implILb1ES3_N6thrust23THRUST_200600_302600_NS6detail15normal_iteratorINS8_10device_ptrIjEEEEPjj11plus_mod_10IjEEE10hipError_tPvRmT1_T2_T3_mT4_P12ihipStream_tbEUlT_E0_NS1_11comp_targetILNS1_3genE8ELNS1_11target_archE1030ELNS1_3gpuE2ELNS1_3repE0EEENS1_30default_config_static_selectorELNS0_4arch9wavefront6targetE1EEEvSK_
	.globl	_ZN7rocprim17ROCPRIM_400000_NS6detail17trampoline_kernelINS0_14default_configENS1_22reduce_config_selectorIjEEZNS1_11reduce_implILb1ES3_N6thrust23THRUST_200600_302600_NS6detail15normal_iteratorINS8_10device_ptrIjEEEEPjj11plus_mod_10IjEEE10hipError_tPvRmT1_T2_T3_mT4_P12ihipStream_tbEUlT_E0_NS1_11comp_targetILNS1_3genE8ELNS1_11target_archE1030ELNS1_3gpuE2ELNS1_3repE0EEENS1_30default_config_static_selectorELNS0_4arch9wavefront6targetE1EEEvSK_
	.p2align	8
	.type	_ZN7rocprim17ROCPRIM_400000_NS6detail17trampoline_kernelINS0_14default_configENS1_22reduce_config_selectorIjEEZNS1_11reduce_implILb1ES3_N6thrust23THRUST_200600_302600_NS6detail15normal_iteratorINS8_10device_ptrIjEEEEPjj11plus_mod_10IjEEE10hipError_tPvRmT1_T2_T3_mT4_P12ihipStream_tbEUlT_E0_NS1_11comp_targetILNS1_3genE8ELNS1_11target_archE1030ELNS1_3gpuE2ELNS1_3repE0EEENS1_30default_config_static_selectorELNS0_4arch9wavefront6targetE1EEEvSK_,@function
_ZN7rocprim17ROCPRIM_400000_NS6detail17trampoline_kernelINS0_14default_configENS1_22reduce_config_selectorIjEEZNS1_11reduce_implILb1ES3_N6thrust23THRUST_200600_302600_NS6detail15normal_iteratorINS8_10device_ptrIjEEEEPjj11plus_mod_10IjEEE10hipError_tPvRmT1_T2_T3_mT4_P12ihipStream_tbEUlT_E0_NS1_11comp_targetILNS1_3genE8ELNS1_11target_archE1030ELNS1_3gpuE2ELNS1_3repE0EEENS1_30default_config_static_selectorELNS0_4arch9wavefront6targetE1EEEvSK_: ; @_ZN7rocprim17ROCPRIM_400000_NS6detail17trampoline_kernelINS0_14default_configENS1_22reduce_config_selectorIjEEZNS1_11reduce_implILb1ES3_N6thrust23THRUST_200600_302600_NS6detail15normal_iteratorINS8_10device_ptrIjEEEEPjj11plus_mod_10IjEEE10hipError_tPvRmT1_T2_T3_mT4_P12ihipStream_tbEUlT_E0_NS1_11comp_targetILNS1_3genE8ELNS1_11target_archE1030ELNS1_3gpuE2ELNS1_3repE0EEENS1_30default_config_static_selectorELNS0_4arch9wavefront6targetE1EEEvSK_
; %bb.0:
	.section	.rodata,"a",@progbits
	.p2align	6, 0x0
	.amdhsa_kernel _ZN7rocprim17ROCPRIM_400000_NS6detail17trampoline_kernelINS0_14default_configENS1_22reduce_config_selectorIjEEZNS1_11reduce_implILb1ES3_N6thrust23THRUST_200600_302600_NS6detail15normal_iteratorINS8_10device_ptrIjEEEEPjj11plus_mod_10IjEEE10hipError_tPvRmT1_T2_T3_mT4_P12ihipStream_tbEUlT_E0_NS1_11comp_targetILNS1_3genE8ELNS1_11target_archE1030ELNS1_3gpuE2ELNS1_3repE0EEENS1_30default_config_static_selectorELNS0_4arch9wavefront6targetE1EEEvSK_
		.amdhsa_group_segment_fixed_size 0
		.amdhsa_private_segment_fixed_size 0
		.amdhsa_kernarg_size 56
		.amdhsa_user_sgpr_count 2
		.amdhsa_user_sgpr_dispatch_ptr 0
		.amdhsa_user_sgpr_queue_ptr 0
		.amdhsa_user_sgpr_kernarg_segment_ptr 1
		.amdhsa_user_sgpr_dispatch_id 0
		.amdhsa_user_sgpr_kernarg_preload_length 0
		.amdhsa_user_sgpr_kernarg_preload_offset 0
		.amdhsa_user_sgpr_private_segment_size 0
		.amdhsa_uses_dynamic_stack 0
		.amdhsa_enable_private_segment 0
		.amdhsa_system_sgpr_workgroup_id_x 1
		.amdhsa_system_sgpr_workgroup_id_y 0
		.amdhsa_system_sgpr_workgroup_id_z 0
		.amdhsa_system_sgpr_workgroup_info 0
		.amdhsa_system_vgpr_workitem_id 0
		.amdhsa_next_free_vgpr 1
		.amdhsa_next_free_sgpr 0
		.amdhsa_accum_offset 4
		.amdhsa_reserve_vcc 0
		.amdhsa_float_round_mode_32 0
		.amdhsa_float_round_mode_16_64 0
		.amdhsa_float_denorm_mode_32 3
		.amdhsa_float_denorm_mode_16_64 3
		.amdhsa_dx10_clamp 1
		.amdhsa_ieee_mode 1
		.amdhsa_fp16_overflow 0
		.amdhsa_tg_split 0
		.amdhsa_exception_fp_ieee_invalid_op 0
		.amdhsa_exception_fp_denorm_src 0
		.amdhsa_exception_fp_ieee_div_zero 0
		.amdhsa_exception_fp_ieee_overflow 0
		.amdhsa_exception_fp_ieee_underflow 0
		.amdhsa_exception_fp_ieee_inexact 0
		.amdhsa_exception_int_div_zero 0
	.end_amdhsa_kernel
	.section	.text._ZN7rocprim17ROCPRIM_400000_NS6detail17trampoline_kernelINS0_14default_configENS1_22reduce_config_selectorIjEEZNS1_11reduce_implILb1ES3_N6thrust23THRUST_200600_302600_NS6detail15normal_iteratorINS8_10device_ptrIjEEEEPjj11plus_mod_10IjEEE10hipError_tPvRmT1_T2_T3_mT4_P12ihipStream_tbEUlT_E0_NS1_11comp_targetILNS1_3genE8ELNS1_11target_archE1030ELNS1_3gpuE2ELNS1_3repE0EEENS1_30default_config_static_selectorELNS0_4arch9wavefront6targetE1EEEvSK_,"axG",@progbits,_ZN7rocprim17ROCPRIM_400000_NS6detail17trampoline_kernelINS0_14default_configENS1_22reduce_config_selectorIjEEZNS1_11reduce_implILb1ES3_N6thrust23THRUST_200600_302600_NS6detail15normal_iteratorINS8_10device_ptrIjEEEEPjj11plus_mod_10IjEEE10hipError_tPvRmT1_T2_T3_mT4_P12ihipStream_tbEUlT_E0_NS1_11comp_targetILNS1_3genE8ELNS1_11target_archE1030ELNS1_3gpuE2ELNS1_3repE0EEENS1_30default_config_static_selectorELNS0_4arch9wavefront6targetE1EEEvSK_,comdat
.Lfunc_end611:
	.size	_ZN7rocprim17ROCPRIM_400000_NS6detail17trampoline_kernelINS0_14default_configENS1_22reduce_config_selectorIjEEZNS1_11reduce_implILb1ES3_N6thrust23THRUST_200600_302600_NS6detail15normal_iteratorINS8_10device_ptrIjEEEEPjj11plus_mod_10IjEEE10hipError_tPvRmT1_T2_T3_mT4_P12ihipStream_tbEUlT_E0_NS1_11comp_targetILNS1_3genE8ELNS1_11target_archE1030ELNS1_3gpuE2ELNS1_3repE0EEENS1_30default_config_static_selectorELNS0_4arch9wavefront6targetE1EEEvSK_, .Lfunc_end611-_ZN7rocprim17ROCPRIM_400000_NS6detail17trampoline_kernelINS0_14default_configENS1_22reduce_config_selectorIjEEZNS1_11reduce_implILb1ES3_N6thrust23THRUST_200600_302600_NS6detail15normal_iteratorINS8_10device_ptrIjEEEEPjj11plus_mod_10IjEEE10hipError_tPvRmT1_T2_T3_mT4_P12ihipStream_tbEUlT_E0_NS1_11comp_targetILNS1_3genE8ELNS1_11target_archE1030ELNS1_3gpuE2ELNS1_3repE0EEENS1_30default_config_static_selectorELNS0_4arch9wavefront6targetE1EEEvSK_
                                        ; -- End function
	.set _ZN7rocprim17ROCPRIM_400000_NS6detail17trampoline_kernelINS0_14default_configENS1_22reduce_config_selectorIjEEZNS1_11reduce_implILb1ES3_N6thrust23THRUST_200600_302600_NS6detail15normal_iteratorINS8_10device_ptrIjEEEEPjj11plus_mod_10IjEEE10hipError_tPvRmT1_T2_T3_mT4_P12ihipStream_tbEUlT_E0_NS1_11comp_targetILNS1_3genE8ELNS1_11target_archE1030ELNS1_3gpuE2ELNS1_3repE0EEENS1_30default_config_static_selectorELNS0_4arch9wavefront6targetE1EEEvSK_.num_vgpr, 0
	.set _ZN7rocprim17ROCPRIM_400000_NS6detail17trampoline_kernelINS0_14default_configENS1_22reduce_config_selectorIjEEZNS1_11reduce_implILb1ES3_N6thrust23THRUST_200600_302600_NS6detail15normal_iteratorINS8_10device_ptrIjEEEEPjj11plus_mod_10IjEEE10hipError_tPvRmT1_T2_T3_mT4_P12ihipStream_tbEUlT_E0_NS1_11comp_targetILNS1_3genE8ELNS1_11target_archE1030ELNS1_3gpuE2ELNS1_3repE0EEENS1_30default_config_static_selectorELNS0_4arch9wavefront6targetE1EEEvSK_.num_agpr, 0
	.set _ZN7rocprim17ROCPRIM_400000_NS6detail17trampoline_kernelINS0_14default_configENS1_22reduce_config_selectorIjEEZNS1_11reduce_implILb1ES3_N6thrust23THRUST_200600_302600_NS6detail15normal_iteratorINS8_10device_ptrIjEEEEPjj11plus_mod_10IjEEE10hipError_tPvRmT1_T2_T3_mT4_P12ihipStream_tbEUlT_E0_NS1_11comp_targetILNS1_3genE8ELNS1_11target_archE1030ELNS1_3gpuE2ELNS1_3repE0EEENS1_30default_config_static_selectorELNS0_4arch9wavefront6targetE1EEEvSK_.numbered_sgpr, 0
	.set _ZN7rocprim17ROCPRIM_400000_NS6detail17trampoline_kernelINS0_14default_configENS1_22reduce_config_selectorIjEEZNS1_11reduce_implILb1ES3_N6thrust23THRUST_200600_302600_NS6detail15normal_iteratorINS8_10device_ptrIjEEEEPjj11plus_mod_10IjEEE10hipError_tPvRmT1_T2_T3_mT4_P12ihipStream_tbEUlT_E0_NS1_11comp_targetILNS1_3genE8ELNS1_11target_archE1030ELNS1_3gpuE2ELNS1_3repE0EEENS1_30default_config_static_selectorELNS0_4arch9wavefront6targetE1EEEvSK_.num_named_barrier, 0
	.set _ZN7rocprim17ROCPRIM_400000_NS6detail17trampoline_kernelINS0_14default_configENS1_22reduce_config_selectorIjEEZNS1_11reduce_implILb1ES3_N6thrust23THRUST_200600_302600_NS6detail15normal_iteratorINS8_10device_ptrIjEEEEPjj11plus_mod_10IjEEE10hipError_tPvRmT1_T2_T3_mT4_P12ihipStream_tbEUlT_E0_NS1_11comp_targetILNS1_3genE8ELNS1_11target_archE1030ELNS1_3gpuE2ELNS1_3repE0EEENS1_30default_config_static_selectorELNS0_4arch9wavefront6targetE1EEEvSK_.private_seg_size, 0
	.set _ZN7rocprim17ROCPRIM_400000_NS6detail17trampoline_kernelINS0_14default_configENS1_22reduce_config_selectorIjEEZNS1_11reduce_implILb1ES3_N6thrust23THRUST_200600_302600_NS6detail15normal_iteratorINS8_10device_ptrIjEEEEPjj11plus_mod_10IjEEE10hipError_tPvRmT1_T2_T3_mT4_P12ihipStream_tbEUlT_E0_NS1_11comp_targetILNS1_3genE8ELNS1_11target_archE1030ELNS1_3gpuE2ELNS1_3repE0EEENS1_30default_config_static_selectorELNS0_4arch9wavefront6targetE1EEEvSK_.uses_vcc, 0
	.set _ZN7rocprim17ROCPRIM_400000_NS6detail17trampoline_kernelINS0_14default_configENS1_22reduce_config_selectorIjEEZNS1_11reduce_implILb1ES3_N6thrust23THRUST_200600_302600_NS6detail15normal_iteratorINS8_10device_ptrIjEEEEPjj11plus_mod_10IjEEE10hipError_tPvRmT1_T2_T3_mT4_P12ihipStream_tbEUlT_E0_NS1_11comp_targetILNS1_3genE8ELNS1_11target_archE1030ELNS1_3gpuE2ELNS1_3repE0EEENS1_30default_config_static_selectorELNS0_4arch9wavefront6targetE1EEEvSK_.uses_flat_scratch, 0
	.set _ZN7rocprim17ROCPRIM_400000_NS6detail17trampoline_kernelINS0_14default_configENS1_22reduce_config_selectorIjEEZNS1_11reduce_implILb1ES3_N6thrust23THRUST_200600_302600_NS6detail15normal_iteratorINS8_10device_ptrIjEEEEPjj11plus_mod_10IjEEE10hipError_tPvRmT1_T2_T3_mT4_P12ihipStream_tbEUlT_E0_NS1_11comp_targetILNS1_3genE8ELNS1_11target_archE1030ELNS1_3gpuE2ELNS1_3repE0EEENS1_30default_config_static_selectorELNS0_4arch9wavefront6targetE1EEEvSK_.has_dyn_sized_stack, 0
	.set _ZN7rocprim17ROCPRIM_400000_NS6detail17trampoline_kernelINS0_14default_configENS1_22reduce_config_selectorIjEEZNS1_11reduce_implILb1ES3_N6thrust23THRUST_200600_302600_NS6detail15normal_iteratorINS8_10device_ptrIjEEEEPjj11plus_mod_10IjEEE10hipError_tPvRmT1_T2_T3_mT4_P12ihipStream_tbEUlT_E0_NS1_11comp_targetILNS1_3genE8ELNS1_11target_archE1030ELNS1_3gpuE2ELNS1_3repE0EEENS1_30default_config_static_selectorELNS0_4arch9wavefront6targetE1EEEvSK_.has_recursion, 0
	.set _ZN7rocprim17ROCPRIM_400000_NS6detail17trampoline_kernelINS0_14default_configENS1_22reduce_config_selectorIjEEZNS1_11reduce_implILb1ES3_N6thrust23THRUST_200600_302600_NS6detail15normal_iteratorINS8_10device_ptrIjEEEEPjj11plus_mod_10IjEEE10hipError_tPvRmT1_T2_T3_mT4_P12ihipStream_tbEUlT_E0_NS1_11comp_targetILNS1_3genE8ELNS1_11target_archE1030ELNS1_3gpuE2ELNS1_3repE0EEENS1_30default_config_static_selectorELNS0_4arch9wavefront6targetE1EEEvSK_.has_indirect_call, 0
	.section	.AMDGPU.csdata,"",@progbits
; Kernel info:
; codeLenInByte = 0
; TotalNumSgprs: 6
; NumVgprs: 0
; NumAgprs: 0
; TotalNumVgprs: 0
; ScratchSize: 0
; MemoryBound: 0
; FloatMode: 240
; IeeeMode: 1
; LDSByteSize: 0 bytes/workgroup (compile time only)
; SGPRBlocks: 0
; VGPRBlocks: 0
; NumSGPRsForWavesPerEU: 6
; NumVGPRsForWavesPerEU: 1
; AccumOffset: 4
; Occupancy: 8
; WaveLimiterHint : 0
; COMPUTE_PGM_RSRC2:SCRATCH_EN: 0
; COMPUTE_PGM_RSRC2:USER_SGPR: 2
; COMPUTE_PGM_RSRC2:TRAP_HANDLER: 0
; COMPUTE_PGM_RSRC2:TGID_X_EN: 1
; COMPUTE_PGM_RSRC2:TGID_Y_EN: 0
; COMPUTE_PGM_RSRC2:TGID_Z_EN: 0
; COMPUTE_PGM_RSRC2:TIDIG_COMP_CNT: 0
; COMPUTE_PGM_RSRC3_GFX90A:ACCUM_OFFSET: 0
; COMPUTE_PGM_RSRC3_GFX90A:TG_SPLIT: 0
	.section	.text._ZN7rocprim17ROCPRIM_400000_NS6detail17trampoline_kernelINS0_14default_configENS1_22reduce_config_selectorIjEEZNS1_11reduce_implILb1ES3_N6thrust23THRUST_200600_302600_NS6detail15normal_iteratorINS8_10device_ptrIjEEEEPjj11plus_mod_10IjEEE10hipError_tPvRmT1_T2_T3_mT4_P12ihipStream_tbEUlT_E1_NS1_11comp_targetILNS1_3genE0ELNS1_11target_archE4294967295ELNS1_3gpuE0ELNS1_3repE0EEENS1_30default_config_static_selectorELNS0_4arch9wavefront6targetE1EEEvSK_,"axG",@progbits,_ZN7rocprim17ROCPRIM_400000_NS6detail17trampoline_kernelINS0_14default_configENS1_22reduce_config_selectorIjEEZNS1_11reduce_implILb1ES3_N6thrust23THRUST_200600_302600_NS6detail15normal_iteratorINS8_10device_ptrIjEEEEPjj11plus_mod_10IjEEE10hipError_tPvRmT1_T2_T3_mT4_P12ihipStream_tbEUlT_E1_NS1_11comp_targetILNS1_3genE0ELNS1_11target_archE4294967295ELNS1_3gpuE0ELNS1_3repE0EEENS1_30default_config_static_selectorELNS0_4arch9wavefront6targetE1EEEvSK_,comdat
	.protected	_ZN7rocprim17ROCPRIM_400000_NS6detail17trampoline_kernelINS0_14default_configENS1_22reduce_config_selectorIjEEZNS1_11reduce_implILb1ES3_N6thrust23THRUST_200600_302600_NS6detail15normal_iteratorINS8_10device_ptrIjEEEEPjj11plus_mod_10IjEEE10hipError_tPvRmT1_T2_T3_mT4_P12ihipStream_tbEUlT_E1_NS1_11comp_targetILNS1_3genE0ELNS1_11target_archE4294967295ELNS1_3gpuE0ELNS1_3repE0EEENS1_30default_config_static_selectorELNS0_4arch9wavefront6targetE1EEEvSK_ ; -- Begin function _ZN7rocprim17ROCPRIM_400000_NS6detail17trampoline_kernelINS0_14default_configENS1_22reduce_config_selectorIjEEZNS1_11reduce_implILb1ES3_N6thrust23THRUST_200600_302600_NS6detail15normal_iteratorINS8_10device_ptrIjEEEEPjj11plus_mod_10IjEEE10hipError_tPvRmT1_T2_T3_mT4_P12ihipStream_tbEUlT_E1_NS1_11comp_targetILNS1_3genE0ELNS1_11target_archE4294967295ELNS1_3gpuE0ELNS1_3repE0EEENS1_30default_config_static_selectorELNS0_4arch9wavefront6targetE1EEEvSK_
	.globl	_ZN7rocprim17ROCPRIM_400000_NS6detail17trampoline_kernelINS0_14default_configENS1_22reduce_config_selectorIjEEZNS1_11reduce_implILb1ES3_N6thrust23THRUST_200600_302600_NS6detail15normal_iteratorINS8_10device_ptrIjEEEEPjj11plus_mod_10IjEEE10hipError_tPvRmT1_T2_T3_mT4_P12ihipStream_tbEUlT_E1_NS1_11comp_targetILNS1_3genE0ELNS1_11target_archE4294967295ELNS1_3gpuE0ELNS1_3repE0EEENS1_30default_config_static_selectorELNS0_4arch9wavefront6targetE1EEEvSK_
	.p2align	8
	.type	_ZN7rocprim17ROCPRIM_400000_NS6detail17trampoline_kernelINS0_14default_configENS1_22reduce_config_selectorIjEEZNS1_11reduce_implILb1ES3_N6thrust23THRUST_200600_302600_NS6detail15normal_iteratorINS8_10device_ptrIjEEEEPjj11plus_mod_10IjEEE10hipError_tPvRmT1_T2_T3_mT4_P12ihipStream_tbEUlT_E1_NS1_11comp_targetILNS1_3genE0ELNS1_11target_archE4294967295ELNS1_3gpuE0ELNS1_3repE0EEENS1_30default_config_static_selectorELNS0_4arch9wavefront6targetE1EEEvSK_,@function
_ZN7rocprim17ROCPRIM_400000_NS6detail17trampoline_kernelINS0_14default_configENS1_22reduce_config_selectorIjEEZNS1_11reduce_implILb1ES3_N6thrust23THRUST_200600_302600_NS6detail15normal_iteratorINS8_10device_ptrIjEEEEPjj11plus_mod_10IjEEE10hipError_tPvRmT1_T2_T3_mT4_P12ihipStream_tbEUlT_E1_NS1_11comp_targetILNS1_3genE0ELNS1_11target_archE4294967295ELNS1_3gpuE0ELNS1_3repE0EEENS1_30default_config_static_selectorELNS0_4arch9wavefront6targetE1EEEvSK_: ; @_ZN7rocprim17ROCPRIM_400000_NS6detail17trampoline_kernelINS0_14default_configENS1_22reduce_config_selectorIjEEZNS1_11reduce_implILb1ES3_N6thrust23THRUST_200600_302600_NS6detail15normal_iteratorINS8_10device_ptrIjEEEEPjj11plus_mod_10IjEEE10hipError_tPvRmT1_T2_T3_mT4_P12ihipStream_tbEUlT_E1_NS1_11comp_targetILNS1_3genE0ELNS1_11target_archE4294967295ELNS1_3gpuE0ELNS1_3repE0EEENS1_30default_config_static_selectorELNS0_4arch9wavefront6targetE1EEEvSK_
; %bb.0:
	s_load_dword s76, s[0:1], 0x4
	s_load_dwordx4 s[68:71], s[0:1], 0x8
	s_load_dword s33, s[0:1], 0x20
	s_waitcnt lgkmcnt(0)
	s_cmp_lt_i32 s76, 8
	s_cbranch_scc1 .LBB612_10
; %bb.1:
	s_cmp_gt_i32 s76, 15
	s_cbranch_scc0 .LBB612_11
; %bb.2:
	s_cmp_gt_i32 s76, 31
	s_cbranch_scc0 .LBB612_12
; %bb.3:
	s_cmp_eq_u32 s76, 32
	s_mov_b64 s[66:67], 0
	s_cbranch_scc0 .LBB612_13
; %bb.4:
	s_mov_b32 s3, 0
	s_lshl_b32 s4, s2, 13
	s_mov_b32 s5, s3
	s_lshr_b64 s[6:7], s[70:71], 13
	s_lshl_b64 s[8:9], s[4:5], 2
	s_add_u32 s72, s68, s8
	s_addc_u32 s73, s69, s9
	s_cmp_lg_u64 s[6:7], s[2:3]
	s_cbranch_scc0 .LBB612_22
; %bb.5:
	v_lshlrev_b32_e32 v2, 2, v0
	global_load_dword v1, v2, s[72:73] offset:1024
	global_load_dword v10, v2, s[72:73]
	global_load_dword v11, v2, s[72:73] offset:2048
	global_load_dword v12, v2, s[72:73] offset:3072
	v_mov_b32_e32 v3, 0
	v_lshl_add_u64 v[4:5], s[72:73], 0, v[2:3]
	v_add_co_u32_e32 v2, vcc, 0x1000, v4
	s_mov_b32 s5, 0xcccccccd
	s_nop 0
	v_addc_co_u32_e32 v3, vcc, 0, v5, vcc
	v_add_co_u32_e32 v6, vcc, 0x2000, v4
	s_waitcnt vmcnt(1)
	v_mul_hi_u32 v35, v11, s5
	v_addc_co_u32_e32 v7, vcc, 0, v5, vcc
	global_load_dword v13, v[2:3], off
	global_load_dword v14, v[2:3], off offset:1024
	global_load_dword v15, v[2:3], off offset:2048
	global_load_dword v16, v[2:3], off offset:3072
	global_load_dword v17, v[6:7], off
	global_load_dword v18, v[6:7], off offset:1024
	global_load_dword v19, v[6:7], off offset:2048
	global_load_dword v20, v[6:7], off offset:3072
	v_add_co_u32_e32 v8, vcc, 0x3000, v4
	v_lshrrev_b32_e32 v35, 3, v35
	s_nop 0
	v_addc_co_u32_e32 v9, vcc, 0, v5, vcc
	v_add_co_u32_e32 v2, vcc, 0x4000, v4
	v_mul_lo_u32 v35, v35, 10
	s_nop 0
	v_addc_co_u32_e32 v3, vcc, 0, v5, vcc
	v_add_co_u32_e32 v6, vcc, 0x5000, v4
	global_load_dword v21, v[8:9], off
	global_load_dword v22, v[8:9], off offset:1024
	global_load_dword v23, v[8:9], off offset:2048
	;; [unrolled: 1-line block ×3, first 2 shown]
	global_load_dword v25, v[2:3], off
	global_load_dword v26, v[2:3], off offset:1024
	global_load_dword v27, v[2:3], off offset:2048
	;; [unrolled: 1-line block ×3, first 2 shown]
	v_addc_co_u32_e32 v7, vcc, 0, v5, vcc
	v_add_co_u32_e32 v2, vcc, 0x6000, v4
	s_nop 1
	v_addc_co_u32_e32 v3, vcc, 0, v5, vcc
	v_add_co_u32_e32 v4, vcc, 0x7000, v4
	global_load_dword v8, v[6:7], off
	global_load_dword v9, v[6:7], off offset:1024
	global_load_dword v29, v[6:7], off offset:2048
	;; [unrolled: 1-line block ×3, first 2 shown]
	global_load_dword v31, v[2:3], off
	global_load_dword v32, v[2:3], off offset:1024
	global_load_dword v33, v[2:3], off offset:2048
	;; [unrolled: 1-line block ×3, first 2 shown]
	v_addc_co_u32_e32 v5, vcc, 0, v5, vcc
	global_load_dword v2, v[4:5], off
	global_load_dword v3, v[4:5], off offset:1024
	global_load_dword v6, v[4:5], off offset:2048
	;; [unrolled: 1-line block ×3, first 2 shown]
	v_mul_hi_u32 v4, v1, s5
	v_mul_hi_u32 v5, v10, s5
	v_lshrrev_b32_e32 v4, 3, v4
	v_lshrrev_b32_e32 v5, 3, v5
	v_mul_lo_u32 v4, v4, 10
	v_mul_lo_u32 v5, v5, 10
	v_sub_u32_e32 v1, v1, v4
	v_sub_u32_e32 v4, v10, v5
	v_add_u32_e32 v1, v1, v4
	v_subrev_co_u32_e32 v4, vcc, 10, v1
	v_sub_u32_e32 v5, v11, v35
	s_nop 0
	v_cndmask_b32_e32 v1, v4, v1, vcc
	v_mul_hi_u32 v4, v1, s5
	v_lshrrev_b32_e32 v4, 3, v4
	v_mul_lo_u32 v4, v4, 10
	v_sub_u32_e32 v1, v1, v4
	v_add_u32_e32 v1, v1, v5
	v_subrev_co_u32_e32 v4, vcc, 10, v1
	s_nop 1
	v_cndmask_b32_e32 v1, v4, v1, vcc
	s_waitcnt vmcnt(28)
	v_mul_hi_u32 v4, v12, s5
	v_mul_hi_u32 v5, v1, s5
	v_lshrrev_b32_e32 v4, 3, v4
	v_lshrrev_b32_e32 v5, 3, v5
	v_mul_lo_u32 v4, v4, 10
	v_mul_lo_u32 v5, v5, 10
	v_sub_u32_e32 v4, v12, v4
	v_sub_u32_e32 v1, v1, v5
	v_add_u32_e32 v1, v1, v4
	v_subrev_co_u32_e32 v4, vcc, 10, v1
	s_nop 1
	v_cndmask_b32_e32 v1, v4, v1, vcc
	v_mul_hi_u32 v5, v1, s5
	v_lshrrev_b32_e32 v5, 3, v5
	v_mul_lo_u32 v5, v5, 10
	v_sub_u32_e32 v1, v1, v5
	s_waitcnt vmcnt(27)
	v_mul_hi_u32 v4, v13, s5
	v_lshrrev_b32_e32 v4, 3, v4
	v_mul_lo_u32 v4, v4, 10
	v_sub_u32_e32 v4, v13, v4
	v_add_u32_e32 v1, v1, v4
	v_subrev_co_u32_e32 v4, vcc, 10, v1
	s_nop 1
	v_cndmask_b32_e32 v1, v4, v1, vcc
	s_waitcnt vmcnt(26)
	v_mul_hi_u32 v4, v14, s5
	v_mul_hi_u32 v5, v1, s5
	v_lshrrev_b32_e32 v4, 3, v4
	v_lshrrev_b32_e32 v5, 3, v5
	v_mul_lo_u32 v4, v4, 10
	v_mul_lo_u32 v5, v5, 10
	v_sub_u32_e32 v4, v14, v4
	v_sub_u32_e32 v1, v1, v5
	v_add_u32_e32 v1, v1, v4
	v_subrev_co_u32_e32 v4, vcc, 10, v1
	s_nop 1
	v_cndmask_b32_e32 v1, v4, v1, vcc
	s_waitcnt vmcnt(25)
	v_mul_hi_u32 v4, v15, s5
	v_mul_hi_u32 v5, v1, s5
	v_lshrrev_b32_e32 v4, 3, v4
	v_lshrrev_b32_e32 v5, 3, v5
	v_mul_lo_u32 v4, v4, 10
	v_mul_lo_u32 v5, v5, 10
	v_sub_u32_e32 v4, v15, v4
	;; [unrolled: 13-line block ×23, first 2 shown]
	v_sub_u32_e32 v1, v1, v5
	v_add_u32_e32 v1, v1, v4
	v_subrev_co_u32_e32 v4, vcc, 10, v1
	s_nop 1
	v_cndmask_b32_e32 v1, v4, v1, vcc
	s_waitcnt vmcnt(3)
	v_mul_hi_u32 v4, v2, s5
	v_lshrrev_b32_e32 v4, 3, v4
	v_mul_lo_u32 v4, v4, 10
	v_sub_u32_e32 v2, v2, v4
	v_mul_hi_u32 v4, v1, s5
	v_lshrrev_b32_e32 v4, 3, v4
	v_mul_lo_u32 v4, v4, 10
	v_sub_u32_e32 v1, v1, v4
	v_add_u32_e32 v1, v1, v2
	v_subrev_co_u32_e32 v2, vcc, 10, v1
	s_nop 1
	v_cndmask_b32_e32 v1, v2, v1, vcc
	s_waitcnt vmcnt(2)
	v_mul_hi_u32 v2, v3, s5
	v_lshrrev_b32_e32 v2, 3, v2
	v_mul_lo_u32 v2, v2, 10
	v_sub_u32_e32 v2, v3, v2
	v_mul_hi_u32 v3, v1, s5
	v_lshrrev_b32_e32 v3, 3, v3
	v_mul_lo_u32 v3, v3, 10
	v_sub_u32_e32 v1, v1, v3
	v_add_u32_e32 v1, v1, v2
	v_subrev_co_u32_e32 v2, vcc, 10, v1
	s_nop 1
	v_cndmask_b32_e32 v1, v2, v1, vcc
	s_waitcnt vmcnt(1)
	v_mul_hi_u32 v2, v6, s5
	v_mul_hi_u32 v3, v1, s5
	v_lshrrev_b32_e32 v2, 3, v2
	v_lshrrev_b32_e32 v3, 3, v3
	v_mul_lo_u32 v2, v2, 10
	v_mul_lo_u32 v3, v3, 10
	v_sub_u32_e32 v2, v6, v2
	v_sub_u32_e32 v1, v1, v3
	v_add_u32_e32 v1, v1, v2
	v_subrev_co_u32_e32 v2, vcc, 10, v1
	s_nop 1
	v_cndmask_b32_e32 v1, v2, v1, vcc
	s_waitcnt vmcnt(0)
	v_mul_hi_u32 v2, v7, s5
	v_mul_hi_u32 v3, v1, s5
	v_lshrrev_b32_e32 v2, 3, v2
	v_lshrrev_b32_e32 v3, 3, v3
	v_mul_lo_u32 v2, v2, 10
	v_mul_lo_u32 v3, v3, 10
	v_sub_u32_e32 v2, v7, v2
	v_sub_u32_e32 v1, v1, v3
	v_add_u32_e32 v1, v1, v2
	v_subrev_co_u32_e32 v2, vcc, 10, v1
	s_nop 1
	v_cndmask_b32_e32 v2, v2, v1, vcc
	v_mul_hi_u32 v4, v2, s5
	v_lshrrev_b32_e32 v4, 3, v4
	v_mov_b32_dpp v3, v2 quad_perm:[1,0,3,2] row_mask:0xf bank_mask:0xf bound_ctrl:1
	v_mul_lo_u32 v4, v4, 10
	v_sub_u32_e32 v2, v2, v4
	v_mul_hi_u32 v4, v3, s5
	v_lshrrev_b32_e32 v4, 3, v4
	v_mul_lo_u32 v4, v4, 10
	v_sub_u32_e32 v3, v3, v4
	v_add_u32_e32 v2, v2, v3
	v_subrev_co_u32_e32 v3, vcc, 10, v2
	v_mbcnt_lo_u32_b32 v1, -1, 0
	s_nop 0
	v_cndmask_b32_e32 v2, v3, v2, vcc
	v_mbcnt_hi_u32_b32 v1, -1, v1
	s_nop 0
	v_mov_b32_dpp v3, v2 quad_perm:[2,3,0,1] row_mask:0xf bank_mask:0xf bound_ctrl:1
	v_mul_hi_u32 v4, v3, s5
	v_lshrrev_b32_e32 v4, 3, v4
	v_mul_lo_u32 v4, v4, 10
	v_sub_u32_e32 v3, v3, v4
	v_add_u32_e32 v2, v2, v3
	v_subrev_co_u32_e32 v3, vcc, 10, v2
	s_nop 1
	v_cndmask_b32_e32 v2, v3, v2, vcc
	v_mul_hi_u32 v4, v2, s5
	v_lshrrev_b32_e32 v4, 3, v4
	v_mov_b32_dpp v3, v2 row_ror:4 row_mask:0xf bank_mask:0xf bound_ctrl:1
	v_mul_lo_u32 v4, v4, 10
	v_sub_u32_e32 v2, v2, v4
	v_mul_hi_u32 v4, v3, s5
	v_lshrrev_b32_e32 v4, 3, v4
	v_mul_lo_u32 v4, v4, 10
	v_sub_u32_e32 v3, v3, v4
	v_add_u32_e32 v2, v2, v3
	v_subrev_co_u32_e32 v3, vcc, 10, v2
	s_nop 1
	v_cndmask_b32_e32 v2, v3, v2, vcc
	v_mul_hi_u32 v4, v2, s5
	v_lshrrev_b32_e32 v4, 3, v4
	v_mov_b32_dpp v3, v2 row_ror:8 row_mask:0xf bank_mask:0xf bound_ctrl:1
	v_mul_lo_u32 v4, v4, 10
	v_sub_u32_e32 v2, v2, v4
	v_mul_hi_u32 v4, v3, s5
	v_lshrrev_b32_e32 v4, 3, v4
	v_mul_lo_u32 v4, v4, 10
	v_sub_u32_e32 v3, v3, v4
	v_add_u32_e32 v2, v2, v3
	v_subrev_co_u32_e32 v3, vcc, 10, v2
	s_nop 1
	v_cndmask_b32_e32 v2, v3, v2, vcc
	v_mul_hi_u32 v4, v2, s5
	v_lshrrev_b32_e32 v4, 3, v4
	v_mov_b32_dpp v3, v2 row_bcast:15 row_mask:0xf bank_mask:0xf bound_ctrl:1
	v_mul_lo_u32 v4, v4, 10
	v_sub_u32_e32 v2, v2, v4
	v_mul_hi_u32 v4, v3, s5
	v_lshrrev_b32_e32 v4, 3, v4
	v_mul_lo_u32 v4, v4, 10
	v_sub_u32_e32 v3, v3, v4
	v_add_u32_e32 v2, v2, v3
	v_subrev_co_u32_e32 v3, vcc, 10, v2
	s_nop 1
	v_cndmask_b32_e32 v2, v3, v2, vcc
	v_mul_hi_u32 v4, v2, s5
	v_lshrrev_b32_e32 v4, 3, v4
	v_mov_b32_dpp v3, v2 row_bcast:31 row_mask:0xf bank_mask:0xf bound_ctrl:1
	v_mul_lo_u32 v4, v4, 10
	v_sub_u32_e32 v2, v2, v4
	v_mul_hi_u32 v4, v3, s5
	v_lshrrev_b32_e32 v4, 3, v4
	v_mul_lo_u32 v4, v4, 10
	v_sub_u32_e32 v3, v3, v4
	v_add_u32_e32 v2, v2, v3
	v_subrev_co_u32_e32 v3, vcc, 10, v2
	s_nop 1
	v_cndmask_b32_e32 v2, v3, v2, vcc
	v_lshlrev_b32_e32 v3, 2, v1
	v_or_b32_e32 v4, 0xfc, v3
	ds_bpermute_b32 v2, v4, v2
	v_cmp_eq_u32_e32 vcc, 0, v1
	s_and_saveexec_b64 s[6:7], vcc
	s_cbranch_execz .LBB612_7
; %bb.6:
	v_lshrrev_b32_e32 v4, 4, v0
	v_and_b32_e32 v4, 12, v4
	s_waitcnt lgkmcnt(0)
	ds_write_b32 v4, v2 offset:64
.LBB612_7:
	s_or_b64 exec, exec, s[6:7]
	v_cmp_gt_u32_e32 vcc, 64, v0
	s_waitcnt lgkmcnt(0)
	s_barrier
	s_and_saveexec_b64 s[6:7], vcc
	s_cbranch_execz .LBB612_9
; %bb.8:
	v_and_b32_e32 v2, 3, v1
	v_lshlrev_b32_e32 v4, 2, v2
	ds_read_b32 v4, v4 offset:64
	v_cmp_ne_u32_e32 vcc, 3, v2
	s_waitcnt lgkmcnt(0)
	v_mul_hi_u32 v2, v4, s5
	v_addc_co_u32_e32 v1, vcc, 0, v1, vcc
	v_lshlrev_b32_e32 v1, 2, v1
	ds_bpermute_b32 v1, v1, v4
	v_lshrrev_b32_e32 v2, 3, v2
	v_mul_lo_u32 v2, v2, 10
	v_sub_u32_e32 v2, v4, v2
	s_waitcnt lgkmcnt(0)
	v_mul_hi_u32 v5, v1, s5
	v_lshrrev_b32_e32 v5, 3, v5
	v_mul_lo_u32 v5, v5, 10
	v_sub_u32_e32 v1, v1, v5
	v_add_u32_e32 v1, v1, v2
	v_subrev_co_u32_e32 v2, vcc, 10, v1
	s_nop 1
	v_cndmask_b32_e32 v1, v2, v1, vcc
	v_or_b32_e32 v2, 8, v3
	ds_bpermute_b32 v2, v2, v1
	s_waitcnt lgkmcnt(0)
	v_mul_hi_u32 v3, v2, s5
	v_lshrrev_b32_e32 v3, 3, v3
	v_mul_lo_u32 v3, v3, 10
	v_sub_u32_e32 v2, v2, v3
	v_add_u32_e32 v1, v1, v2
	v_subrev_co_u32_e32 v2, vcc, 10, v1
	s_nop 1
	v_cndmask_b32_e32 v2, v2, v1, vcc
.LBB612_9:
	s_or_b64 exec, exec, s[6:7]
	s_mov_b64 s[6:7], 0
	s_branch .LBB612_23
.LBB612_10:
	s_mov_b64 s[34:35], 0
                                        ; implicit-def: $vgpr1
	s_cbranch_execnz .LBB612_280
	s_branch .LBB612_389
.LBB612_11:
	s_mov_b64 s[34:35], 0
                                        ; implicit-def: $vgpr1
	s_cbranch_execnz .LBB612_221
	s_branch .LBB612_229
.LBB612_12:
	s_mov_b64 s[66:67], -1
.LBB612_13:
	s_mov_b64 s[34:35], 0
                                        ; implicit-def: $vgpr1
	s_and_b64 vcc, exec, s[66:67]
	s_cbranch_vccz .LBB612_145
.LBB612_14:
	s_cmp_eq_u32 s76, 16
	s_cbranch_scc0 .LBB612_21
; %bb.15:
	s_mov_b32 s3, 0
	s_lshl_b32 s4, s2, 12
	s_mov_b32 s5, s3
	s_lshr_b64 s[6:7], s[70:71], 12
	s_lshl_b64 s[8:9], s[4:5], 2
	s_add_u32 s36, s68, s8
	s_addc_u32 s37, s69, s9
	s_cmp_lg_u64 s[6:7], s[2:3]
	s_cbranch_scc0 .LBB612_146
; %bb.16:
	v_lshlrev_b32_e32 v2, 2, v0
	s_waitcnt lgkmcnt(0)
	global_load_dword v1, v2, s[36:37] offset:1024
	global_load_dword v6, v2, s[36:37]
	global_load_dword v7, v2, s[36:37] offset:2048
	global_load_dword v8, v2, s[36:37] offset:3072
	v_mov_b32_e32 v3, 0
	v_lshl_add_u64 v[2:3], s[36:37], 0, v[2:3]
	v_add_co_u32_e32 v4, vcc, 0x1000, v2
	s_mov_b32 s5, 0xcccccccd
	s_nop 0
	v_addc_co_u32_e32 v5, vcc, 0, v3, vcc
	global_load_dword v9, v[4:5], off
	global_load_dword v10, v[4:5], off offset:1024
	global_load_dword v11, v[4:5], off offset:2048
	;; [unrolled: 1-line block ×3, first 2 shown]
	v_add_co_u32_e32 v4, vcc, 0x2000, v2
	s_waitcnt vmcnt(5)
	v_mul_hi_u32 v19, v7, s5
	v_addc_co_u32_e32 v5, vcc, 0, v3, vcc
	global_load_dword v13, v[4:5], off
	global_load_dword v14, v[4:5], off offset:1024
	global_load_dword v15, v[4:5], off offset:2048
	;; [unrolled: 1-line block ×3, first 2 shown]
	v_add_co_u32_e32 v2, vcc, 0x3000, v2
	s_waitcnt vmcnt(8)
	v_mul_hi_u32 v20, v8, s5
	v_addc_co_u32_e32 v3, vcc, 0, v3, vcc
	global_load_dword v4, v[2:3], off
	global_load_dword v5, v[2:3], off offset:1024
	global_load_dword v17, v[2:3], off offset:2048
	;; [unrolled: 1-line block ×3, first 2 shown]
	v_mul_hi_u32 v2, v1, s5
	v_mul_hi_u32 v3, v6, s5
	v_lshrrev_b32_e32 v2, 3, v2
	v_lshrrev_b32_e32 v3, 3, v3
	v_mul_lo_u32 v2, v2, 10
	v_mul_lo_u32 v3, v3, 10
	v_lshrrev_b32_e32 v19, 3, v19
	v_lshrrev_b32_e32 v20, 3, v20
	v_sub_u32_e32 v1, v1, v2
	v_sub_u32_e32 v2, v6, v3
	v_mul_lo_u32 v19, v19, 10
	v_mul_lo_u32 v20, v20, 10
	v_add_u32_e32 v1, v1, v2
	v_sub_u32_e32 v3, v7, v19
	v_sub_u32_e32 v6, v8, v20
	s_waitcnt vmcnt(11)
	v_mul_hi_u32 v7, v9, s5
	s_waitcnt vmcnt(10)
	v_mul_hi_u32 v8, v10, s5
	;; [unrolled: 2-line block ×3, first 2 shown]
	v_subrev_co_u32_e32 v21, vcc, 10, v1
	v_lshrrev_b32_e32 v2, 3, v7
	v_lshrrev_b32_e32 v7, 3, v8
	;; [unrolled: 1-line block ×3, first 2 shown]
	v_cndmask_b32_e32 v1, v21, v1, vcc
	v_mul_lo_u32 v8, v8, 10
	v_mul_hi_u32 v21, v1, s5
	v_sub_u32_e32 v8, v11, v8
	v_lshrrev_b32_e32 v11, 3, v21
	v_mul_lo_u32 v11, v11, 10
	v_sub_u32_e32 v1, v1, v11
	v_add_u32_e32 v1, v1, v3
	v_subrev_co_u32_e32 v3, vcc, 10, v1
	v_mul_lo_u32 v2, v2, 10
	s_nop 0
	v_cndmask_b32_e32 v1, v3, v1, vcc
	v_mul_hi_u32 v3, v1, s5
	v_lshrrev_b32_e32 v3, 3, v3
	v_mul_lo_u32 v3, v3, 10
	v_sub_u32_e32 v1, v1, v3
	v_add_u32_e32 v1, v1, v6
	v_subrev_co_u32_e32 v3, vcc, 10, v1
	v_sub_u32_e32 v2, v9, v2
	s_nop 0
	v_cndmask_b32_e32 v1, v3, v1, vcc
	v_mul_hi_u32 v3, v1, s5
	v_lshrrev_b32_e32 v3, 3, v3
	v_mul_lo_u32 v3, v3, 10
	v_sub_u32_e32 v1, v1, v3
	v_add_u32_e32 v1, v1, v2
	v_subrev_co_u32_e32 v2, vcc, 10, v1
	v_mul_lo_u32 v7, v7, 10
	s_nop 0
	v_cndmask_b32_e32 v1, v2, v1, vcc
	v_mul_hi_u32 v2, v1, s5
	v_lshrrev_b32_e32 v2, 3, v2
	v_mul_lo_u32 v2, v2, 10
	v_sub_u32_e32 v7, v10, v7
	v_sub_u32_e32 v1, v1, v2
	v_add_u32_e32 v1, v1, v7
	v_subrev_co_u32_e32 v2, vcc, 10, v1
	s_waitcnt vmcnt(8)
	v_mul_hi_u32 v20, v12, s5
	v_cndmask_b32_e32 v1, v2, v1, vcc
	v_mul_hi_u32 v2, v1, s5
	v_lshrrev_b32_e32 v2, 3, v2
	v_mul_lo_u32 v2, v2, 10
	v_sub_u32_e32 v1, v1, v2
	v_add_u32_e32 v1, v1, v8
	v_subrev_co_u32_e32 v2, vcc, 10, v1
	v_lshrrev_b32_e32 v19, 3, v20
	s_nop 0
	v_cndmask_b32_e32 v1, v2, v1, vcc
	v_mul_hi_u32 v2, v1, s5
	v_lshrrev_b32_e32 v2, 3, v2
	v_mul_lo_u32 v19, v19, 10
	v_mul_lo_u32 v2, v2, 10
	v_sub_u32_e32 v9, v12, v19
	v_sub_u32_e32 v1, v1, v2
	v_add_u32_e32 v1, v1, v9
	v_subrev_co_u32_e32 v2, vcc, 10, v1
	s_waitcnt vmcnt(7)
	v_mul_hi_u32 v20, v13, s5
	v_cndmask_b32_e32 v1, v2, v1, vcc
	v_mul_hi_u32 v2, v1, s5
	v_lshrrev_b32_e32 v20, 3, v20
	v_lshrrev_b32_e32 v2, 3, v2
	v_mul_lo_u32 v10, v20, 10
	v_mul_lo_u32 v2, v2, 10
	v_sub_u32_e32 v10, v13, v10
	v_sub_u32_e32 v1, v1, v2
	v_add_u32_e32 v1, v1, v10
	v_subrev_co_u32_e32 v2, vcc, 10, v1
	s_nop 1
	v_cndmask_b32_e32 v1, v2, v1, vcc
	s_waitcnt vmcnt(6)
	v_mul_hi_u32 v2, v14, s5
	v_mul_hi_u32 v3, v1, s5
	v_lshrrev_b32_e32 v2, 3, v2
	v_lshrrev_b32_e32 v3, 3, v3
	v_mul_lo_u32 v2, v2, 10
	v_mul_lo_u32 v3, v3, 10
	v_sub_u32_e32 v2, v14, v2
	v_sub_u32_e32 v1, v1, v3
	v_add_u32_e32 v1, v1, v2
	v_subrev_co_u32_e32 v2, vcc, 10, v1
	s_nop 1
	v_cndmask_b32_e32 v1, v2, v1, vcc
	s_waitcnt vmcnt(5)
	v_mul_hi_u32 v2, v15, s5
	;; [unrolled: 13-line block ×7, first 2 shown]
	v_mul_hi_u32 v3, v1, s5
	v_lshrrev_b32_e32 v2, 3, v2
	v_lshrrev_b32_e32 v3, 3, v3
	v_mul_lo_u32 v2, v2, 10
	v_mul_lo_u32 v3, v3, 10
	v_sub_u32_e32 v2, v18, v2
	v_sub_u32_e32 v1, v1, v3
	v_add_u32_e32 v1, v1, v2
	v_subrev_co_u32_e32 v2, vcc, 10, v1
	s_nop 1
	v_cndmask_b32_e32 v2, v2, v1, vcc
	v_mul_hi_u32 v4, v2, s5
	v_lshrrev_b32_e32 v4, 3, v4
	v_mov_b32_dpp v3, v2 quad_perm:[1,0,3,2] row_mask:0xf bank_mask:0xf bound_ctrl:1
	v_mul_lo_u32 v4, v4, 10
	v_sub_u32_e32 v2, v2, v4
	v_mul_hi_u32 v4, v3, s5
	v_lshrrev_b32_e32 v4, 3, v4
	v_mul_lo_u32 v4, v4, 10
	v_sub_u32_e32 v3, v3, v4
	v_add_u32_e32 v2, v2, v3
	v_subrev_co_u32_e32 v3, vcc, 10, v2
	v_mbcnt_lo_u32_b32 v1, -1, 0
	s_nop 0
	v_cndmask_b32_e32 v2, v3, v2, vcc
	v_mbcnt_hi_u32_b32 v1, -1, v1
	s_nop 0
	v_mov_b32_dpp v3, v2 quad_perm:[2,3,0,1] row_mask:0xf bank_mask:0xf bound_ctrl:1
	v_mul_hi_u32 v4, v3, s5
	v_lshrrev_b32_e32 v4, 3, v4
	v_mul_lo_u32 v4, v4, 10
	v_sub_u32_e32 v3, v3, v4
	v_add_u32_e32 v2, v2, v3
	v_subrev_co_u32_e32 v3, vcc, 10, v2
	s_nop 1
	v_cndmask_b32_e32 v2, v3, v2, vcc
	v_mul_hi_u32 v4, v2, s5
	v_lshrrev_b32_e32 v4, 3, v4
	v_mov_b32_dpp v3, v2 row_ror:4 row_mask:0xf bank_mask:0xf bound_ctrl:1
	v_mul_lo_u32 v4, v4, 10
	v_sub_u32_e32 v2, v2, v4
	v_mul_hi_u32 v4, v3, s5
	v_lshrrev_b32_e32 v4, 3, v4
	v_mul_lo_u32 v4, v4, 10
	v_sub_u32_e32 v3, v3, v4
	v_add_u32_e32 v2, v2, v3
	v_subrev_co_u32_e32 v3, vcc, 10, v2
	s_nop 1
	v_cndmask_b32_e32 v2, v3, v2, vcc
	v_mul_hi_u32 v4, v2, s5
	v_lshrrev_b32_e32 v4, 3, v4
	v_mov_b32_dpp v3, v2 row_ror:8 row_mask:0xf bank_mask:0xf bound_ctrl:1
	v_mul_lo_u32 v4, v4, 10
	v_sub_u32_e32 v2, v2, v4
	v_mul_hi_u32 v4, v3, s5
	v_lshrrev_b32_e32 v4, 3, v4
	v_mul_lo_u32 v4, v4, 10
	v_sub_u32_e32 v3, v3, v4
	v_add_u32_e32 v2, v2, v3
	v_subrev_co_u32_e32 v3, vcc, 10, v2
	s_nop 1
	v_cndmask_b32_e32 v2, v3, v2, vcc
	v_mul_hi_u32 v4, v2, s5
	v_lshrrev_b32_e32 v4, 3, v4
	v_mov_b32_dpp v3, v2 row_bcast:15 row_mask:0xf bank_mask:0xf bound_ctrl:1
	v_mul_lo_u32 v4, v4, 10
	v_sub_u32_e32 v2, v2, v4
	v_mul_hi_u32 v4, v3, s5
	v_lshrrev_b32_e32 v4, 3, v4
	v_mul_lo_u32 v4, v4, 10
	v_sub_u32_e32 v3, v3, v4
	v_add_u32_e32 v2, v2, v3
	v_subrev_co_u32_e32 v3, vcc, 10, v2
	s_nop 1
	v_cndmask_b32_e32 v2, v3, v2, vcc
	v_mul_hi_u32 v4, v2, s5
	v_lshrrev_b32_e32 v4, 3, v4
	v_mov_b32_dpp v3, v2 row_bcast:31 row_mask:0xf bank_mask:0xf bound_ctrl:1
	v_mul_lo_u32 v4, v4, 10
	v_sub_u32_e32 v2, v2, v4
	v_mul_hi_u32 v4, v3, s5
	v_lshrrev_b32_e32 v4, 3, v4
	v_mul_lo_u32 v4, v4, 10
	v_sub_u32_e32 v3, v3, v4
	v_add_u32_e32 v2, v2, v3
	v_subrev_co_u32_e32 v3, vcc, 10, v2
	s_nop 1
	v_cndmask_b32_e32 v2, v3, v2, vcc
	v_lshlrev_b32_e32 v3, 2, v1
	v_or_b32_e32 v4, 0xfc, v3
	ds_bpermute_b32 v2, v4, v2
	v_cmp_eq_u32_e32 vcc, 0, v1
	s_and_saveexec_b64 s[6:7], vcc
	s_cbranch_execz .LBB612_18
; %bb.17:
	v_lshrrev_b32_e32 v4, 4, v0
	v_and_b32_e32 v4, 12, v4
	s_waitcnt lgkmcnt(0)
	ds_write_b32 v4, v2 offset:16
.LBB612_18:
	s_or_b64 exec, exec, s[6:7]
	v_cmp_gt_u32_e32 vcc, 64, v0
	s_waitcnt lgkmcnt(0)
	s_barrier
	s_and_saveexec_b64 s[6:7], vcc
	s_cbranch_execz .LBB612_20
; %bb.19:
	v_and_b32_e32 v2, 3, v1
	v_lshlrev_b32_e32 v4, 2, v2
	ds_read_b32 v4, v4 offset:16
	v_cmp_ne_u32_e32 vcc, 3, v2
	s_waitcnt lgkmcnt(0)
	v_mul_hi_u32 v2, v4, s5
	v_addc_co_u32_e32 v1, vcc, 0, v1, vcc
	v_lshlrev_b32_e32 v1, 2, v1
	ds_bpermute_b32 v1, v1, v4
	v_lshrrev_b32_e32 v2, 3, v2
	v_mul_lo_u32 v2, v2, 10
	v_sub_u32_e32 v2, v4, v2
	s_waitcnt lgkmcnt(0)
	v_mul_hi_u32 v5, v1, s5
	v_lshrrev_b32_e32 v5, 3, v5
	v_mul_lo_u32 v5, v5, 10
	v_sub_u32_e32 v1, v1, v5
	v_add_u32_e32 v1, v1, v2
	v_subrev_co_u32_e32 v2, vcc, 10, v1
	s_nop 1
	v_cndmask_b32_e32 v1, v2, v1, vcc
	v_or_b32_e32 v2, 8, v3
	ds_bpermute_b32 v2, v2, v1
	s_waitcnt lgkmcnt(0)
	v_mul_hi_u32 v3, v2, s5
	v_lshrrev_b32_e32 v3, 3, v3
	v_mul_lo_u32 v3, v3, 10
	v_sub_u32_e32 v2, v2, v3
	v_add_u32_e32 v1, v1, v2
	v_subrev_co_u32_e32 v2, vcc, 10, v1
	s_nop 1
	v_cndmask_b32_e32 v2, v2, v1, vcc
.LBB612_20:
	s_or_b64 exec, exec, s[6:7]
	s_mov_b64 s[6:7], 0
	s_branch .LBB612_147
.LBB612_21:
                                        ; implicit-def: $vgpr1
	s_branch .LBB612_229
.LBB612_22:
	s_mov_b64 s[6:7], -1
                                        ; implicit-def: $vgpr2
.LBB612_23:
	s_and_b64 vcc, exec, s[6:7]
	s_cbranch_vccz .LBB612_140
; %bb.24:
	s_sub_i32 s77, s70, s4
	v_mov_b32_e32 v2, 0
	v_cmp_gt_u32_e32 vcc, s77, v0
	v_mov_b32_e32 v3, v2
	v_mov_b32_e32 v4, v2
	;; [unrolled: 1-line block ×31, first 2 shown]
	s_and_saveexec_b64 s[4:5], vcc
	s_cbranch_execz .LBB612_26
; %bb.25:
	v_lshlrev_b32_e32 v1, 2, v0
	global_load_dword v4, v1, s[72:73]
	v_mov_b32_e32 v5, v2
	v_mov_b32_e32 v6, v2
	;; [unrolled: 1-line block ×31, first 2 shown]
	s_waitcnt vmcnt(0)
	v_mov_b64_e32 v[2:3], v[4:5]
	v_mov_b64_e32 v[4:5], v[6:7]
	;; [unrolled: 1-line block ×16, first 2 shown]
.LBB612_26:
	s_or_b64 exec, exec, s[4:5]
	v_or_b32_e32 v1, 0x100, v0
	v_cmp_gt_u32_e64 s[64:65], s77, v1
	s_and_saveexec_b64 s[4:5], s[64:65]
	s_cbranch_execz .LBB612_28
; %bb.27:
	v_lshlrev_b32_e32 v1, 2, v0
	global_load_dword v3, v1, s[72:73] offset:1024
.LBB612_28:
	s_or_b64 exec, exec, s[4:5]
	v_or_b32_e32 v1, 0x200, v0
	v_cmp_gt_u32_e64 s[62:63], s77, v1
	s_and_saveexec_b64 s[4:5], s[62:63]
	s_cbranch_execz .LBB612_30
; %bb.29:
	v_lshlrev_b32_e32 v1, 2, v0
	global_load_dword v4, v1, s[72:73] offset:2048
.LBB612_30:
	;; [unrolled: 9-line block ×3, first 2 shown]
	s_or_b64 exec, exec, s[4:5]
	v_or_b32_e32 v1, 0x400, v0
	v_cmp_gt_u32_e64 s[58:59], s77, v1
	s_and_saveexec_b64 s[4:5], s[58:59]
	s_cbranch_execz .LBB612_34
; %bb.33:
	v_lshlrev_b32_e32 v1, 2, v1
	global_load_dword v6, v1, s[72:73]
.LBB612_34:
	s_or_b64 exec, exec, s[4:5]
	v_or_b32_e32 v1, 0x500, v0
	v_cmp_gt_u32_e64 s[56:57], s77, v1
	s_and_saveexec_b64 s[4:5], s[56:57]
	s_cbranch_execz .LBB612_36
; %bb.35:
	v_lshlrev_b32_e32 v1, 2, v1
	global_load_dword v7, v1, s[72:73]
.LBB612_36:
	;; [unrolled: 9-line block ×27, first 2 shown]
	s_or_b64 exec, exec, s[74:75]
	v_or_b32_e32 v1, 0x1f00, v0
	v_cmp_gt_u32_e32 vcc, s77, v1
	s_and_saveexec_b64 s[74:75], vcc
	s_cbranch_execnz .LBB612_421
; %bb.87:
	s_or_b64 exec, exec, s[74:75]
	s_and_saveexec_b64 s[72:73], s[64:65]
	s_cbranch_execnz .LBB612_422
.LBB612_88:
	s_or_b64 exec, exec, s[72:73]
	s_and_saveexec_b64 s[64:65], s[62:63]
	s_cbranch_execnz .LBB612_423
.LBB612_89:
	s_or_b64 exec, exec, s[64:65]
	s_and_saveexec_b64 s[62:63], s[60:61]
	s_cbranch_execnz .LBB612_424
.LBB612_90:
	s_or_b64 exec, exec, s[62:63]
	s_and_saveexec_b64 s[60:61], s[58:59]
	s_cbranch_execnz .LBB612_425
.LBB612_91:
	s_or_b64 exec, exec, s[60:61]
	s_and_saveexec_b64 s[58:59], s[56:57]
	s_cbranch_execnz .LBB612_426
.LBB612_92:
	s_or_b64 exec, exec, s[58:59]
	s_and_saveexec_b64 s[56:57], s[54:55]
	s_cbranch_execnz .LBB612_427
.LBB612_93:
	s_or_b64 exec, exec, s[56:57]
	s_and_saveexec_b64 s[54:55], s[52:53]
	s_cbranch_execnz .LBB612_428
.LBB612_94:
	s_or_b64 exec, exec, s[54:55]
	s_and_saveexec_b64 s[52:53], s[50:51]
	s_cbranch_execnz .LBB612_429
.LBB612_95:
	s_or_b64 exec, exec, s[52:53]
	s_and_saveexec_b64 s[50:51], s[48:49]
	s_cbranch_execnz .LBB612_430
.LBB612_96:
	s_or_b64 exec, exec, s[50:51]
	s_and_saveexec_b64 s[48:49], s[46:47]
	s_cbranch_execnz .LBB612_431
.LBB612_97:
	s_or_b64 exec, exec, s[48:49]
	s_and_saveexec_b64 s[46:47], s[44:45]
	s_cbranch_execnz .LBB612_432
.LBB612_98:
	s_or_b64 exec, exec, s[46:47]
	s_and_saveexec_b64 s[44:45], s[42:43]
	s_cbranch_execnz .LBB612_433
.LBB612_99:
	s_or_b64 exec, exec, s[44:45]
	s_and_saveexec_b64 s[42:43], s[40:41]
	s_cbranch_execnz .LBB612_434
.LBB612_100:
	s_or_b64 exec, exec, s[42:43]
	s_and_saveexec_b64 s[40:41], s[38:39]
	s_cbranch_execnz .LBB612_435
.LBB612_101:
	s_or_b64 exec, exec, s[40:41]
	s_and_saveexec_b64 s[38:39], s[36:37]
	s_cbranch_execnz .LBB612_436
.LBB612_102:
	s_or_b64 exec, exec, s[38:39]
	s_and_saveexec_b64 s[36:37], s[34:35]
	s_cbranch_execnz .LBB612_437
.LBB612_103:
	s_or_b64 exec, exec, s[36:37]
	s_and_saveexec_b64 s[34:35], s[30:31]
	s_cbranch_execnz .LBB612_438
.LBB612_104:
	s_or_b64 exec, exec, s[34:35]
	s_and_saveexec_b64 s[30:31], s[28:29]
	s_cbranch_execnz .LBB612_439
.LBB612_105:
	s_or_b64 exec, exec, s[30:31]
	s_and_saveexec_b64 s[28:29], s[26:27]
	s_cbranch_execnz .LBB612_440
.LBB612_106:
	s_or_b64 exec, exec, s[28:29]
	s_and_saveexec_b64 s[26:27], s[24:25]
	s_cbranch_execnz .LBB612_441
.LBB612_107:
	s_or_b64 exec, exec, s[26:27]
	s_and_saveexec_b64 s[24:25], s[22:23]
	s_cbranch_execnz .LBB612_442
.LBB612_108:
	s_or_b64 exec, exec, s[24:25]
	s_and_saveexec_b64 s[22:23], s[20:21]
	s_cbranch_execnz .LBB612_443
.LBB612_109:
	s_or_b64 exec, exec, s[22:23]
	s_and_saveexec_b64 s[20:21], s[18:19]
	s_cbranch_execnz .LBB612_444
.LBB612_110:
	s_or_b64 exec, exec, s[20:21]
	s_and_saveexec_b64 s[18:19], s[16:17]
	s_cbranch_execnz .LBB612_445
.LBB612_111:
	s_or_b64 exec, exec, s[18:19]
	s_and_saveexec_b64 s[16:17], s[14:15]
	s_cbranch_execnz .LBB612_446
.LBB612_112:
	s_or_b64 exec, exec, s[16:17]
	s_and_saveexec_b64 s[14:15], s[12:13]
	s_cbranch_execnz .LBB612_447
.LBB612_113:
	s_or_b64 exec, exec, s[14:15]
	s_and_saveexec_b64 s[12:13], s[10:11]
	s_cbranch_execnz .LBB612_448
.LBB612_114:
	s_or_b64 exec, exec, s[12:13]
	s_and_saveexec_b64 s[10:11], s[8:9]
	s_cbranch_execnz .LBB612_449
.LBB612_115:
	s_or_b64 exec, exec, s[10:11]
	s_and_saveexec_b64 s[8:9], s[6:7]
	s_cbranch_execnz .LBB612_450
.LBB612_116:
	s_or_b64 exec, exec, s[8:9]
	s_and_saveexec_b64 s[6:7], s[4:5]
	s_cbranch_execnz .LBB612_451
.LBB612_117:
	s_or_b64 exec, exec, s[6:7]
	s_and_saveexec_b64 s[4:5], vcc
	s_cbranch_execz .LBB612_119
.LBB612_118:
	s_mov_b32 s6, 0xcccccccd
	s_waitcnt vmcnt(0)
	v_mul_hi_u32 v1, v33, s6
	v_mul_hi_u32 v3, v2, s6
	v_lshrrev_b32_e32 v1, 3, v1
	v_lshrrev_b32_e32 v3, 3, v3
	v_mul_lo_u32 v1, v1, 10
	v_mul_lo_u32 v3, v3, 10
	v_sub_u32_e32 v1, v33, v1
	v_sub_u32_e32 v2, v2, v3
	v_add_u32_e32 v1, v2, v1
	v_subrev_co_u32_e32 v2, vcc, 10, v1
	s_nop 1
	v_cndmask_b32_e32 v2, v2, v1, vcc
.LBB612_119:
	s_or_b64 exec, exec, s[4:5]
	v_mbcnt_lo_u32_b32 v1, -1, 0
	v_mbcnt_hi_u32_b32 v1, -1, v1
	s_waitcnt vmcnt(0)
	v_and_b32_e32 v3, 63, v1
	v_cmp_ne_u32_e32 vcc, 63, v3
	s_min_u32 s6, s77, 0x100
	v_add_u32_e32 v6, 1, v3
	v_addc_co_u32_e32 v4, vcc, 0, v1, vcc
	v_lshlrev_b32_e32 v4, 2, v4
	ds_bpermute_b32 v5, v4, v2
	v_and_b32_e32 v4, 0xc0, v0
	v_sub_u32_e64 v4, s6, v4 clamp
	v_cmp_lt_u32_e32 vcc, v6, v4
	s_and_saveexec_b64 s[4:5], vcc
	s_xor_b64 s[4:5], exec, s[4:5]
	s_cbranch_execz .LBB612_121
; %bb.120:
	s_mov_b32 s7, 0xcccccccd
	s_waitcnt lgkmcnt(0)
	v_mul_hi_u32 v6, v5, s7
	v_lshrrev_b32_e32 v6, 3, v6
	v_mul_lo_u32 v6, v6, 10
	v_sub_u32_e32 v5, v5, v6
	v_mul_hi_u32 v6, v2, s7
	v_lshrrev_b32_e32 v6, 3, v6
	v_mul_lo_u32 v6, v6, 10
	v_sub_u32_e32 v2, v2, v6
	v_add_u32_e32 v2, v5, v2
	v_subrev_co_u32_e32 v5, vcc, 10, v2
	s_nop 1
	v_cndmask_b32_e32 v2, v5, v2, vcc
.LBB612_121:
	s_or_b64 exec, exec, s[4:5]
	v_cmp_gt_u32_e32 vcc, 62, v3
	v_add_u32_e32 v6, 2, v3
	s_waitcnt lgkmcnt(0)
	v_cndmask_b32_e64 v5, 0, 2, vcc
	v_add_lshl_u32 v5, v5, v1, 2
	ds_bpermute_b32 v5, v5, v2
	v_cmp_lt_u32_e32 vcc, v6, v4
	s_and_saveexec_b64 s[4:5], vcc
	s_cbranch_execz .LBB612_123
; %bb.122:
	s_mov_b32 s7, 0xcccccccd
	s_waitcnt lgkmcnt(0)
	v_mul_hi_u32 v6, v5, s7
	v_lshrrev_b32_e32 v6, 3, v6
	v_mul_lo_u32 v6, v6, 10
	v_sub_u32_e32 v5, v5, v6
	v_mul_hi_u32 v6, v2, s7
	v_lshrrev_b32_e32 v6, 3, v6
	v_mul_lo_u32 v6, v6, 10
	v_sub_u32_e32 v2, v2, v6
	v_add_u32_e32 v2, v5, v2
	v_subrev_co_u32_e32 v5, vcc, 10, v2
	s_nop 1
	v_cndmask_b32_e32 v2, v5, v2, vcc
.LBB612_123:
	s_or_b64 exec, exec, s[4:5]
	v_cmp_gt_u32_e32 vcc, 60, v3
	v_add_u32_e32 v6, 4, v3
	s_waitcnt lgkmcnt(0)
	v_cndmask_b32_e64 v5, 0, 4, vcc
	v_add_lshl_u32 v5, v5, v1, 2
	ds_bpermute_b32 v5, v5, v2
	v_cmp_lt_u32_e32 vcc, v6, v4
	s_and_saveexec_b64 s[4:5], vcc
	s_cbranch_execz .LBB612_125
; %bb.124:
	s_mov_b32 s7, 0xcccccccd
	s_waitcnt lgkmcnt(0)
	v_mul_hi_u32 v6, v5, s7
	v_lshrrev_b32_e32 v6, 3, v6
	v_mul_lo_u32 v6, v6, 10
	v_sub_u32_e32 v5, v5, v6
	v_mul_hi_u32 v6, v2, s7
	v_lshrrev_b32_e32 v6, 3, v6
	v_mul_lo_u32 v6, v6, 10
	v_sub_u32_e32 v2, v2, v6
	v_add_u32_e32 v2, v5, v2
	v_subrev_co_u32_e32 v5, vcc, 10, v2
	s_nop 1
	v_cndmask_b32_e32 v2, v5, v2, vcc
.LBB612_125:
	s_or_b64 exec, exec, s[4:5]
	v_cmp_gt_u32_e32 vcc, 56, v3
	v_add_u32_e32 v6, 8, v3
	s_waitcnt lgkmcnt(0)
	v_cndmask_b32_e64 v5, 0, 8, vcc
	v_add_lshl_u32 v5, v5, v1, 2
	ds_bpermute_b32 v5, v5, v2
	v_cmp_lt_u32_e32 vcc, v6, v4
	s_and_saveexec_b64 s[4:5], vcc
	s_cbranch_execz .LBB612_127
; %bb.126:
	s_mov_b32 s7, 0xcccccccd
	s_waitcnt lgkmcnt(0)
	v_mul_hi_u32 v6, v5, s7
	v_lshrrev_b32_e32 v6, 3, v6
	v_mul_lo_u32 v6, v6, 10
	v_sub_u32_e32 v5, v5, v6
	v_mul_hi_u32 v6, v2, s7
	v_lshrrev_b32_e32 v6, 3, v6
	v_mul_lo_u32 v6, v6, 10
	v_sub_u32_e32 v2, v2, v6
	v_add_u32_e32 v2, v5, v2
	v_subrev_co_u32_e32 v5, vcc, 10, v2
	s_nop 1
	v_cndmask_b32_e32 v2, v5, v2, vcc
.LBB612_127:
	s_or_b64 exec, exec, s[4:5]
	v_cmp_gt_u32_e32 vcc, 48, v3
	v_add_u32_e32 v6, 16, v3
	s_waitcnt lgkmcnt(0)
	v_cndmask_b32_e64 v5, 0, 16, vcc
	v_add_lshl_u32 v5, v5, v1, 2
	ds_bpermute_b32 v5, v5, v2
	v_cmp_lt_u32_e32 vcc, v6, v4
	s_and_saveexec_b64 s[4:5], vcc
	s_cbranch_execz .LBB612_129
; %bb.128:
	s_mov_b32 s7, 0xcccccccd
	s_waitcnt lgkmcnt(0)
	v_mul_hi_u32 v6, v5, s7
	v_lshrrev_b32_e32 v6, 3, v6
	v_mul_lo_u32 v6, v6, 10
	v_sub_u32_e32 v5, v5, v6
	v_mul_hi_u32 v6, v2, s7
	v_lshrrev_b32_e32 v6, 3, v6
	v_mul_lo_u32 v6, v6, 10
	v_sub_u32_e32 v2, v2, v6
	v_add_u32_e32 v2, v5, v2
	v_subrev_co_u32_e32 v5, vcc, 10, v2
	s_nop 1
	v_cndmask_b32_e32 v2, v5, v2, vcc
.LBB612_129:
	s_or_b64 exec, exec, s[4:5]
	s_waitcnt lgkmcnt(0)
	v_lshlrev_b32_e32 v5, 2, v1
	v_or_b32_e32 v6, 0x80, v5
	ds_bpermute_b32 v6, v6, v2
	v_add_u32_e32 v3, 32, v3
	v_cmp_lt_u32_e32 vcc, v3, v4
	s_and_saveexec_b64 s[4:5], vcc
	s_cbranch_execz .LBB612_131
; %bb.130:
	s_mov_b32 s7, 0xcccccccd
	s_waitcnt lgkmcnt(0)
	v_mul_hi_u32 v3, v6, s7
	v_mul_hi_u32 v4, v2, s7
	v_lshrrev_b32_e32 v3, 3, v3
	v_lshrrev_b32_e32 v4, 3, v4
	v_mul_lo_u32 v3, v3, 10
	v_mul_lo_u32 v4, v4, 10
	v_sub_u32_e32 v3, v6, v3
	v_sub_u32_e32 v2, v2, v4
	v_add_u32_e32 v2, v3, v2
	v_subrev_co_u32_e32 v3, vcc, 10, v2
	s_nop 1
	v_cndmask_b32_e32 v2, v3, v2, vcc
.LBB612_131:
	s_or_b64 exec, exec, s[4:5]
	v_cmp_eq_u32_e32 vcc, 0, v1
	s_and_saveexec_b64 s[4:5], vcc
; %bb.132:
	v_lshrrev_b32_e32 v3, 4, v0
	v_and_b32_e32 v3, 12, v3
	ds_write_b32 v3, v2
; %bb.133:
	s_or_b64 exec, exec, s[4:5]
	v_cmp_gt_u32_e32 vcc, 4, v0
	s_waitcnt lgkmcnt(0)
	s_barrier
	s_and_saveexec_b64 s[4:5], vcc
	s_cbranch_execz .LBB612_139
; %bb.134:
	ds_read_b32 v2, v5
	v_and_b32_e32 v3, 3, v1
	v_cmp_ne_u32_e32 vcc, 3, v3
	s_add_i32 s6, s6, 63
	s_lshr_b32 s8, s6, 6
	v_addc_co_u32_e32 v1, vcc, 0, v1, vcc
	v_lshlrev_b32_e32 v1, 2, v1
	s_waitcnt lgkmcnt(0)
	ds_bpermute_b32 v1, v1, v2
	v_add_u32_e32 v4, 1, v3
	v_cmp_gt_u32_e32 vcc, s8, v4
	s_and_saveexec_b64 s[6:7], vcc
	s_cbranch_execz .LBB612_136
; %bb.135:
	s_mov_b32 s9, 0xcccccccd
	s_waitcnt lgkmcnt(0)
	v_mul_hi_u32 v4, v1, s9
	v_lshrrev_b32_e32 v4, 3, v4
	v_mul_lo_u32 v4, v4, 10
	v_sub_u32_e32 v1, v1, v4
	v_mul_hi_u32 v4, v2, s9
	v_lshrrev_b32_e32 v4, 3, v4
	v_mul_lo_u32 v4, v4, 10
	v_sub_u32_e32 v2, v2, v4
	v_add_u32_e32 v1, v1, v2
	v_subrev_co_u32_e32 v2, vcc, 10, v1
	s_nop 1
	v_cndmask_b32_e32 v2, v2, v1, vcc
.LBB612_136:
	s_or_b64 exec, exec, s[6:7]
	s_waitcnt lgkmcnt(0)
	v_or_b32_e32 v1, 8, v5
	ds_bpermute_b32 v1, v1, v2
	v_add_u32_e32 v3, 2, v3
	v_cmp_gt_u32_e32 vcc, s8, v3
	s_and_saveexec_b64 s[6:7], vcc
	s_cbranch_execz .LBB612_138
; %bb.137:
	s_mov_b32 s8, 0xcccccccd
	s_waitcnt lgkmcnt(0)
	v_mul_hi_u32 v3, v1, s8
	v_lshrrev_b32_e32 v3, 3, v3
	v_mul_lo_u32 v3, v3, 10
	v_sub_u32_e32 v1, v1, v3
	v_mul_hi_u32 v3, v2, s8
	v_lshrrev_b32_e32 v3, 3, v3
	v_mul_lo_u32 v3, v3, 10
	v_sub_u32_e32 v2, v2, v3
	v_add_u32_e32 v1, v1, v2
	v_subrev_co_u32_e32 v2, vcc, 10, v1
	s_nop 1
	v_cndmask_b32_e32 v2, v2, v1, vcc
.LBB612_138:
	s_or_b64 exec, exec, s[6:7]
.LBB612_139:
	s_or_b64 exec, exec, s[4:5]
.LBB612_140:
	v_cmp_eq_u32_e32 vcc, 0, v0
	s_mov_b64 s[34:35], 0
                                        ; implicit-def: $vgpr1
	s_and_saveexec_b64 s[4:5], vcc
	s_xor_b64 s[4:5], exec, s[4:5]
	s_cbranch_execz .LBB612_144
; %bb.141:
	s_cmp_eq_u64 s[70:71], 0
	s_waitcnt lgkmcnt(0)
	v_mov_b32_e32 v1, s33
	s_cbranch_scc1 .LBB612_143
; %bb.142:
	s_mov_b32 s6, 0xcccccccd
	v_mul_hi_u32 v1, v2, s6
	s_mul_hi_u32 s6, s33, 0xcccccccd
	v_lshrrev_b32_e32 v1, 3, v1
	s_lshr_b32 s6, s6, 3
	v_mul_lo_u32 v1, v1, 10
	s_mul_i32 s6, s6, 10
	v_sub_u32_e32 v1, v2, v1
	s_sub_i32 s6, s33, s6
	v_add_u32_e32 v1, s6, v1
	v_subrev_co_u32_e32 v2, vcc, 10, v1
	s_nop 1
	v_cndmask_b32_e32 v1, v2, v1, vcc
.LBB612_143:
	s_mov_b64 s[34:35], exec
.LBB612_144:
	s_or_b64 exec, exec, s[4:5]
	s_and_b64 vcc, exec, s[66:67]
	s_cbranch_vccnz .LBB612_14
.LBB612_145:
	s_branch .LBB612_229
.LBB612_146:
	s_mov_b64 s[6:7], -1
                                        ; implicit-def: $vgpr2
.LBB612_147:
	s_and_b64 vcc, exec, s[6:7]
	s_cbranch_vccz .LBB612_216
; %bb.148:
	s_sub_i32 s40, s70, s4
	v_mov_b32_e32 v2, 0
	v_cmp_gt_u32_e32 vcc, s40, v0
	v_mov_b32_e32 v3, v2
	v_mov_b32_e32 v4, v2
	;; [unrolled: 1-line block ×15, first 2 shown]
	s_and_saveexec_b64 s[4:5], vcc
	s_cbranch_execz .LBB612_150
; %bb.149:
	s_waitcnt lgkmcnt(0)
	v_lshlrev_b32_e32 v1, 2, v0
	global_load_dword v4, v1, s[36:37]
	v_mov_b32_e32 v5, v2
	v_mov_b32_e32 v6, v2
	;; [unrolled: 1-line block ×15, first 2 shown]
	s_waitcnt vmcnt(0)
	v_mov_b64_e32 v[2:3], v[4:5]
	v_mov_b64_e32 v[4:5], v[6:7]
	v_mov_b64_e32 v[6:7], v[8:9]
	v_mov_b64_e32 v[8:9], v[10:11]
	v_mov_b64_e32 v[10:11], v[12:13]
	v_mov_b64_e32 v[12:13], v[14:15]
	v_mov_b64_e32 v[14:15], v[16:17]
	v_mov_b64_e32 v[16:17], v[18:19]
.LBB612_150:
	s_or_b64 exec, exec, s[4:5]
	s_waitcnt lgkmcnt(0)
	v_or_b32_e32 v1, 0x100, v0
	v_cmp_gt_u32_e64 s[30:31], s40, v1
	s_and_saveexec_b64 s[4:5], s[30:31]
	s_cbranch_execz .LBB612_152
; %bb.151:
	v_lshlrev_b32_e32 v1, 2, v0
	global_load_dword v3, v1, s[36:37] offset:1024
.LBB612_152:
	s_or_b64 exec, exec, s[4:5]
	v_or_b32_e32 v1, 0x200, v0
	v_cmp_gt_u32_e64 s[28:29], s40, v1
	s_and_saveexec_b64 s[4:5], s[28:29]
	s_cbranch_execz .LBB612_154
; %bb.153:
	v_lshlrev_b32_e32 v1, 2, v0
	global_load_dword v4, v1, s[36:37] offset:2048
.LBB612_154:
	s_or_b64 exec, exec, s[4:5]
	;; [unrolled: 9-line block ×3, first 2 shown]
	v_or_b32_e32 v1, 0x400, v0
	v_cmp_gt_u32_e64 s[24:25], s40, v1
	s_and_saveexec_b64 s[4:5], s[24:25]
	s_cbranch_execz .LBB612_158
; %bb.157:
	v_lshlrev_b32_e32 v1, 2, v1
	global_load_dword v6, v1, s[36:37]
.LBB612_158:
	s_or_b64 exec, exec, s[4:5]
	v_or_b32_e32 v1, 0x500, v0
	v_cmp_gt_u32_e64 s[22:23], s40, v1
	s_and_saveexec_b64 s[4:5], s[22:23]
	s_cbranch_execz .LBB612_160
; %bb.159:
	v_lshlrev_b32_e32 v1, 2, v1
	global_load_dword v7, v1, s[36:37]
.LBB612_160:
	s_or_b64 exec, exec, s[4:5]
	;; [unrolled: 9-line block ×11, first 2 shown]
	v_or_b32_e32 v1, 0xf00, v0
	v_cmp_gt_u32_e32 vcc, s40, v1
	s_and_saveexec_b64 s[38:39], vcc
	s_cbranch_execnz .LBB612_452
; %bb.179:
	s_or_b64 exec, exec, s[38:39]
	s_and_saveexec_b64 s[36:37], s[30:31]
	s_cbranch_execnz .LBB612_453
.LBB612_180:
	s_or_b64 exec, exec, s[36:37]
	s_and_saveexec_b64 s[30:31], s[28:29]
	s_cbranch_execnz .LBB612_454
.LBB612_181:
	s_or_b64 exec, exec, s[30:31]
	s_and_saveexec_b64 s[28:29], s[26:27]
	s_cbranch_execnz .LBB612_455
.LBB612_182:
	s_or_b64 exec, exec, s[28:29]
	s_and_saveexec_b64 s[26:27], s[24:25]
	s_cbranch_execnz .LBB612_456
.LBB612_183:
	s_or_b64 exec, exec, s[26:27]
	s_and_saveexec_b64 s[24:25], s[22:23]
	s_cbranch_execnz .LBB612_457
.LBB612_184:
	s_or_b64 exec, exec, s[24:25]
	s_and_saveexec_b64 s[22:23], s[20:21]
	s_cbranch_execnz .LBB612_458
.LBB612_185:
	s_or_b64 exec, exec, s[22:23]
	s_and_saveexec_b64 s[20:21], s[18:19]
	s_cbranch_execnz .LBB612_459
.LBB612_186:
	s_or_b64 exec, exec, s[20:21]
	s_and_saveexec_b64 s[18:19], s[16:17]
	s_cbranch_execnz .LBB612_460
.LBB612_187:
	s_or_b64 exec, exec, s[18:19]
	s_and_saveexec_b64 s[16:17], s[14:15]
	s_cbranch_execnz .LBB612_461
.LBB612_188:
	s_or_b64 exec, exec, s[16:17]
	s_and_saveexec_b64 s[14:15], s[12:13]
	s_cbranch_execnz .LBB612_462
.LBB612_189:
	s_or_b64 exec, exec, s[14:15]
	s_and_saveexec_b64 s[12:13], s[10:11]
	s_cbranch_execnz .LBB612_463
.LBB612_190:
	s_or_b64 exec, exec, s[12:13]
	s_and_saveexec_b64 s[10:11], s[8:9]
	s_cbranch_execnz .LBB612_464
.LBB612_191:
	s_or_b64 exec, exec, s[10:11]
	s_and_saveexec_b64 s[8:9], s[6:7]
	s_cbranch_execnz .LBB612_465
.LBB612_192:
	s_or_b64 exec, exec, s[8:9]
	s_and_saveexec_b64 s[6:7], s[4:5]
	s_cbranch_execnz .LBB612_466
.LBB612_193:
	s_or_b64 exec, exec, s[6:7]
	s_and_saveexec_b64 s[4:5], vcc
	s_cbranch_execz .LBB612_195
.LBB612_194:
	s_mov_b32 s6, 0xcccccccd
	s_waitcnt vmcnt(0)
	v_mul_hi_u32 v1, v17, s6
	v_mul_hi_u32 v3, v2, s6
	v_lshrrev_b32_e32 v1, 3, v1
	v_lshrrev_b32_e32 v3, 3, v3
	v_mul_lo_u32 v1, v1, 10
	v_mul_lo_u32 v3, v3, 10
	v_sub_u32_e32 v1, v17, v1
	v_sub_u32_e32 v2, v2, v3
	v_add_u32_e32 v1, v2, v1
	v_subrev_co_u32_e32 v2, vcc, 10, v1
	s_nop 1
	v_cndmask_b32_e32 v2, v2, v1, vcc
.LBB612_195:
	s_or_b64 exec, exec, s[4:5]
	v_mbcnt_lo_u32_b32 v1, -1, 0
	v_mbcnt_hi_u32_b32 v1, -1, v1
	s_waitcnt vmcnt(0)
	v_and_b32_e32 v3, 63, v1
	v_cmp_ne_u32_e32 vcc, 63, v3
	s_min_u32 s6, s40, 0x100
	v_add_u32_e32 v6, 1, v3
	v_addc_co_u32_e32 v4, vcc, 0, v1, vcc
	v_lshlrev_b32_e32 v4, 2, v4
	ds_bpermute_b32 v5, v4, v2
	v_and_b32_e32 v4, 0xc0, v0
	v_sub_u32_e64 v4, s6, v4 clamp
	v_cmp_lt_u32_e32 vcc, v6, v4
	s_and_saveexec_b64 s[4:5], vcc
	s_xor_b64 s[4:5], exec, s[4:5]
	s_cbranch_execz .LBB612_197
; %bb.196:
	s_mov_b32 s7, 0xcccccccd
	s_waitcnt lgkmcnt(0)
	v_mul_hi_u32 v6, v5, s7
	v_lshrrev_b32_e32 v6, 3, v6
	v_mul_lo_u32 v6, v6, 10
	v_sub_u32_e32 v5, v5, v6
	v_mul_hi_u32 v6, v2, s7
	v_lshrrev_b32_e32 v6, 3, v6
	v_mul_lo_u32 v6, v6, 10
	v_sub_u32_e32 v2, v2, v6
	v_add_u32_e32 v2, v5, v2
	v_subrev_co_u32_e32 v5, vcc, 10, v2
	s_nop 1
	v_cndmask_b32_e32 v2, v5, v2, vcc
.LBB612_197:
	s_or_b64 exec, exec, s[4:5]
	v_cmp_gt_u32_e32 vcc, 62, v3
	v_add_u32_e32 v6, 2, v3
	s_waitcnt lgkmcnt(0)
	v_cndmask_b32_e64 v5, 0, 2, vcc
	v_add_lshl_u32 v5, v5, v1, 2
	ds_bpermute_b32 v5, v5, v2
	v_cmp_lt_u32_e32 vcc, v6, v4
	s_and_saveexec_b64 s[4:5], vcc
	s_cbranch_execz .LBB612_199
; %bb.198:
	s_mov_b32 s7, 0xcccccccd
	s_waitcnt lgkmcnt(0)
	v_mul_hi_u32 v6, v5, s7
	v_lshrrev_b32_e32 v6, 3, v6
	v_mul_lo_u32 v6, v6, 10
	v_sub_u32_e32 v5, v5, v6
	v_mul_hi_u32 v6, v2, s7
	v_lshrrev_b32_e32 v6, 3, v6
	v_mul_lo_u32 v6, v6, 10
	v_sub_u32_e32 v2, v2, v6
	v_add_u32_e32 v2, v5, v2
	v_subrev_co_u32_e32 v5, vcc, 10, v2
	s_nop 1
	v_cndmask_b32_e32 v2, v5, v2, vcc
.LBB612_199:
	s_or_b64 exec, exec, s[4:5]
	v_cmp_gt_u32_e32 vcc, 60, v3
	v_add_u32_e32 v6, 4, v3
	s_waitcnt lgkmcnt(0)
	v_cndmask_b32_e64 v5, 0, 4, vcc
	v_add_lshl_u32 v5, v5, v1, 2
	ds_bpermute_b32 v5, v5, v2
	v_cmp_lt_u32_e32 vcc, v6, v4
	s_and_saveexec_b64 s[4:5], vcc
	;; [unrolled: 26-line block ×4, first 2 shown]
	s_cbranch_execz .LBB612_205
; %bb.204:
	s_mov_b32 s7, 0xcccccccd
	s_waitcnt lgkmcnt(0)
	v_mul_hi_u32 v6, v5, s7
	v_lshrrev_b32_e32 v6, 3, v6
	v_mul_lo_u32 v6, v6, 10
	v_sub_u32_e32 v5, v5, v6
	v_mul_hi_u32 v6, v2, s7
	v_lshrrev_b32_e32 v6, 3, v6
	v_mul_lo_u32 v6, v6, 10
	v_sub_u32_e32 v2, v2, v6
	v_add_u32_e32 v2, v5, v2
	v_subrev_co_u32_e32 v5, vcc, 10, v2
	s_nop 1
	v_cndmask_b32_e32 v2, v5, v2, vcc
.LBB612_205:
	s_or_b64 exec, exec, s[4:5]
	s_waitcnt lgkmcnt(0)
	v_lshlrev_b32_e32 v5, 2, v1
	v_or_b32_e32 v6, 0x80, v5
	ds_bpermute_b32 v6, v6, v2
	v_add_u32_e32 v3, 32, v3
	v_cmp_lt_u32_e32 vcc, v3, v4
	s_and_saveexec_b64 s[4:5], vcc
	s_cbranch_execz .LBB612_207
; %bb.206:
	s_mov_b32 s7, 0xcccccccd
	s_waitcnt lgkmcnt(0)
	v_mul_hi_u32 v3, v6, s7
	v_mul_hi_u32 v4, v2, s7
	v_lshrrev_b32_e32 v3, 3, v3
	v_lshrrev_b32_e32 v4, 3, v4
	v_mul_lo_u32 v3, v3, 10
	v_mul_lo_u32 v4, v4, 10
	v_sub_u32_e32 v3, v6, v3
	v_sub_u32_e32 v2, v2, v4
	v_add_u32_e32 v2, v3, v2
	v_subrev_co_u32_e32 v3, vcc, 10, v2
	s_nop 1
	v_cndmask_b32_e32 v2, v3, v2, vcc
.LBB612_207:
	s_or_b64 exec, exec, s[4:5]
	v_cmp_eq_u32_e32 vcc, 0, v1
	s_and_saveexec_b64 s[4:5], vcc
; %bb.208:
	v_lshrrev_b32_e32 v3, 4, v0
	v_and_b32_e32 v3, 12, v3
	ds_write_b32 v3, v2
; %bb.209:
	s_or_b64 exec, exec, s[4:5]
	v_cmp_gt_u32_e32 vcc, 4, v0
	s_waitcnt lgkmcnt(0)
	s_barrier
	s_and_saveexec_b64 s[4:5], vcc
	s_cbranch_execz .LBB612_215
; %bb.210:
	ds_read_b32 v2, v5
	v_and_b32_e32 v3, 3, v1
	v_cmp_ne_u32_e32 vcc, 3, v3
	s_add_i32 s6, s6, 63
	s_lshr_b32 s8, s6, 6
	v_addc_co_u32_e32 v1, vcc, 0, v1, vcc
	v_lshlrev_b32_e32 v1, 2, v1
	s_waitcnt lgkmcnt(0)
	ds_bpermute_b32 v1, v1, v2
	v_add_u32_e32 v4, 1, v3
	v_cmp_gt_u32_e32 vcc, s8, v4
	s_and_saveexec_b64 s[6:7], vcc
	s_cbranch_execz .LBB612_212
; %bb.211:
	s_mov_b32 s9, 0xcccccccd
	s_waitcnt lgkmcnt(0)
	v_mul_hi_u32 v4, v1, s9
	v_lshrrev_b32_e32 v4, 3, v4
	v_mul_lo_u32 v4, v4, 10
	v_sub_u32_e32 v1, v1, v4
	v_mul_hi_u32 v4, v2, s9
	v_lshrrev_b32_e32 v4, 3, v4
	v_mul_lo_u32 v4, v4, 10
	v_sub_u32_e32 v2, v2, v4
	v_add_u32_e32 v1, v1, v2
	v_subrev_co_u32_e32 v2, vcc, 10, v1
	s_nop 1
	v_cndmask_b32_e32 v2, v2, v1, vcc
.LBB612_212:
	s_or_b64 exec, exec, s[6:7]
	s_waitcnt lgkmcnt(0)
	v_or_b32_e32 v1, 8, v5
	ds_bpermute_b32 v1, v1, v2
	v_add_u32_e32 v3, 2, v3
	v_cmp_gt_u32_e32 vcc, s8, v3
	s_and_saveexec_b64 s[6:7], vcc
	s_cbranch_execz .LBB612_214
; %bb.213:
	s_mov_b32 s8, 0xcccccccd
	s_waitcnt lgkmcnt(0)
	v_mul_hi_u32 v3, v1, s8
	v_lshrrev_b32_e32 v3, 3, v3
	v_mul_lo_u32 v3, v3, 10
	v_sub_u32_e32 v1, v1, v3
	v_mul_hi_u32 v3, v2, s8
	v_lshrrev_b32_e32 v3, 3, v3
	v_mul_lo_u32 v3, v3, 10
	v_sub_u32_e32 v2, v2, v3
	v_add_u32_e32 v1, v1, v2
	v_subrev_co_u32_e32 v2, vcc, 10, v1
	s_nop 1
	v_cndmask_b32_e32 v2, v2, v1, vcc
.LBB612_214:
	s_or_b64 exec, exec, s[6:7]
.LBB612_215:
	s_or_b64 exec, exec, s[4:5]
.LBB612_216:
	v_cmp_eq_u32_e32 vcc, 0, v0
                                        ; implicit-def: $vgpr1
	s_and_saveexec_b64 s[4:5], vcc
	s_xor_b64 s[4:5], exec, s[4:5]
	s_cbranch_execz .LBB612_220
; %bb.217:
	s_cmp_eq_u64 s[70:71], 0
	s_waitcnt lgkmcnt(0)
	v_mov_b32_e32 v1, s33
	s_cbranch_scc1 .LBB612_219
; %bb.218:
	s_mov_b32 s6, 0xcccccccd
	v_mul_hi_u32 v1, v2, s6
	s_mul_hi_u32 s6, s33, 0xcccccccd
	v_lshrrev_b32_e32 v1, 3, v1
	s_lshr_b32 s6, s6, 3
	v_mul_lo_u32 v1, v1, 10
	s_mul_i32 s6, s6, 10
	v_sub_u32_e32 v1, v2, v1
	s_sub_i32 s6, s33, s6
	v_add_u32_e32 v1, s6, v1
	v_subrev_co_u32_e32 v2, vcc, 10, v1
	s_nop 1
	v_cndmask_b32_e32 v1, v2, v1, vcc
.LBB612_219:
	s_or_b64 s[34:35], s[34:35], exec
.LBB612_220:
	s_or_b64 exec, exec, s[4:5]
	s_branch .LBB612_229
.LBB612_221:
	s_cmp_eq_u32 s76, 8
	s_cbranch_scc0 .LBB612_228
; %bb.222:
	s_mov_b32 s3, 0
	s_lshl_b32 s4, s2, 11
	s_mov_b32 s5, s3
	s_lshr_b64 s[6:7], s[70:71], 11
	s_lshl_b64 s[8:9], s[4:5], 2
	s_add_u32 s16, s68, s8
	s_addc_u32 s17, s69, s9
	s_cmp_lg_u64 s[6:7], s[2:3]
	s_cbranch_scc0 .LBB612_230
; %bb.223:
	v_lshlrev_b32_e32 v2, 2, v0
	v_mov_b32_e32 v3, 0
	global_load_dword v4, v2, s[16:17] offset:1024
	global_load_dword v5, v2, s[16:17]
	global_load_dword v6, v2, s[16:17] offset:2048
	global_load_dword v7, v2, s[16:17] offset:3072
	v_lshl_add_u64 v[2:3], s[16:17], 0, v[2:3]
	v_add_co_u32_e32 v2, vcc, 0x1000, v2
	s_mov_b32 s5, 0xcccccccd
	s_nop 0
	v_addc_co_u32_e32 v3, vcc, 0, v3, vcc
	global_load_dword v8, v[2:3], off
	global_load_dword v9, v[2:3], off offset:1024
	global_load_dword v10, v[2:3], off offset:2048
	global_load_dword v11, v[2:3], off offset:3072
	s_waitcnt lgkmcnt(0)
	v_mbcnt_lo_u32_b32 v1, -1, 0
	v_mbcnt_hi_u32_b32 v1, -1, v1
	s_waitcnt vmcnt(7)
	v_mul_hi_u32 v2, v4, s5
	s_waitcnt vmcnt(6)
	v_mul_hi_u32 v3, v5, s5
	;; [unrolled: 2-line block ×4, first 2 shown]
	v_lshrrev_b32_e32 v2, 3, v2
	v_lshrrev_b32_e32 v3, 3, v3
	;; [unrolled: 1-line block ×4, first 2 shown]
	v_mul_lo_u32 v2, v2, 10
	v_mul_lo_u32 v3, v3, 10
	;; [unrolled: 1-line block ×4, first 2 shown]
	v_sub_u32_e32 v2, v4, v2
	v_sub_u32_e32 v3, v5, v3
	;; [unrolled: 1-line block ×4, first 2 shown]
	s_waitcnt vmcnt(3)
	v_mul_hi_u32 v6, v8, s5
	s_waitcnt vmcnt(2)
	v_mul_hi_u32 v7, v9, s5
	;; [unrolled: 2-line block ×4, first 2 shown]
	v_add_u32_e32 v2, v2, v3
	v_lshrrev_b32_e32 v3, 3, v6
	v_lshrrev_b32_e32 v6, 3, v7
	;; [unrolled: 1-line block ×4, first 2 shown]
	v_subrev_co_u32_e32 v13, vcc, 10, v2
	v_mul_lo_u32 v6, v6, 10
	s_nop 0
	v_cndmask_b32_e32 v2, v13, v2, vcc
	v_mul_hi_u32 v13, v2, s5
	v_sub_u32_e32 v6, v9, v6
	v_lshrrev_b32_e32 v9, 3, v13
	v_mul_lo_u32 v9, v9, 10
	v_sub_u32_e32 v2, v2, v9
	v_add_u32_e32 v2, v2, v4
	v_subrev_co_u32_e32 v4, vcc, 10, v2
	v_mul_lo_u32 v3, v3, 10
	s_nop 0
	v_cndmask_b32_e32 v2, v4, v2, vcc
	v_mul_hi_u32 v4, v2, s5
	v_lshrrev_b32_e32 v4, 3, v4
	v_mul_lo_u32 v4, v4, 10
	v_sub_u32_e32 v2, v2, v4
	v_add_u32_e32 v2, v2, v5
	v_subrev_co_u32_e32 v4, vcc, 10, v2
	v_sub_u32_e32 v3, v8, v3
	s_nop 0
	v_cndmask_b32_e32 v2, v4, v2, vcc
	v_mul_hi_u32 v4, v2, s5
	v_lshrrev_b32_e32 v4, 3, v4
	v_mul_lo_u32 v4, v4, 10
	v_sub_u32_e32 v2, v2, v4
	v_add_u32_e32 v2, v2, v3
	v_subrev_co_u32_e32 v3, vcc, 10, v2
	v_mul_lo_u32 v7, v7, 10
	s_nop 0
	v_cndmask_b32_e32 v2, v3, v2, vcc
	v_mul_hi_u32 v3, v2, s5
	v_lshrrev_b32_e32 v3, 3, v3
	v_mul_lo_u32 v3, v3, 10
	v_sub_u32_e32 v2, v2, v3
	v_add_u32_e32 v2, v2, v6
	v_subrev_co_u32_e32 v3, vcc, 10, v2
	v_sub_u32_e32 v7, v10, v7
	s_nop 0
	v_cndmask_b32_e32 v2, v3, v2, vcc
	v_mul_hi_u32 v3, v2, s5
	v_lshrrev_b32_e32 v3, 3, v3
	v_mul_lo_u32 v3, v3, 10
	v_sub_u32_e32 v2, v2, v3
	v_add_u32_e32 v2, v2, v7
	v_subrev_co_u32_e32 v3, vcc, 10, v2
	v_mul_lo_u32 v12, v12, 10
	s_nop 0
	v_cndmask_b32_e32 v2, v3, v2, vcc
	v_mul_hi_u32 v3, v2, s5
	v_lshrrev_b32_e32 v3, 3, v3
	v_mul_lo_u32 v3, v3, 10
	v_sub_u32_e32 v8, v11, v12
	v_sub_u32_e32 v2, v2, v3
	v_add_u32_e32 v2, v2, v8
	v_subrev_co_u32_e32 v3, vcc, 10, v2
	s_nop 1
	v_cndmask_b32_e32 v2, v3, v2, vcc
	v_mul_hi_u32 v4, v2, s5
	v_lshrrev_b32_e32 v4, 3, v4
	v_mov_b32_dpp v3, v2 quad_perm:[1,0,3,2] row_mask:0xf bank_mask:0xf bound_ctrl:1
	v_mul_hi_u32 v5, v3, s5
	v_mul_lo_u32 v4, v4, 10
	v_lshrrev_b32_e32 v5, 3, v5
	v_sub_u32_e32 v2, v2, v4
	v_mul_lo_u32 v4, v5, 10
	v_sub_u32_e32 v3, v3, v4
	v_add_u32_e32 v2, v2, v3
	v_subrev_co_u32_e32 v3, vcc, 10, v2
	s_nop 1
	v_cndmask_b32_e32 v2, v3, v2, vcc
	s_nop 1
	v_mov_b32_dpp v3, v2 quad_perm:[2,3,0,1] row_mask:0xf bank_mask:0xf bound_ctrl:1
	v_mul_hi_u32 v4, v3, s5
	v_lshrrev_b32_e32 v4, 3, v4
	v_mul_lo_u32 v4, v4, 10
	v_sub_u32_e32 v3, v3, v4
	v_add_u32_e32 v2, v2, v3
	v_subrev_co_u32_e32 v3, vcc, 10, v2
	s_nop 1
	v_cndmask_b32_e32 v2, v3, v2, vcc
	v_mul_hi_u32 v4, v2, s5
	v_lshrrev_b32_e32 v4, 3, v4
	v_mov_b32_dpp v3, v2 row_ror:4 row_mask:0xf bank_mask:0xf bound_ctrl:1
	v_mul_hi_u32 v5, v3, s5
	v_mul_lo_u32 v4, v4, 10
	v_lshrrev_b32_e32 v5, 3, v5
	v_sub_u32_e32 v2, v2, v4
	v_mul_lo_u32 v4, v5, 10
	v_sub_u32_e32 v3, v3, v4
	v_add_u32_e32 v2, v2, v3
	v_subrev_co_u32_e32 v3, vcc, 10, v2
	s_nop 1
	v_cndmask_b32_e32 v2, v3, v2, vcc
	v_mul_hi_u32 v4, v2, s5
	v_lshrrev_b32_e32 v4, 3, v4
	v_mov_b32_dpp v3, v2 row_ror:8 row_mask:0xf bank_mask:0xf bound_ctrl:1
	v_mul_hi_u32 v5, v3, s5
	v_mul_lo_u32 v4, v4, 10
	v_lshrrev_b32_e32 v5, 3, v5
	v_sub_u32_e32 v2, v2, v4
	v_mul_lo_u32 v4, v5, 10
	v_sub_u32_e32 v3, v3, v4
	v_add_u32_e32 v2, v2, v3
	v_subrev_co_u32_e32 v3, vcc, 10, v2
	s_nop 1
	v_cndmask_b32_e32 v2, v3, v2, vcc
	v_mul_hi_u32 v4, v2, s5
	v_lshrrev_b32_e32 v4, 3, v4
	v_mov_b32_dpp v3, v2 row_bcast:15 row_mask:0xf bank_mask:0xf bound_ctrl:1
	v_mul_lo_u32 v4, v4, 10
	v_sub_u32_e32 v2, v2, v4
	v_mul_hi_u32 v4, v3, s5
	v_lshrrev_b32_e32 v4, 3, v4
	v_mul_lo_u32 v4, v4, 10
	v_sub_u32_e32 v3, v3, v4
	v_add_u32_e32 v2, v2, v3
	v_subrev_co_u32_e32 v3, vcc, 10, v2
	s_nop 1
	v_cndmask_b32_e32 v2, v3, v2, vcc
	v_mul_hi_u32 v4, v2, s5
	v_lshrrev_b32_e32 v4, 3, v4
	v_mov_b32_dpp v3, v2 row_bcast:31 row_mask:0xf bank_mask:0xf bound_ctrl:1
	v_mul_lo_u32 v4, v4, 10
	v_sub_u32_e32 v2, v2, v4
	v_mul_hi_u32 v4, v3, s5
	v_lshrrev_b32_e32 v4, 3, v4
	v_mul_lo_u32 v4, v4, 10
	v_sub_u32_e32 v3, v3, v4
	v_add_u32_e32 v2, v2, v3
	v_subrev_co_u32_e32 v3, vcc, 10, v2
	s_nop 1
	v_cndmask_b32_e32 v2, v3, v2, vcc
	v_lshlrev_b32_e32 v3, 2, v1
	v_or_b32_e32 v4, 0xfc, v3
	ds_bpermute_b32 v2, v4, v2
	v_cmp_eq_u32_e32 vcc, 0, v1
	s_and_saveexec_b64 s[6:7], vcc
	s_cbranch_execz .LBB612_225
; %bb.224:
	v_lshrrev_b32_e32 v4, 4, v0
	v_and_b32_e32 v4, 12, v4
	s_waitcnt lgkmcnt(0)
	ds_write_b32 v4, v2 offset:96
.LBB612_225:
	s_or_b64 exec, exec, s[6:7]
	v_cmp_gt_u32_e32 vcc, 64, v0
	s_waitcnt lgkmcnt(0)
	s_barrier
	s_and_saveexec_b64 s[6:7], vcc
	s_cbranch_execz .LBB612_227
; %bb.226:
	v_and_b32_e32 v2, 3, v1
	v_lshlrev_b32_e32 v4, 2, v2
	ds_read_b32 v4, v4 offset:96
	v_cmp_ne_u32_e32 vcc, 3, v2
	s_waitcnt lgkmcnt(0)
	v_mul_hi_u32 v2, v4, s5
	v_addc_co_u32_e32 v1, vcc, 0, v1, vcc
	v_lshlrev_b32_e32 v1, 2, v1
	ds_bpermute_b32 v1, v1, v4
	v_lshrrev_b32_e32 v2, 3, v2
	v_mul_lo_u32 v2, v2, 10
	v_sub_u32_e32 v2, v4, v2
	s_waitcnt lgkmcnt(0)
	v_mul_hi_u32 v5, v1, s5
	v_lshrrev_b32_e32 v5, 3, v5
	v_mul_lo_u32 v5, v5, 10
	v_sub_u32_e32 v1, v1, v5
	v_add_u32_e32 v1, v1, v2
	v_subrev_co_u32_e32 v2, vcc, 10, v1
	s_nop 1
	v_cndmask_b32_e32 v1, v2, v1, vcc
	v_or_b32_e32 v2, 8, v3
	ds_bpermute_b32 v2, v2, v1
	s_waitcnt lgkmcnt(0)
	v_mul_hi_u32 v3, v2, s5
	v_lshrrev_b32_e32 v3, 3, v3
	v_mul_lo_u32 v3, v3, 10
	v_sub_u32_e32 v2, v2, v3
	v_add_u32_e32 v1, v1, v2
	v_subrev_co_u32_e32 v2, vcc, 10, v1
	s_nop 1
	v_cndmask_b32_e32 v2, v2, v1, vcc
.LBB612_227:
	s_or_b64 exec, exec, s[6:7]
	s_branch .LBB612_275
.LBB612_228:
                                        ; implicit-def: $vgpr1
.LBB612_229:
	s_branch .LBB612_389
.LBB612_230:
                                        ; implicit-def: $vgpr2
	s_cbranch_execz .LBB612_275
; %bb.231:
	s_sub_i32 s20, s70, s4
	v_mov_b32_e32 v2, 0
	v_cmp_gt_u32_e32 vcc, s20, v0
	v_mov_b32_e32 v3, v2
	v_mov_b32_e32 v4, v2
	;; [unrolled: 1-line block ×7, first 2 shown]
	s_and_saveexec_b64 s[4:5], vcc
	s_cbranch_execz .LBB612_233
; %bb.232:
	s_waitcnt lgkmcnt(0)
	v_lshlrev_b32_e32 v1, 2, v0
	global_load_dword v4, v1, s[16:17]
	v_mov_b32_e32 v5, v2
	v_mov_b32_e32 v6, v2
	;; [unrolled: 1-line block ×7, first 2 shown]
	s_waitcnt vmcnt(0)
	v_mov_b64_e32 v[2:3], v[4:5]
	v_mov_b64_e32 v[4:5], v[6:7]
	;; [unrolled: 1-line block ×4, first 2 shown]
.LBB612_233:
	s_or_b64 exec, exec, s[4:5]
	s_waitcnt lgkmcnt(0)
	v_or_b32_e32 v1, 0x100, v0
	v_cmp_gt_u32_e64 s[14:15], s20, v1
	s_and_saveexec_b64 s[4:5], s[14:15]
	s_cbranch_execz .LBB612_235
; %bb.234:
	v_lshlrev_b32_e32 v1, 2, v0
	global_load_dword v3, v1, s[16:17] offset:1024
.LBB612_235:
	s_or_b64 exec, exec, s[4:5]
	v_or_b32_e32 v1, 0x200, v0
	v_cmp_gt_u32_e64 s[12:13], s20, v1
	s_and_saveexec_b64 s[4:5], s[12:13]
	s_cbranch_execz .LBB612_237
; %bb.236:
	v_lshlrev_b32_e32 v1, 2, v0
	global_load_dword v4, v1, s[16:17] offset:2048
.LBB612_237:
	s_or_b64 exec, exec, s[4:5]
	;; [unrolled: 9-line block ×3, first 2 shown]
	v_or_b32_e32 v1, 0x400, v0
	v_cmp_gt_u32_e64 s[8:9], s20, v1
	s_and_saveexec_b64 s[4:5], s[8:9]
	s_cbranch_execz .LBB612_241
; %bb.240:
	v_lshlrev_b32_e32 v1, 2, v1
	global_load_dword v6, v1, s[16:17]
.LBB612_241:
	s_or_b64 exec, exec, s[4:5]
	v_or_b32_e32 v1, 0x500, v0
	v_cmp_gt_u32_e64 s[6:7], s20, v1
	s_and_saveexec_b64 s[4:5], s[6:7]
	s_cbranch_execz .LBB612_243
; %bb.242:
	v_lshlrev_b32_e32 v1, 2, v1
	global_load_dword v7, v1, s[16:17]
.LBB612_243:
	s_or_b64 exec, exec, s[4:5]
	;; [unrolled: 9-line block ×3, first 2 shown]
	v_or_b32_e32 v1, 0x700, v0
	v_cmp_gt_u32_e32 vcc, s20, v1
	s_and_saveexec_b64 s[18:19], vcc
	s_cbranch_execnz .LBB612_293
; %bb.246:
	s_or_b64 exec, exec, s[18:19]
	s_and_saveexec_b64 s[16:17], s[14:15]
	s_cbranch_execnz .LBB612_294
.LBB612_247:
	s_or_b64 exec, exec, s[16:17]
	s_and_saveexec_b64 s[14:15], s[12:13]
	s_cbranch_execnz .LBB612_295
.LBB612_248:
	s_or_b64 exec, exec, s[14:15]
	s_and_saveexec_b64 s[12:13], s[10:11]
	s_cbranch_execnz .LBB612_296
.LBB612_249:
	s_or_b64 exec, exec, s[12:13]
	s_and_saveexec_b64 s[10:11], s[8:9]
	s_cbranch_execnz .LBB612_297
.LBB612_250:
	s_or_b64 exec, exec, s[10:11]
	s_and_saveexec_b64 s[8:9], s[6:7]
	s_cbranch_execnz .LBB612_298
.LBB612_251:
	s_or_b64 exec, exec, s[8:9]
	s_and_saveexec_b64 s[6:7], s[4:5]
	s_cbranch_execnz .LBB612_299
.LBB612_252:
	s_or_b64 exec, exec, s[6:7]
	s_and_saveexec_b64 s[4:5], vcc
	s_cbranch_execz .LBB612_254
.LBB612_253:
	s_mov_b32 s6, 0xcccccccd
	s_waitcnt vmcnt(0)
	v_mul_hi_u32 v1, v9, s6
	v_mul_hi_u32 v3, v2, s6
	v_lshrrev_b32_e32 v1, 3, v1
	v_lshrrev_b32_e32 v3, 3, v3
	v_mul_lo_u32 v1, v1, 10
	v_mul_lo_u32 v3, v3, 10
	v_sub_u32_e32 v1, v9, v1
	v_sub_u32_e32 v2, v2, v3
	v_add_u32_e32 v1, v2, v1
	v_subrev_co_u32_e32 v2, vcc, 10, v1
	s_nop 1
	v_cndmask_b32_e32 v2, v2, v1, vcc
.LBB612_254:
	s_or_b64 exec, exec, s[4:5]
	v_mbcnt_lo_u32_b32 v1, -1, 0
	v_mbcnt_hi_u32_b32 v1, -1, v1
	s_waitcnt vmcnt(0)
	v_and_b32_e32 v3, 63, v1
	v_cmp_ne_u32_e32 vcc, 63, v3
	s_min_u32 s6, s20, 0x100
	v_add_u32_e32 v6, 1, v3
	v_addc_co_u32_e32 v4, vcc, 0, v1, vcc
	v_lshlrev_b32_e32 v4, 2, v4
	ds_bpermute_b32 v5, v4, v2
	v_and_b32_e32 v4, 0xc0, v0
	v_sub_u32_e64 v4, s6, v4 clamp
	v_cmp_lt_u32_e32 vcc, v6, v4
	s_and_saveexec_b64 s[4:5], vcc
	s_xor_b64 s[4:5], exec, s[4:5]
	s_cbranch_execz .LBB612_256
; %bb.255:
	s_mov_b32 s7, 0xcccccccd
	s_waitcnt lgkmcnt(0)
	v_mul_hi_u32 v6, v5, s7
	v_lshrrev_b32_e32 v6, 3, v6
	v_mul_lo_u32 v6, v6, 10
	v_sub_u32_e32 v5, v5, v6
	v_mul_hi_u32 v6, v2, s7
	v_lshrrev_b32_e32 v6, 3, v6
	v_mul_lo_u32 v6, v6, 10
	v_sub_u32_e32 v2, v2, v6
	v_add_u32_e32 v2, v5, v2
	v_subrev_co_u32_e32 v5, vcc, 10, v2
	s_nop 1
	v_cndmask_b32_e32 v2, v5, v2, vcc
.LBB612_256:
	s_or_b64 exec, exec, s[4:5]
	v_cmp_gt_u32_e32 vcc, 62, v3
	v_add_u32_e32 v6, 2, v3
	s_waitcnt lgkmcnt(0)
	v_cndmask_b32_e64 v5, 0, 2, vcc
	v_add_lshl_u32 v5, v5, v1, 2
	ds_bpermute_b32 v5, v5, v2
	v_cmp_lt_u32_e32 vcc, v6, v4
	s_and_saveexec_b64 s[4:5], vcc
	s_cbranch_execz .LBB612_258
; %bb.257:
	s_mov_b32 s7, 0xcccccccd
	s_waitcnt lgkmcnt(0)
	v_mul_hi_u32 v6, v5, s7
	v_lshrrev_b32_e32 v6, 3, v6
	v_mul_lo_u32 v6, v6, 10
	v_sub_u32_e32 v5, v5, v6
	v_mul_hi_u32 v6, v2, s7
	v_lshrrev_b32_e32 v6, 3, v6
	v_mul_lo_u32 v6, v6, 10
	v_sub_u32_e32 v2, v2, v6
	v_add_u32_e32 v2, v5, v2
	v_subrev_co_u32_e32 v5, vcc, 10, v2
	s_nop 1
	v_cndmask_b32_e32 v2, v5, v2, vcc
.LBB612_258:
	s_or_b64 exec, exec, s[4:5]
	v_cmp_gt_u32_e32 vcc, 60, v3
	v_add_u32_e32 v6, 4, v3
	s_waitcnt lgkmcnt(0)
	v_cndmask_b32_e64 v5, 0, 4, vcc
	v_add_lshl_u32 v5, v5, v1, 2
	ds_bpermute_b32 v5, v5, v2
	v_cmp_lt_u32_e32 vcc, v6, v4
	s_and_saveexec_b64 s[4:5], vcc
	;; [unrolled: 26-line block ×4, first 2 shown]
	s_cbranch_execz .LBB612_264
; %bb.263:
	s_mov_b32 s7, 0xcccccccd
	s_waitcnt lgkmcnt(0)
	v_mul_hi_u32 v6, v5, s7
	v_lshrrev_b32_e32 v6, 3, v6
	v_mul_lo_u32 v6, v6, 10
	v_sub_u32_e32 v5, v5, v6
	v_mul_hi_u32 v6, v2, s7
	v_lshrrev_b32_e32 v6, 3, v6
	v_mul_lo_u32 v6, v6, 10
	v_sub_u32_e32 v2, v2, v6
	v_add_u32_e32 v2, v5, v2
	v_subrev_co_u32_e32 v5, vcc, 10, v2
	s_nop 1
	v_cndmask_b32_e32 v2, v5, v2, vcc
.LBB612_264:
	s_or_b64 exec, exec, s[4:5]
	s_waitcnt lgkmcnt(0)
	v_lshlrev_b32_e32 v5, 2, v1
	v_or_b32_e32 v6, 0x80, v5
	ds_bpermute_b32 v6, v6, v2
	v_add_u32_e32 v3, 32, v3
	v_cmp_lt_u32_e32 vcc, v3, v4
	s_and_saveexec_b64 s[4:5], vcc
	s_cbranch_execz .LBB612_266
; %bb.265:
	s_mov_b32 s7, 0xcccccccd
	s_waitcnt lgkmcnt(0)
	v_mul_hi_u32 v3, v6, s7
	v_mul_hi_u32 v4, v2, s7
	v_lshrrev_b32_e32 v3, 3, v3
	v_lshrrev_b32_e32 v4, 3, v4
	v_mul_lo_u32 v3, v3, 10
	v_mul_lo_u32 v4, v4, 10
	v_sub_u32_e32 v3, v6, v3
	v_sub_u32_e32 v2, v2, v4
	v_add_u32_e32 v2, v3, v2
	v_subrev_co_u32_e32 v3, vcc, 10, v2
	s_nop 1
	v_cndmask_b32_e32 v2, v3, v2, vcc
.LBB612_266:
	s_or_b64 exec, exec, s[4:5]
	v_cmp_eq_u32_e32 vcc, 0, v1
	s_and_saveexec_b64 s[4:5], vcc
; %bb.267:
	v_lshrrev_b32_e32 v3, 4, v0
	v_and_b32_e32 v3, 12, v3
	ds_write_b32 v3, v2
; %bb.268:
	s_or_b64 exec, exec, s[4:5]
	v_cmp_gt_u32_e32 vcc, 4, v0
	s_waitcnt lgkmcnt(0)
	s_barrier
	s_and_saveexec_b64 s[4:5], vcc
	s_cbranch_execz .LBB612_274
; %bb.269:
	ds_read_b32 v2, v5
	v_and_b32_e32 v3, 3, v1
	v_cmp_ne_u32_e32 vcc, 3, v3
	s_add_i32 s6, s6, 63
	s_lshr_b32 s8, s6, 6
	v_addc_co_u32_e32 v1, vcc, 0, v1, vcc
	v_lshlrev_b32_e32 v1, 2, v1
	s_waitcnt lgkmcnt(0)
	ds_bpermute_b32 v1, v1, v2
	v_add_u32_e32 v4, 1, v3
	v_cmp_gt_u32_e32 vcc, s8, v4
	s_and_saveexec_b64 s[6:7], vcc
	s_cbranch_execz .LBB612_271
; %bb.270:
	s_mov_b32 s9, 0xcccccccd
	s_waitcnt lgkmcnt(0)
	v_mul_hi_u32 v4, v1, s9
	v_lshrrev_b32_e32 v4, 3, v4
	v_mul_lo_u32 v4, v4, 10
	v_sub_u32_e32 v1, v1, v4
	v_mul_hi_u32 v4, v2, s9
	v_lshrrev_b32_e32 v4, 3, v4
	v_mul_lo_u32 v4, v4, 10
	v_sub_u32_e32 v2, v2, v4
	v_add_u32_e32 v1, v1, v2
	v_subrev_co_u32_e32 v2, vcc, 10, v1
	s_nop 1
	v_cndmask_b32_e32 v2, v2, v1, vcc
.LBB612_271:
	s_or_b64 exec, exec, s[6:7]
	s_waitcnt lgkmcnt(0)
	v_or_b32_e32 v1, 8, v5
	ds_bpermute_b32 v1, v1, v2
	v_add_u32_e32 v3, 2, v3
	v_cmp_gt_u32_e32 vcc, s8, v3
	s_and_saveexec_b64 s[6:7], vcc
	s_cbranch_execz .LBB612_273
; %bb.272:
	s_mov_b32 s8, 0xcccccccd
	s_waitcnt lgkmcnt(0)
	v_mul_hi_u32 v3, v1, s8
	v_lshrrev_b32_e32 v3, 3, v3
	v_mul_lo_u32 v3, v3, 10
	v_sub_u32_e32 v1, v1, v3
	v_mul_hi_u32 v3, v2, s8
	v_lshrrev_b32_e32 v3, 3, v3
	v_mul_lo_u32 v3, v3, 10
	v_sub_u32_e32 v2, v2, v3
	v_add_u32_e32 v1, v1, v2
	v_subrev_co_u32_e32 v2, vcc, 10, v1
	s_nop 1
	v_cndmask_b32_e32 v2, v2, v1, vcc
.LBB612_273:
	s_or_b64 exec, exec, s[6:7]
.LBB612_274:
	s_or_b64 exec, exec, s[4:5]
.LBB612_275:
	v_cmp_eq_u32_e32 vcc, 0, v0
                                        ; implicit-def: $vgpr1
	s_and_saveexec_b64 s[4:5], vcc
	s_xor_b64 s[4:5], exec, s[4:5]
	s_cbranch_execz .LBB612_279
; %bb.276:
	s_cmp_eq_u64 s[70:71], 0
	s_waitcnt lgkmcnt(0)
	v_mov_b32_e32 v1, s33
	s_cbranch_scc1 .LBB612_278
; %bb.277:
	s_mov_b32 s6, 0xcccccccd
	v_mul_hi_u32 v1, v2, s6
	s_mul_hi_u32 s6, s33, 0xcccccccd
	v_lshrrev_b32_e32 v1, 3, v1
	s_lshr_b32 s6, s6, 3
	v_mul_lo_u32 v1, v1, 10
	s_mul_i32 s6, s6, 10
	v_sub_u32_e32 v1, v2, v1
	s_sub_i32 s6, s33, s6
	v_add_u32_e32 v1, s6, v1
	v_subrev_co_u32_e32 v2, vcc, 10, v1
	s_nop 1
	v_cndmask_b32_e32 v1, v2, v1, vcc
.LBB612_278:
	s_or_b64 s[34:35], s[34:35], exec
.LBB612_279:
	s_or_b64 exec, exec, s[4:5]
	s_branch .LBB612_389
.LBB612_280:
	s_cmp_gt_i32 s76, 1
	s_cbranch_scc0 .LBB612_289
; %bb.281:
	s_cmp_gt_i32 s76, 3
	s_cbranch_scc0 .LBB612_290
; %bb.282:
	s_cmp_eq_u32 s76, 4
	s_cbranch_scc0 .LBB612_291
; %bb.283:
	s_mov_b32 s3, 0
	s_lshl_b32 s4, s2, 10
	s_mov_b32 s5, s3
	s_lshr_b64 s[6:7], s[70:71], 10
	s_lshl_b64 s[8:9], s[4:5], 2
	s_add_u32 s8, s68, s8
	s_addc_u32 s9, s69, s9
	s_cmp_lg_u64 s[6:7], s[2:3]
	s_cbranch_scc0 .LBB612_300
; %bb.284:
	s_waitcnt lgkmcnt(0)
	v_lshlrev_b32_e32 v1, 2, v0
	global_load_dword v2, v1, s[8:9] offset:1024
	global_load_dword v4, v1, s[8:9]
	global_load_dword v5, v1, s[8:9] offset:2048
	global_load_dword v6, v1, s[8:9] offset:3072
	s_mov_b32 s5, 0xcccccccd
	v_mbcnt_lo_u32_b32 v1, -1, 0
	v_mbcnt_hi_u32_b32 v1, -1, v1
	v_lshlrev_b32_e32 v3, 2, v1
	s_waitcnt vmcnt(3)
	v_mul_hi_u32 v7, v2, s5
	s_waitcnt vmcnt(2)
	v_mul_hi_u32 v8, v4, s5
	v_lshrrev_b32_e32 v7, 3, v7
	v_lshrrev_b32_e32 v8, 3, v8
	v_mul_lo_u32 v7, v7, 10
	v_mul_lo_u32 v8, v8, 10
	v_sub_u32_e32 v2, v2, v7
	v_sub_u32_e32 v4, v4, v8
	v_add_u32_e32 v2, v2, v4
	v_subrev_co_u32_e32 v4, vcc, 10, v2
	s_waitcnt vmcnt(1)
	v_mul_hi_u32 v9, v5, s5
	v_cndmask_b32_e32 v2, v4, v2, vcc
	v_mul_hi_u32 v4, v2, s5
	v_lshrrev_b32_e32 v9, 3, v9
	v_lshrrev_b32_e32 v4, 3, v4
	v_mul_lo_u32 v9, v9, 10
	v_mul_lo_u32 v4, v4, 10
	v_sub_u32_e32 v5, v5, v9
	v_sub_u32_e32 v2, v2, v4
	v_add_u32_e32 v2, v2, v5
	v_subrev_co_u32_e32 v4, vcc, 10, v2
	s_waitcnt vmcnt(0)
	v_mul_hi_u32 v10, v6, s5
	v_cndmask_b32_e32 v2, v4, v2, vcc
	v_mul_hi_u32 v4, v2, s5
	v_lshrrev_b32_e32 v10, 3, v10
	v_lshrrev_b32_e32 v4, 3, v4
	v_mul_lo_u32 v10, v10, 10
	v_mul_lo_u32 v4, v4, 10
	v_sub_u32_e32 v6, v6, v10
	v_sub_u32_e32 v2, v2, v4
	v_add_u32_e32 v2, v2, v6
	v_subrev_co_u32_e32 v4, vcc, 10, v2
	s_nop 1
	v_cndmask_b32_e32 v2, v4, v2, vcc
	v_mul_hi_u32 v5, v2, s5
	v_lshrrev_b32_e32 v5, 3, v5
	v_mov_b32_dpp v4, v2 quad_perm:[1,0,3,2] row_mask:0xf bank_mask:0xf bound_ctrl:1
	v_mul_hi_u32 v6, v4, s5
	v_mul_lo_u32 v5, v5, 10
	v_lshrrev_b32_e32 v6, 3, v6
	v_sub_u32_e32 v2, v2, v5
	v_mul_lo_u32 v5, v6, 10
	v_sub_u32_e32 v4, v4, v5
	v_add_u32_e32 v2, v2, v4
	v_subrev_co_u32_e32 v4, vcc, 10, v2
	s_nop 1
	v_cndmask_b32_e32 v2, v4, v2, vcc
	s_nop 1
	v_mov_b32_dpp v4, v2 quad_perm:[2,3,0,1] row_mask:0xf bank_mask:0xf bound_ctrl:1
	v_mul_hi_u32 v5, v4, s5
	v_lshrrev_b32_e32 v5, 3, v5
	v_mul_lo_u32 v5, v5, 10
	v_sub_u32_e32 v4, v4, v5
	v_add_u32_e32 v2, v2, v4
	v_subrev_co_u32_e32 v4, vcc, 10, v2
	s_nop 1
	v_cndmask_b32_e32 v2, v4, v2, vcc
	v_mul_hi_u32 v5, v2, s5
	v_lshrrev_b32_e32 v5, 3, v5
	v_mov_b32_dpp v4, v2 row_ror:4 row_mask:0xf bank_mask:0xf bound_ctrl:1
	v_mul_hi_u32 v6, v4, s5
	v_mul_lo_u32 v5, v5, 10
	v_lshrrev_b32_e32 v6, 3, v6
	v_sub_u32_e32 v2, v2, v5
	v_mul_lo_u32 v5, v6, 10
	v_sub_u32_e32 v4, v4, v5
	v_add_u32_e32 v2, v2, v4
	v_subrev_co_u32_e32 v4, vcc, 10, v2
	s_nop 1
	v_cndmask_b32_e32 v2, v4, v2, vcc
	v_mul_hi_u32 v5, v2, s5
	v_lshrrev_b32_e32 v5, 3, v5
	v_mov_b32_dpp v4, v2 row_ror:8 row_mask:0xf bank_mask:0xf bound_ctrl:1
	v_mul_hi_u32 v6, v4, s5
	v_mul_lo_u32 v5, v5, 10
	v_lshrrev_b32_e32 v6, 3, v6
	v_sub_u32_e32 v2, v2, v5
	v_mul_lo_u32 v5, v6, 10
	v_sub_u32_e32 v4, v4, v5
	v_add_u32_e32 v2, v2, v4
	v_subrev_co_u32_e32 v4, vcc, 10, v2
	s_nop 1
	v_cndmask_b32_e32 v2, v4, v2, vcc
	v_mul_hi_u32 v5, v2, s5
	v_lshrrev_b32_e32 v5, 3, v5
	v_mov_b32_dpp v4, v2 row_bcast:15 row_mask:0xf bank_mask:0xf bound_ctrl:1
	v_mul_hi_u32 v6, v4, s5
	v_mul_lo_u32 v5, v5, 10
	v_lshrrev_b32_e32 v6, 3, v6
	v_sub_u32_e32 v2, v2, v5
	v_mul_lo_u32 v5, v6, 10
	v_sub_u32_e32 v4, v4, v5
	v_add_u32_e32 v2, v2, v4
	v_subrev_co_u32_e32 v4, vcc, 10, v2
	s_nop 1
	v_cndmask_b32_e32 v2, v4, v2, vcc
	v_mul_hi_u32 v5, v2, s5
	v_lshrrev_b32_e32 v5, 3, v5
	v_mov_b32_dpp v4, v2 row_bcast:31 row_mask:0xf bank_mask:0xf bound_ctrl:1
	v_mul_hi_u32 v6, v4, s5
	v_mul_lo_u32 v5, v5, 10
	v_lshrrev_b32_e32 v6, 3, v6
	v_sub_u32_e32 v2, v2, v5
	v_mul_lo_u32 v5, v6, 10
	v_sub_u32_e32 v4, v4, v5
	v_add_u32_e32 v2, v2, v4
	v_subrev_co_u32_e32 v4, vcc, 10, v2
	s_nop 1
	v_cndmask_b32_e32 v2, v4, v2, vcc
	v_or_b32_e32 v4, 0xfc, v3
	ds_bpermute_b32 v2, v4, v2
	v_cmp_eq_u32_e32 vcc, 0, v1
	s_and_saveexec_b64 s[6:7], vcc
	s_cbranch_execz .LBB612_286
; %bb.285:
	v_lshrrev_b32_e32 v4, 4, v0
	v_and_b32_e32 v4, 12, v4
	s_waitcnt lgkmcnt(0)
	ds_write_b32 v4, v2 offset:80
.LBB612_286:
	s_or_b64 exec, exec, s[6:7]
	v_cmp_gt_u32_e32 vcc, 64, v0
	s_waitcnt lgkmcnt(0)
	s_barrier
	s_and_saveexec_b64 s[6:7], vcc
	s_cbranch_execz .LBB612_288
; %bb.287:
	v_and_b32_e32 v2, 3, v1
	v_lshlrev_b32_e32 v4, 2, v2
	ds_read_b32 v4, v4 offset:80
	v_cmp_ne_u32_e32 vcc, 3, v2
	s_waitcnt lgkmcnt(0)
	v_mul_hi_u32 v2, v4, s5
	v_addc_co_u32_e32 v1, vcc, 0, v1, vcc
	v_lshlrev_b32_e32 v1, 2, v1
	ds_bpermute_b32 v1, v1, v4
	v_lshrrev_b32_e32 v2, 3, v2
	v_mul_lo_u32 v2, v2, 10
	v_sub_u32_e32 v2, v4, v2
	s_waitcnt lgkmcnt(0)
	v_mul_hi_u32 v5, v1, s5
	v_lshrrev_b32_e32 v5, 3, v5
	v_mul_lo_u32 v5, v5, 10
	v_sub_u32_e32 v1, v1, v5
	v_add_u32_e32 v1, v1, v2
	v_subrev_co_u32_e32 v2, vcc, 10, v1
	s_nop 1
	v_cndmask_b32_e32 v1, v2, v1, vcc
	v_or_b32_e32 v2, 8, v3
	ds_bpermute_b32 v2, v2, v1
	s_waitcnt lgkmcnt(0)
	v_mul_hi_u32 v3, v2, s5
	v_lshrrev_b32_e32 v3, 3, v3
	v_mul_lo_u32 v3, v3, 10
	v_sub_u32_e32 v2, v2, v3
	v_add_u32_e32 v1, v1, v2
	v_subrev_co_u32_e32 v2, vcc, 10, v1
	s_nop 1
	v_cndmask_b32_e32 v2, v2, v1, vcc
.LBB612_288:
	s_or_b64 exec, exec, s[6:7]
	s_mov_b64 s[6:7], 0
	s_branch .LBB612_301
.LBB612_289:
                                        ; implicit-def: $vgpr1
	s_cbranch_execnz .LBB612_381
	s_branch .LBB612_389
.LBB612_290:
                                        ; implicit-def: $vgpr1
	s_cbranch_execz .LBB612_292
	s_branch .LBB612_339
.LBB612_291:
                                        ; implicit-def: $vgpr1
.LBB612_292:
	s_branch .LBB612_389
.LBB612_293:
	v_lshlrev_b32_e32 v1, 2, v1
	global_load_dword v9, v1, s[16:17]
	s_or_b64 exec, exec, s[18:19]
	s_and_saveexec_b64 s[16:17], s[14:15]
	s_cbranch_execz .LBB612_247
.LBB612_294:
	s_mov_b32 s14, 0xcccccccd
	s_waitcnt vmcnt(0)
	v_mul_hi_u32 v1, v3, s14
	v_lshrrev_b32_e32 v1, 3, v1
	v_mul_lo_u32 v1, v1, 10
	v_sub_u32_e32 v1, v3, v1
	v_mul_hi_u32 v3, v2, s14
	v_lshrrev_b32_e32 v3, 3, v3
	v_mul_lo_u32 v3, v3, 10
	v_sub_u32_e32 v2, v2, v3
	v_add_u32_e32 v1, v1, v2
	v_subrev_co_u32_e64 v2, s[14:15], 10, v1
	s_nop 1
	v_cndmask_b32_e64 v2, v2, v1, s[14:15]
	s_or_b64 exec, exec, s[16:17]
	s_and_saveexec_b64 s[14:15], s[12:13]
	s_cbranch_execz .LBB612_248
.LBB612_295:
	s_mov_b32 s12, 0xcccccccd
	s_waitcnt vmcnt(0)
	v_mul_hi_u32 v1, v4, s12
	v_mul_hi_u32 v3, v2, s12
	v_lshrrev_b32_e32 v1, 3, v1
	v_lshrrev_b32_e32 v3, 3, v3
	v_mul_lo_u32 v1, v1, 10
	v_mul_lo_u32 v3, v3, 10
	v_sub_u32_e32 v1, v4, v1
	v_sub_u32_e32 v2, v2, v3
	v_add_u32_e32 v1, v2, v1
	v_subrev_co_u32_e64 v2, s[12:13], 10, v1
	s_nop 1
	v_cndmask_b32_e64 v2, v2, v1, s[12:13]
	s_or_b64 exec, exec, s[14:15]
	s_and_saveexec_b64 s[12:13], s[10:11]
	s_cbranch_execz .LBB612_249
.LBB612_296:
	s_mov_b32 s10, 0xcccccccd
	s_waitcnt vmcnt(0)
	v_mul_hi_u32 v1, v5, s10
	v_mul_hi_u32 v3, v2, s10
	v_lshrrev_b32_e32 v1, 3, v1
	v_lshrrev_b32_e32 v3, 3, v3
	v_mul_lo_u32 v1, v1, 10
	v_mul_lo_u32 v3, v3, 10
	v_sub_u32_e32 v1, v5, v1
	v_sub_u32_e32 v2, v2, v3
	v_add_u32_e32 v1, v2, v1
	v_subrev_co_u32_e64 v2, s[10:11], 10, v1
	s_nop 1
	v_cndmask_b32_e64 v2, v2, v1, s[10:11]
	s_or_b64 exec, exec, s[12:13]
	s_and_saveexec_b64 s[10:11], s[8:9]
	s_cbranch_execz .LBB612_250
.LBB612_297:
	s_mov_b32 s8, 0xcccccccd
	s_waitcnt vmcnt(0)
	v_mul_hi_u32 v1, v6, s8
	v_mul_hi_u32 v3, v2, s8
	v_lshrrev_b32_e32 v1, 3, v1
	v_lshrrev_b32_e32 v3, 3, v3
	v_mul_lo_u32 v1, v1, 10
	v_mul_lo_u32 v3, v3, 10
	v_sub_u32_e32 v1, v6, v1
	v_sub_u32_e32 v2, v2, v3
	v_add_u32_e32 v1, v2, v1
	v_subrev_co_u32_e64 v2, s[8:9], 10, v1
	s_nop 1
	v_cndmask_b32_e64 v2, v2, v1, s[8:9]
	s_or_b64 exec, exec, s[10:11]
	s_and_saveexec_b64 s[8:9], s[6:7]
	s_cbranch_execz .LBB612_251
.LBB612_298:
	s_mov_b32 s6, 0xcccccccd
	s_waitcnt vmcnt(0)
	v_mul_hi_u32 v1, v7, s6
	v_mul_hi_u32 v3, v2, s6
	v_lshrrev_b32_e32 v1, 3, v1
	v_lshrrev_b32_e32 v3, 3, v3
	v_mul_lo_u32 v1, v1, 10
	v_mul_lo_u32 v3, v3, 10
	v_sub_u32_e32 v1, v7, v1
	v_sub_u32_e32 v2, v2, v3
	v_add_u32_e32 v1, v2, v1
	v_subrev_co_u32_e64 v2, s[6:7], 10, v1
	s_nop 1
	v_cndmask_b32_e64 v2, v2, v1, s[6:7]
	s_or_b64 exec, exec, s[8:9]
	s_and_saveexec_b64 s[6:7], s[4:5]
	s_cbranch_execz .LBB612_252
.LBB612_299:
	s_mov_b32 s4, 0xcccccccd
	s_waitcnt vmcnt(0)
	v_mul_hi_u32 v1, v8, s4
	v_mul_hi_u32 v3, v2, s4
	v_lshrrev_b32_e32 v1, 3, v1
	v_lshrrev_b32_e32 v3, 3, v3
	v_mul_lo_u32 v1, v1, 10
	v_mul_lo_u32 v3, v3, 10
	v_sub_u32_e32 v1, v8, v1
	v_sub_u32_e32 v2, v2, v3
	v_add_u32_e32 v1, v2, v1
	v_subrev_co_u32_e64 v2, s[4:5], 10, v1
	s_nop 1
	v_cndmask_b32_e64 v2, v2, v1, s[4:5]
	s_or_b64 exec, exec, s[6:7]
	s_and_saveexec_b64 s[4:5], vcc
	s_cbranch_execnz .LBB612_253
	s_branch .LBB612_254
.LBB612_300:
	s_mov_b64 s[6:7], -1
                                        ; implicit-def: $vgpr2
.LBB612_301:
	s_and_b64 vcc, exec, s[6:7]
	s_cbranch_vccz .LBB612_334
; %bb.302:
	s_sub_i32 s12, s70, s4
	v_mov_b32_e32 v2, 0
	v_cmp_gt_u32_e32 vcc, s12, v0
	v_mov_b32_e32 v3, v2
	v_mov_b32_e32 v4, v2
	;; [unrolled: 1-line block ×3, first 2 shown]
	s_and_saveexec_b64 s[4:5], vcc
	s_cbranch_execz .LBB612_304
; %bb.303:
	s_waitcnt lgkmcnt(0)
	v_lshlrev_b32_e32 v1, 2, v0
	global_load_dword v4, v1, s[8:9]
	v_mov_b32_e32 v5, v2
	v_mov_b32_e32 v6, v2
	;; [unrolled: 1-line block ×3, first 2 shown]
	s_waitcnt vmcnt(0)
	v_mov_b64_e32 v[2:3], v[4:5]
	v_mov_b64_e32 v[4:5], v[6:7]
.LBB612_304:
	s_or_b64 exec, exec, s[4:5]
	s_waitcnt lgkmcnt(0)
	v_or_b32_e32 v1, 0x100, v0
	v_cmp_gt_u32_e64 s[6:7], s12, v1
	s_and_saveexec_b64 s[4:5], s[6:7]
	s_cbranch_execz .LBB612_306
; %bb.305:
	v_lshlrev_b32_e32 v1, 2, v0
	global_load_dword v3, v1, s[8:9] offset:1024
.LBB612_306:
	s_or_b64 exec, exec, s[4:5]
	v_or_b32_e32 v1, 0x200, v0
	v_cmp_gt_u32_e64 s[4:5], s12, v1
	s_and_saveexec_b64 s[10:11], s[4:5]
	s_cbranch_execz .LBB612_308
; %bb.307:
	v_lshlrev_b32_e32 v1, 2, v0
	global_load_dword v4, v1, s[8:9] offset:2048
.LBB612_308:
	s_or_b64 exec, exec, s[10:11]
	v_or_b32_e32 v1, 0x300, v0
	v_cmp_gt_u32_e32 vcc, s12, v1
	s_and_saveexec_b64 s[10:11], vcc
	s_cbranch_execnz .LBB612_467
; %bb.309:
	s_or_b64 exec, exec, s[10:11]
	s_and_saveexec_b64 s[8:9], s[6:7]
	s_cbranch_execnz .LBB612_468
.LBB612_310:
	s_or_b64 exec, exec, s[8:9]
	s_and_saveexec_b64 s[6:7], s[4:5]
	s_cbranch_execnz .LBB612_469
.LBB612_311:
	s_or_b64 exec, exec, s[6:7]
	s_and_saveexec_b64 s[4:5], vcc
	s_cbranch_execz .LBB612_313
.LBB612_312:
	s_mov_b32 s6, 0xcccccccd
	s_waitcnt vmcnt(0)
	v_mul_hi_u32 v1, v5, s6
	v_mul_hi_u32 v3, v2, s6
	v_lshrrev_b32_e32 v1, 3, v1
	v_lshrrev_b32_e32 v3, 3, v3
	v_mul_lo_u32 v1, v1, 10
	v_mul_lo_u32 v3, v3, 10
	v_sub_u32_e32 v1, v5, v1
	v_sub_u32_e32 v2, v2, v3
	v_add_u32_e32 v1, v2, v1
	v_subrev_co_u32_e32 v2, vcc, 10, v1
	s_nop 1
	v_cndmask_b32_e32 v2, v2, v1, vcc
.LBB612_313:
	s_or_b64 exec, exec, s[4:5]
	v_mbcnt_lo_u32_b32 v1, -1, 0
	v_mbcnt_hi_u32_b32 v1, -1, v1
	s_waitcnt vmcnt(0)
	v_and_b32_e32 v3, 63, v1
	v_cmp_ne_u32_e32 vcc, 63, v3
	s_min_u32 s6, s12, 0x100
	v_add_u32_e32 v6, 1, v3
	v_addc_co_u32_e32 v4, vcc, 0, v1, vcc
	v_lshlrev_b32_e32 v4, 2, v4
	ds_bpermute_b32 v5, v4, v2
	v_and_b32_e32 v4, 0xc0, v0
	v_sub_u32_e64 v4, s6, v4 clamp
	v_cmp_lt_u32_e32 vcc, v6, v4
	s_and_saveexec_b64 s[4:5], vcc
	s_xor_b64 s[4:5], exec, s[4:5]
	s_cbranch_execz .LBB612_315
; %bb.314:
	s_mov_b32 s7, 0xcccccccd
	s_waitcnt lgkmcnt(0)
	v_mul_hi_u32 v6, v5, s7
	v_lshrrev_b32_e32 v6, 3, v6
	v_mul_lo_u32 v6, v6, 10
	v_sub_u32_e32 v5, v5, v6
	v_mul_hi_u32 v6, v2, s7
	v_lshrrev_b32_e32 v6, 3, v6
	v_mul_lo_u32 v6, v6, 10
	v_sub_u32_e32 v2, v2, v6
	v_add_u32_e32 v2, v5, v2
	v_subrev_co_u32_e32 v5, vcc, 10, v2
	s_nop 1
	v_cndmask_b32_e32 v2, v5, v2, vcc
.LBB612_315:
	s_or_b64 exec, exec, s[4:5]
	v_cmp_gt_u32_e32 vcc, 62, v3
	v_add_u32_e32 v6, 2, v3
	s_waitcnt lgkmcnt(0)
	v_cndmask_b32_e64 v5, 0, 2, vcc
	v_add_lshl_u32 v5, v5, v1, 2
	ds_bpermute_b32 v5, v5, v2
	v_cmp_lt_u32_e32 vcc, v6, v4
	s_and_saveexec_b64 s[4:5], vcc
	s_cbranch_execz .LBB612_317
; %bb.316:
	s_mov_b32 s7, 0xcccccccd
	s_waitcnt lgkmcnt(0)
	v_mul_hi_u32 v6, v5, s7
	v_lshrrev_b32_e32 v6, 3, v6
	v_mul_lo_u32 v6, v6, 10
	v_sub_u32_e32 v5, v5, v6
	v_mul_hi_u32 v6, v2, s7
	v_lshrrev_b32_e32 v6, 3, v6
	v_mul_lo_u32 v6, v6, 10
	v_sub_u32_e32 v2, v2, v6
	v_add_u32_e32 v2, v5, v2
	v_subrev_co_u32_e32 v5, vcc, 10, v2
	s_nop 1
	v_cndmask_b32_e32 v2, v5, v2, vcc
.LBB612_317:
	s_or_b64 exec, exec, s[4:5]
	v_cmp_gt_u32_e32 vcc, 60, v3
	v_add_u32_e32 v6, 4, v3
	s_waitcnt lgkmcnt(0)
	v_cndmask_b32_e64 v5, 0, 4, vcc
	v_add_lshl_u32 v5, v5, v1, 2
	ds_bpermute_b32 v5, v5, v2
	v_cmp_lt_u32_e32 vcc, v6, v4
	s_and_saveexec_b64 s[4:5], vcc
	;; [unrolled: 26-line block ×4, first 2 shown]
	s_cbranch_execz .LBB612_323
; %bb.322:
	s_mov_b32 s7, 0xcccccccd
	s_waitcnt lgkmcnt(0)
	v_mul_hi_u32 v6, v5, s7
	v_lshrrev_b32_e32 v6, 3, v6
	v_mul_lo_u32 v6, v6, 10
	v_sub_u32_e32 v5, v5, v6
	v_mul_hi_u32 v6, v2, s7
	v_lshrrev_b32_e32 v6, 3, v6
	v_mul_lo_u32 v6, v6, 10
	v_sub_u32_e32 v2, v2, v6
	v_add_u32_e32 v2, v5, v2
	v_subrev_co_u32_e32 v5, vcc, 10, v2
	s_nop 1
	v_cndmask_b32_e32 v2, v5, v2, vcc
.LBB612_323:
	s_or_b64 exec, exec, s[4:5]
	s_waitcnt lgkmcnt(0)
	v_lshlrev_b32_e32 v5, 2, v1
	v_or_b32_e32 v6, 0x80, v5
	ds_bpermute_b32 v6, v6, v2
	v_add_u32_e32 v3, 32, v3
	v_cmp_lt_u32_e32 vcc, v3, v4
	s_and_saveexec_b64 s[4:5], vcc
	s_cbranch_execz .LBB612_325
; %bb.324:
	s_mov_b32 s7, 0xcccccccd
	s_waitcnt lgkmcnt(0)
	v_mul_hi_u32 v3, v6, s7
	v_mul_hi_u32 v4, v2, s7
	v_lshrrev_b32_e32 v3, 3, v3
	v_lshrrev_b32_e32 v4, 3, v4
	v_mul_lo_u32 v3, v3, 10
	v_mul_lo_u32 v4, v4, 10
	v_sub_u32_e32 v3, v6, v3
	v_sub_u32_e32 v2, v2, v4
	v_add_u32_e32 v2, v3, v2
	v_subrev_co_u32_e32 v3, vcc, 10, v2
	s_nop 1
	v_cndmask_b32_e32 v2, v3, v2, vcc
.LBB612_325:
	s_or_b64 exec, exec, s[4:5]
	v_cmp_eq_u32_e32 vcc, 0, v1
	s_and_saveexec_b64 s[4:5], vcc
; %bb.326:
	v_lshrrev_b32_e32 v3, 4, v0
	v_and_b32_e32 v3, 12, v3
	ds_write_b32 v3, v2
; %bb.327:
	s_or_b64 exec, exec, s[4:5]
	v_cmp_gt_u32_e32 vcc, 4, v0
	s_waitcnt lgkmcnt(0)
	s_barrier
	s_and_saveexec_b64 s[4:5], vcc
	s_cbranch_execz .LBB612_333
; %bb.328:
	ds_read_b32 v2, v5
	v_and_b32_e32 v3, 3, v1
	v_cmp_ne_u32_e32 vcc, 3, v3
	s_add_i32 s6, s6, 63
	s_lshr_b32 s8, s6, 6
	v_addc_co_u32_e32 v1, vcc, 0, v1, vcc
	v_lshlrev_b32_e32 v1, 2, v1
	s_waitcnt lgkmcnt(0)
	ds_bpermute_b32 v1, v1, v2
	v_add_u32_e32 v4, 1, v3
	v_cmp_gt_u32_e32 vcc, s8, v4
	s_and_saveexec_b64 s[6:7], vcc
	s_cbranch_execz .LBB612_330
; %bb.329:
	s_mov_b32 s9, 0xcccccccd
	s_waitcnt lgkmcnt(0)
	v_mul_hi_u32 v4, v1, s9
	v_lshrrev_b32_e32 v4, 3, v4
	v_mul_lo_u32 v4, v4, 10
	v_sub_u32_e32 v1, v1, v4
	v_mul_hi_u32 v4, v2, s9
	v_lshrrev_b32_e32 v4, 3, v4
	v_mul_lo_u32 v4, v4, 10
	v_sub_u32_e32 v2, v2, v4
	v_add_u32_e32 v1, v1, v2
	v_subrev_co_u32_e32 v2, vcc, 10, v1
	s_nop 1
	v_cndmask_b32_e32 v2, v2, v1, vcc
.LBB612_330:
	s_or_b64 exec, exec, s[6:7]
	s_waitcnt lgkmcnt(0)
	v_or_b32_e32 v1, 8, v5
	ds_bpermute_b32 v1, v1, v2
	v_add_u32_e32 v3, 2, v3
	v_cmp_gt_u32_e32 vcc, s8, v3
	s_and_saveexec_b64 s[6:7], vcc
	s_cbranch_execz .LBB612_332
; %bb.331:
	s_mov_b32 s8, 0xcccccccd
	s_waitcnt lgkmcnt(0)
	v_mul_hi_u32 v3, v1, s8
	v_lshrrev_b32_e32 v3, 3, v3
	v_mul_lo_u32 v3, v3, 10
	v_sub_u32_e32 v1, v1, v3
	v_mul_hi_u32 v3, v2, s8
	v_lshrrev_b32_e32 v3, 3, v3
	v_mul_lo_u32 v3, v3, 10
	v_sub_u32_e32 v2, v2, v3
	v_add_u32_e32 v1, v1, v2
	v_subrev_co_u32_e32 v2, vcc, 10, v1
	s_nop 1
	v_cndmask_b32_e32 v2, v2, v1, vcc
.LBB612_332:
	s_or_b64 exec, exec, s[6:7]
.LBB612_333:
	s_or_b64 exec, exec, s[4:5]
.LBB612_334:
	v_cmp_eq_u32_e32 vcc, 0, v0
                                        ; implicit-def: $vgpr1
	s_and_saveexec_b64 s[4:5], vcc
	s_xor_b64 s[4:5], exec, s[4:5]
	s_cbranch_execz .LBB612_338
; %bb.335:
	s_cmp_eq_u64 s[70:71], 0
	s_waitcnt lgkmcnt(0)
	v_mov_b32_e32 v1, s33
	s_cbranch_scc1 .LBB612_337
; %bb.336:
	s_mov_b32 s6, 0xcccccccd
	v_mul_hi_u32 v1, v2, s6
	s_mul_hi_u32 s6, s33, 0xcccccccd
	v_lshrrev_b32_e32 v1, 3, v1
	s_lshr_b32 s6, s6, 3
	v_mul_lo_u32 v1, v1, 10
	s_mul_i32 s6, s6, 10
	v_sub_u32_e32 v1, v2, v1
	s_sub_i32 s6, s33, s6
	v_add_u32_e32 v1, s6, v1
	v_subrev_co_u32_e32 v2, vcc, 10, v1
	s_nop 1
	v_cndmask_b32_e32 v1, v2, v1, vcc
.LBB612_337:
	s_or_b64 s[34:35], s[34:35], exec
.LBB612_338:
	s_or_b64 exec, exec, s[4:5]
	s_branch .LBB612_292
.LBB612_339:
	s_cmp_eq_u32 s76, 2
	s_cbranch_scc0 .LBB612_346
; %bb.340:
	s_mov_b32 s3, 0
	s_lshl_b32 s6, s2, 9
	s_mov_b32 s7, s3
	s_lshr_b64 s[8:9], s[70:71], 9
	s_lshl_b64 s[4:5], s[6:7], 2
	s_add_u32 s4, s68, s4
	s_addc_u32 s5, s69, s5
	s_cmp_lg_u64 s[8:9], s[2:3]
	s_cbranch_scc0 .LBB612_347
; %bb.341:
	s_waitcnt lgkmcnt(0)
	v_lshlrev_b32_e32 v1, 2, v0
	global_load_dword v2, v1, s[4:5] offset:1024
	global_load_dword v4, v1, s[4:5]
	s_mov_b32 s7, 0xcccccccd
	v_mbcnt_lo_u32_b32 v1, -1, 0
	v_mbcnt_hi_u32_b32 v1, -1, v1
	v_lshlrev_b32_e32 v3, 2, v1
	s_waitcnt vmcnt(1)
	v_mul_hi_u32 v5, v2, s7
	s_waitcnt vmcnt(0)
	v_mul_hi_u32 v6, v4, s7
	v_lshrrev_b32_e32 v5, 3, v5
	v_lshrrev_b32_e32 v6, 3, v6
	v_mul_lo_u32 v5, v5, 10
	v_mul_lo_u32 v6, v6, 10
	v_sub_u32_e32 v2, v2, v5
	v_sub_u32_e32 v4, v4, v6
	v_add_u32_e32 v2, v2, v4
	v_subrev_co_u32_e32 v4, vcc, 10, v2
	s_nop 1
	v_cndmask_b32_e32 v2, v4, v2, vcc
	v_mul_hi_u32 v5, v2, s7
	v_lshrrev_b32_e32 v5, 3, v5
	v_mov_b32_dpp v4, v2 quad_perm:[1,0,3,2] row_mask:0xf bank_mask:0xf bound_ctrl:1
	v_mul_hi_u32 v6, v4, s7
	v_mul_lo_u32 v5, v5, 10
	v_lshrrev_b32_e32 v6, 3, v6
	v_sub_u32_e32 v2, v2, v5
	v_mul_lo_u32 v5, v6, 10
	v_sub_u32_e32 v4, v4, v5
	v_add_u32_e32 v2, v2, v4
	v_subrev_co_u32_e32 v4, vcc, 10, v2
	s_nop 1
	v_cndmask_b32_e32 v2, v4, v2, vcc
	s_nop 1
	v_mov_b32_dpp v4, v2 quad_perm:[2,3,0,1] row_mask:0xf bank_mask:0xf bound_ctrl:1
	v_mul_hi_u32 v5, v4, s7
	v_lshrrev_b32_e32 v5, 3, v5
	v_mul_lo_u32 v5, v5, 10
	v_sub_u32_e32 v4, v4, v5
	v_add_u32_e32 v2, v2, v4
	v_subrev_co_u32_e32 v4, vcc, 10, v2
	s_nop 1
	v_cndmask_b32_e32 v2, v4, v2, vcc
	v_mul_hi_u32 v5, v2, s7
	v_lshrrev_b32_e32 v5, 3, v5
	v_mov_b32_dpp v4, v2 row_ror:4 row_mask:0xf bank_mask:0xf bound_ctrl:1
	v_mul_hi_u32 v6, v4, s7
	v_mul_lo_u32 v5, v5, 10
	v_lshrrev_b32_e32 v6, 3, v6
	v_sub_u32_e32 v2, v2, v5
	v_mul_lo_u32 v5, v6, 10
	v_sub_u32_e32 v4, v4, v5
	v_add_u32_e32 v2, v2, v4
	v_subrev_co_u32_e32 v4, vcc, 10, v2
	s_nop 1
	v_cndmask_b32_e32 v2, v4, v2, vcc
	v_mul_hi_u32 v5, v2, s7
	v_lshrrev_b32_e32 v5, 3, v5
	v_mov_b32_dpp v4, v2 row_ror:8 row_mask:0xf bank_mask:0xf bound_ctrl:1
	v_mul_hi_u32 v6, v4, s7
	v_mul_lo_u32 v5, v5, 10
	v_lshrrev_b32_e32 v6, 3, v6
	v_sub_u32_e32 v2, v2, v5
	v_mul_lo_u32 v5, v6, 10
	v_sub_u32_e32 v4, v4, v5
	v_add_u32_e32 v2, v2, v4
	v_subrev_co_u32_e32 v4, vcc, 10, v2
	s_nop 1
	v_cndmask_b32_e32 v2, v4, v2, vcc
	v_mul_hi_u32 v5, v2, s7
	v_lshrrev_b32_e32 v5, 3, v5
	v_mov_b32_dpp v4, v2 row_bcast:15 row_mask:0xf bank_mask:0xf bound_ctrl:1
	v_mul_hi_u32 v6, v4, s7
	v_mul_lo_u32 v5, v5, 10
	v_lshrrev_b32_e32 v6, 3, v6
	v_sub_u32_e32 v2, v2, v5
	v_mul_lo_u32 v5, v6, 10
	v_sub_u32_e32 v4, v4, v5
	v_add_u32_e32 v2, v2, v4
	v_subrev_co_u32_e32 v4, vcc, 10, v2
	s_nop 1
	v_cndmask_b32_e32 v2, v4, v2, vcc
	v_mul_hi_u32 v5, v2, s7
	v_lshrrev_b32_e32 v5, 3, v5
	v_mov_b32_dpp v4, v2 row_bcast:31 row_mask:0xf bank_mask:0xf bound_ctrl:1
	v_mul_hi_u32 v6, v4, s7
	v_mul_lo_u32 v5, v5, 10
	v_lshrrev_b32_e32 v6, 3, v6
	v_sub_u32_e32 v2, v2, v5
	v_mul_lo_u32 v5, v6, 10
	v_sub_u32_e32 v4, v4, v5
	v_add_u32_e32 v2, v2, v4
	v_subrev_co_u32_e32 v4, vcc, 10, v2
	s_nop 1
	v_cndmask_b32_e32 v2, v4, v2, vcc
	v_or_b32_e32 v4, 0xfc, v3
	ds_bpermute_b32 v2, v4, v2
	v_cmp_eq_u32_e32 vcc, 0, v1
	s_and_saveexec_b64 s[8:9], vcc
	s_cbranch_execz .LBB612_343
; %bb.342:
	v_lshrrev_b32_e32 v4, 4, v0
	v_and_b32_e32 v4, 12, v4
	s_waitcnt lgkmcnt(0)
	ds_write_b32 v4, v2 offset:48
.LBB612_343:
	s_or_b64 exec, exec, s[8:9]
	v_cmp_gt_u32_e32 vcc, 64, v0
	s_waitcnt lgkmcnt(0)
	s_barrier
	s_and_saveexec_b64 s[8:9], vcc
	s_cbranch_execz .LBB612_345
; %bb.344:
	v_and_b32_e32 v2, 3, v1
	v_lshlrev_b32_e32 v4, 2, v2
	ds_read_b32 v4, v4 offset:48
	v_cmp_ne_u32_e32 vcc, 3, v2
	s_waitcnt lgkmcnt(0)
	v_mul_hi_u32 v2, v4, s7
	v_addc_co_u32_e32 v1, vcc, 0, v1, vcc
	v_lshlrev_b32_e32 v1, 2, v1
	ds_bpermute_b32 v1, v1, v4
	v_lshrrev_b32_e32 v2, 3, v2
	v_mul_lo_u32 v2, v2, 10
	v_sub_u32_e32 v2, v4, v2
	s_waitcnt lgkmcnt(0)
	v_mul_hi_u32 v5, v1, s7
	v_lshrrev_b32_e32 v5, 3, v5
	v_mul_lo_u32 v5, v5, 10
	v_sub_u32_e32 v1, v1, v5
	v_add_u32_e32 v1, v1, v2
	v_subrev_co_u32_e32 v2, vcc, 10, v1
	s_nop 1
	v_cndmask_b32_e32 v1, v2, v1, vcc
	v_or_b32_e32 v2, 8, v3
	ds_bpermute_b32 v2, v2, v1
	s_waitcnt lgkmcnt(0)
	v_mul_hi_u32 v3, v2, s7
	v_lshrrev_b32_e32 v3, 3, v3
	v_mul_lo_u32 v3, v3, 10
	v_sub_u32_e32 v2, v2, v3
	v_add_u32_e32 v1, v1, v2
	v_subrev_co_u32_e32 v2, vcc, 10, v1
	s_nop 1
	v_cndmask_b32_e32 v2, v2, v1, vcc
.LBB612_345:
	s_or_b64 exec, exec, s[8:9]
	s_mov_b64 s[8:9], 0
	s_branch .LBB612_348
.LBB612_346:
                                        ; implicit-def: $vgpr1
	s_branch .LBB612_389
.LBB612_347:
	s_mov_b64 s[8:9], -1
                                        ; implicit-def: $vgpr2
.LBB612_348:
	s_and_b64 vcc, exec, s[8:9]
	s_cbranch_vccz .LBB612_376
; %bb.349:
	s_sub_i32 s8, s70, s6
	v_mov_b32_e32 v2, 0
	v_cmp_gt_u32_e32 vcc, s8, v0
	v_mov_b32_e32 v3, v2
	s_and_saveexec_b64 s[6:7], vcc
	s_cbranch_execz .LBB612_351
; %bb.350:
	s_waitcnt lgkmcnt(0)
	v_lshlrev_b32_e32 v1, 2, v0
	global_load_dword v4, v1, s[4:5]
	v_mov_b32_e32 v5, v2
	s_waitcnt vmcnt(0)
	v_mov_b64_e32 v[2:3], v[4:5]
.LBB612_351:
	s_or_b64 exec, exec, s[6:7]
	s_waitcnt lgkmcnt(0)
	v_or_b32_e32 v1, 0x100, v0
	v_cmp_gt_u32_e32 vcc, s8, v1
	s_and_saveexec_b64 s[6:7], vcc
	s_cbranch_execz .LBB612_353
; %bb.352:
	v_lshlrev_b32_e32 v1, 2, v0
	global_load_dword v3, v1, s[4:5] offset:1024
.LBB612_353:
	s_or_b64 exec, exec, s[6:7]
	s_and_saveexec_b64 s[4:5], vcc
	s_cbranch_execz .LBB612_355
; %bb.354:
	s_mov_b32 s6, 0xcccccccd
	s_waitcnt vmcnt(0)
	v_mul_hi_u32 v1, v3, s6
	v_lshrrev_b32_e32 v1, 3, v1
	v_mul_lo_u32 v1, v1, 10
	v_sub_u32_e32 v1, v3, v1
	v_mul_hi_u32 v3, v2, s6
	v_lshrrev_b32_e32 v3, 3, v3
	v_mul_lo_u32 v3, v3, 10
	v_sub_u32_e32 v2, v2, v3
	v_add_u32_e32 v1, v2, v1
	v_subrev_co_u32_e32 v2, vcc, 10, v1
	s_nop 1
	v_cndmask_b32_e32 v2, v2, v1, vcc
.LBB612_355:
	s_or_b64 exec, exec, s[4:5]
	v_mbcnt_lo_u32_b32 v1, -1, 0
	v_mbcnt_hi_u32_b32 v1, -1, v1
	s_waitcnt vmcnt(0)
	v_and_b32_e32 v3, 63, v1
	v_cmp_ne_u32_e32 vcc, 63, v3
	s_min_u32 s6, s8, 0x100
	v_add_u32_e32 v6, 1, v3
	v_addc_co_u32_e32 v4, vcc, 0, v1, vcc
	v_lshlrev_b32_e32 v4, 2, v4
	ds_bpermute_b32 v5, v4, v2
	v_and_b32_e32 v4, 0xc0, v0
	v_sub_u32_e64 v4, s6, v4 clamp
	v_cmp_lt_u32_e32 vcc, v6, v4
	s_and_saveexec_b64 s[4:5], vcc
	s_xor_b64 s[4:5], exec, s[4:5]
	s_cbranch_execz .LBB612_357
; %bb.356:
	s_mov_b32 s7, 0xcccccccd
	s_waitcnt lgkmcnt(0)
	v_mul_hi_u32 v6, v5, s7
	v_lshrrev_b32_e32 v6, 3, v6
	v_mul_lo_u32 v6, v6, 10
	v_sub_u32_e32 v5, v5, v6
	v_mul_hi_u32 v6, v2, s7
	v_lshrrev_b32_e32 v6, 3, v6
	v_mul_lo_u32 v6, v6, 10
	v_sub_u32_e32 v2, v2, v6
	v_add_u32_e32 v2, v5, v2
	v_subrev_co_u32_e32 v5, vcc, 10, v2
	s_nop 1
	v_cndmask_b32_e32 v2, v5, v2, vcc
.LBB612_357:
	s_or_b64 exec, exec, s[4:5]
	v_cmp_gt_u32_e32 vcc, 62, v3
	v_add_u32_e32 v6, 2, v3
	s_waitcnt lgkmcnt(0)
	v_cndmask_b32_e64 v5, 0, 2, vcc
	v_add_lshl_u32 v5, v5, v1, 2
	ds_bpermute_b32 v5, v5, v2
	v_cmp_lt_u32_e32 vcc, v6, v4
	s_and_saveexec_b64 s[4:5], vcc
	s_cbranch_execz .LBB612_359
; %bb.358:
	s_mov_b32 s7, 0xcccccccd
	s_waitcnt lgkmcnt(0)
	v_mul_hi_u32 v6, v5, s7
	v_lshrrev_b32_e32 v6, 3, v6
	v_mul_lo_u32 v6, v6, 10
	v_sub_u32_e32 v5, v5, v6
	v_mul_hi_u32 v6, v2, s7
	v_lshrrev_b32_e32 v6, 3, v6
	v_mul_lo_u32 v6, v6, 10
	v_sub_u32_e32 v2, v2, v6
	v_add_u32_e32 v2, v5, v2
	v_subrev_co_u32_e32 v5, vcc, 10, v2
	s_nop 1
	v_cndmask_b32_e32 v2, v5, v2, vcc
.LBB612_359:
	s_or_b64 exec, exec, s[4:5]
	v_cmp_gt_u32_e32 vcc, 60, v3
	v_add_u32_e32 v6, 4, v3
	s_waitcnt lgkmcnt(0)
	v_cndmask_b32_e64 v5, 0, 4, vcc
	v_add_lshl_u32 v5, v5, v1, 2
	ds_bpermute_b32 v5, v5, v2
	v_cmp_lt_u32_e32 vcc, v6, v4
	s_and_saveexec_b64 s[4:5], vcc
	;; [unrolled: 26-line block ×4, first 2 shown]
	s_cbranch_execz .LBB612_365
; %bb.364:
	s_mov_b32 s7, 0xcccccccd
	s_waitcnt lgkmcnt(0)
	v_mul_hi_u32 v6, v5, s7
	v_lshrrev_b32_e32 v6, 3, v6
	v_mul_lo_u32 v6, v6, 10
	v_sub_u32_e32 v5, v5, v6
	v_mul_hi_u32 v6, v2, s7
	v_lshrrev_b32_e32 v6, 3, v6
	v_mul_lo_u32 v6, v6, 10
	v_sub_u32_e32 v2, v2, v6
	v_add_u32_e32 v2, v5, v2
	v_subrev_co_u32_e32 v5, vcc, 10, v2
	s_nop 1
	v_cndmask_b32_e32 v2, v5, v2, vcc
.LBB612_365:
	s_or_b64 exec, exec, s[4:5]
	s_waitcnt lgkmcnt(0)
	v_lshlrev_b32_e32 v5, 2, v1
	v_or_b32_e32 v6, 0x80, v5
	ds_bpermute_b32 v6, v6, v2
	v_add_u32_e32 v3, 32, v3
	v_cmp_lt_u32_e32 vcc, v3, v4
	s_and_saveexec_b64 s[4:5], vcc
	s_cbranch_execz .LBB612_367
; %bb.366:
	s_mov_b32 s7, 0xcccccccd
	s_waitcnt lgkmcnt(0)
	v_mul_hi_u32 v3, v6, s7
	v_mul_hi_u32 v4, v2, s7
	v_lshrrev_b32_e32 v3, 3, v3
	v_lshrrev_b32_e32 v4, 3, v4
	v_mul_lo_u32 v3, v3, 10
	v_mul_lo_u32 v4, v4, 10
	v_sub_u32_e32 v3, v6, v3
	v_sub_u32_e32 v2, v2, v4
	v_add_u32_e32 v2, v3, v2
	v_subrev_co_u32_e32 v3, vcc, 10, v2
	s_nop 1
	v_cndmask_b32_e32 v2, v3, v2, vcc
.LBB612_367:
	s_or_b64 exec, exec, s[4:5]
	v_cmp_eq_u32_e32 vcc, 0, v1
	s_and_saveexec_b64 s[4:5], vcc
; %bb.368:
	v_lshrrev_b32_e32 v3, 4, v0
	v_and_b32_e32 v3, 12, v3
	ds_write_b32 v3, v2
; %bb.369:
	s_or_b64 exec, exec, s[4:5]
	v_cmp_gt_u32_e32 vcc, 4, v0
	s_waitcnt lgkmcnt(0)
	s_barrier
	s_and_saveexec_b64 s[4:5], vcc
	s_cbranch_execz .LBB612_375
; %bb.370:
	ds_read_b32 v2, v5
	v_and_b32_e32 v3, 3, v1
	v_cmp_ne_u32_e32 vcc, 3, v3
	s_add_i32 s6, s6, 63
	s_lshr_b32 s8, s6, 6
	v_addc_co_u32_e32 v1, vcc, 0, v1, vcc
	v_lshlrev_b32_e32 v1, 2, v1
	s_waitcnt lgkmcnt(0)
	ds_bpermute_b32 v1, v1, v2
	v_add_u32_e32 v4, 1, v3
	v_cmp_gt_u32_e32 vcc, s8, v4
	s_and_saveexec_b64 s[6:7], vcc
	s_cbranch_execz .LBB612_372
; %bb.371:
	s_mov_b32 s9, 0xcccccccd
	s_waitcnt lgkmcnt(0)
	v_mul_hi_u32 v4, v1, s9
	v_lshrrev_b32_e32 v4, 3, v4
	v_mul_lo_u32 v4, v4, 10
	v_sub_u32_e32 v1, v1, v4
	v_mul_hi_u32 v4, v2, s9
	v_lshrrev_b32_e32 v4, 3, v4
	v_mul_lo_u32 v4, v4, 10
	v_sub_u32_e32 v2, v2, v4
	v_add_u32_e32 v1, v1, v2
	v_subrev_co_u32_e32 v2, vcc, 10, v1
	s_nop 1
	v_cndmask_b32_e32 v2, v2, v1, vcc
.LBB612_372:
	s_or_b64 exec, exec, s[6:7]
	s_waitcnt lgkmcnt(0)
	v_or_b32_e32 v1, 8, v5
	ds_bpermute_b32 v1, v1, v2
	v_add_u32_e32 v3, 2, v3
	v_cmp_gt_u32_e32 vcc, s8, v3
	s_and_saveexec_b64 s[6:7], vcc
	s_cbranch_execz .LBB612_374
; %bb.373:
	s_mov_b32 s8, 0xcccccccd
	s_waitcnt lgkmcnt(0)
	v_mul_hi_u32 v3, v1, s8
	v_lshrrev_b32_e32 v3, 3, v3
	v_mul_lo_u32 v3, v3, 10
	v_sub_u32_e32 v1, v1, v3
	v_mul_hi_u32 v3, v2, s8
	v_lshrrev_b32_e32 v3, 3, v3
	v_mul_lo_u32 v3, v3, 10
	v_sub_u32_e32 v2, v2, v3
	v_add_u32_e32 v1, v1, v2
	v_subrev_co_u32_e32 v2, vcc, 10, v1
	s_nop 1
	v_cndmask_b32_e32 v2, v2, v1, vcc
.LBB612_374:
	s_or_b64 exec, exec, s[6:7]
.LBB612_375:
	s_or_b64 exec, exec, s[4:5]
.LBB612_376:
	v_cmp_eq_u32_e32 vcc, 0, v0
                                        ; implicit-def: $vgpr1
	s_and_saveexec_b64 s[4:5], vcc
	s_xor_b64 s[4:5], exec, s[4:5]
	s_cbranch_execz .LBB612_380
; %bb.377:
	s_cmp_eq_u64 s[70:71], 0
	s_waitcnt lgkmcnt(0)
	v_mov_b32_e32 v1, s33
	s_cbranch_scc1 .LBB612_379
; %bb.378:
	s_mov_b32 s6, 0xcccccccd
	v_mul_hi_u32 v1, v2, s6
	s_mul_hi_u32 s6, s33, 0xcccccccd
	v_lshrrev_b32_e32 v1, 3, v1
	s_lshr_b32 s6, s6, 3
	v_mul_lo_u32 v1, v1, 10
	s_mul_i32 s6, s6, 10
	v_sub_u32_e32 v1, v2, v1
	s_sub_i32 s6, s33, s6
	v_add_u32_e32 v1, s6, v1
	v_subrev_co_u32_e32 v2, vcc, 10, v1
	s_nop 1
	v_cndmask_b32_e32 v1, v2, v1, vcc
.LBB612_379:
	s_or_b64 s[34:35], s[34:35], exec
.LBB612_380:
	s_or_b64 exec, exec, s[4:5]
	s_branch .LBB612_389
.LBB612_381:
	s_cmp_eq_u32 s76, 1
	s_cbranch_scc0 .LBB612_388
; %bb.382:
	s_mov_b32 s5, 0
	s_lshl_b32 s4, s2, 8
	s_mov_b32 s3, s5
	s_lshr_b64 s[6:7], s[70:71], 8
	s_cmp_lg_u64 s[6:7], s[2:3]
	s_waitcnt lgkmcnt(0)
	v_mbcnt_lo_u32_b32 v1, -1, 0
	s_cbranch_scc0 .LBB612_392
; %bb.383:
	s_lshl_b64 s[6:7], s[4:5], 2
	s_add_u32 s6, s68, s6
	s_addc_u32 s7, s69, s7
	v_lshlrev_b32_e32 v2, 2, v0
	global_load_dword v2, v2, s[6:7]
	s_mov_b32 s6, 0xcccccccd
	v_mbcnt_hi_u32_b32 v3, -1, v1
	v_lshlrev_b32_e32 v4, 2, v3
	s_waitcnt vmcnt(0)
	v_mov_b32_dpp v5, v2 quad_perm:[1,0,3,2] row_mask:0xf bank_mask:0xf bound_ctrl:1
	v_mul_hi_u32 v6, v2, s6
	v_lshrrev_b32_e32 v6, 3, v6
	v_mul_hi_u32 v7, v5, s6
	v_mul_lo_u32 v6, v6, 10
	v_lshrrev_b32_e32 v7, 3, v7
	v_sub_u32_e32 v2, v2, v6
	v_mul_lo_u32 v6, v7, 10
	v_sub_u32_e32 v5, v5, v6
	v_add_u32_e32 v2, v5, v2
	v_subrev_co_u32_e32 v5, vcc, 10, v2
	s_nop 1
	v_cndmask_b32_e32 v2, v5, v2, vcc
	s_nop 1
	v_mov_b32_dpp v5, v2 quad_perm:[2,3,0,1] row_mask:0xf bank_mask:0xf bound_ctrl:1
	v_mul_hi_u32 v6, v5, s6
	v_lshrrev_b32_e32 v6, 3, v6
	v_mul_lo_u32 v6, v6, 10
	v_sub_u32_e32 v5, v5, v6
	v_add_u32_e32 v2, v2, v5
	v_subrev_co_u32_e32 v5, vcc, 10, v2
	s_nop 1
	v_cndmask_b32_e32 v2, v5, v2, vcc
	v_mul_hi_u32 v6, v2, s6
	v_lshrrev_b32_e32 v6, 3, v6
	v_mov_b32_dpp v5, v2 row_ror:4 row_mask:0xf bank_mask:0xf bound_ctrl:1
	v_mul_hi_u32 v7, v5, s6
	v_mul_lo_u32 v6, v6, 10
	v_lshrrev_b32_e32 v7, 3, v7
	v_sub_u32_e32 v2, v2, v6
	v_mul_lo_u32 v6, v7, 10
	v_sub_u32_e32 v5, v5, v6
	v_add_u32_e32 v2, v2, v5
	v_subrev_co_u32_e32 v5, vcc, 10, v2
	s_nop 1
	v_cndmask_b32_e32 v2, v5, v2, vcc
	v_mul_hi_u32 v6, v2, s6
	v_lshrrev_b32_e32 v6, 3, v6
	v_mov_b32_dpp v5, v2 row_ror:8 row_mask:0xf bank_mask:0xf bound_ctrl:1
	v_mul_hi_u32 v7, v5, s6
	v_mul_lo_u32 v6, v6, 10
	v_lshrrev_b32_e32 v7, 3, v7
	v_sub_u32_e32 v2, v2, v6
	v_mul_lo_u32 v6, v7, 10
	v_sub_u32_e32 v5, v5, v6
	v_add_u32_e32 v2, v2, v5
	v_subrev_co_u32_e32 v5, vcc, 10, v2
	s_nop 1
	v_cndmask_b32_e32 v2, v5, v2, vcc
	v_mul_hi_u32 v6, v2, s6
	v_lshrrev_b32_e32 v6, 3, v6
	v_mov_b32_dpp v5, v2 row_bcast:15 row_mask:0xf bank_mask:0xf bound_ctrl:1
	v_mul_hi_u32 v7, v5, s6
	v_mul_lo_u32 v6, v6, 10
	v_lshrrev_b32_e32 v7, 3, v7
	v_sub_u32_e32 v2, v2, v6
	v_mul_lo_u32 v6, v7, 10
	v_sub_u32_e32 v5, v5, v6
	v_add_u32_e32 v2, v2, v5
	v_subrev_co_u32_e32 v5, vcc, 10, v2
	s_nop 1
	v_cndmask_b32_e32 v2, v5, v2, vcc
	v_mul_hi_u32 v6, v2, s6
	v_lshrrev_b32_e32 v6, 3, v6
	v_mov_b32_dpp v5, v2 row_bcast:31 row_mask:0xf bank_mask:0xf bound_ctrl:1
	v_mul_hi_u32 v7, v5, s6
	v_mul_lo_u32 v6, v6, 10
	v_lshrrev_b32_e32 v7, 3, v7
	v_sub_u32_e32 v2, v2, v6
	v_mul_lo_u32 v6, v7, 10
	v_sub_u32_e32 v5, v5, v6
	v_add_u32_e32 v2, v2, v5
	v_subrev_co_u32_e32 v5, vcc, 10, v2
	s_nop 1
	v_cndmask_b32_e32 v2, v5, v2, vcc
	v_or_b32_e32 v5, 0xfc, v4
	ds_bpermute_b32 v2, v5, v2
	v_cmp_eq_u32_e32 vcc, 0, v3
	s_and_saveexec_b64 s[6:7], vcc
	s_cbranch_execz .LBB612_385
; %bb.384:
	v_lshrrev_b32_e32 v5, 4, v0
	v_and_b32_e32 v5, 12, v5
	s_waitcnt lgkmcnt(0)
	ds_write_b32 v5, v2 offset:32
.LBB612_385:
	s_or_b64 exec, exec, s[6:7]
	v_cmp_gt_u32_e32 vcc, 64, v0
	s_waitcnt lgkmcnt(0)
	s_barrier
	s_and_saveexec_b64 s[6:7], vcc
	s_cbranch_execz .LBB612_387
; %bb.386:
	v_and_b32_e32 v2, 3, v3
	v_lshlrev_b32_e32 v5, 2, v2
	ds_read_b32 v5, v5 offset:32
	v_cmp_ne_u32_e32 vcc, 3, v2
	s_mov_b32 s8, 0xcccccccd
	s_nop 0
	v_addc_co_u32_e32 v2, vcc, 0, v3, vcc
	v_lshlrev_b32_e32 v2, 2, v2
	s_waitcnt lgkmcnt(0)
	ds_bpermute_b32 v2, v2, v5
	v_mul_hi_u32 v3, v5, s8
	v_lshrrev_b32_e32 v3, 3, v3
	v_mul_lo_u32 v3, v3, 10
	v_sub_u32_e32 v3, v5, v3
	s_waitcnt lgkmcnt(0)
	v_mul_hi_u32 v6, v2, s8
	v_lshrrev_b32_e32 v6, 3, v6
	v_mul_lo_u32 v6, v6, 10
	v_sub_u32_e32 v2, v2, v6
	v_add_u32_e32 v2, v2, v3
	v_subrev_co_u32_e32 v3, vcc, 10, v2
	s_nop 1
	v_cndmask_b32_e32 v2, v3, v2, vcc
	v_or_b32_e32 v3, 8, v4
	ds_bpermute_b32 v3, v3, v2
	s_waitcnt lgkmcnt(0)
	v_mul_hi_u32 v4, v3, s8
	v_lshrrev_b32_e32 v4, 3, v4
	v_mul_lo_u32 v4, v4, 10
	v_sub_u32_e32 v3, v3, v4
	v_add_u32_e32 v2, v2, v3
	v_subrev_co_u32_e32 v3, vcc, 10, v2
	s_nop 1
	v_cndmask_b32_e32 v2, v3, v2, vcc
.LBB612_387:
	s_or_b64 exec, exec, s[6:7]
	s_branch .LBB612_416
.LBB612_388:
                                        ; implicit-def: $vgpr1
                                        ; implicit-def: $sgpr2_sgpr3
.LBB612_389:
	s_and_saveexec_b64 s[4:5], s[34:35]
	s_cbranch_execz .LBB612_391
.LBB612_390:
	s_load_dwordx2 s[0:1], s[0:1], 0x18
	s_lshl_b64 s[2:3], s[2:3], 2
	v_mov_b32_e32 v0, 0
	s_waitcnt lgkmcnt(0)
	s_add_u32 s0, s0, s2
	s_addc_u32 s1, s1, s3
	global_store_dword v0, v1, s[0:1]
.LBB612_391:
	s_endpgm
.LBB612_392:
                                        ; implicit-def: $vgpr2
	s_cbranch_execz .LBB612_416
; %bb.393:
	s_sub_i32 s8, s70, s4
	v_cmp_gt_u32_e32 vcc, s8, v0
                                        ; implicit-def: $vgpr2
	s_and_saveexec_b64 s[6:7], vcc
	s_cbranch_execz .LBB612_395
; %bb.394:
	s_lshl_b64 s[4:5], s[4:5], 2
	s_add_u32 s4, s68, s4
	s_addc_u32 s5, s69, s5
	v_lshlrev_b32_e32 v2, 2, v0
	global_load_dword v2, v2, s[4:5]
.LBB612_395:
	s_or_b64 exec, exec, s[6:7]
	v_mbcnt_hi_u32_b32 v1, -1, v1
	v_and_b32_e32 v3, 63, v1
	v_cmp_ne_u32_e32 vcc, 63, v3
	s_min_u32 s6, s8, 0x100
	v_add_u32_e32 v6, 1, v3
	v_addc_co_u32_e32 v4, vcc, 0, v1, vcc
	v_lshlrev_b32_e32 v4, 2, v4
	s_waitcnt vmcnt(0)
	ds_bpermute_b32 v5, v4, v2
	v_and_b32_e32 v4, 0xc0, v0
	v_sub_u32_e64 v4, s6, v4 clamp
	v_cmp_lt_u32_e32 vcc, v6, v4
	s_and_saveexec_b64 s[4:5], vcc
	s_cbranch_execz .LBB612_397
; %bb.396:
	s_mov_b32 s7, 0xcccccccd
	s_waitcnt lgkmcnt(0)
	v_mul_hi_u32 v6, v5, s7
	v_lshrrev_b32_e32 v6, 3, v6
	v_mul_lo_u32 v6, v6, 10
	v_sub_u32_e32 v5, v5, v6
	v_mul_hi_u32 v6, v2, s7
	v_lshrrev_b32_e32 v6, 3, v6
	v_mul_lo_u32 v6, v6, 10
	v_sub_u32_e32 v2, v2, v6
	v_add_u32_e32 v2, v5, v2
	v_subrev_co_u32_e32 v5, vcc, 10, v2
	s_nop 1
	v_cndmask_b32_e32 v2, v5, v2, vcc
.LBB612_397:
	s_or_b64 exec, exec, s[4:5]
	v_cmp_gt_u32_e32 vcc, 62, v3
	v_add_u32_e32 v6, 2, v3
	s_waitcnt lgkmcnt(0)
	v_cndmask_b32_e64 v5, 0, 2, vcc
	v_add_lshl_u32 v5, v5, v1, 2
	ds_bpermute_b32 v5, v5, v2
	v_cmp_lt_u32_e32 vcc, v6, v4
	s_and_saveexec_b64 s[4:5], vcc
	s_cbranch_execz .LBB612_399
; %bb.398:
	s_mov_b32 s7, 0xcccccccd
	s_waitcnt lgkmcnt(0)
	v_mul_hi_u32 v6, v5, s7
	v_lshrrev_b32_e32 v6, 3, v6
	v_mul_lo_u32 v6, v6, 10
	v_sub_u32_e32 v5, v5, v6
	v_mul_hi_u32 v6, v2, s7
	v_lshrrev_b32_e32 v6, 3, v6
	v_mul_lo_u32 v6, v6, 10
	v_sub_u32_e32 v2, v2, v6
	v_add_u32_e32 v2, v5, v2
	v_subrev_co_u32_e32 v5, vcc, 10, v2
	s_nop 1
	v_cndmask_b32_e32 v2, v5, v2, vcc
.LBB612_399:
	s_or_b64 exec, exec, s[4:5]
	v_cmp_gt_u32_e32 vcc, 60, v3
	v_add_u32_e32 v6, 4, v3
	s_waitcnt lgkmcnt(0)
	v_cndmask_b32_e64 v5, 0, 4, vcc
	v_add_lshl_u32 v5, v5, v1, 2
	ds_bpermute_b32 v5, v5, v2
	v_cmp_lt_u32_e32 vcc, v6, v4
	s_and_saveexec_b64 s[4:5], vcc
	s_cbranch_execz .LBB612_401
; %bb.400:
	s_mov_b32 s7, 0xcccccccd
	s_waitcnt lgkmcnt(0)
	v_mul_hi_u32 v6, v5, s7
	v_lshrrev_b32_e32 v6, 3, v6
	v_mul_lo_u32 v6, v6, 10
	v_sub_u32_e32 v5, v5, v6
	v_mul_hi_u32 v6, v2, s7
	v_lshrrev_b32_e32 v6, 3, v6
	v_mul_lo_u32 v6, v6, 10
	v_sub_u32_e32 v2, v2, v6
	v_add_u32_e32 v2, v5, v2
	v_subrev_co_u32_e32 v5, vcc, 10, v2
	s_nop 1
	v_cndmask_b32_e32 v2, v5, v2, vcc
.LBB612_401:
	s_or_b64 exec, exec, s[4:5]
	v_cmp_gt_u32_e32 vcc, 56, v3
	v_add_u32_e32 v6, 8, v3
	s_waitcnt lgkmcnt(0)
	v_cndmask_b32_e64 v5, 0, 8, vcc
	v_add_lshl_u32 v5, v5, v1, 2
	ds_bpermute_b32 v5, v5, v2
	v_cmp_lt_u32_e32 vcc, v6, v4
	s_and_saveexec_b64 s[4:5], vcc
	s_cbranch_execz .LBB612_403
; %bb.402:
	s_mov_b32 s7, 0xcccccccd
	s_waitcnt lgkmcnt(0)
	v_mul_hi_u32 v6, v5, s7
	v_lshrrev_b32_e32 v6, 3, v6
	v_mul_lo_u32 v6, v6, 10
	v_sub_u32_e32 v5, v5, v6
	v_mul_hi_u32 v6, v2, s7
	v_lshrrev_b32_e32 v6, 3, v6
	v_mul_lo_u32 v6, v6, 10
	v_sub_u32_e32 v2, v2, v6
	v_add_u32_e32 v2, v5, v2
	v_subrev_co_u32_e32 v5, vcc, 10, v2
	s_nop 1
	v_cndmask_b32_e32 v2, v5, v2, vcc
.LBB612_403:
	s_or_b64 exec, exec, s[4:5]
	v_cmp_gt_u32_e32 vcc, 48, v3
	v_add_u32_e32 v6, 16, v3
	s_waitcnt lgkmcnt(0)
	v_cndmask_b32_e64 v5, 0, 16, vcc
	v_add_lshl_u32 v5, v5, v1, 2
	ds_bpermute_b32 v5, v5, v2
	v_cmp_lt_u32_e32 vcc, v6, v4
	s_and_saveexec_b64 s[4:5], vcc
	s_cbranch_execz .LBB612_405
; %bb.404:
	s_mov_b32 s7, 0xcccccccd
	s_waitcnt lgkmcnt(0)
	v_mul_hi_u32 v6, v5, s7
	v_lshrrev_b32_e32 v6, 3, v6
	v_mul_lo_u32 v6, v6, 10
	v_sub_u32_e32 v5, v5, v6
	v_mul_hi_u32 v6, v2, s7
	v_lshrrev_b32_e32 v6, 3, v6
	v_mul_lo_u32 v6, v6, 10
	v_sub_u32_e32 v2, v2, v6
	v_add_u32_e32 v2, v5, v2
	v_subrev_co_u32_e32 v5, vcc, 10, v2
	s_nop 1
	v_cndmask_b32_e32 v2, v5, v2, vcc
.LBB612_405:
	s_or_b64 exec, exec, s[4:5]
	s_waitcnt lgkmcnt(0)
	v_lshlrev_b32_e32 v5, 2, v1
	v_or_b32_e32 v6, 0x80, v5
	ds_bpermute_b32 v6, v6, v2
	v_add_u32_e32 v3, 32, v3
	v_cmp_lt_u32_e32 vcc, v3, v4
	s_and_saveexec_b64 s[4:5], vcc
	s_cbranch_execz .LBB612_407
; %bb.406:
	s_mov_b32 s7, 0xcccccccd
	s_waitcnt lgkmcnt(0)
	v_mul_hi_u32 v3, v6, s7
	v_mul_hi_u32 v4, v2, s7
	v_lshrrev_b32_e32 v3, 3, v3
	v_lshrrev_b32_e32 v4, 3, v4
	v_mul_lo_u32 v3, v3, 10
	v_mul_lo_u32 v4, v4, 10
	v_sub_u32_e32 v3, v6, v3
	v_sub_u32_e32 v2, v2, v4
	v_add_u32_e32 v2, v3, v2
	v_subrev_co_u32_e32 v3, vcc, 10, v2
	s_nop 1
	v_cndmask_b32_e32 v2, v3, v2, vcc
.LBB612_407:
	s_or_b64 exec, exec, s[4:5]
	v_cmp_eq_u32_e32 vcc, 0, v1
	s_and_saveexec_b64 s[4:5], vcc
; %bb.408:
	v_lshrrev_b32_e32 v3, 4, v0
	v_and_b32_e32 v3, 12, v3
	ds_write_b32 v3, v2
; %bb.409:
	s_or_b64 exec, exec, s[4:5]
	v_cmp_gt_u32_e32 vcc, 4, v0
	s_waitcnt lgkmcnt(0)
	s_barrier
	s_and_saveexec_b64 s[4:5], vcc
	s_cbranch_execz .LBB612_415
; %bb.410:
	ds_read_b32 v2, v5
	v_and_b32_e32 v3, 3, v1
	v_cmp_ne_u32_e32 vcc, 3, v3
	s_add_i32 s6, s6, 63
	s_lshr_b32 s8, s6, 6
	v_addc_co_u32_e32 v1, vcc, 0, v1, vcc
	v_lshlrev_b32_e32 v1, 2, v1
	s_waitcnt lgkmcnt(0)
	ds_bpermute_b32 v1, v1, v2
	v_add_u32_e32 v4, 1, v3
	v_cmp_gt_u32_e32 vcc, s8, v4
	s_and_saveexec_b64 s[6:7], vcc
	s_cbranch_execz .LBB612_412
; %bb.411:
	s_mov_b32 s9, 0xcccccccd
	s_waitcnt lgkmcnt(0)
	v_mul_hi_u32 v4, v1, s9
	v_lshrrev_b32_e32 v4, 3, v4
	v_mul_lo_u32 v4, v4, 10
	v_sub_u32_e32 v1, v1, v4
	v_mul_hi_u32 v4, v2, s9
	v_lshrrev_b32_e32 v4, 3, v4
	v_mul_lo_u32 v4, v4, 10
	v_sub_u32_e32 v2, v2, v4
	v_add_u32_e32 v1, v1, v2
	v_subrev_co_u32_e32 v2, vcc, 10, v1
	s_nop 1
	v_cndmask_b32_e32 v2, v2, v1, vcc
.LBB612_412:
	s_or_b64 exec, exec, s[6:7]
	s_waitcnt lgkmcnt(0)
	v_or_b32_e32 v1, 8, v5
	ds_bpermute_b32 v1, v1, v2
	v_add_u32_e32 v3, 2, v3
	v_cmp_gt_u32_e32 vcc, s8, v3
	s_and_saveexec_b64 s[6:7], vcc
	s_cbranch_execz .LBB612_414
; %bb.413:
	s_mov_b32 s8, 0xcccccccd
	s_waitcnt lgkmcnt(0)
	v_mul_hi_u32 v3, v1, s8
	v_lshrrev_b32_e32 v3, 3, v3
	v_mul_lo_u32 v3, v3, 10
	v_sub_u32_e32 v1, v1, v3
	v_mul_hi_u32 v3, v2, s8
	v_lshrrev_b32_e32 v3, 3, v3
	v_mul_lo_u32 v3, v3, 10
	v_sub_u32_e32 v2, v2, v3
	v_add_u32_e32 v1, v1, v2
	v_subrev_co_u32_e32 v2, vcc, 10, v1
	s_nop 1
	v_cndmask_b32_e32 v2, v2, v1, vcc
.LBB612_414:
	s_or_b64 exec, exec, s[6:7]
.LBB612_415:
	s_or_b64 exec, exec, s[4:5]
.LBB612_416:
	v_cmp_eq_u32_e32 vcc, 0, v0
                                        ; implicit-def: $vgpr1
	s_and_saveexec_b64 s[4:5], vcc
	s_cbranch_execz .LBB612_420
; %bb.417:
	s_cmp_eq_u64 s[70:71], 0
	s_waitcnt lgkmcnt(0)
	v_mov_b32_e32 v1, s33
	s_cbranch_scc1 .LBB612_419
; %bb.418:
	s_mov_b32 s6, 0xcccccccd
	v_mul_hi_u32 v0, v2, s6
	s_mul_hi_u32 s6, s33, 0xcccccccd
	v_lshrrev_b32_e32 v0, 3, v0
	s_lshr_b32 s6, s6, 3
	v_mul_lo_u32 v0, v0, 10
	s_mul_i32 s6, s6, 10
	v_sub_u32_e32 v0, v2, v0
	s_sub_i32 s6, s33, s6
	v_add_u32_e32 v0, s6, v0
	v_subrev_co_u32_e32 v1, vcc, 10, v0
	s_nop 1
	v_cndmask_b32_e32 v1, v1, v0, vcc
.LBB612_419:
	s_or_b64 s[34:35], s[34:35], exec
.LBB612_420:
	s_or_b64 exec, exec, s[4:5]
	s_and_saveexec_b64 s[4:5], s[34:35]
	s_cbranch_execnz .LBB612_390
	s_branch .LBB612_391
.LBB612_421:
	v_lshlrev_b32_e32 v1, 2, v1
	global_load_dword v33, v1, s[72:73]
	s_or_b64 exec, exec, s[74:75]
	s_and_saveexec_b64 s[72:73], s[64:65]
	s_cbranch_execz .LBB612_88
.LBB612_422:
	s_mov_b32 s64, 0xcccccccd
	s_waitcnt vmcnt(0)
	v_mul_hi_u32 v1, v3, s64
	v_lshrrev_b32_e32 v1, 3, v1
	v_mul_lo_u32 v1, v1, 10
	v_sub_u32_e32 v1, v3, v1
	v_mul_hi_u32 v3, v2, s64
	v_lshrrev_b32_e32 v3, 3, v3
	v_mul_lo_u32 v3, v3, 10
	v_sub_u32_e32 v2, v2, v3
	v_add_u32_e32 v1, v1, v2
	v_subrev_co_u32_e64 v2, s[64:65], 10, v1
	s_nop 1
	v_cndmask_b32_e64 v2, v2, v1, s[64:65]
	s_or_b64 exec, exec, s[72:73]
	s_and_saveexec_b64 s[64:65], s[62:63]
	s_cbranch_execz .LBB612_89
.LBB612_423:
	s_mov_b32 s62, 0xcccccccd
	s_waitcnt vmcnt(0)
	v_mul_hi_u32 v1, v4, s62
	v_mul_hi_u32 v3, v2, s62
	v_lshrrev_b32_e32 v1, 3, v1
	v_lshrrev_b32_e32 v3, 3, v3
	v_mul_lo_u32 v1, v1, 10
	v_mul_lo_u32 v3, v3, 10
	v_sub_u32_e32 v1, v4, v1
	v_sub_u32_e32 v2, v2, v3
	v_add_u32_e32 v1, v2, v1
	v_subrev_co_u32_e64 v2, s[62:63], 10, v1
	s_nop 1
	v_cndmask_b32_e64 v2, v2, v1, s[62:63]
	s_or_b64 exec, exec, s[64:65]
	s_and_saveexec_b64 s[62:63], s[60:61]
	s_cbranch_execz .LBB612_90
.LBB612_424:
	s_mov_b32 s60, 0xcccccccd
	s_waitcnt vmcnt(0)
	v_mul_hi_u32 v1, v5, s60
	v_mul_hi_u32 v3, v2, s60
	v_lshrrev_b32_e32 v1, 3, v1
	v_lshrrev_b32_e32 v3, 3, v3
	v_mul_lo_u32 v1, v1, 10
	v_mul_lo_u32 v3, v3, 10
	v_sub_u32_e32 v1, v5, v1
	v_sub_u32_e32 v2, v2, v3
	v_add_u32_e32 v1, v2, v1
	v_subrev_co_u32_e64 v2, s[60:61], 10, v1
	s_nop 1
	v_cndmask_b32_e64 v2, v2, v1, s[60:61]
	s_or_b64 exec, exec, s[62:63]
	s_and_saveexec_b64 s[60:61], s[58:59]
	s_cbranch_execz .LBB612_91
.LBB612_425:
	s_mov_b32 s58, 0xcccccccd
	s_waitcnt vmcnt(0)
	v_mul_hi_u32 v1, v6, s58
	v_mul_hi_u32 v3, v2, s58
	v_lshrrev_b32_e32 v1, 3, v1
	v_lshrrev_b32_e32 v3, 3, v3
	v_mul_lo_u32 v1, v1, 10
	v_mul_lo_u32 v3, v3, 10
	v_sub_u32_e32 v1, v6, v1
	v_sub_u32_e32 v2, v2, v3
	v_add_u32_e32 v1, v2, v1
	v_subrev_co_u32_e64 v2, s[58:59], 10, v1
	s_nop 1
	v_cndmask_b32_e64 v2, v2, v1, s[58:59]
	s_or_b64 exec, exec, s[60:61]
	s_and_saveexec_b64 s[58:59], s[56:57]
	s_cbranch_execz .LBB612_92
.LBB612_426:
	s_mov_b32 s56, 0xcccccccd
	s_waitcnt vmcnt(0)
	v_mul_hi_u32 v1, v7, s56
	v_mul_hi_u32 v3, v2, s56
	v_lshrrev_b32_e32 v1, 3, v1
	v_lshrrev_b32_e32 v3, 3, v3
	v_mul_lo_u32 v1, v1, 10
	v_mul_lo_u32 v3, v3, 10
	v_sub_u32_e32 v1, v7, v1
	v_sub_u32_e32 v2, v2, v3
	v_add_u32_e32 v1, v2, v1
	v_subrev_co_u32_e64 v2, s[56:57], 10, v1
	s_nop 1
	v_cndmask_b32_e64 v2, v2, v1, s[56:57]
	s_or_b64 exec, exec, s[58:59]
	s_and_saveexec_b64 s[56:57], s[54:55]
	s_cbranch_execz .LBB612_93
.LBB612_427:
	s_mov_b32 s54, 0xcccccccd
	s_waitcnt vmcnt(0)
	v_mul_hi_u32 v1, v8, s54
	v_mul_hi_u32 v3, v2, s54
	v_lshrrev_b32_e32 v1, 3, v1
	v_lshrrev_b32_e32 v3, 3, v3
	v_mul_lo_u32 v1, v1, 10
	v_mul_lo_u32 v3, v3, 10
	v_sub_u32_e32 v1, v8, v1
	v_sub_u32_e32 v2, v2, v3
	v_add_u32_e32 v1, v2, v1
	v_subrev_co_u32_e64 v2, s[54:55], 10, v1
	s_nop 1
	v_cndmask_b32_e64 v2, v2, v1, s[54:55]
	s_or_b64 exec, exec, s[56:57]
	s_and_saveexec_b64 s[54:55], s[52:53]
	s_cbranch_execz .LBB612_94
.LBB612_428:
	s_mov_b32 s52, 0xcccccccd
	s_waitcnt vmcnt(0)
	v_mul_hi_u32 v1, v9, s52
	v_mul_hi_u32 v3, v2, s52
	v_lshrrev_b32_e32 v1, 3, v1
	v_lshrrev_b32_e32 v3, 3, v3
	v_mul_lo_u32 v1, v1, 10
	v_mul_lo_u32 v3, v3, 10
	v_sub_u32_e32 v1, v9, v1
	v_sub_u32_e32 v2, v2, v3
	v_add_u32_e32 v1, v2, v1
	v_subrev_co_u32_e64 v2, s[52:53], 10, v1
	s_nop 1
	v_cndmask_b32_e64 v2, v2, v1, s[52:53]
	s_or_b64 exec, exec, s[54:55]
	s_and_saveexec_b64 s[52:53], s[50:51]
	s_cbranch_execz .LBB612_95
.LBB612_429:
	s_mov_b32 s50, 0xcccccccd
	s_waitcnt vmcnt(0)
	v_mul_hi_u32 v1, v10, s50
	v_mul_hi_u32 v3, v2, s50
	v_lshrrev_b32_e32 v1, 3, v1
	v_lshrrev_b32_e32 v3, 3, v3
	v_mul_lo_u32 v1, v1, 10
	v_mul_lo_u32 v3, v3, 10
	v_sub_u32_e32 v1, v10, v1
	v_sub_u32_e32 v2, v2, v3
	v_add_u32_e32 v1, v2, v1
	v_subrev_co_u32_e64 v2, s[50:51], 10, v1
	s_nop 1
	v_cndmask_b32_e64 v2, v2, v1, s[50:51]
	s_or_b64 exec, exec, s[52:53]
	s_and_saveexec_b64 s[50:51], s[48:49]
	s_cbranch_execz .LBB612_96
.LBB612_430:
	s_mov_b32 s48, 0xcccccccd
	s_waitcnt vmcnt(0)
	v_mul_hi_u32 v1, v11, s48
	v_mul_hi_u32 v3, v2, s48
	v_lshrrev_b32_e32 v1, 3, v1
	v_lshrrev_b32_e32 v3, 3, v3
	v_mul_lo_u32 v1, v1, 10
	v_mul_lo_u32 v3, v3, 10
	v_sub_u32_e32 v1, v11, v1
	v_sub_u32_e32 v2, v2, v3
	v_add_u32_e32 v1, v2, v1
	v_subrev_co_u32_e64 v2, s[48:49], 10, v1
	s_nop 1
	v_cndmask_b32_e64 v2, v2, v1, s[48:49]
	s_or_b64 exec, exec, s[50:51]
	s_and_saveexec_b64 s[48:49], s[46:47]
	s_cbranch_execz .LBB612_97
.LBB612_431:
	s_mov_b32 s46, 0xcccccccd
	s_waitcnt vmcnt(0)
	v_mul_hi_u32 v1, v12, s46
	v_mul_hi_u32 v3, v2, s46
	v_lshrrev_b32_e32 v1, 3, v1
	v_lshrrev_b32_e32 v3, 3, v3
	v_mul_lo_u32 v1, v1, 10
	v_mul_lo_u32 v3, v3, 10
	v_sub_u32_e32 v1, v12, v1
	v_sub_u32_e32 v2, v2, v3
	v_add_u32_e32 v1, v2, v1
	v_subrev_co_u32_e64 v2, s[46:47], 10, v1
	s_nop 1
	v_cndmask_b32_e64 v2, v2, v1, s[46:47]
	s_or_b64 exec, exec, s[48:49]
	s_and_saveexec_b64 s[46:47], s[44:45]
	s_cbranch_execz .LBB612_98
.LBB612_432:
	s_mov_b32 s44, 0xcccccccd
	s_waitcnt vmcnt(0)
	v_mul_hi_u32 v1, v13, s44
	v_mul_hi_u32 v3, v2, s44
	v_lshrrev_b32_e32 v1, 3, v1
	v_lshrrev_b32_e32 v3, 3, v3
	v_mul_lo_u32 v1, v1, 10
	v_mul_lo_u32 v3, v3, 10
	v_sub_u32_e32 v1, v13, v1
	v_sub_u32_e32 v2, v2, v3
	v_add_u32_e32 v1, v2, v1
	v_subrev_co_u32_e64 v2, s[44:45], 10, v1
	s_nop 1
	v_cndmask_b32_e64 v2, v2, v1, s[44:45]
	s_or_b64 exec, exec, s[46:47]
	s_and_saveexec_b64 s[44:45], s[42:43]
	s_cbranch_execz .LBB612_99
.LBB612_433:
	s_mov_b32 s42, 0xcccccccd
	s_waitcnt vmcnt(0)
	v_mul_hi_u32 v1, v14, s42
	v_mul_hi_u32 v3, v2, s42
	v_lshrrev_b32_e32 v1, 3, v1
	v_lshrrev_b32_e32 v3, 3, v3
	v_mul_lo_u32 v1, v1, 10
	v_mul_lo_u32 v3, v3, 10
	v_sub_u32_e32 v1, v14, v1
	v_sub_u32_e32 v2, v2, v3
	v_add_u32_e32 v1, v2, v1
	v_subrev_co_u32_e64 v2, s[42:43], 10, v1
	s_nop 1
	v_cndmask_b32_e64 v2, v2, v1, s[42:43]
	s_or_b64 exec, exec, s[44:45]
	s_and_saveexec_b64 s[42:43], s[40:41]
	s_cbranch_execz .LBB612_100
.LBB612_434:
	s_mov_b32 s40, 0xcccccccd
	s_waitcnt vmcnt(0)
	v_mul_hi_u32 v1, v15, s40
	v_mul_hi_u32 v3, v2, s40
	v_lshrrev_b32_e32 v1, 3, v1
	v_lshrrev_b32_e32 v3, 3, v3
	v_mul_lo_u32 v1, v1, 10
	v_mul_lo_u32 v3, v3, 10
	v_sub_u32_e32 v1, v15, v1
	v_sub_u32_e32 v2, v2, v3
	v_add_u32_e32 v1, v2, v1
	v_subrev_co_u32_e64 v2, s[40:41], 10, v1
	s_nop 1
	v_cndmask_b32_e64 v2, v2, v1, s[40:41]
	s_or_b64 exec, exec, s[42:43]
	s_and_saveexec_b64 s[40:41], s[38:39]
	s_cbranch_execz .LBB612_101
.LBB612_435:
	s_mov_b32 s38, 0xcccccccd
	s_waitcnt vmcnt(0)
	v_mul_hi_u32 v1, v16, s38
	v_mul_hi_u32 v3, v2, s38
	v_lshrrev_b32_e32 v1, 3, v1
	v_lshrrev_b32_e32 v3, 3, v3
	v_mul_lo_u32 v1, v1, 10
	v_mul_lo_u32 v3, v3, 10
	v_sub_u32_e32 v1, v16, v1
	v_sub_u32_e32 v2, v2, v3
	v_add_u32_e32 v1, v2, v1
	v_subrev_co_u32_e64 v2, s[38:39], 10, v1
	s_nop 1
	v_cndmask_b32_e64 v2, v2, v1, s[38:39]
	s_or_b64 exec, exec, s[40:41]
	s_and_saveexec_b64 s[38:39], s[36:37]
	s_cbranch_execz .LBB612_102
.LBB612_436:
	s_mov_b32 s36, 0xcccccccd
	s_waitcnt vmcnt(0)
	v_mul_hi_u32 v1, v17, s36
	v_mul_hi_u32 v3, v2, s36
	v_lshrrev_b32_e32 v1, 3, v1
	v_lshrrev_b32_e32 v3, 3, v3
	v_mul_lo_u32 v1, v1, 10
	v_mul_lo_u32 v3, v3, 10
	v_sub_u32_e32 v1, v17, v1
	v_sub_u32_e32 v2, v2, v3
	v_add_u32_e32 v1, v2, v1
	v_subrev_co_u32_e64 v2, s[36:37], 10, v1
	s_nop 1
	v_cndmask_b32_e64 v2, v2, v1, s[36:37]
	s_or_b64 exec, exec, s[38:39]
	s_and_saveexec_b64 s[36:37], s[34:35]
	s_cbranch_execz .LBB612_103
.LBB612_437:
	s_mov_b32 s34, 0xcccccccd
	s_waitcnt vmcnt(0)
	v_mul_hi_u32 v1, v18, s34
	v_mul_hi_u32 v3, v2, s34
	v_lshrrev_b32_e32 v1, 3, v1
	v_lshrrev_b32_e32 v3, 3, v3
	v_mul_lo_u32 v1, v1, 10
	v_mul_lo_u32 v3, v3, 10
	v_sub_u32_e32 v1, v18, v1
	v_sub_u32_e32 v2, v2, v3
	v_add_u32_e32 v1, v2, v1
	v_subrev_co_u32_e64 v2, s[34:35], 10, v1
	s_nop 1
	v_cndmask_b32_e64 v2, v2, v1, s[34:35]
	s_or_b64 exec, exec, s[36:37]
	s_and_saveexec_b64 s[34:35], s[30:31]
	s_cbranch_execz .LBB612_104
.LBB612_438:
	s_mov_b32 s30, 0xcccccccd
	s_waitcnt vmcnt(0)
	v_mul_hi_u32 v1, v19, s30
	v_mul_hi_u32 v3, v2, s30
	v_lshrrev_b32_e32 v1, 3, v1
	v_lshrrev_b32_e32 v3, 3, v3
	v_mul_lo_u32 v1, v1, 10
	v_mul_lo_u32 v3, v3, 10
	v_sub_u32_e32 v1, v19, v1
	v_sub_u32_e32 v2, v2, v3
	v_add_u32_e32 v1, v2, v1
	v_subrev_co_u32_e64 v2, s[30:31], 10, v1
	s_nop 1
	v_cndmask_b32_e64 v2, v2, v1, s[30:31]
	s_or_b64 exec, exec, s[34:35]
	s_and_saveexec_b64 s[30:31], s[28:29]
	s_cbranch_execz .LBB612_105
.LBB612_439:
	s_mov_b32 s28, 0xcccccccd
	s_waitcnt vmcnt(0)
	v_mul_hi_u32 v1, v20, s28
	v_mul_hi_u32 v3, v2, s28
	v_lshrrev_b32_e32 v1, 3, v1
	v_lshrrev_b32_e32 v3, 3, v3
	v_mul_lo_u32 v1, v1, 10
	v_mul_lo_u32 v3, v3, 10
	v_sub_u32_e32 v1, v20, v1
	v_sub_u32_e32 v2, v2, v3
	v_add_u32_e32 v1, v2, v1
	v_subrev_co_u32_e64 v2, s[28:29], 10, v1
	s_nop 1
	v_cndmask_b32_e64 v2, v2, v1, s[28:29]
	s_or_b64 exec, exec, s[30:31]
	s_and_saveexec_b64 s[28:29], s[26:27]
	s_cbranch_execz .LBB612_106
.LBB612_440:
	s_mov_b32 s26, 0xcccccccd
	s_waitcnt vmcnt(0)
	v_mul_hi_u32 v1, v21, s26
	v_mul_hi_u32 v3, v2, s26
	v_lshrrev_b32_e32 v1, 3, v1
	v_lshrrev_b32_e32 v3, 3, v3
	v_mul_lo_u32 v1, v1, 10
	v_mul_lo_u32 v3, v3, 10
	v_sub_u32_e32 v1, v21, v1
	v_sub_u32_e32 v2, v2, v3
	v_add_u32_e32 v1, v2, v1
	v_subrev_co_u32_e64 v2, s[26:27], 10, v1
	s_nop 1
	v_cndmask_b32_e64 v2, v2, v1, s[26:27]
	s_or_b64 exec, exec, s[28:29]
	s_and_saveexec_b64 s[26:27], s[24:25]
	s_cbranch_execz .LBB612_107
.LBB612_441:
	s_mov_b32 s24, 0xcccccccd
	s_waitcnt vmcnt(0)
	v_mul_hi_u32 v1, v22, s24
	v_mul_hi_u32 v3, v2, s24
	v_lshrrev_b32_e32 v1, 3, v1
	v_lshrrev_b32_e32 v3, 3, v3
	v_mul_lo_u32 v1, v1, 10
	v_mul_lo_u32 v3, v3, 10
	v_sub_u32_e32 v1, v22, v1
	v_sub_u32_e32 v2, v2, v3
	v_add_u32_e32 v1, v2, v1
	v_subrev_co_u32_e64 v2, s[24:25], 10, v1
	s_nop 1
	v_cndmask_b32_e64 v2, v2, v1, s[24:25]
	s_or_b64 exec, exec, s[26:27]
	s_and_saveexec_b64 s[24:25], s[22:23]
	s_cbranch_execz .LBB612_108
.LBB612_442:
	s_mov_b32 s22, 0xcccccccd
	s_waitcnt vmcnt(0)
	v_mul_hi_u32 v1, v23, s22
	v_mul_hi_u32 v3, v2, s22
	v_lshrrev_b32_e32 v1, 3, v1
	v_lshrrev_b32_e32 v3, 3, v3
	v_mul_lo_u32 v1, v1, 10
	v_mul_lo_u32 v3, v3, 10
	v_sub_u32_e32 v1, v23, v1
	v_sub_u32_e32 v2, v2, v3
	v_add_u32_e32 v1, v2, v1
	v_subrev_co_u32_e64 v2, s[22:23], 10, v1
	s_nop 1
	v_cndmask_b32_e64 v2, v2, v1, s[22:23]
	s_or_b64 exec, exec, s[24:25]
	s_and_saveexec_b64 s[22:23], s[20:21]
	s_cbranch_execz .LBB612_109
.LBB612_443:
	s_mov_b32 s20, 0xcccccccd
	s_waitcnt vmcnt(0)
	v_mul_hi_u32 v1, v24, s20
	v_mul_hi_u32 v3, v2, s20
	v_lshrrev_b32_e32 v1, 3, v1
	v_lshrrev_b32_e32 v3, 3, v3
	v_mul_lo_u32 v1, v1, 10
	v_mul_lo_u32 v3, v3, 10
	v_sub_u32_e32 v1, v24, v1
	v_sub_u32_e32 v2, v2, v3
	v_add_u32_e32 v1, v2, v1
	v_subrev_co_u32_e64 v2, s[20:21], 10, v1
	s_nop 1
	v_cndmask_b32_e64 v2, v2, v1, s[20:21]
	s_or_b64 exec, exec, s[22:23]
	s_and_saveexec_b64 s[20:21], s[18:19]
	s_cbranch_execz .LBB612_110
.LBB612_444:
	s_mov_b32 s18, 0xcccccccd
	s_waitcnt vmcnt(0)
	v_mul_hi_u32 v1, v25, s18
	v_mul_hi_u32 v3, v2, s18
	v_lshrrev_b32_e32 v1, 3, v1
	v_lshrrev_b32_e32 v3, 3, v3
	v_mul_lo_u32 v1, v1, 10
	v_mul_lo_u32 v3, v3, 10
	v_sub_u32_e32 v1, v25, v1
	v_sub_u32_e32 v2, v2, v3
	v_add_u32_e32 v1, v2, v1
	v_subrev_co_u32_e64 v2, s[18:19], 10, v1
	s_nop 1
	v_cndmask_b32_e64 v2, v2, v1, s[18:19]
	s_or_b64 exec, exec, s[20:21]
	s_and_saveexec_b64 s[18:19], s[16:17]
	s_cbranch_execz .LBB612_111
.LBB612_445:
	s_mov_b32 s16, 0xcccccccd
	s_waitcnt vmcnt(0)
	v_mul_hi_u32 v1, v26, s16
	v_mul_hi_u32 v3, v2, s16
	v_lshrrev_b32_e32 v1, 3, v1
	v_lshrrev_b32_e32 v3, 3, v3
	v_mul_lo_u32 v1, v1, 10
	v_mul_lo_u32 v3, v3, 10
	v_sub_u32_e32 v1, v26, v1
	v_sub_u32_e32 v2, v2, v3
	v_add_u32_e32 v1, v2, v1
	v_subrev_co_u32_e64 v2, s[16:17], 10, v1
	s_nop 1
	v_cndmask_b32_e64 v2, v2, v1, s[16:17]
	s_or_b64 exec, exec, s[18:19]
	s_and_saveexec_b64 s[16:17], s[14:15]
	s_cbranch_execz .LBB612_112
.LBB612_446:
	s_mov_b32 s14, 0xcccccccd
	s_waitcnt vmcnt(0)
	v_mul_hi_u32 v1, v27, s14
	v_mul_hi_u32 v3, v2, s14
	v_lshrrev_b32_e32 v1, 3, v1
	v_lshrrev_b32_e32 v3, 3, v3
	v_mul_lo_u32 v1, v1, 10
	v_mul_lo_u32 v3, v3, 10
	v_sub_u32_e32 v1, v27, v1
	v_sub_u32_e32 v2, v2, v3
	v_add_u32_e32 v1, v2, v1
	v_subrev_co_u32_e64 v2, s[14:15], 10, v1
	s_nop 1
	v_cndmask_b32_e64 v2, v2, v1, s[14:15]
	s_or_b64 exec, exec, s[16:17]
	s_and_saveexec_b64 s[14:15], s[12:13]
	s_cbranch_execz .LBB612_113
.LBB612_447:
	s_mov_b32 s12, 0xcccccccd
	s_waitcnt vmcnt(0)
	v_mul_hi_u32 v1, v28, s12
	v_mul_hi_u32 v3, v2, s12
	v_lshrrev_b32_e32 v1, 3, v1
	v_lshrrev_b32_e32 v3, 3, v3
	v_mul_lo_u32 v1, v1, 10
	v_mul_lo_u32 v3, v3, 10
	v_sub_u32_e32 v1, v28, v1
	v_sub_u32_e32 v2, v2, v3
	v_add_u32_e32 v1, v2, v1
	v_subrev_co_u32_e64 v2, s[12:13], 10, v1
	s_nop 1
	v_cndmask_b32_e64 v2, v2, v1, s[12:13]
	s_or_b64 exec, exec, s[14:15]
	s_and_saveexec_b64 s[12:13], s[10:11]
	s_cbranch_execz .LBB612_114
.LBB612_448:
	s_mov_b32 s10, 0xcccccccd
	s_waitcnt vmcnt(0)
	v_mul_hi_u32 v1, v29, s10
	v_mul_hi_u32 v3, v2, s10
	v_lshrrev_b32_e32 v1, 3, v1
	v_lshrrev_b32_e32 v3, 3, v3
	v_mul_lo_u32 v1, v1, 10
	v_mul_lo_u32 v3, v3, 10
	v_sub_u32_e32 v1, v29, v1
	v_sub_u32_e32 v2, v2, v3
	v_add_u32_e32 v1, v2, v1
	v_subrev_co_u32_e64 v2, s[10:11], 10, v1
	s_nop 1
	v_cndmask_b32_e64 v2, v2, v1, s[10:11]
	s_or_b64 exec, exec, s[12:13]
	s_and_saveexec_b64 s[10:11], s[8:9]
	s_cbranch_execz .LBB612_115
.LBB612_449:
	s_mov_b32 s8, 0xcccccccd
	s_waitcnt vmcnt(0)
	v_mul_hi_u32 v1, v30, s8
	v_mul_hi_u32 v3, v2, s8
	v_lshrrev_b32_e32 v1, 3, v1
	v_lshrrev_b32_e32 v3, 3, v3
	v_mul_lo_u32 v1, v1, 10
	v_mul_lo_u32 v3, v3, 10
	v_sub_u32_e32 v1, v30, v1
	v_sub_u32_e32 v2, v2, v3
	v_add_u32_e32 v1, v2, v1
	v_subrev_co_u32_e64 v2, s[8:9], 10, v1
	s_nop 1
	v_cndmask_b32_e64 v2, v2, v1, s[8:9]
	s_or_b64 exec, exec, s[10:11]
	s_and_saveexec_b64 s[8:9], s[6:7]
	s_cbranch_execz .LBB612_116
.LBB612_450:
	s_mov_b32 s6, 0xcccccccd
	s_waitcnt vmcnt(0)
	v_mul_hi_u32 v1, v31, s6
	v_mul_hi_u32 v3, v2, s6
	v_lshrrev_b32_e32 v1, 3, v1
	v_lshrrev_b32_e32 v3, 3, v3
	v_mul_lo_u32 v1, v1, 10
	v_mul_lo_u32 v3, v3, 10
	v_sub_u32_e32 v1, v31, v1
	v_sub_u32_e32 v2, v2, v3
	v_add_u32_e32 v1, v2, v1
	v_subrev_co_u32_e64 v2, s[6:7], 10, v1
	s_nop 1
	v_cndmask_b32_e64 v2, v2, v1, s[6:7]
	s_or_b64 exec, exec, s[8:9]
	s_and_saveexec_b64 s[6:7], s[4:5]
	s_cbranch_execz .LBB612_117
.LBB612_451:
	s_mov_b32 s4, 0xcccccccd
	s_waitcnt vmcnt(0)
	v_mul_hi_u32 v1, v32, s4
	v_mul_hi_u32 v3, v2, s4
	v_lshrrev_b32_e32 v1, 3, v1
	v_lshrrev_b32_e32 v3, 3, v3
	v_mul_lo_u32 v1, v1, 10
	v_mul_lo_u32 v3, v3, 10
	v_sub_u32_e32 v1, v32, v1
	v_sub_u32_e32 v2, v2, v3
	v_add_u32_e32 v1, v2, v1
	v_subrev_co_u32_e64 v2, s[4:5], 10, v1
	s_nop 1
	v_cndmask_b32_e64 v2, v2, v1, s[4:5]
	s_or_b64 exec, exec, s[6:7]
	s_and_saveexec_b64 s[4:5], vcc
	s_cbranch_execnz .LBB612_118
	s_branch .LBB612_119
.LBB612_452:
	v_lshlrev_b32_e32 v1, 2, v1
	global_load_dword v17, v1, s[36:37]
	s_or_b64 exec, exec, s[38:39]
	s_and_saveexec_b64 s[36:37], s[30:31]
	s_cbranch_execz .LBB612_180
.LBB612_453:
	s_mov_b32 s30, 0xcccccccd
	s_waitcnt vmcnt(0)
	v_mul_hi_u32 v1, v3, s30
	v_lshrrev_b32_e32 v1, 3, v1
	v_mul_lo_u32 v1, v1, 10
	v_sub_u32_e32 v1, v3, v1
	v_mul_hi_u32 v3, v2, s30
	v_lshrrev_b32_e32 v3, 3, v3
	v_mul_lo_u32 v3, v3, 10
	v_sub_u32_e32 v2, v2, v3
	v_add_u32_e32 v1, v1, v2
	v_subrev_co_u32_e64 v2, s[30:31], 10, v1
	s_nop 1
	v_cndmask_b32_e64 v2, v2, v1, s[30:31]
	s_or_b64 exec, exec, s[36:37]
	s_and_saveexec_b64 s[30:31], s[28:29]
	s_cbranch_execz .LBB612_181
.LBB612_454:
	s_mov_b32 s28, 0xcccccccd
	s_waitcnt vmcnt(0)
	v_mul_hi_u32 v1, v4, s28
	v_mul_hi_u32 v3, v2, s28
	v_lshrrev_b32_e32 v1, 3, v1
	v_lshrrev_b32_e32 v3, 3, v3
	v_mul_lo_u32 v1, v1, 10
	v_mul_lo_u32 v3, v3, 10
	v_sub_u32_e32 v1, v4, v1
	v_sub_u32_e32 v2, v2, v3
	v_add_u32_e32 v1, v2, v1
	v_subrev_co_u32_e64 v2, s[28:29], 10, v1
	s_nop 1
	v_cndmask_b32_e64 v2, v2, v1, s[28:29]
	s_or_b64 exec, exec, s[30:31]
	s_and_saveexec_b64 s[28:29], s[26:27]
	s_cbranch_execz .LBB612_182
.LBB612_455:
	s_mov_b32 s26, 0xcccccccd
	s_waitcnt vmcnt(0)
	v_mul_hi_u32 v1, v5, s26
	v_mul_hi_u32 v3, v2, s26
	v_lshrrev_b32_e32 v1, 3, v1
	v_lshrrev_b32_e32 v3, 3, v3
	v_mul_lo_u32 v1, v1, 10
	v_mul_lo_u32 v3, v3, 10
	v_sub_u32_e32 v1, v5, v1
	v_sub_u32_e32 v2, v2, v3
	v_add_u32_e32 v1, v2, v1
	v_subrev_co_u32_e64 v2, s[26:27], 10, v1
	s_nop 1
	v_cndmask_b32_e64 v2, v2, v1, s[26:27]
	s_or_b64 exec, exec, s[28:29]
	s_and_saveexec_b64 s[26:27], s[24:25]
	s_cbranch_execz .LBB612_183
.LBB612_456:
	s_mov_b32 s24, 0xcccccccd
	s_waitcnt vmcnt(0)
	v_mul_hi_u32 v1, v6, s24
	v_mul_hi_u32 v3, v2, s24
	v_lshrrev_b32_e32 v1, 3, v1
	v_lshrrev_b32_e32 v3, 3, v3
	v_mul_lo_u32 v1, v1, 10
	v_mul_lo_u32 v3, v3, 10
	v_sub_u32_e32 v1, v6, v1
	v_sub_u32_e32 v2, v2, v3
	v_add_u32_e32 v1, v2, v1
	v_subrev_co_u32_e64 v2, s[24:25], 10, v1
	s_nop 1
	v_cndmask_b32_e64 v2, v2, v1, s[24:25]
	s_or_b64 exec, exec, s[26:27]
	s_and_saveexec_b64 s[24:25], s[22:23]
	s_cbranch_execz .LBB612_184
.LBB612_457:
	s_mov_b32 s22, 0xcccccccd
	s_waitcnt vmcnt(0)
	v_mul_hi_u32 v1, v7, s22
	v_mul_hi_u32 v3, v2, s22
	v_lshrrev_b32_e32 v1, 3, v1
	v_lshrrev_b32_e32 v3, 3, v3
	v_mul_lo_u32 v1, v1, 10
	v_mul_lo_u32 v3, v3, 10
	v_sub_u32_e32 v1, v7, v1
	v_sub_u32_e32 v2, v2, v3
	v_add_u32_e32 v1, v2, v1
	v_subrev_co_u32_e64 v2, s[22:23], 10, v1
	s_nop 1
	v_cndmask_b32_e64 v2, v2, v1, s[22:23]
	s_or_b64 exec, exec, s[24:25]
	s_and_saveexec_b64 s[22:23], s[20:21]
	s_cbranch_execz .LBB612_185
.LBB612_458:
	s_mov_b32 s20, 0xcccccccd
	s_waitcnt vmcnt(0)
	v_mul_hi_u32 v1, v8, s20
	v_mul_hi_u32 v3, v2, s20
	v_lshrrev_b32_e32 v1, 3, v1
	v_lshrrev_b32_e32 v3, 3, v3
	v_mul_lo_u32 v1, v1, 10
	v_mul_lo_u32 v3, v3, 10
	v_sub_u32_e32 v1, v8, v1
	v_sub_u32_e32 v2, v2, v3
	v_add_u32_e32 v1, v2, v1
	v_subrev_co_u32_e64 v2, s[20:21], 10, v1
	s_nop 1
	v_cndmask_b32_e64 v2, v2, v1, s[20:21]
	s_or_b64 exec, exec, s[22:23]
	s_and_saveexec_b64 s[20:21], s[18:19]
	s_cbranch_execz .LBB612_186
.LBB612_459:
	s_mov_b32 s18, 0xcccccccd
	s_waitcnt vmcnt(0)
	v_mul_hi_u32 v1, v9, s18
	v_mul_hi_u32 v3, v2, s18
	v_lshrrev_b32_e32 v1, 3, v1
	v_lshrrev_b32_e32 v3, 3, v3
	v_mul_lo_u32 v1, v1, 10
	v_mul_lo_u32 v3, v3, 10
	v_sub_u32_e32 v1, v9, v1
	v_sub_u32_e32 v2, v2, v3
	v_add_u32_e32 v1, v2, v1
	v_subrev_co_u32_e64 v2, s[18:19], 10, v1
	s_nop 1
	v_cndmask_b32_e64 v2, v2, v1, s[18:19]
	s_or_b64 exec, exec, s[20:21]
	s_and_saveexec_b64 s[18:19], s[16:17]
	s_cbranch_execz .LBB612_187
.LBB612_460:
	s_mov_b32 s16, 0xcccccccd
	s_waitcnt vmcnt(0)
	v_mul_hi_u32 v1, v10, s16
	v_mul_hi_u32 v3, v2, s16
	v_lshrrev_b32_e32 v1, 3, v1
	v_lshrrev_b32_e32 v3, 3, v3
	v_mul_lo_u32 v1, v1, 10
	v_mul_lo_u32 v3, v3, 10
	v_sub_u32_e32 v1, v10, v1
	v_sub_u32_e32 v2, v2, v3
	v_add_u32_e32 v1, v2, v1
	v_subrev_co_u32_e64 v2, s[16:17], 10, v1
	s_nop 1
	v_cndmask_b32_e64 v2, v2, v1, s[16:17]
	s_or_b64 exec, exec, s[18:19]
	s_and_saveexec_b64 s[16:17], s[14:15]
	s_cbranch_execz .LBB612_188
.LBB612_461:
	s_mov_b32 s14, 0xcccccccd
	s_waitcnt vmcnt(0)
	v_mul_hi_u32 v1, v11, s14
	v_mul_hi_u32 v3, v2, s14
	v_lshrrev_b32_e32 v1, 3, v1
	v_lshrrev_b32_e32 v3, 3, v3
	v_mul_lo_u32 v1, v1, 10
	v_mul_lo_u32 v3, v3, 10
	v_sub_u32_e32 v1, v11, v1
	v_sub_u32_e32 v2, v2, v3
	v_add_u32_e32 v1, v2, v1
	v_subrev_co_u32_e64 v2, s[14:15], 10, v1
	s_nop 1
	v_cndmask_b32_e64 v2, v2, v1, s[14:15]
	s_or_b64 exec, exec, s[16:17]
	s_and_saveexec_b64 s[14:15], s[12:13]
	s_cbranch_execz .LBB612_189
.LBB612_462:
	s_mov_b32 s12, 0xcccccccd
	s_waitcnt vmcnt(0)
	v_mul_hi_u32 v1, v12, s12
	v_mul_hi_u32 v3, v2, s12
	v_lshrrev_b32_e32 v1, 3, v1
	v_lshrrev_b32_e32 v3, 3, v3
	v_mul_lo_u32 v1, v1, 10
	v_mul_lo_u32 v3, v3, 10
	v_sub_u32_e32 v1, v12, v1
	v_sub_u32_e32 v2, v2, v3
	v_add_u32_e32 v1, v2, v1
	v_subrev_co_u32_e64 v2, s[12:13], 10, v1
	s_nop 1
	v_cndmask_b32_e64 v2, v2, v1, s[12:13]
	s_or_b64 exec, exec, s[14:15]
	s_and_saveexec_b64 s[12:13], s[10:11]
	s_cbranch_execz .LBB612_190
.LBB612_463:
	s_mov_b32 s10, 0xcccccccd
	s_waitcnt vmcnt(0)
	v_mul_hi_u32 v1, v13, s10
	v_mul_hi_u32 v3, v2, s10
	v_lshrrev_b32_e32 v1, 3, v1
	v_lshrrev_b32_e32 v3, 3, v3
	v_mul_lo_u32 v1, v1, 10
	v_mul_lo_u32 v3, v3, 10
	v_sub_u32_e32 v1, v13, v1
	v_sub_u32_e32 v2, v2, v3
	v_add_u32_e32 v1, v2, v1
	v_subrev_co_u32_e64 v2, s[10:11], 10, v1
	s_nop 1
	v_cndmask_b32_e64 v2, v2, v1, s[10:11]
	s_or_b64 exec, exec, s[12:13]
	s_and_saveexec_b64 s[10:11], s[8:9]
	s_cbranch_execz .LBB612_191
.LBB612_464:
	s_mov_b32 s8, 0xcccccccd
	s_waitcnt vmcnt(0)
	v_mul_hi_u32 v1, v14, s8
	v_mul_hi_u32 v3, v2, s8
	v_lshrrev_b32_e32 v1, 3, v1
	v_lshrrev_b32_e32 v3, 3, v3
	v_mul_lo_u32 v1, v1, 10
	v_mul_lo_u32 v3, v3, 10
	v_sub_u32_e32 v1, v14, v1
	v_sub_u32_e32 v2, v2, v3
	v_add_u32_e32 v1, v2, v1
	v_subrev_co_u32_e64 v2, s[8:9], 10, v1
	s_nop 1
	v_cndmask_b32_e64 v2, v2, v1, s[8:9]
	s_or_b64 exec, exec, s[10:11]
	s_and_saveexec_b64 s[8:9], s[6:7]
	s_cbranch_execz .LBB612_192
.LBB612_465:
	s_mov_b32 s6, 0xcccccccd
	s_waitcnt vmcnt(0)
	v_mul_hi_u32 v1, v15, s6
	v_mul_hi_u32 v3, v2, s6
	v_lshrrev_b32_e32 v1, 3, v1
	v_lshrrev_b32_e32 v3, 3, v3
	v_mul_lo_u32 v1, v1, 10
	v_mul_lo_u32 v3, v3, 10
	v_sub_u32_e32 v1, v15, v1
	v_sub_u32_e32 v2, v2, v3
	v_add_u32_e32 v1, v2, v1
	v_subrev_co_u32_e64 v2, s[6:7], 10, v1
	s_nop 1
	v_cndmask_b32_e64 v2, v2, v1, s[6:7]
	s_or_b64 exec, exec, s[8:9]
	s_and_saveexec_b64 s[6:7], s[4:5]
	s_cbranch_execz .LBB612_193
.LBB612_466:
	s_mov_b32 s4, 0xcccccccd
	s_waitcnt vmcnt(0)
	v_mul_hi_u32 v1, v16, s4
	v_mul_hi_u32 v3, v2, s4
	v_lshrrev_b32_e32 v1, 3, v1
	v_lshrrev_b32_e32 v3, 3, v3
	v_mul_lo_u32 v1, v1, 10
	v_mul_lo_u32 v3, v3, 10
	v_sub_u32_e32 v1, v16, v1
	v_sub_u32_e32 v2, v2, v3
	v_add_u32_e32 v1, v2, v1
	v_subrev_co_u32_e64 v2, s[4:5], 10, v1
	s_nop 1
	v_cndmask_b32_e64 v2, v2, v1, s[4:5]
	s_or_b64 exec, exec, s[6:7]
	s_and_saveexec_b64 s[4:5], vcc
	s_cbranch_execnz .LBB612_194
	s_branch .LBB612_195
.LBB612_467:
	v_lshlrev_b32_e32 v1, 2, v0
	global_load_dword v5, v1, s[8:9] offset:3072
	s_or_b64 exec, exec, s[10:11]
	s_and_saveexec_b64 s[8:9], s[6:7]
	s_cbranch_execz .LBB612_310
.LBB612_468:
	s_mov_b32 s6, 0xcccccccd
	s_waitcnt vmcnt(0)
	v_mul_hi_u32 v1, v3, s6
	v_lshrrev_b32_e32 v1, 3, v1
	v_mul_lo_u32 v1, v1, 10
	v_sub_u32_e32 v1, v3, v1
	v_mul_hi_u32 v3, v2, s6
	v_lshrrev_b32_e32 v3, 3, v3
	v_mul_lo_u32 v3, v3, 10
	v_sub_u32_e32 v2, v2, v3
	v_add_u32_e32 v1, v1, v2
	v_subrev_co_u32_e64 v2, s[6:7], 10, v1
	s_nop 1
	v_cndmask_b32_e64 v2, v2, v1, s[6:7]
	s_or_b64 exec, exec, s[8:9]
	s_and_saveexec_b64 s[6:7], s[4:5]
	s_cbranch_execz .LBB612_311
.LBB612_469:
	s_mov_b32 s4, 0xcccccccd
	s_waitcnt vmcnt(0)
	v_mul_hi_u32 v1, v4, s4
	v_mul_hi_u32 v3, v2, s4
	v_lshrrev_b32_e32 v1, 3, v1
	v_lshrrev_b32_e32 v3, 3, v3
	v_mul_lo_u32 v1, v1, 10
	v_mul_lo_u32 v3, v3, 10
	v_sub_u32_e32 v1, v4, v1
	v_sub_u32_e32 v2, v2, v3
	v_add_u32_e32 v1, v2, v1
	v_subrev_co_u32_e64 v2, s[4:5], 10, v1
	s_nop 1
	v_cndmask_b32_e64 v2, v2, v1, s[4:5]
	s_or_b64 exec, exec, s[6:7]
	s_and_saveexec_b64 s[4:5], vcc
	s_cbranch_execnz .LBB612_312
	s_branch .LBB612_313
	.section	.rodata,"a",@progbits
	.p2align	6, 0x0
	.amdhsa_kernel _ZN7rocprim17ROCPRIM_400000_NS6detail17trampoline_kernelINS0_14default_configENS1_22reduce_config_selectorIjEEZNS1_11reduce_implILb1ES3_N6thrust23THRUST_200600_302600_NS6detail15normal_iteratorINS8_10device_ptrIjEEEEPjj11plus_mod_10IjEEE10hipError_tPvRmT1_T2_T3_mT4_P12ihipStream_tbEUlT_E1_NS1_11comp_targetILNS1_3genE0ELNS1_11target_archE4294967295ELNS1_3gpuE0ELNS1_3repE0EEENS1_30default_config_static_selectorELNS0_4arch9wavefront6targetE1EEEvSK_
		.amdhsa_group_segment_fixed_size 112
		.amdhsa_private_segment_fixed_size 0
		.amdhsa_kernarg_size 40
		.amdhsa_user_sgpr_count 2
		.amdhsa_user_sgpr_dispatch_ptr 0
		.amdhsa_user_sgpr_queue_ptr 0
		.amdhsa_user_sgpr_kernarg_segment_ptr 1
		.amdhsa_user_sgpr_dispatch_id 0
		.amdhsa_user_sgpr_kernarg_preload_length 0
		.amdhsa_user_sgpr_kernarg_preload_offset 0
		.amdhsa_user_sgpr_private_segment_size 0
		.amdhsa_uses_dynamic_stack 0
		.amdhsa_enable_private_segment 0
		.amdhsa_system_sgpr_workgroup_id_x 1
		.amdhsa_system_sgpr_workgroup_id_y 0
		.amdhsa_system_sgpr_workgroup_id_z 0
		.amdhsa_system_sgpr_workgroup_info 0
		.amdhsa_system_vgpr_workitem_id 0
		.amdhsa_next_free_vgpr 36
		.amdhsa_next_free_sgpr 78
		.amdhsa_accum_offset 36
		.amdhsa_reserve_vcc 1
		.amdhsa_float_round_mode_32 0
		.amdhsa_float_round_mode_16_64 0
		.amdhsa_float_denorm_mode_32 3
		.amdhsa_float_denorm_mode_16_64 3
		.amdhsa_dx10_clamp 1
		.amdhsa_ieee_mode 1
		.amdhsa_fp16_overflow 0
		.amdhsa_tg_split 0
		.amdhsa_exception_fp_ieee_invalid_op 0
		.amdhsa_exception_fp_denorm_src 0
		.amdhsa_exception_fp_ieee_div_zero 0
		.amdhsa_exception_fp_ieee_overflow 0
		.amdhsa_exception_fp_ieee_underflow 0
		.amdhsa_exception_fp_ieee_inexact 0
		.amdhsa_exception_int_div_zero 0
	.end_amdhsa_kernel
	.section	.text._ZN7rocprim17ROCPRIM_400000_NS6detail17trampoline_kernelINS0_14default_configENS1_22reduce_config_selectorIjEEZNS1_11reduce_implILb1ES3_N6thrust23THRUST_200600_302600_NS6detail15normal_iteratorINS8_10device_ptrIjEEEEPjj11plus_mod_10IjEEE10hipError_tPvRmT1_T2_T3_mT4_P12ihipStream_tbEUlT_E1_NS1_11comp_targetILNS1_3genE0ELNS1_11target_archE4294967295ELNS1_3gpuE0ELNS1_3repE0EEENS1_30default_config_static_selectorELNS0_4arch9wavefront6targetE1EEEvSK_,"axG",@progbits,_ZN7rocprim17ROCPRIM_400000_NS6detail17trampoline_kernelINS0_14default_configENS1_22reduce_config_selectorIjEEZNS1_11reduce_implILb1ES3_N6thrust23THRUST_200600_302600_NS6detail15normal_iteratorINS8_10device_ptrIjEEEEPjj11plus_mod_10IjEEE10hipError_tPvRmT1_T2_T3_mT4_P12ihipStream_tbEUlT_E1_NS1_11comp_targetILNS1_3genE0ELNS1_11target_archE4294967295ELNS1_3gpuE0ELNS1_3repE0EEENS1_30default_config_static_selectorELNS0_4arch9wavefront6targetE1EEEvSK_,comdat
.Lfunc_end612:
	.size	_ZN7rocprim17ROCPRIM_400000_NS6detail17trampoline_kernelINS0_14default_configENS1_22reduce_config_selectorIjEEZNS1_11reduce_implILb1ES3_N6thrust23THRUST_200600_302600_NS6detail15normal_iteratorINS8_10device_ptrIjEEEEPjj11plus_mod_10IjEEE10hipError_tPvRmT1_T2_T3_mT4_P12ihipStream_tbEUlT_E1_NS1_11comp_targetILNS1_3genE0ELNS1_11target_archE4294967295ELNS1_3gpuE0ELNS1_3repE0EEENS1_30default_config_static_selectorELNS0_4arch9wavefront6targetE1EEEvSK_, .Lfunc_end612-_ZN7rocprim17ROCPRIM_400000_NS6detail17trampoline_kernelINS0_14default_configENS1_22reduce_config_selectorIjEEZNS1_11reduce_implILb1ES3_N6thrust23THRUST_200600_302600_NS6detail15normal_iteratorINS8_10device_ptrIjEEEEPjj11plus_mod_10IjEEE10hipError_tPvRmT1_T2_T3_mT4_P12ihipStream_tbEUlT_E1_NS1_11comp_targetILNS1_3genE0ELNS1_11target_archE4294967295ELNS1_3gpuE0ELNS1_3repE0EEENS1_30default_config_static_selectorELNS0_4arch9wavefront6targetE1EEEvSK_
                                        ; -- End function
	.set _ZN7rocprim17ROCPRIM_400000_NS6detail17trampoline_kernelINS0_14default_configENS1_22reduce_config_selectorIjEEZNS1_11reduce_implILb1ES3_N6thrust23THRUST_200600_302600_NS6detail15normal_iteratorINS8_10device_ptrIjEEEEPjj11plus_mod_10IjEEE10hipError_tPvRmT1_T2_T3_mT4_P12ihipStream_tbEUlT_E1_NS1_11comp_targetILNS1_3genE0ELNS1_11target_archE4294967295ELNS1_3gpuE0ELNS1_3repE0EEENS1_30default_config_static_selectorELNS0_4arch9wavefront6targetE1EEEvSK_.num_vgpr, 36
	.set _ZN7rocprim17ROCPRIM_400000_NS6detail17trampoline_kernelINS0_14default_configENS1_22reduce_config_selectorIjEEZNS1_11reduce_implILb1ES3_N6thrust23THRUST_200600_302600_NS6detail15normal_iteratorINS8_10device_ptrIjEEEEPjj11plus_mod_10IjEEE10hipError_tPvRmT1_T2_T3_mT4_P12ihipStream_tbEUlT_E1_NS1_11comp_targetILNS1_3genE0ELNS1_11target_archE4294967295ELNS1_3gpuE0ELNS1_3repE0EEENS1_30default_config_static_selectorELNS0_4arch9wavefront6targetE1EEEvSK_.num_agpr, 0
	.set _ZN7rocprim17ROCPRIM_400000_NS6detail17trampoline_kernelINS0_14default_configENS1_22reduce_config_selectorIjEEZNS1_11reduce_implILb1ES3_N6thrust23THRUST_200600_302600_NS6detail15normal_iteratorINS8_10device_ptrIjEEEEPjj11plus_mod_10IjEEE10hipError_tPvRmT1_T2_T3_mT4_P12ihipStream_tbEUlT_E1_NS1_11comp_targetILNS1_3genE0ELNS1_11target_archE4294967295ELNS1_3gpuE0ELNS1_3repE0EEENS1_30default_config_static_selectorELNS0_4arch9wavefront6targetE1EEEvSK_.numbered_sgpr, 78
	.set _ZN7rocprim17ROCPRIM_400000_NS6detail17trampoline_kernelINS0_14default_configENS1_22reduce_config_selectorIjEEZNS1_11reduce_implILb1ES3_N6thrust23THRUST_200600_302600_NS6detail15normal_iteratorINS8_10device_ptrIjEEEEPjj11plus_mod_10IjEEE10hipError_tPvRmT1_T2_T3_mT4_P12ihipStream_tbEUlT_E1_NS1_11comp_targetILNS1_3genE0ELNS1_11target_archE4294967295ELNS1_3gpuE0ELNS1_3repE0EEENS1_30default_config_static_selectorELNS0_4arch9wavefront6targetE1EEEvSK_.num_named_barrier, 0
	.set _ZN7rocprim17ROCPRIM_400000_NS6detail17trampoline_kernelINS0_14default_configENS1_22reduce_config_selectorIjEEZNS1_11reduce_implILb1ES3_N6thrust23THRUST_200600_302600_NS6detail15normal_iteratorINS8_10device_ptrIjEEEEPjj11plus_mod_10IjEEE10hipError_tPvRmT1_T2_T3_mT4_P12ihipStream_tbEUlT_E1_NS1_11comp_targetILNS1_3genE0ELNS1_11target_archE4294967295ELNS1_3gpuE0ELNS1_3repE0EEENS1_30default_config_static_selectorELNS0_4arch9wavefront6targetE1EEEvSK_.private_seg_size, 0
	.set _ZN7rocprim17ROCPRIM_400000_NS6detail17trampoline_kernelINS0_14default_configENS1_22reduce_config_selectorIjEEZNS1_11reduce_implILb1ES3_N6thrust23THRUST_200600_302600_NS6detail15normal_iteratorINS8_10device_ptrIjEEEEPjj11plus_mod_10IjEEE10hipError_tPvRmT1_T2_T3_mT4_P12ihipStream_tbEUlT_E1_NS1_11comp_targetILNS1_3genE0ELNS1_11target_archE4294967295ELNS1_3gpuE0ELNS1_3repE0EEENS1_30default_config_static_selectorELNS0_4arch9wavefront6targetE1EEEvSK_.uses_vcc, 1
	.set _ZN7rocprim17ROCPRIM_400000_NS6detail17trampoline_kernelINS0_14default_configENS1_22reduce_config_selectorIjEEZNS1_11reduce_implILb1ES3_N6thrust23THRUST_200600_302600_NS6detail15normal_iteratorINS8_10device_ptrIjEEEEPjj11plus_mod_10IjEEE10hipError_tPvRmT1_T2_T3_mT4_P12ihipStream_tbEUlT_E1_NS1_11comp_targetILNS1_3genE0ELNS1_11target_archE4294967295ELNS1_3gpuE0ELNS1_3repE0EEENS1_30default_config_static_selectorELNS0_4arch9wavefront6targetE1EEEvSK_.uses_flat_scratch, 0
	.set _ZN7rocprim17ROCPRIM_400000_NS6detail17trampoline_kernelINS0_14default_configENS1_22reduce_config_selectorIjEEZNS1_11reduce_implILb1ES3_N6thrust23THRUST_200600_302600_NS6detail15normal_iteratorINS8_10device_ptrIjEEEEPjj11plus_mod_10IjEEE10hipError_tPvRmT1_T2_T3_mT4_P12ihipStream_tbEUlT_E1_NS1_11comp_targetILNS1_3genE0ELNS1_11target_archE4294967295ELNS1_3gpuE0ELNS1_3repE0EEENS1_30default_config_static_selectorELNS0_4arch9wavefront6targetE1EEEvSK_.has_dyn_sized_stack, 0
	.set _ZN7rocprim17ROCPRIM_400000_NS6detail17trampoline_kernelINS0_14default_configENS1_22reduce_config_selectorIjEEZNS1_11reduce_implILb1ES3_N6thrust23THRUST_200600_302600_NS6detail15normal_iteratorINS8_10device_ptrIjEEEEPjj11plus_mod_10IjEEE10hipError_tPvRmT1_T2_T3_mT4_P12ihipStream_tbEUlT_E1_NS1_11comp_targetILNS1_3genE0ELNS1_11target_archE4294967295ELNS1_3gpuE0ELNS1_3repE0EEENS1_30default_config_static_selectorELNS0_4arch9wavefront6targetE1EEEvSK_.has_recursion, 0
	.set _ZN7rocprim17ROCPRIM_400000_NS6detail17trampoline_kernelINS0_14default_configENS1_22reduce_config_selectorIjEEZNS1_11reduce_implILb1ES3_N6thrust23THRUST_200600_302600_NS6detail15normal_iteratorINS8_10device_ptrIjEEEEPjj11plus_mod_10IjEEE10hipError_tPvRmT1_T2_T3_mT4_P12ihipStream_tbEUlT_E1_NS1_11comp_targetILNS1_3genE0ELNS1_11target_archE4294967295ELNS1_3gpuE0ELNS1_3repE0EEENS1_30default_config_static_selectorELNS0_4arch9wavefront6targetE1EEEvSK_.has_indirect_call, 0
	.section	.AMDGPU.csdata,"",@progbits
; Kernel info:
; codeLenInByte = 25784
; TotalNumSgprs: 84
; NumVgprs: 36
; NumAgprs: 0
; TotalNumVgprs: 36
; ScratchSize: 0
; MemoryBound: 0
; FloatMode: 240
; IeeeMode: 1
; LDSByteSize: 112 bytes/workgroup (compile time only)
; SGPRBlocks: 10
; VGPRBlocks: 4
; NumSGPRsForWavesPerEU: 84
; NumVGPRsForWavesPerEU: 36
; AccumOffset: 36
; Occupancy: 8
; WaveLimiterHint : 1
; COMPUTE_PGM_RSRC2:SCRATCH_EN: 0
; COMPUTE_PGM_RSRC2:USER_SGPR: 2
; COMPUTE_PGM_RSRC2:TRAP_HANDLER: 0
; COMPUTE_PGM_RSRC2:TGID_X_EN: 1
; COMPUTE_PGM_RSRC2:TGID_Y_EN: 0
; COMPUTE_PGM_RSRC2:TGID_Z_EN: 0
; COMPUTE_PGM_RSRC2:TIDIG_COMP_CNT: 0
; COMPUTE_PGM_RSRC3_GFX90A:ACCUM_OFFSET: 8
; COMPUTE_PGM_RSRC3_GFX90A:TG_SPLIT: 0
	.section	.text._ZN7rocprim17ROCPRIM_400000_NS6detail17trampoline_kernelINS0_14default_configENS1_22reduce_config_selectorIjEEZNS1_11reduce_implILb1ES3_N6thrust23THRUST_200600_302600_NS6detail15normal_iteratorINS8_10device_ptrIjEEEEPjj11plus_mod_10IjEEE10hipError_tPvRmT1_T2_T3_mT4_P12ihipStream_tbEUlT_E1_NS1_11comp_targetILNS1_3genE5ELNS1_11target_archE942ELNS1_3gpuE9ELNS1_3repE0EEENS1_30default_config_static_selectorELNS0_4arch9wavefront6targetE1EEEvSK_,"axG",@progbits,_ZN7rocprim17ROCPRIM_400000_NS6detail17trampoline_kernelINS0_14default_configENS1_22reduce_config_selectorIjEEZNS1_11reduce_implILb1ES3_N6thrust23THRUST_200600_302600_NS6detail15normal_iteratorINS8_10device_ptrIjEEEEPjj11plus_mod_10IjEEE10hipError_tPvRmT1_T2_T3_mT4_P12ihipStream_tbEUlT_E1_NS1_11comp_targetILNS1_3genE5ELNS1_11target_archE942ELNS1_3gpuE9ELNS1_3repE0EEENS1_30default_config_static_selectorELNS0_4arch9wavefront6targetE1EEEvSK_,comdat
	.protected	_ZN7rocprim17ROCPRIM_400000_NS6detail17trampoline_kernelINS0_14default_configENS1_22reduce_config_selectorIjEEZNS1_11reduce_implILb1ES3_N6thrust23THRUST_200600_302600_NS6detail15normal_iteratorINS8_10device_ptrIjEEEEPjj11plus_mod_10IjEEE10hipError_tPvRmT1_T2_T3_mT4_P12ihipStream_tbEUlT_E1_NS1_11comp_targetILNS1_3genE5ELNS1_11target_archE942ELNS1_3gpuE9ELNS1_3repE0EEENS1_30default_config_static_selectorELNS0_4arch9wavefront6targetE1EEEvSK_ ; -- Begin function _ZN7rocprim17ROCPRIM_400000_NS6detail17trampoline_kernelINS0_14default_configENS1_22reduce_config_selectorIjEEZNS1_11reduce_implILb1ES3_N6thrust23THRUST_200600_302600_NS6detail15normal_iteratorINS8_10device_ptrIjEEEEPjj11plus_mod_10IjEEE10hipError_tPvRmT1_T2_T3_mT4_P12ihipStream_tbEUlT_E1_NS1_11comp_targetILNS1_3genE5ELNS1_11target_archE942ELNS1_3gpuE9ELNS1_3repE0EEENS1_30default_config_static_selectorELNS0_4arch9wavefront6targetE1EEEvSK_
	.globl	_ZN7rocprim17ROCPRIM_400000_NS6detail17trampoline_kernelINS0_14default_configENS1_22reduce_config_selectorIjEEZNS1_11reduce_implILb1ES3_N6thrust23THRUST_200600_302600_NS6detail15normal_iteratorINS8_10device_ptrIjEEEEPjj11plus_mod_10IjEEE10hipError_tPvRmT1_T2_T3_mT4_P12ihipStream_tbEUlT_E1_NS1_11comp_targetILNS1_3genE5ELNS1_11target_archE942ELNS1_3gpuE9ELNS1_3repE0EEENS1_30default_config_static_selectorELNS0_4arch9wavefront6targetE1EEEvSK_
	.p2align	8
	.type	_ZN7rocprim17ROCPRIM_400000_NS6detail17trampoline_kernelINS0_14default_configENS1_22reduce_config_selectorIjEEZNS1_11reduce_implILb1ES3_N6thrust23THRUST_200600_302600_NS6detail15normal_iteratorINS8_10device_ptrIjEEEEPjj11plus_mod_10IjEEE10hipError_tPvRmT1_T2_T3_mT4_P12ihipStream_tbEUlT_E1_NS1_11comp_targetILNS1_3genE5ELNS1_11target_archE942ELNS1_3gpuE9ELNS1_3repE0EEENS1_30default_config_static_selectorELNS0_4arch9wavefront6targetE1EEEvSK_,@function
_ZN7rocprim17ROCPRIM_400000_NS6detail17trampoline_kernelINS0_14default_configENS1_22reduce_config_selectorIjEEZNS1_11reduce_implILb1ES3_N6thrust23THRUST_200600_302600_NS6detail15normal_iteratorINS8_10device_ptrIjEEEEPjj11plus_mod_10IjEEE10hipError_tPvRmT1_T2_T3_mT4_P12ihipStream_tbEUlT_E1_NS1_11comp_targetILNS1_3genE5ELNS1_11target_archE942ELNS1_3gpuE9ELNS1_3repE0EEENS1_30default_config_static_selectorELNS0_4arch9wavefront6targetE1EEEvSK_: ; @_ZN7rocprim17ROCPRIM_400000_NS6detail17trampoline_kernelINS0_14default_configENS1_22reduce_config_selectorIjEEZNS1_11reduce_implILb1ES3_N6thrust23THRUST_200600_302600_NS6detail15normal_iteratorINS8_10device_ptrIjEEEEPjj11plus_mod_10IjEEE10hipError_tPvRmT1_T2_T3_mT4_P12ihipStream_tbEUlT_E1_NS1_11comp_targetILNS1_3genE5ELNS1_11target_archE942ELNS1_3gpuE9ELNS1_3repE0EEENS1_30default_config_static_selectorELNS0_4arch9wavefront6targetE1EEEvSK_
; %bb.0:
	.section	.rodata,"a",@progbits
	.p2align	6, 0x0
	.amdhsa_kernel _ZN7rocprim17ROCPRIM_400000_NS6detail17trampoline_kernelINS0_14default_configENS1_22reduce_config_selectorIjEEZNS1_11reduce_implILb1ES3_N6thrust23THRUST_200600_302600_NS6detail15normal_iteratorINS8_10device_ptrIjEEEEPjj11plus_mod_10IjEEE10hipError_tPvRmT1_T2_T3_mT4_P12ihipStream_tbEUlT_E1_NS1_11comp_targetILNS1_3genE5ELNS1_11target_archE942ELNS1_3gpuE9ELNS1_3repE0EEENS1_30default_config_static_selectorELNS0_4arch9wavefront6targetE1EEEvSK_
		.amdhsa_group_segment_fixed_size 0
		.amdhsa_private_segment_fixed_size 0
		.amdhsa_kernarg_size 40
		.amdhsa_user_sgpr_count 2
		.amdhsa_user_sgpr_dispatch_ptr 0
		.amdhsa_user_sgpr_queue_ptr 0
		.amdhsa_user_sgpr_kernarg_segment_ptr 1
		.amdhsa_user_sgpr_dispatch_id 0
		.amdhsa_user_sgpr_kernarg_preload_length 0
		.amdhsa_user_sgpr_kernarg_preload_offset 0
		.amdhsa_user_sgpr_private_segment_size 0
		.amdhsa_uses_dynamic_stack 0
		.amdhsa_enable_private_segment 0
		.amdhsa_system_sgpr_workgroup_id_x 1
		.amdhsa_system_sgpr_workgroup_id_y 0
		.amdhsa_system_sgpr_workgroup_id_z 0
		.amdhsa_system_sgpr_workgroup_info 0
		.amdhsa_system_vgpr_workitem_id 0
		.amdhsa_next_free_vgpr 1
		.amdhsa_next_free_sgpr 0
		.amdhsa_accum_offset 4
		.amdhsa_reserve_vcc 0
		.amdhsa_float_round_mode_32 0
		.amdhsa_float_round_mode_16_64 0
		.amdhsa_float_denorm_mode_32 3
		.amdhsa_float_denorm_mode_16_64 3
		.amdhsa_dx10_clamp 1
		.amdhsa_ieee_mode 1
		.amdhsa_fp16_overflow 0
		.amdhsa_tg_split 0
		.amdhsa_exception_fp_ieee_invalid_op 0
		.amdhsa_exception_fp_denorm_src 0
		.amdhsa_exception_fp_ieee_div_zero 0
		.amdhsa_exception_fp_ieee_overflow 0
		.amdhsa_exception_fp_ieee_underflow 0
		.amdhsa_exception_fp_ieee_inexact 0
		.amdhsa_exception_int_div_zero 0
	.end_amdhsa_kernel
	.section	.text._ZN7rocprim17ROCPRIM_400000_NS6detail17trampoline_kernelINS0_14default_configENS1_22reduce_config_selectorIjEEZNS1_11reduce_implILb1ES3_N6thrust23THRUST_200600_302600_NS6detail15normal_iteratorINS8_10device_ptrIjEEEEPjj11plus_mod_10IjEEE10hipError_tPvRmT1_T2_T3_mT4_P12ihipStream_tbEUlT_E1_NS1_11comp_targetILNS1_3genE5ELNS1_11target_archE942ELNS1_3gpuE9ELNS1_3repE0EEENS1_30default_config_static_selectorELNS0_4arch9wavefront6targetE1EEEvSK_,"axG",@progbits,_ZN7rocprim17ROCPRIM_400000_NS6detail17trampoline_kernelINS0_14default_configENS1_22reduce_config_selectorIjEEZNS1_11reduce_implILb1ES3_N6thrust23THRUST_200600_302600_NS6detail15normal_iteratorINS8_10device_ptrIjEEEEPjj11plus_mod_10IjEEE10hipError_tPvRmT1_T2_T3_mT4_P12ihipStream_tbEUlT_E1_NS1_11comp_targetILNS1_3genE5ELNS1_11target_archE942ELNS1_3gpuE9ELNS1_3repE0EEENS1_30default_config_static_selectorELNS0_4arch9wavefront6targetE1EEEvSK_,comdat
.Lfunc_end613:
	.size	_ZN7rocprim17ROCPRIM_400000_NS6detail17trampoline_kernelINS0_14default_configENS1_22reduce_config_selectorIjEEZNS1_11reduce_implILb1ES3_N6thrust23THRUST_200600_302600_NS6detail15normal_iteratorINS8_10device_ptrIjEEEEPjj11plus_mod_10IjEEE10hipError_tPvRmT1_T2_T3_mT4_P12ihipStream_tbEUlT_E1_NS1_11comp_targetILNS1_3genE5ELNS1_11target_archE942ELNS1_3gpuE9ELNS1_3repE0EEENS1_30default_config_static_selectorELNS0_4arch9wavefront6targetE1EEEvSK_, .Lfunc_end613-_ZN7rocprim17ROCPRIM_400000_NS6detail17trampoline_kernelINS0_14default_configENS1_22reduce_config_selectorIjEEZNS1_11reduce_implILb1ES3_N6thrust23THRUST_200600_302600_NS6detail15normal_iteratorINS8_10device_ptrIjEEEEPjj11plus_mod_10IjEEE10hipError_tPvRmT1_T2_T3_mT4_P12ihipStream_tbEUlT_E1_NS1_11comp_targetILNS1_3genE5ELNS1_11target_archE942ELNS1_3gpuE9ELNS1_3repE0EEENS1_30default_config_static_selectorELNS0_4arch9wavefront6targetE1EEEvSK_
                                        ; -- End function
	.set _ZN7rocprim17ROCPRIM_400000_NS6detail17trampoline_kernelINS0_14default_configENS1_22reduce_config_selectorIjEEZNS1_11reduce_implILb1ES3_N6thrust23THRUST_200600_302600_NS6detail15normal_iteratorINS8_10device_ptrIjEEEEPjj11plus_mod_10IjEEE10hipError_tPvRmT1_T2_T3_mT4_P12ihipStream_tbEUlT_E1_NS1_11comp_targetILNS1_3genE5ELNS1_11target_archE942ELNS1_3gpuE9ELNS1_3repE0EEENS1_30default_config_static_selectorELNS0_4arch9wavefront6targetE1EEEvSK_.num_vgpr, 0
	.set _ZN7rocprim17ROCPRIM_400000_NS6detail17trampoline_kernelINS0_14default_configENS1_22reduce_config_selectorIjEEZNS1_11reduce_implILb1ES3_N6thrust23THRUST_200600_302600_NS6detail15normal_iteratorINS8_10device_ptrIjEEEEPjj11plus_mod_10IjEEE10hipError_tPvRmT1_T2_T3_mT4_P12ihipStream_tbEUlT_E1_NS1_11comp_targetILNS1_3genE5ELNS1_11target_archE942ELNS1_3gpuE9ELNS1_3repE0EEENS1_30default_config_static_selectorELNS0_4arch9wavefront6targetE1EEEvSK_.num_agpr, 0
	.set _ZN7rocprim17ROCPRIM_400000_NS6detail17trampoline_kernelINS0_14default_configENS1_22reduce_config_selectorIjEEZNS1_11reduce_implILb1ES3_N6thrust23THRUST_200600_302600_NS6detail15normal_iteratorINS8_10device_ptrIjEEEEPjj11plus_mod_10IjEEE10hipError_tPvRmT1_T2_T3_mT4_P12ihipStream_tbEUlT_E1_NS1_11comp_targetILNS1_3genE5ELNS1_11target_archE942ELNS1_3gpuE9ELNS1_3repE0EEENS1_30default_config_static_selectorELNS0_4arch9wavefront6targetE1EEEvSK_.numbered_sgpr, 0
	.set _ZN7rocprim17ROCPRIM_400000_NS6detail17trampoline_kernelINS0_14default_configENS1_22reduce_config_selectorIjEEZNS1_11reduce_implILb1ES3_N6thrust23THRUST_200600_302600_NS6detail15normal_iteratorINS8_10device_ptrIjEEEEPjj11plus_mod_10IjEEE10hipError_tPvRmT1_T2_T3_mT4_P12ihipStream_tbEUlT_E1_NS1_11comp_targetILNS1_3genE5ELNS1_11target_archE942ELNS1_3gpuE9ELNS1_3repE0EEENS1_30default_config_static_selectorELNS0_4arch9wavefront6targetE1EEEvSK_.num_named_barrier, 0
	.set _ZN7rocprim17ROCPRIM_400000_NS6detail17trampoline_kernelINS0_14default_configENS1_22reduce_config_selectorIjEEZNS1_11reduce_implILb1ES3_N6thrust23THRUST_200600_302600_NS6detail15normal_iteratorINS8_10device_ptrIjEEEEPjj11plus_mod_10IjEEE10hipError_tPvRmT1_T2_T3_mT4_P12ihipStream_tbEUlT_E1_NS1_11comp_targetILNS1_3genE5ELNS1_11target_archE942ELNS1_3gpuE9ELNS1_3repE0EEENS1_30default_config_static_selectorELNS0_4arch9wavefront6targetE1EEEvSK_.private_seg_size, 0
	.set _ZN7rocprim17ROCPRIM_400000_NS6detail17trampoline_kernelINS0_14default_configENS1_22reduce_config_selectorIjEEZNS1_11reduce_implILb1ES3_N6thrust23THRUST_200600_302600_NS6detail15normal_iteratorINS8_10device_ptrIjEEEEPjj11plus_mod_10IjEEE10hipError_tPvRmT1_T2_T3_mT4_P12ihipStream_tbEUlT_E1_NS1_11comp_targetILNS1_3genE5ELNS1_11target_archE942ELNS1_3gpuE9ELNS1_3repE0EEENS1_30default_config_static_selectorELNS0_4arch9wavefront6targetE1EEEvSK_.uses_vcc, 0
	.set _ZN7rocprim17ROCPRIM_400000_NS6detail17trampoline_kernelINS0_14default_configENS1_22reduce_config_selectorIjEEZNS1_11reduce_implILb1ES3_N6thrust23THRUST_200600_302600_NS6detail15normal_iteratorINS8_10device_ptrIjEEEEPjj11plus_mod_10IjEEE10hipError_tPvRmT1_T2_T3_mT4_P12ihipStream_tbEUlT_E1_NS1_11comp_targetILNS1_3genE5ELNS1_11target_archE942ELNS1_3gpuE9ELNS1_3repE0EEENS1_30default_config_static_selectorELNS0_4arch9wavefront6targetE1EEEvSK_.uses_flat_scratch, 0
	.set _ZN7rocprim17ROCPRIM_400000_NS6detail17trampoline_kernelINS0_14default_configENS1_22reduce_config_selectorIjEEZNS1_11reduce_implILb1ES3_N6thrust23THRUST_200600_302600_NS6detail15normal_iteratorINS8_10device_ptrIjEEEEPjj11plus_mod_10IjEEE10hipError_tPvRmT1_T2_T3_mT4_P12ihipStream_tbEUlT_E1_NS1_11comp_targetILNS1_3genE5ELNS1_11target_archE942ELNS1_3gpuE9ELNS1_3repE0EEENS1_30default_config_static_selectorELNS0_4arch9wavefront6targetE1EEEvSK_.has_dyn_sized_stack, 0
	.set _ZN7rocprim17ROCPRIM_400000_NS6detail17trampoline_kernelINS0_14default_configENS1_22reduce_config_selectorIjEEZNS1_11reduce_implILb1ES3_N6thrust23THRUST_200600_302600_NS6detail15normal_iteratorINS8_10device_ptrIjEEEEPjj11plus_mod_10IjEEE10hipError_tPvRmT1_T2_T3_mT4_P12ihipStream_tbEUlT_E1_NS1_11comp_targetILNS1_3genE5ELNS1_11target_archE942ELNS1_3gpuE9ELNS1_3repE0EEENS1_30default_config_static_selectorELNS0_4arch9wavefront6targetE1EEEvSK_.has_recursion, 0
	.set _ZN7rocprim17ROCPRIM_400000_NS6detail17trampoline_kernelINS0_14default_configENS1_22reduce_config_selectorIjEEZNS1_11reduce_implILb1ES3_N6thrust23THRUST_200600_302600_NS6detail15normal_iteratorINS8_10device_ptrIjEEEEPjj11plus_mod_10IjEEE10hipError_tPvRmT1_T2_T3_mT4_P12ihipStream_tbEUlT_E1_NS1_11comp_targetILNS1_3genE5ELNS1_11target_archE942ELNS1_3gpuE9ELNS1_3repE0EEENS1_30default_config_static_selectorELNS0_4arch9wavefront6targetE1EEEvSK_.has_indirect_call, 0
	.section	.AMDGPU.csdata,"",@progbits
; Kernel info:
; codeLenInByte = 0
; TotalNumSgprs: 6
; NumVgprs: 0
; NumAgprs: 0
; TotalNumVgprs: 0
; ScratchSize: 0
; MemoryBound: 0
; FloatMode: 240
; IeeeMode: 1
; LDSByteSize: 0 bytes/workgroup (compile time only)
; SGPRBlocks: 0
; VGPRBlocks: 0
; NumSGPRsForWavesPerEU: 6
; NumVGPRsForWavesPerEU: 1
; AccumOffset: 4
; Occupancy: 8
; WaveLimiterHint : 0
; COMPUTE_PGM_RSRC2:SCRATCH_EN: 0
; COMPUTE_PGM_RSRC2:USER_SGPR: 2
; COMPUTE_PGM_RSRC2:TRAP_HANDLER: 0
; COMPUTE_PGM_RSRC2:TGID_X_EN: 1
; COMPUTE_PGM_RSRC2:TGID_Y_EN: 0
; COMPUTE_PGM_RSRC2:TGID_Z_EN: 0
; COMPUTE_PGM_RSRC2:TIDIG_COMP_CNT: 0
; COMPUTE_PGM_RSRC3_GFX90A:ACCUM_OFFSET: 0
; COMPUTE_PGM_RSRC3_GFX90A:TG_SPLIT: 0
	.section	.text._ZN7rocprim17ROCPRIM_400000_NS6detail17trampoline_kernelINS0_14default_configENS1_22reduce_config_selectorIjEEZNS1_11reduce_implILb1ES3_N6thrust23THRUST_200600_302600_NS6detail15normal_iteratorINS8_10device_ptrIjEEEEPjj11plus_mod_10IjEEE10hipError_tPvRmT1_T2_T3_mT4_P12ihipStream_tbEUlT_E1_NS1_11comp_targetILNS1_3genE4ELNS1_11target_archE910ELNS1_3gpuE8ELNS1_3repE0EEENS1_30default_config_static_selectorELNS0_4arch9wavefront6targetE1EEEvSK_,"axG",@progbits,_ZN7rocprim17ROCPRIM_400000_NS6detail17trampoline_kernelINS0_14default_configENS1_22reduce_config_selectorIjEEZNS1_11reduce_implILb1ES3_N6thrust23THRUST_200600_302600_NS6detail15normal_iteratorINS8_10device_ptrIjEEEEPjj11plus_mod_10IjEEE10hipError_tPvRmT1_T2_T3_mT4_P12ihipStream_tbEUlT_E1_NS1_11comp_targetILNS1_3genE4ELNS1_11target_archE910ELNS1_3gpuE8ELNS1_3repE0EEENS1_30default_config_static_selectorELNS0_4arch9wavefront6targetE1EEEvSK_,comdat
	.protected	_ZN7rocprim17ROCPRIM_400000_NS6detail17trampoline_kernelINS0_14default_configENS1_22reduce_config_selectorIjEEZNS1_11reduce_implILb1ES3_N6thrust23THRUST_200600_302600_NS6detail15normal_iteratorINS8_10device_ptrIjEEEEPjj11plus_mod_10IjEEE10hipError_tPvRmT1_T2_T3_mT4_P12ihipStream_tbEUlT_E1_NS1_11comp_targetILNS1_3genE4ELNS1_11target_archE910ELNS1_3gpuE8ELNS1_3repE0EEENS1_30default_config_static_selectorELNS0_4arch9wavefront6targetE1EEEvSK_ ; -- Begin function _ZN7rocprim17ROCPRIM_400000_NS6detail17trampoline_kernelINS0_14default_configENS1_22reduce_config_selectorIjEEZNS1_11reduce_implILb1ES3_N6thrust23THRUST_200600_302600_NS6detail15normal_iteratorINS8_10device_ptrIjEEEEPjj11plus_mod_10IjEEE10hipError_tPvRmT1_T2_T3_mT4_P12ihipStream_tbEUlT_E1_NS1_11comp_targetILNS1_3genE4ELNS1_11target_archE910ELNS1_3gpuE8ELNS1_3repE0EEENS1_30default_config_static_selectorELNS0_4arch9wavefront6targetE1EEEvSK_
	.globl	_ZN7rocprim17ROCPRIM_400000_NS6detail17trampoline_kernelINS0_14default_configENS1_22reduce_config_selectorIjEEZNS1_11reduce_implILb1ES3_N6thrust23THRUST_200600_302600_NS6detail15normal_iteratorINS8_10device_ptrIjEEEEPjj11plus_mod_10IjEEE10hipError_tPvRmT1_T2_T3_mT4_P12ihipStream_tbEUlT_E1_NS1_11comp_targetILNS1_3genE4ELNS1_11target_archE910ELNS1_3gpuE8ELNS1_3repE0EEENS1_30default_config_static_selectorELNS0_4arch9wavefront6targetE1EEEvSK_
	.p2align	8
	.type	_ZN7rocprim17ROCPRIM_400000_NS6detail17trampoline_kernelINS0_14default_configENS1_22reduce_config_selectorIjEEZNS1_11reduce_implILb1ES3_N6thrust23THRUST_200600_302600_NS6detail15normal_iteratorINS8_10device_ptrIjEEEEPjj11plus_mod_10IjEEE10hipError_tPvRmT1_T2_T3_mT4_P12ihipStream_tbEUlT_E1_NS1_11comp_targetILNS1_3genE4ELNS1_11target_archE910ELNS1_3gpuE8ELNS1_3repE0EEENS1_30default_config_static_selectorELNS0_4arch9wavefront6targetE1EEEvSK_,@function
_ZN7rocprim17ROCPRIM_400000_NS6detail17trampoline_kernelINS0_14default_configENS1_22reduce_config_selectorIjEEZNS1_11reduce_implILb1ES3_N6thrust23THRUST_200600_302600_NS6detail15normal_iteratorINS8_10device_ptrIjEEEEPjj11plus_mod_10IjEEE10hipError_tPvRmT1_T2_T3_mT4_P12ihipStream_tbEUlT_E1_NS1_11comp_targetILNS1_3genE4ELNS1_11target_archE910ELNS1_3gpuE8ELNS1_3repE0EEENS1_30default_config_static_selectorELNS0_4arch9wavefront6targetE1EEEvSK_: ; @_ZN7rocprim17ROCPRIM_400000_NS6detail17trampoline_kernelINS0_14default_configENS1_22reduce_config_selectorIjEEZNS1_11reduce_implILb1ES3_N6thrust23THRUST_200600_302600_NS6detail15normal_iteratorINS8_10device_ptrIjEEEEPjj11plus_mod_10IjEEE10hipError_tPvRmT1_T2_T3_mT4_P12ihipStream_tbEUlT_E1_NS1_11comp_targetILNS1_3genE4ELNS1_11target_archE910ELNS1_3gpuE8ELNS1_3repE0EEENS1_30default_config_static_selectorELNS0_4arch9wavefront6targetE1EEEvSK_
; %bb.0:
	.section	.rodata,"a",@progbits
	.p2align	6, 0x0
	.amdhsa_kernel _ZN7rocprim17ROCPRIM_400000_NS6detail17trampoline_kernelINS0_14default_configENS1_22reduce_config_selectorIjEEZNS1_11reduce_implILb1ES3_N6thrust23THRUST_200600_302600_NS6detail15normal_iteratorINS8_10device_ptrIjEEEEPjj11plus_mod_10IjEEE10hipError_tPvRmT1_T2_T3_mT4_P12ihipStream_tbEUlT_E1_NS1_11comp_targetILNS1_3genE4ELNS1_11target_archE910ELNS1_3gpuE8ELNS1_3repE0EEENS1_30default_config_static_selectorELNS0_4arch9wavefront6targetE1EEEvSK_
		.amdhsa_group_segment_fixed_size 0
		.amdhsa_private_segment_fixed_size 0
		.amdhsa_kernarg_size 40
		.amdhsa_user_sgpr_count 2
		.amdhsa_user_sgpr_dispatch_ptr 0
		.amdhsa_user_sgpr_queue_ptr 0
		.amdhsa_user_sgpr_kernarg_segment_ptr 1
		.amdhsa_user_sgpr_dispatch_id 0
		.amdhsa_user_sgpr_kernarg_preload_length 0
		.amdhsa_user_sgpr_kernarg_preload_offset 0
		.amdhsa_user_sgpr_private_segment_size 0
		.amdhsa_uses_dynamic_stack 0
		.amdhsa_enable_private_segment 0
		.amdhsa_system_sgpr_workgroup_id_x 1
		.amdhsa_system_sgpr_workgroup_id_y 0
		.amdhsa_system_sgpr_workgroup_id_z 0
		.amdhsa_system_sgpr_workgroup_info 0
		.amdhsa_system_vgpr_workitem_id 0
		.amdhsa_next_free_vgpr 1
		.amdhsa_next_free_sgpr 0
		.amdhsa_accum_offset 4
		.amdhsa_reserve_vcc 0
		.amdhsa_float_round_mode_32 0
		.amdhsa_float_round_mode_16_64 0
		.amdhsa_float_denorm_mode_32 3
		.amdhsa_float_denorm_mode_16_64 3
		.amdhsa_dx10_clamp 1
		.amdhsa_ieee_mode 1
		.amdhsa_fp16_overflow 0
		.amdhsa_tg_split 0
		.amdhsa_exception_fp_ieee_invalid_op 0
		.amdhsa_exception_fp_denorm_src 0
		.amdhsa_exception_fp_ieee_div_zero 0
		.amdhsa_exception_fp_ieee_overflow 0
		.amdhsa_exception_fp_ieee_underflow 0
		.amdhsa_exception_fp_ieee_inexact 0
		.amdhsa_exception_int_div_zero 0
	.end_amdhsa_kernel
	.section	.text._ZN7rocprim17ROCPRIM_400000_NS6detail17trampoline_kernelINS0_14default_configENS1_22reduce_config_selectorIjEEZNS1_11reduce_implILb1ES3_N6thrust23THRUST_200600_302600_NS6detail15normal_iteratorINS8_10device_ptrIjEEEEPjj11plus_mod_10IjEEE10hipError_tPvRmT1_T2_T3_mT4_P12ihipStream_tbEUlT_E1_NS1_11comp_targetILNS1_3genE4ELNS1_11target_archE910ELNS1_3gpuE8ELNS1_3repE0EEENS1_30default_config_static_selectorELNS0_4arch9wavefront6targetE1EEEvSK_,"axG",@progbits,_ZN7rocprim17ROCPRIM_400000_NS6detail17trampoline_kernelINS0_14default_configENS1_22reduce_config_selectorIjEEZNS1_11reduce_implILb1ES3_N6thrust23THRUST_200600_302600_NS6detail15normal_iteratorINS8_10device_ptrIjEEEEPjj11plus_mod_10IjEEE10hipError_tPvRmT1_T2_T3_mT4_P12ihipStream_tbEUlT_E1_NS1_11comp_targetILNS1_3genE4ELNS1_11target_archE910ELNS1_3gpuE8ELNS1_3repE0EEENS1_30default_config_static_selectorELNS0_4arch9wavefront6targetE1EEEvSK_,comdat
.Lfunc_end614:
	.size	_ZN7rocprim17ROCPRIM_400000_NS6detail17trampoline_kernelINS0_14default_configENS1_22reduce_config_selectorIjEEZNS1_11reduce_implILb1ES3_N6thrust23THRUST_200600_302600_NS6detail15normal_iteratorINS8_10device_ptrIjEEEEPjj11plus_mod_10IjEEE10hipError_tPvRmT1_T2_T3_mT4_P12ihipStream_tbEUlT_E1_NS1_11comp_targetILNS1_3genE4ELNS1_11target_archE910ELNS1_3gpuE8ELNS1_3repE0EEENS1_30default_config_static_selectorELNS0_4arch9wavefront6targetE1EEEvSK_, .Lfunc_end614-_ZN7rocprim17ROCPRIM_400000_NS6detail17trampoline_kernelINS0_14default_configENS1_22reduce_config_selectorIjEEZNS1_11reduce_implILb1ES3_N6thrust23THRUST_200600_302600_NS6detail15normal_iteratorINS8_10device_ptrIjEEEEPjj11plus_mod_10IjEEE10hipError_tPvRmT1_T2_T3_mT4_P12ihipStream_tbEUlT_E1_NS1_11comp_targetILNS1_3genE4ELNS1_11target_archE910ELNS1_3gpuE8ELNS1_3repE0EEENS1_30default_config_static_selectorELNS0_4arch9wavefront6targetE1EEEvSK_
                                        ; -- End function
	.set _ZN7rocprim17ROCPRIM_400000_NS6detail17trampoline_kernelINS0_14default_configENS1_22reduce_config_selectorIjEEZNS1_11reduce_implILb1ES3_N6thrust23THRUST_200600_302600_NS6detail15normal_iteratorINS8_10device_ptrIjEEEEPjj11plus_mod_10IjEEE10hipError_tPvRmT1_T2_T3_mT4_P12ihipStream_tbEUlT_E1_NS1_11comp_targetILNS1_3genE4ELNS1_11target_archE910ELNS1_3gpuE8ELNS1_3repE0EEENS1_30default_config_static_selectorELNS0_4arch9wavefront6targetE1EEEvSK_.num_vgpr, 0
	.set _ZN7rocprim17ROCPRIM_400000_NS6detail17trampoline_kernelINS0_14default_configENS1_22reduce_config_selectorIjEEZNS1_11reduce_implILb1ES3_N6thrust23THRUST_200600_302600_NS6detail15normal_iteratorINS8_10device_ptrIjEEEEPjj11plus_mod_10IjEEE10hipError_tPvRmT1_T2_T3_mT4_P12ihipStream_tbEUlT_E1_NS1_11comp_targetILNS1_3genE4ELNS1_11target_archE910ELNS1_3gpuE8ELNS1_3repE0EEENS1_30default_config_static_selectorELNS0_4arch9wavefront6targetE1EEEvSK_.num_agpr, 0
	.set _ZN7rocprim17ROCPRIM_400000_NS6detail17trampoline_kernelINS0_14default_configENS1_22reduce_config_selectorIjEEZNS1_11reduce_implILb1ES3_N6thrust23THRUST_200600_302600_NS6detail15normal_iteratorINS8_10device_ptrIjEEEEPjj11plus_mod_10IjEEE10hipError_tPvRmT1_T2_T3_mT4_P12ihipStream_tbEUlT_E1_NS1_11comp_targetILNS1_3genE4ELNS1_11target_archE910ELNS1_3gpuE8ELNS1_3repE0EEENS1_30default_config_static_selectorELNS0_4arch9wavefront6targetE1EEEvSK_.numbered_sgpr, 0
	.set _ZN7rocprim17ROCPRIM_400000_NS6detail17trampoline_kernelINS0_14default_configENS1_22reduce_config_selectorIjEEZNS1_11reduce_implILb1ES3_N6thrust23THRUST_200600_302600_NS6detail15normal_iteratorINS8_10device_ptrIjEEEEPjj11plus_mod_10IjEEE10hipError_tPvRmT1_T2_T3_mT4_P12ihipStream_tbEUlT_E1_NS1_11comp_targetILNS1_3genE4ELNS1_11target_archE910ELNS1_3gpuE8ELNS1_3repE0EEENS1_30default_config_static_selectorELNS0_4arch9wavefront6targetE1EEEvSK_.num_named_barrier, 0
	.set _ZN7rocprim17ROCPRIM_400000_NS6detail17trampoline_kernelINS0_14default_configENS1_22reduce_config_selectorIjEEZNS1_11reduce_implILb1ES3_N6thrust23THRUST_200600_302600_NS6detail15normal_iteratorINS8_10device_ptrIjEEEEPjj11plus_mod_10IjEEE10hipError_tPvRmT1_T2_T3_mT4_P12ihipStream_tbEUlT_E1_NS1_11comp_targetILNS1_3genE4ELNS1_11target_archE910ELNS1_3gpuE8ELNS1_3repE0EEENS1_30default_config_static_selectorELNS0_4arch9wavefront6targetE1EEEvSK_.private_seg_size, 0
	.set _ZN7rocprim17ROCPRIM_400000_NS6detail17trampoline_kernelINS0_14default_configENS1_22reduce_config_selectorIjEEZNS1_11reduce_implILb1ES3_N6thrust23THRUST_200600_302600_NS6detail15normal_iteratorINS8_10device_ptrIjEEEEPjj11plus_mod_10IjEEE10hipError_tPvRmT1_T2_T3_mT4_P12ihipStream_tbEUlT_E1_NS1_11comp_targetILNS1_3genE4ELNS1_11target_archE910ELNS1_3gpuE8ELNS1_3repE0EEENS1_30default_config_static_selectorELNS0_4arch9wavefront6targetE1EEEvSK_.uses_vcc, 0
	.set _ZN7rocprim17ROCPRIM_400000_NS6detail17trampoline_kernelINS0_14default_configENS1_22reduce_config_selectorIjEEZNS1_11reduce_implILb1ES3_N6thrust23THRUST_200600_302600_NS6detail15normal_iteratorINS8_10device_ptrIjEEEEPjj11plus_mod_10IjEEE10hipError_tPvRmT1_T2_T3_mT4_P12ihipStream_tbEUlT_E1_NS1_11comp_targetILNS1_3genE4ELNS1_11target_archE910ELNS1_3gpuE8ELNS1_3repE0EEENS1_30default_config_static_selectorELNS0_4arch9wavefront6targetE1EEEvSK_.uses_flat_scratch, 0
	.set _ZN7rocprim17ROCPRIM_400000_NS6detail17trampoline_kernelINS0_14default_configENS1_22reduce_config_selectorIjEEZNS1_11reduce_implILb1ES3_N6thrust23THRUST_200600_302600_NS6detail15normal_iteratorINS8_10device_ptrIjEEEEPjj11plus_mod_10IjEEE10hipError_tPvRmT1_T2_T3_mT4_P12ihipStream_tbEUlT_E1_NS1_11comp_targetILNS1_3genE4ELNS1_11target_archE910ELNS1_3gpuE8ELNS1_3repE0EEENS1_30default_config_static_selectorELNS0_4arch9wavefront6targetE1EEEvSK_.has_dyn_sized_stack, 0
	.set _ZN7rocprim17ROCPRIM_400000_NS6detail17trampoline_kernelINS0_14default_configENS1_22reduce_config_selectorIjEEZNS1_11reduce_implILb1ES3_N6thrust23THRUST_200600_302600_NS6detail15normal_iteratorINS8_10device_ptrIjEEEEPjj11plus_mod_10IjEEE10hipError_tPvRmT1_T2_T3_mT4_P12ihipStream_tbEUlT_E1_NS1_11comp_targetILNS1_3genE4ELNS1_11target_archE910ELNS1_3gpuE8ELNS1_3repE0EEENS1_30default_config_static_selectorELNS0_4arch9wavefront6targetE1EEEvSK_.has_recursion, 0
	.set _ZN7rocprim17ROCPRIM_400000_NS6detail17trampoline_kernelINS0_14default_configENS1_22reduce_config_selectorIjEEZNS1_11reduce_implILb1ES3_N6thrust23THRUST_200600_302600_NS6detail15normal_iteratorINS8_10device_ptrIjEEEEPjj11plus_mod_10IjEEE10hipError_tPvRmT1_T2_T3_mT4_P12ihipStream_tbEUlT_E1_NS1_11comp_targetILNS1_3genE4ELNS1_11target_archE910ELNS1_3gpuE8ELNS1_3repE0EEENS1_30default_config_static_selectorELNS0_4arch9wavefront6targetE1EEEvSK_.has_indirect_call, 0
	.section	.AMDGPU.csdata,"",@progbits
; Kernel info:
; codeLenInByte = 0
; TotalNumSgprs: 6
; NumVgprs: 0
; NumAgprs: 0
; TotalNumVgprs: 0
; ScratchSize: 0
; MemoryBound: 0
; FloatMode: 240
; IeeeMode: 1
; LDSByteSize: 0 bytes/workgroup (compile time only)
; SGPRBlocks: 0
; VGPRBlocks: 0
; NumSGPRsForWavesPerEU: 6
; NumVGPRsForWavesPerEU: 1
; AccumOffset: 4
; Occupancy: 8
; WaveLimiterHint : 0
; COMPUTE_PGM_RSRC2:SCRATCH_EN: 0
; COMPUTE_PGM_RSRC2:USER_SGPR: 2
; COMPUTE_PGM_RSRC2:TRAP_HANDLER: 0
; COMPUTE_PGM_RSRC2:TGID_X_EN: 1
; COMPUTE_PGM_RSRC2:TGID_Y_EN: 0
; COMPUTE_PGM_RSRC2:TGID_Z_EN: 0
; COMPUTE_PGM_RSRC2:TIDIG_COMP_CNT: 0
; COMPUTE_PGM_RSRC3_GFX90A:ACCUM_OFFSET: 0
; COMPUTE_PGM_RSRC3_GFX90A:TG_SPLIT: 0
	.section	.text._ZN7rocprim17ROCPRIM_400000_NS6detail17trampoline_kernelINS0_14default_configENS1_22reduce_config_selectorIjEEZNS1_11reduce_implILb1ES3_N6thrust23THRUST_200600_302600_NS6detail15normal_iteratorINS8_10device_ptrIjEEEEPjj11plus_mod_10IjEEE10hipError_tPvRmT1_T2_T3_mT4_P12ihipStream_tbEUlT_E1_NS1_11comp_targetILNS1_3genE3ELNS1_11target_archE908ELNS1_3gpuE7ELNS1_3repE0EEENS1_30default_config_static_selectorELNS0_4arch9wavefront6targetE1EEEvSK_,"axG",@progbits,_ZN7rocprim17ROCPRIM_400000_NS6detail17trampoline_kernelINS0_14default_configENS1_22reduce_config_selectorIjEEZNS1_11reduce_implILb1ES3_N6thrust23THRUST_200600_302600_NS6detail15normal_iteratorINS8_10device_ptrIjEEEEPjj11plus_mod_10IjEEE10hipError_tPvRmT1_T2_T3_mT4_P12ihipStream_tbEUlT_E1_NS1_11comp_targetILNS1_3genE3ELNS1_11target_archE908ELNS1_3gpuE7ELNS1_3repE0EEENS1_30default_config_static_selectorELNS0_4arch9wavefront6targetE1EEEvSK_,comdat
	.protected	_ZN7rocprim17ROCPRIM_400000_NS6detail17trampoline_kernelINS0_14default_configENS1_22reduce_config_selectorIjEEZNS1_11reduce_implILb1ES3_N6thrust23THRUST_200600_302600_NS6detail15normal_iteratorINS8_10device_ptrIjEEEEPjj11plus_mod_10IjEEE10hipError_tPvRmT1_T2_T3_mT4_P12ihipStream_tbEUlT_E1_NS1_11comp_targetILNS1_3genE3ELNS1_11target_archE908ELNS1_3gpuE7ELNS1_3repE0EEENS1_30default_config_static_selectorELNS0_4arch9wavefront6targetE1EEEvSK_ ; -- Begin function _ZN7rocprim17ROCPRIM_400000_NS6detail17trampoline_kernelINS0_14default_configENS1_22reduce_config_selectorIjEEZNS1_11reduce_implILb1ES3_N6thrust23THRUST_200600_302600_NS6detail15normal_iteratorINS8_10device_ptrIjEEEEPjj11plus_mod_10IjEEE10hipError_tPvRmT1_T2_T3_mT4_P12ihipStream_tbEUlT_E1_NS1_11comp_targetILNS1_3genE3ELNS1_11target_archE908ELNS1_3gpuE7ELNS1_3repE0EEENS1_30default_config_static_selectorELNS0_4arch9wavefront6targetE1EEEvSK_
	.globl	_ZN7rocprim17ROCPRIM_400000_NS6detail17trampoline_kernelINS0_14default_configENS1_22reduce_config_selectorIjEEZNS1_11reduce_implILb1ES3_N6thrust23THRUST_200600_302600_NS6detail15normal_iteratorINS8_10device_ptrIjEEEEPjj11plus_mod_10IjEEE10hipError_tPvRmT1_T2_T3_mT4_P12ihipStream_tbEUlT_E1_NS1_11comp_targetILNS1_3genE3ELNS1_11target_archE908ELNS1_3gpuE7ELNS1_3repE0EEENS1_30default_config_static_selectorELNS0_4arch9wavefront6targetE1EEEvSK_
	.p2align	8
	.type	_ZN7rocprim17ROCPRIM_400000_NS6detail17trampoline_kernelINS0_14default_configENS1_22reduce_config_selectorIjEEZNS1_11reduce_implILb1ES3_N6thrust23THRUST_200600_302600_NS6detail15normal_iteratorINS8_10device_ptrIjEEEEPjj11plus_mod_10IjEEE10hipError_tPvRmT1_T2_T3_mT4_P12ihipStream_tbEUlT_E1_NS1_11comp_targetILNS1_3genE3ELNS1_11target_archE908ELNS1_3gpuE7ELNS1_3repE0EEENS1_30default_config_static_selectorELNS0_4arch9wavefront6targetE1EEEvSK_,@function
_ZN7rocprim17ROCPRIM_400000_NS6detail17trampoline_kernelINS0_14default_configENS1_22reduce_config_selectorIjEEZNS1_11reduce_implILb1ES3_N6thrust23THRUST_200600_302600_NS6detail15normal_iteratorINS8_10device_ptrIjEEEEPjj11plus_mod_10IjEEE10hipError_tPvRmT1_T2_T3_mT4_P12ihipStream_tbEUlT_E1_NS1_11comp_targetILNS1_3genE3ELNS1_11target_archE908ELNS1_3gpuE7ELNS1_3repE0EEENS1_30default_config_static_selectorELNS0_4arch9wavefront6targetE1EEEvSK_: ; @_ZN7rocprim17ROCPRIM_400000_NS6detail17trampoline_kernelINS0_14default_configENS1_22reduce_config_selectorIjEEZNS1_11reduce_implILb1ES3_N6thrust23THRUST_200600_302600_NS6detail15normal_iteratorINS8_10device_ptrIjEEEEPjj11plus_mod_10IjEEE10hipError_tPvRmT1_T2_T3_mT4_P12ihipStream_tbEUlT_E1_NS1_11comp_targetILNS1_3genE3ELNS1_11target_archE908ELNS1_3gpuE7ELNS1_3repE0EEENS1_30default_config_static_selectorELNS0_4arch9wavefront6targetE1EEEvSK_
; %bb.0:
	.section	.rodata,"a",@progbits
	.p2align	6, 0x0
	.amdhsa_kernel _ZN7rocprim17ROCPRIM_400000_NS6detail17trampoline_kernelINS0_14default_configENS1_22reduce_config_selectorIjEEZNS1_11reduce_implILb1ES3_N6thrust23THRUST_200600_302600_NS6detail15normal_iteratorINS8_10device_ptrIjEEEEPjj11plus_mod_10IjEEE10hipError_tPvRmT1_T2_T3_mT4_P12ihipStream_tbEUlT_E1_NS1_11comp_targetILNS1_3genE3ELNS1_11target_archE908ELNS1_3gpuE7ELNS1_3repE0EEENS1_30default_config_static_selectorELNS0_4arch9wavefront6targetE1EEEvSK_
		.amdhsa_group_segment_fixed_size 0
		.amdhsa_private_segment_fixed_size 0
		.amdhsa_kernarg_size 40
		.amdhsa_user_sgpr_count 2
		.amdhsa_user_sgpr_dispatch_ptr 0
		.amdhsa_user_sgpr_queue_ptr 0
		.amdhsa_user_sgpr_kernarg_segment_ptr 1
		.amdhsa_user_sgpr_dispatch_id 0
		.amdhsa_user_sgpr_kernarg_preload_length 0
		.amdhsa_user_sgpr_kernarg_preload_offset 0
		.amdhsa_user_sgpr_private_segment_size 0
		.amdhsa_uses_dynamic_stack 0
		.amdhsa_enable_private_segment 0
		.amdhsa_system_sgpr_workgroup_id_x 1
		.amdhsa_system_sgpr_workgroup_id_y 0
		.amdhsa_system_sgpr_workgroup_id_z 0
		.amdhsa_system_sgpr_workgroup_info 0
		.amdhsa_system_vgpr_workitem_id 0
		.amdhsa_next_free_vgpr 1
		.amdhsa_next_free_sgpr 0
		.amdhsa_accum_offset 4
		.amdhsa_reserve_vcc 0
		.amdhsa_float_round_mode_32 0
		.amdhsa_float_round_mode_16_64 0
		.amdhsa_float_denorm_mode_32 3
		.amdhsa_float_denorm_mode_16_64 3
		.amdhsa_dx10_clamp 1
		.amdhsa_ieee_mode 1
		.amdhsa_fp16_overflow 0
		.amdhsa_tg_split 0
		.amdhsa_exception_fp_ieee_invalid_op 0
		.amdhsa_exception_fp_denorm_src 0
		.amdhsa_exception_fp_ieee_div_zero 0
		.amdhsa_exception_fp_ieee_overflow 0
		.amdhsa_exception_fp_ieee_underflow 0
		.amdhsa_exception_fp_ieee_inexact 0
		.amdhsa_exception_int_div_zero 0
	.end_amdhsa_kernel
	.section	.text._ZN7rocprim17ROCPRIM_400000_NS6detail17trampoline_kernelINS0_14default_configENS1_22reduce_config_selectorIjEEZNS1_11reduce_implILb1ES3_N6thrust23THRUST_200600_302600_NS6detail15normal_iteratorINS8_10device_ptrIjEEEEPjj11plus_mod_10IjEEE10hipError_tPvRmT1_T2_T3_mT4_P12ihipStream_tbEUlT_E1_NS1_11comp_targetILNS1_3genE3ELNS1_11target_archE908ELNS1_3gpuE7ELNS1_3repE0EEENS1_30default_config_static_selectorELNS0_4arch9wavefront6targetE1EEEvSK_,"axG",@progbits,_ZN7rocprim17ROCPRIM_400000_NS6detail17trampoline_kernelINS0_14default_configENS1_22reduce_config_selectorIjEEZNS1_11reduce_implILb1ES3_N6thrust23THRUST_200600_302600_NS6detail15normal_iteratorINS8_10device_ptrIjEEEEPjj11plus_mod_10IjEEE10hipError_tPvRmT1_T2_T3_mT4_P12ihipStream_tbEUlT_E1_NS1_11comp_targetILNS1_3genE3ELNS1_11target_archE908ELNS1_3gpuE7ELNS1_3repE0EEENS1_30default_config_static_selectorELNS0_4arch9wavefront6targetE1EEEvSK_,comdat
.Lfunc_end615:
	.size	_ZN7rocprim17ROCPRIM_400000_NS6detail17trampoline_kernelINS0_14default_configENS1_22reduce_config_selectorIjEEZNS1_11reduce_implILb1ES3_N6thrust23THRUST_200600_302600_NS6detail15normal_iteratorINS8_10device_ptrIjEEEEPjj11plus_mod_10IjEEE10hipError_tPvRmT1_T2_T3_mT4_P12ihipStream_tbEUlT_E1_NS1_11comp_targetILNS1_3genE3ELNS1_11target_archE908ELNS1_3gpuE7ELNS1_3repE0EEENS1_30default_config_static_selectorELNS0_4arch9wavefront6targetE1EEEvSK_, .Lfunc_end615-_ZN7rocprim17ROCPRIM_400000_NS6detail17trampoline_kernelINS0_14default_configENS1_22reduce_config_selectorIjEEZNS1_11reduce_implILb1ES3_N6thrust23THRUST_200600_302600_NS6detail15normal_iteratorINS8_10device_ptrIjEEEEPjj11plus_mod_10IjEEE10hipError_tPvRmT1_T2_T3_mT4_P12ihipStream_tbEUlT_E1_NS1_11comp_targetILNS1_3genE3ELNS1_11target_archE908ELNS1_3gpuE7ELNS1_3repE0EEENS1_30default_config_static_selectorELNS0_4arch9wavefront6targetE1EEEvSK_
                                        ; -- End function
	.set _ZN7rocprim17ROCPRIM_400000_NS6detail17trampoline_kernelINS0_14default_configENS1_22reduce_config_selectorIjEEZNS1_11reduce_implILb1ES3_N6thrust23THRUST_200600_302600_NS6detail15normal_iteratorINS8_10device_ptrIjEEEEPjj11plus_mod_10IjEEE10hipError_tPvRmT1_T2_T3_mT4_P12ihipStream_tbEUlT_E1_NS1_11comp_targetILNS1_3genE3ELNS1_11target_archE908ELNS1_3gpuE7ELNS1_3repE0EEENS1_30default_config_static_selectorELNS0_4arch9wavefront6targetE1EEEvSK_.num_vgpr, 0
	.set _ZN7rocprim17ROCPRIM_400000_NS6detail17trampoline_kernelINS0_14default_configENS1_22reduce_config_selectorIjEEZNS1_11reduce_implILb1ES3_N6thrust23THRUST_200600_302600_NS6detail15normal_iteratorINS8_10device_ptrIjEEEEPjj11plus_mod_10IjEEE10hipError_tPvRmT1_T2_T3_mT4_P12ihipStream_tbEUlT_E1_NS1_11comp_targetILNS1_3genE3ELNS1_11target_archE908ELNS1_3gpuE7ELNS1_3repE0EEENS1_30default_config_static_selectorELNS0_4arch9wavefront6targetE1EEEvSK_.num_agpr, 0
	.set _ZN7rocprim17ROCPRIM_400000_NS6detail17trampoline_kernelINS0_14default_configENS1_22reduce_config_selectorIjEEZNS1_11reduce_implILb1ES3_N6thrust23THRUST_200600_302600_NS6detail15normal_iteratorINS8_10device_ptrIjEEEEPjj11plus_mod_10IjEEE10hipError_tPvRmT1_T2_T3_mT4_P12ihipStream_tbEUlT_E1_NS1_11comp_targetILNS1_3genE3ELNS1_11target_archE908ELNS1_3gpuE7ELNS1_3repE0EEENS1_30default_config_static_selectorELNS0_4arch9wavefront6targetE1EEEvSK_.numbered_sgpr, 0
	.set _ZN7rocprim17ROCPRIM_400000_NS6detail17trampoline_kernelINS0_14default_configENS1_22reduce_config_selectorIjEEZNS1_11reduce_implILb1ES3_N6thrust23THRUST_200600_302600_NS6detail15normal_iteratorINS8_10device_ptrIjEEEEPjj11plus_mod_10IjEEE10hipError_tPvRmT1_T2_T3_mT4_P12ihipStream_tbEUlT_E1_NS1_11comp_targetILNS1_3genE3ELNS1_11target_archE908ELNS1_3gpuE7ELNS1_3repE0EEENS1_30default_config_static_selectorELNS0_4arch9wavefront6targetE1EEEvSK_.num_named_barrier, 0
	.set _ZN7rocprim17ROCPRIM_400000_NS6detail17trampoline_kernelINS0_14default_configENS1_22reduce_config_selectorIjEEZNS1_11reduce_implILb1ES3_N6thrust23THRUST_200600_302600_NS6detail15normal_iteratorINS8_10device_ptrIjEEEEPjj11plus_mod_10IjEEE10hipError_tPvRmT1_T2_T3_mT4_P12ihipStream_tbEUlT_E1_NS1_11comp_targetILNS1_3genE3ELNS1_11target_archE908ELNS1_3gpuE7ELNS1_3repE0EEENS1_30default_config_static_selectorELNS0_4arch9wavefront6targetE1EEEvSK_.private_seg_size, 0
	.set _ZN7rocprim17ROCPRIM_400000_NS6detail17trampoline_kernelINS0_14default_configENS1_22reduce_config_selectorIjEEZNS1_11reduce_implILb1ES3_N6thrust23THRUST_200600_302600_NS6detail15normal_iteratorINS8_10device_ptrIjEEEEPjj11plus_mod_10IjEEE10hipError_tPvRmT1_T2_T3_mT4_P12ihipStream_tbEUlT_E1_NS1_11comp_targetILNS1_3genE3ELNS1_11target_archE908ELNS1_3gpuE7ELNS1_3repE0EEENS1_30default_config_static_selectorELNS0_4arch9wavefront6targetE1EEEvSK_.uses_vcc, 0
	.set _ZN7rocprim17ROCPRIM_400000_NS6detail17trampoline_kernelINS0_14default_configENS1_22reduce_config_selectorIjEEZNS1_11reduce_implILb1ES3_N6thrust23THRUST_200600_302600_NS6detail15normal_iteratorINS8_10device_ptrIjEEEEPjj11plus_mod_10IjEEE10hipError_tPvRmT1_T2_T3_mT4_P12ihipStream_tbEUlT_E1_NS1_11comp_targetILNS1_3genE3ELNS1_11target_archE908ELNS1_3gpuE7ELNS1_3repE0EEENS1_30default_config_static_selectorELNS0_4arch9wavefront6targetE1EEEvSK_.uses_flat_scratch, 0
	.set _ZN7rocprim17ROCPRIM_400000_NS6detail17trampoline_kernelINS0_14default_configENS1_22reduce_config_selectorIjEEZNS1_11reduce_implILb1ES3_N6thrust23THRUST_200600_302600_NS6detail15normal_iteratorINS8_10device_ptrIjEEEEPjj11plus_mod_10IjEEE10hipError_tPvRmT1_T2_T3_mT4_P12ihipStream_tbEUlT_E1_NS1_11comp_targetILNS1_3genE3ELNS1_11target_archE908ELNS1_3gpuE7ELNS1_3repE0EEENS1_30default_config_static_selectorELNS0_4arch9wavefront6targetE1EEEvSK_.has_dyn_sized_stack, 0
	.set _ZN7rocprim17ROCPRIM_400000_NS6detail17trampoline_kernelINS0_14default_configENS1_22reduce_config_selectorIjEEZNS1_11reduce_implILb1ES3_N6thrust23THRUST_200600_302600_NS6detail15normal_iteratorINS8_10device_ptrIjEEEEPjj11plus_mod_10IjEEE10hipError_tPvRmT1_T2_T3_mT4_P12ihipStream_tbEUlT_E1_NS1_11comp_targetILNS1_3genE3ELNS1_11target_archE908ELNS1_3gpuE7ELNS1_3repE0EEENS1_30default_config_static_selectorELNS0_4arch9wavefront6targetE1EEEvSK_.has_recursion, 0
	.set _ZN7rocprim17ROCPRIM_400000_NS6detail17trampoline_kernelINS0_14default_configENS1_22reduce_config_selectorIjEEZNS1_11reduce_implILb1ES3_N6thrust23THRUST_200600_302600_NS6detail15normal_iteratorINS8_10device_ptrIjEEEEPjj11plus_mod_10IjEEE10hipError_tPvRmT1_T2_T3_mT4_P12ihipStream_tbEUlT_E1_NS1_11comp_targetILNS1_3genE3ELNS1_11target_archE908ELNS1_3gpuE7ELNS1_3repE0EEENS1_30default_config_static_selectorELNS0_4arch9wavefront6targetE1EEEvSK_.has_indirect_call, 0
	.section	.AMDGPU.csdata,"",@progbits
; Kernel info:
; codeLenInByte = 0
; TotalNumSgprs: 6
; NumVgprs: 0
; NumAgprs: 0
; TotalNumVgprs: 0
; ScratchSize: 0
; MemoryBound: 0
; FloatMode: 240
; IeeeMode: 1
; LDSByteSize: 0 bytes/workgroup (compile time only)
; SGPRBlocks: 0
; VGPRBlocks: 0
; NumSGPRsForWavesPerEU: 6
; NumVGPRsForWavesPerEU: 1
; AccumOffset: 4
; Occupancy: 8
; WaveLimiterHint : 0
; COMPUTE_PGM_RSRC2:SCRATCH_EN: 0
; COMPUTE_PGM_RSRC2:USER_SGPR: 2
; COMPUTE_PGM_RSRC2:TRAP_HANDLER: 0
; COMPUTE_PGM_RSRC2:TGID_X_EN: 1
; COMPUTE_PGM_RSRC2:TGID_Y_EN: 0
; COMPUTE_PGM_RSRC2:TGID_Z_EN: 0
; COMPUTE_PGM_RSRC2:TIDIG_COMP_CNT: 0
; COMPUTE_PGM_RSRC3_GFX90A:ACCUM_OFFSET: 0
; COMPUTE_PGM_RSRC3_GFX90A:TG_SPLIT: 0
	.section	.text._ZN7rocprim17ROCPRIM_400000_NS6detail17trampoline_kernelINS0_14default_configENS1_22reduce_config_selectorIjEEZNS1_11reduce_implILb1ES3_N6thrust23THRUST_200600_302600_NS6detail15normal_iteratorINS8_10device_ptrIjEEEEPjj11plus_mod_10IjEEE10hipError_tPvRmT1_T2_T3_mT4_P12ihipStream_tbEUlT_E1_NS1_11comp_targetILNS1_3genE2ELNS1_11target_archE906ELNS1_3gpuE6ELNS1_3repE0EEENS1_30default_config_static_selectorELNS0_4arch9wavefront6targetE1EEEvSK_,"axG",@progbits,_ZN7rocprim17ROCPRIM_400000_NS6detail17trampoline_kernelINS0_14default_configENS1_22reduce_config_selectorIjEEZNS1_11reduce_implILb1ES3_N6thrust23THRUST_200600_302600_NS6detail15normal_iteratorINS8_10device_ptrIjEEEEPjj11plus_mod_10IjEEE10hipError_tPvRmT1_T2_T3_mT4_P12ihipStream_tbEUlT_E1_NS1_11comp_targetILNS1_3genE2ELNS1_11target_archE906ELNS1_3gpuE6ELNS1_3repE0EEENS1_30default_config_static_selectorELNS0_4arch9wavefront6targetE1EEEvSK_,comdat
	.protected	_ZN7rocprim17ROCPRIM_400000_NS6detail17trampoline_kernelINS0_14default_configENS1_22reduce_config_selectorIjEEZNS1_11reduce_implILb1ES3_N6thrust23THRUST_200600_302600_NS6detail15normal_iteratorINS8_10device_ptrIjEEEEPjj11plus_mod_10IjEEE10hipError_tPvRmT1_T2_T3_mT4_P12ihipStream_tbEUlT_E1_NS1_11comp_targetILNS1_3genE2ELNS1_11target_archE906ELNS1_3gpuE6ELNS1_3repE0EEENS1_30default_config_static_selectorELNS0_4arch9wavefront6targetE1EEEvSK_ ; -- Begin function _ZN7rocprim17ROCPRIM_400000_NS6detail17trampoline_kernelINS0_14default_configENS1_22reduce_config_selectorIjEEZNS1_11reduce_implILb1ES3_N6thrust23THRUST_200600_302600_NS6detail15normal_iteratorINS8_10device_ptrIjEEEEPjj11plus_mod_10IjEEE10hipError_tPvRmT1_T2_T3_mT4_P12ihipStream_tbEUlT_E1_NS1_11comp_targetILNS1_3genE2ELNS1_11target_archE906ELNS1_3gpuE6ELNS1_3repE0EEENS1_30default_config_static_selectorELNS0_4arch9wavefront6targetE1EEEvSK_
	.globl	_ZN7rocprim17ROCPRIM_400000_NS6detail17trampoline_kernelINS0_14default_configENS1_22reduce_config_selectorIjEEZNS1_11reduce_implILb1ES3_N6thrust23THRUST_200600_302600_NS6detail15normal_iteratorINS8_10device_ptrIjEEEEPjj11plus_mod_10IjEEE10hipError_tPvRmT1_T2_T3_mT4_P12ihipStream_tbEUlT_E1_NS1_11comp_targetILNS1_3genE2ELNS1_11target_archE906ELNS1_3gpuE6ELNS1_3repE0EEENS1_30default_config_static_selectorELNS0_4arch9wavefront6targetE1EEEvSK_
	.p2align	8
	.type	_ZN7rocprim17ROCPRIM_400000_NS6detail17trampoline_kernelINS0_14default_configENS1_22reduce_config_selectorIjEEZNS1_11reduce_implILb1ES3_N6thrust23THRUST_200600_302600_NS6detail15normal_iteratorINS8_10device_ptrIjEEEEPjj11plus_mod_10IjEEE10hipError_tPvRmT1_T2_T3_mT4_P12ihipStream_tbEUlT_E1_NS1_11comp_targetILNS1_3genE2ELNS1_11target_archE906ELNS1_3gpuE6ELNS1_3repE0EEENS1_30default_config_static_selectorELNS0_4arch9wavefront6targetE1EEEvSK_,@function
_ZN7rocprim17ROCPRIM_400000_NS6detail17trampoline_kernelINS0_14default_configENS1_22reduce_config_selectorIjEEZNS1_11reduce_implILb1ES3_N6thrust23THRUST_200600_302600_NS6detail15normal_iteratorINS8_10device_ptrIjEEEEPjj11plus_mod_10IjEEE10hipError_tPvRmT1_T2_T3_mT4_P12ihipStream_tbEUlT_E1_NS1_11comp_targetILNS1_3genE2ELNS1_11target_archE906ELNS1_3gpuE6ELNS1_3repE0EEENS1_30default_config_static_selectorELNS0_4arch9wavefront6targetE1EEEvSK_: ; @_ZN7rocprim17ROCPRIM_400000_NS6detail17trampoline_kernelINS0_14default_configENS1_22reduce_config_selectorIjEEZNS1_11reduce_implILb1ES3_N6thrust23THRUST_200600_302600_NS6detail15normal_iteratorINS8_10device_ptrIjEEEEPjj11plus_mod_10IjEEE10hipError_tPvRmT1_T2_T3_mT4_P12ihipStream_tbEUlT_E1_NS1_11comp_targetILNS1_3genE2ELNS1_11target_archE906ELNS1_3gpuE6ELNS1_3repE0EEENS1_30default_config_static_selectorELNS0_4arch9wavefront6targetE1EEEvSK_
; %bb.0:
	.section	.rodata,"a",@progbits
	.p2align	6, 0x0
	.amdhsa_kernel _ZN7rocprim17ROCPRIM_400000_NS6detail17trampoline_kernelINS0_14default_configENS1_22reduce_config_selectorIjEEZNS1_11reduce_implILb1ES3_N6thrust23THRUST_200600_302600_NS6detail15normal_iteratorINS8_10device_ptrIjEEEEPjj11plus_mod_10IjEEE10hipError_tPvRmT1_T2_T3_mT4_P12ihipStream_tbEUlT_E1_NS1_11comp_targetILNS1_3genE2ELNS1_11target_archE906ELNS1_3gpuE6ELNS1_3repE0EEENS1_30default_config_static_selectorELNS0_4arch9wavefront6targetE1EEEvSK_
		.amdhsa_group_segment_fixed_size 0
		.amdhsa_private_segment_fixed_size 0
		.amdhsa_kernarg_size 40
		.amdhsa_user_sgpr_count 2
		.amdhsa_user_sgpr_dispatch_ptr 0
		.amdhsa_user_sgpr_queue_ptr 0
		.amdhsa_user_sgpr_kernarg_segment_ptr 1
		.amdhsa_user_sgpr_dispatch_id 0
		.amdhsa_user_sgpr_kernarg_preload_length 0
		.amdhsa_user_sgpr_kernarg_preload_offset 0
		.amdhsa_user_sgpr_private_segment_size 0
		.amdhsa_uses_dynamic_stack 0
		.amdhsa_enable_private_segment 0
		.amdhsa_system_sgpr_workgroup_id_x 1
		.amdhsa_system_sgpr_workgroup_id_y 0
		.amdhsa_system_sgpr_workgroup_id_z 0
		.amdhsa_system_sgpr_workgroup_info 0
		.amdhsa_system_vgpr_workitem_id 0
		.amdhsa_next_free_vgpr 1
		.amdhsa_next_free_sgpr 0
		.amdhsa_accum_offset 4
		.amdhsa_reserve_vcc 0
		.amdhsa_float_round_mode_32 0
		.amdhsa_float_round_mode_16_64 0
		.amdhsa_float_denorm_mode_32 3
		.amdhsa_float_denorm_mode_16_64 3
		.amdhsa_dx10_clamp 1
		.amdhsa_ieee_mode 1
		.amdhsa_fp16_overflow 0
		.amdhsa_tg_split 0
		.amdhsa_exception_fp_ieee_invalid_op 0
		.amdhsa_exception_fp_denorm_src 0
		.amdhsa_exception_fp_ieee_div_zero 0
		.amdhsa_exception_fp_ieee_overflow 0
		.amdhsa_exception_fp_ieee_underflow 0
		.amdhsa_exception_fp_ieee_inexact 0
		.amdhsa_exception_int_div_zero 0
	.end_amdhsa_kernel
	.section	.text._ZN7rocprim17ROCPRIM_400000_NS6detail17trampoline_kernelINS0_14default_configENS1_22reduce_config_selectorIjEEZNS1_11reduce_implILb1ES3_N6thrust23THRUST_200600_302600_NS6detail15normal_iteratorINS8_10device_ptrIjEEEEPjj11plus_mod_10IjEEE10hipError_tPvRmT1_T2_T3_mT4_P12ihipStream_tbEUlT_E1_NS1_11comp_targetILNS1_3genE2ELNS1_11target_archE906ELNS1_3gpuE6ELNS1_3repE0EEENS1_30default_config_static_selectorELNS0_4arch9wavefront6targetE1EEEvSK_,"axG",@progbits,_ZN7rocprim17ROCPRIM_400000_NS6detail17trampoline_kernelINS0_14default_configENS1_22reduce_config_selectorIjEEZNS1_11reduce_implILb1ES3_N6thrust23THRUST_200600_302600_NS6detail15normal_iteratorINS8_10device_ptrIjEEEEPjj11plus_mod_10IjEEE10hipError_tPvRmT1_T2_T3_mT4_P12ihipStream_tbEUlT_E1_NS1_11comp_targetILNS1_3genE2ELNS1_11target_archE906ELNS1_3gpuE6ELNS1_3repE0EEENS1_30default_config_static_selectorELNS0_4arch9wavefront6targetE1EEEvSK_,comdat
.Lfunc_end616:
	.size	_ZN7rocprim17ROCPRIM_400000_NS6detail17trampoline_kernelINS0_14default_configENS1_22reduce_config_selectorIjEEZNS1_11reduce_implILb1ES3_N6thrust23THRUST_200600_302600_NS6detail15normal_iteratorINS8_10device_ptrIjEEEEPjj11plus_mod_10IjEEE10hipError_tPvRmT1_T2_T3_mT4_P12ihipStream_tbEUlT_E1_NS1_11comp_targetILNS1_3genE2ELNS1_11target_archE906ELNS1_3gpuE6ELNS1_3repE0EEENS1_30default_config_static_selectorELNS0_4arch9wavefront6targetE1EEEvSK_, .Lfunc_end616-_ZN7rocprim17ROCPRIM_400000_NS6detail17trampoline_kernelINS0_14default_configENS1_22reduce_config_selectorIjEEZNS1_11reduce_implILb1ES3_N6thrust23THRUST_200600_302600_NS6detail15normal_iteratorINS8_10device_ptrIjEEEEPjj11plus_mod_10IjEEE10hipError_tPvRmT1_T2_T3_mT4_P12ihipStream_tbEUlT_E1_NS1_11comp_targetILNS1_3genE2ELNS1_11target_archE906ELNS1_3gpuE6ELNS1_3repE0EEENS1_30default_config_static_selectorELNS0_4arch9wavefront6targetE1EEEvSK_
                                        ; -- End function
	.set _ZN7rocprim17ROCPRIM_400000_NS6detail17trampoline_kernelINS0_14default_configENS1_22reduce_config_selectorIjEEZNS1_11reduce_implILb1ES3_N6thrust23THRUST_200600_302600_NS6detail15normal_iteratorINS8_10device_ptrIjEEEEPjj11plus_mod_10IjEEE10hipError_tPvRmT1_T2_T3_mT4_P12ihipStream_tbEUlT_E1_NS1_11comp_targetILNS1_3genE2ELNS1_11target_archE906ELNS1_3gpuE6ELNS1_3repE0EEENS1_30default_config_static_selectorELNS0_4arch9wavefront6targetE1EEEvSK_.num_vgpr, 0
	.set _ZN7rocprim17ROCPRIM_400000_NS6detail17trampoline_kernelINS0_14default_configENS1_22reduce_config_selectorIjEEZNS1_11reduce_implILb1ES3_N6thrust23THRUST_200600_302600_NS6detail15normal_iteratorINS8_10device_ptrIjEEEEPjj11plus_mod_10IjEEE10hipError_tPvRmT1_T2_T3_mT4_P12ihipStream_tbEUlT_E1_NS1_11comp_targetILNS1_3genE2ELNS1_11target_archE906ELNS1_3gpuE6ELNS1_3repE0EEENS1_30default_config_static_selectorELNS0_4arch9wavefront6targetE1EEEvSK_.num_agpr, 0
	.set _ZN7rocprim17ROCPRIM_400000_NS6detail17trampoline_kernelINS0_14default_configENS1_22reduce_config_selectorIjEEZNS1_11reduce_implILb1ES3_N6thrust23THRUST_200600_302600_NS6detail15normal_iteratorINS8_10device_ptrIjEEEEPjj11plus_mod_10IjEEE10hipError_tPvRmT1_T2_T3_mT4_P12ihipStream_tbEUlT_E1_NS1_11comp_targetILNS1_3genE2ELNS1_11target_archE906ELNS1_3gpuE6ELNS1_3repE0EEENS1_30default_config_static_selectorELNS0_4arch9wavefront6targetE1EEEvSK_.numbered_sgpr, 0
	.set _ZN7rocprim17ROCPRIM_400000_NS6detail17trampoline_kernelINS0_14default_configENS1_22reduce_config_selectorIjEEZNS1_11reduce_implILb1ES3_N6thrust23THRUST_200600_302600_NS6detail15normal_iteratorINS8_10device_ptrIjEEEEPjj11plus_mod_10IjEEE10hipError_tPvRmT1_T2_T3_mT4_P12ihipStream_tbEUlT_E1_NS1_11comp_targetILNS1_3genE2ELNS1_11target_archE906ELNS1_3gpuE6ELNS1_3repE0EEENS1_30default_config_static_selectorELNS0_4arch9wavefront6targetE1EEEvSK_.num_named_barrier, 0
	.set _ZN7rocprim17ROCPRIM_400000_NS6detail17trampoline_kernelINS0_14default_configENS1_22reduce_config_selectorIjEEZNS1_11reduce_implILb1ES3_N6thrust23THRUST_200600_302600_NS6detail15normal_iteratorINS8_10device_ptrIjEEEEPjj11plus_mod_10IjEEE10hipError_tPvRmT1_T2_T3_mT4_P12ihipStream_tbEUlT_E1_NS1_11comp_targetILNS1_3genE2ELNS1_11target_archE906ELNS1_3gpuE6ELNS1_3repE0EEENS1_30default_config_static_selectorELNS0_4arch9wavefront6targetE1EEEvSK_.private_seg_size, 0
	.set _ZN7rocprim17ROCPRIM_400000_NS6detail17trampoline_kernelINS0_14default_configENS1_22reduce_config_selectorIjEEZNS1_11reduce_implILb1ES3_N6thrust23THRUST_200600_302600_NS6detail15normal_iteratorINS8_10device_ptrIjEEEEPjj11plus_mod_10IjEEE10hipError_tPvRmT1_T2_T3_mT4_P12ihipStream_tbEUlT_E1_NS1_11comp_targetILNS1_3genE2ELNS1_11target_archE906ELNS1_3gpuE6ELNS1_3repE0EEENS1_30default_config_static_selectorELNS0_4arch9wavefront6targetE1EEEvSK_.uses_vcc, 0
	.set _ZN7rocprim17ROCPRIM_400000_NS6detail17trampoline_kernelINS0_14default_configENS1_22reduce_config_selectorIjEEZNS1_11reduce_implILb1ES3_N6thrust23THRUST_200600_302600_NS6detail15normal_iteratorINS8_10device_ptrIjEEEEPjj11plus_mod_10IjEEE10hipError_tPvRmT1_T2_T3_mT4_P12ihipStream_tbEUlT_E1_NS1_11comp_targetILNS1_3genE2ELNS1_11target_archE906ELNS1_3gpuE6ELNS1_3repE0EEENS1_30default_config_static_selectorELNS0_4arch9wavefront6targetE1EEEvSK_.uses_flat_scratch, 0
	.set _ZN7rocprim17ROCPRIM_400000_NS6detail17trampoline_kernelINS0_14default_configENS1_22reduce_config_selectorIjEEZNS1_11reduce_implILb1ES3_N6thrust23THRUST_200600_302600_NS6detail15normal_iteratorINS8_10device_ptrIjEEEEPjj11plus_mod_10IjEEE10hipError_tPvRmT1_T2_T3_mT4_P12ihipStream_tbEUlT_E1_NS1_11comp_targetILNS1_3genE2ELNS1_11target_archE906ELNS1_3gpuE6ELNS1_3repE0EEENS1_30default_config_static_selectorELNS0_4arch9wavefront6targetE1EEEvSK_.has_dyn_sized_stack, 0
	.set _ZN7rocprim17ROCPRIM_400000_NS6detail17trampoline_kernelINS0_14default_configENS1_22reduce_config_selectorIjEEZNS1_11reduce_implILb1ES3_N6thrust23THRUST_200600_302600_NS6detail15normal_iteratorINS8_10device_ptrIjEEEEPjj11plus_mod_10IjEEE10hipError_tPvRmT1_T2_T3_mT4_P12ihipStream_tbEUlT_E1_NS1_11comp_targetILNS1_3genE2ELNS1_11target_archE906ELNS1_3gpuE6ELNS1_3repE0EEENS1_30default_config_static_selectorELNS0_4arch9wavefront6targetE1EEEvSK_.has_recursion, 0
	.set _ZN7rocprim17ROCPRIM_400000_NS6detail17trampoline_kernelINS0_14default_configENS1_22reduce_config_selectorIjEEZNS1_11reduce_implILb1ES3_N6thrust23THRUST_200600_302600_NS6detail15normal_iteratorINS8_10device_ptrIjEEEEPjj11plus_mod_10IjEEE10hipError_tPvRmT1_T2_T3_mT4_P12ihipStream_tbEUlT_E1_NS1_11comp_targetILNS1_3genE2ELNS1_11target_archE906ELNS1_3gpuE6ELNS1_3repE0EEENS1_30default_config_static_selectorELNS0_4arch9wavefront6targetE1EEEvSK_.has_indirect_call, 0
	.section	.AMDGPU.csdata,"",@progbits
; Kernel info:
; codeLenInByte = 0
; TotalNumSgprs: 6
; NumVgprs: 0
; NumAgprs: 0
; TotalNumVgprs: 0
; ScratchSize: 0
; MemoryBound: 0
; FloatMode: 240
; IeeeMode: 1
; LDSByteSize: 0 bytes/workgroup (compile time only)
; SGPRBlocks: 0
; VGPRBlocks: 0
; NumSGPRsForWavesPerEU: 6
; NumVGPRsForWavesPerEU: 1
; AccumOffset: 4
; Occupancy: 8
; WaveLimiterHint : 0
; COMPUTE_PGM_RSRC2:SCRATCH_EN: 0
; COMPUTE_PGM_RSRC2:USER_SGPR: 2
; COMPUTE_PGM_RSRC2:TRAP_HANDLER: 0
; COMPUTE_PGM_RSRC2:TGID_X_EN: 1
; COMPUTE_PGM_RSRC2:TGID_Y_EN: 0
; COMPUTE_PGM_RSRC2:TGID_Z_EN: 0
; COMPUTE_PGM_RSRC2:TIDIG_COMP_CNT: 0
; COMPUTE_PGM_RSRC3_GFX90A:ACCUM_OFFSET: 0
; COMPUTE_PGM_RSRC3_GFX90A:TG_SPLIT: 0
	.section	.text._ZN7rocprim17ROCPRIM_400000_NS6detail17trampoline_kernelINS0_14default_configENS1_22reduce_config_selectorIjEEZNS1_11reduce_implILb1ES3_N6thrust23THRUST_200600_302600_NS6detail15normal_iteratorINS8_10device_ptrIjEEEEPjj11plus_mod_10IjEEE10hipError_tPvRmT1_T2_T3_mT4_P12ihipStream_tbEUlT_E1_NS1_11comp_targetILNS1_3genE10ELNS1_11target_archE1201ELNS1_3gpuE5ELNS1_3repE0EEENS1_30default_config_static_selectorELNS0_4arch9wavefront6targetE1EEEvSK_,"axG",@progbits,_ZN7rocprim17ROCPRIM_400000_NS6detail17trampoline_kernelINS0_14default_configENS1_22reduce_config_selectorIjEEZNS1_11reduce_implILb1ES3_N6thrust23THRUST_200600_302600_NS6detail15normal_iteratorINS8_10device_ptrIjEEEEPjj11plus_mod_10IjEEE10hipError_tPvRmT1_T2_T3_mT4_P12ihipStream_tbEUlT_E1_NS1_11comp_targetILNS1_3genE10ELNS1_11target_archE1201ELNS1_3gpuE5ELNS1_3repE0EEENS1_30default_config_static_selectorELNS0_4arch9wavefront6targetE1EEEvSK_,comdat
	.protected	_ZN7rocprim17ROCPRIM_400000_NS6detail17trampoline_kernelINS0_14default_configENS1_22reduce_config_selectorIjEEZNS1_11reduce_implILb1ES3_N6thrust23THRUST_200600_302600_NS6detail15normal_iteratorINS8_10device_ptrIjEEEEPjj11plus_mod_10IjEEE10hipError_tPvRmT1_T2_T3_mT4_P12ihipStream_tbEUlT_E1_NS1_11comp_targetILNS1_3genE10ELNS1_11target_archE1201ELNS1_3gpuE5ELNS1_3repE0EEENS1_30default_config_static_selectorELNS0_4arch9wavefront6targetE1EEEvSK_ ; -- Begin function _ZN7rocprim17ROCPRIM_400000_NS6detail17trampoline_kernelINS0_14default_configENS1_22reduce_config_selectorIjEEZNS1_11reduce_implILb1ES3_N6thrust23THRUST_200600_302600_NS6detail15normal_iteratorINS8_10device_ptrIjEEEEPjj11plus_mod_10IjEEE10hipError_tPvRmT1_T2_T3_mT4_P12ihipStream_tbEUlT_E1_NS1_11comp_targetILNS1_3genE10ELNS1_11target_archE1201ELNS1_3gpuE5ELNS1_3repE0EEENS1_30default_config_static_selectorELNS0_4arch9wavefront6targetE1EEEvSK_
	.globl	_ZN7rocprim17ROCPRIM_400000_NS6detail17trampoline_kernelINS0_14default_configENS1_22reduce_config_selectorIjEEZNS1_11reduce_implILb1ES3_N6thrust23THRUST_200600_302600_NS6detail15normal_iteratorINS8_10device_ptrIjEEEEPjj11plus_mod_10IjEEE10hipError_tPvRmT1_T2_T3_mT4_P12ihipStream_tbEUlT_E1_NS1_11comp_targetILNS1_3genE10ELNS1_11target_archE1201ELNS1_3gpuE5ELNS1_3repE0EEENS1_30default_config_static_selectorELNS0_4arch9wavefront6targetE1EEEvSK_
	.p2align	8
	.type	_ZN7rocprim17ROCPRIM_400000_NS6detail17trampoline_kernelINS0_14default_configENS1_22reduce_config_selectorIjEEZNS1_11reduce_implILb1ES3_N6thrust23THRUST_200600_302600_NS6detail15normal_iteratorINS8_10device_ptrIjEEEEPjj11plus_mod_10IjEEE10hipError_tPvRmT1_T2_T3_mT4_P12ihipStream_tbEUlT_E1_NS1_11comp_targetILNS1_3genE10ELNS1_11target_archE1201ELNS1_3gpuE5ELNS1_3repE0EEENS1_30default_config_static_selectorELNS0_4arch9wavefront6targetE1EEEvSK_,@function
_ZN7rocprim17ROCPRIM_400000_NS6detail17trampoline_kernelINS0_14default_configENS1_22reduce_config_selectorIjEEZNS1_11reduce_implILb1ES3_N6thrust23THRUST_200600_302600_NS6detail15normal_iteratorINS8_10device_ptrIjEEEEPjj11plus_mod_10IjEEE10hipError_tPvRmT1_T2_T3_mT4_P12ihipStream_tbEUlT_E1_NS1_11comp_targetILNS1_3genE10ELNS1_11target_archE1201ELNS1_3gpuE5ELNS1_3repE0EEENS1_30default_config_static_selectorELNS0_4arch9wavefront6targetE1EEEvSK_: ; @_ZN7rocprim17ROCPRIM_400000_NS6detail17trampoline_kernelINS0_14default_configENS1_22reduce_config_selectorIjEEZNS1_11reduce_implILb1ES3_N6thrust23THRUST_200600_302600_NS6detail15normal_iteratorINS8_10device_ptrIjEEEEPjj11plus_mod_10IjEEE10hipError_tPvRmT1_T2_T3_mT4_P12ihipStream_tbEUlT_E1_NS1_11comp_targetILNS1_3genE10ELNS1_11target_archE1201ELNS1_3gpuE5ELNS1_3repE0EEENS1_30default_config_static_selectorELNS0_4arch9wavefront6targetE1EEEvSK_
; %bb.0:
	.section	.rodata,"a",@progbits
	.p2align	6, 0x0
	.amdhsa_kernel _ZN7rocprim17ROCPRIM_400000_NS6detail17trampoline_kernelINS0_14default_configENS1_22reduce_config_selectorIjEEZNS1_11reduce_implILb1ES3_N6thrust23THRUST_200600_302600_NS6detail15normal_iteratorINS8_10device_ptrIjEEEEPjj11plus_mod_10IjEEE10hipError_tPvRmT1_T2_T3_mT4_P12ihipStream_tbEUlT_E1_NS1_11comp_targetILNS1_3genE10ELNS1_11target_archE1201ELNS1_3gpuE5ELNS1_3repE0EEENS1_30default_config_static_selectorELNS0_4arch9wavefront6targetE1EEEvSK_
		.amdhsa_group_segment_fixed_size 0
		.amdhsa_private_segment_fixed_size 0
		.amdhsa_kernarg_size 40
		.amdhsa_user_sgpr_count 2
		.amdhsa_user_sgpr_dispatch_ptr 0
		.amdhsa_user_sgpr_queue_ptr 0
		.amdhsa_user_sgpr_kernarg_segment_ptr 1
		.amdhsa_user_sgpr_dispatch_id 0
		.amdhsa_user_sgpr_kernarg_preload_length 0
		.amdhsa_user_sgpr_kernarg_preload_offset 0
		.amdhsa_user_sgpr_private_segment_size 0
		.amdhsa_uses_dynamic_stack 0
		.amdhsa_enable_private_segment 0
		.amdhsa_system_sgpr_workgroup_id_x 1
		.amdhsa_system_sgpr_workgroup_id_y 0
		.amdhsa_system_sgpr_workgroup_id_z 0
		.amdhsa_system_sgpr_workgroup_info 0
		.amdhsa_system_vgpr_workitem_id 0
		.amdhsa_next_free_vgpr 1
		.amdhsa_next_free_sgpr 0
		.amdhsa_accum_offset 4
		.amdhsa_reserve_vcc 0
		.amdhsa_float_round_mode_32 0
		.amdhsa_float_round_mode_16_64 0
		.amdhsa_float_denorm_mode_32 3
		.amdhsa_float_denorm_mode_16_64 3
		.amdhsa_dx10_clamp 1
		.amdhsa_ieee_mode 1
		.amdhsa_fp16_overflow 0
		.amdhsa_tg_split 0
		.amdhsa_exception_fp_ieee_invalid_op 0
		.amdhsa_exception_fp_denorm_src 0
		.amdhsa_exception_fp_ieee_div_zero 0
		.amdhsa_exception_fp_ieee_overflow 0
		.amdhsa_exception_fp_ieee_underflow 0
		.amdhsa_exception_fp_ieee_inexact 0
		.amdhsa_exception_int_div_zero 0
	.end_amdhsa_kernel
	.section	.text._ZN7rocprim17ROCPRIM_400000_NS6detail17trampoline_kernelINS0_14default_configENS1_22reduce_config_selectorIjEEZNS1_11reduce_implILb1ES3_N6thrust23THRUST_200600_302600_NS6detail15normal_iteratorINS8_10device_ptrIjEEEEPjj11plus_mod_10IjEEE10hipError_tPvRmT1_T2_T3_mT4_P12ihipStream_tbEUlT_E1_NS1_11comp_targetILNS1_3genE10ELNS1_11target_archE1201ELNS1_3gpuE5ELNS1_3repE0EEENS1_30default_config_static_selectorELNS0_4arch9wavefront6targetE1EEEvSK_,"axG",@progbits,_ZN7rocprim17ROCPRIM_400000_NS6detail17trampoline_kernelINS0_14default_configENS1_22reduce_config_selectorIjEEZNS1_11reduce_implILb1ES3_N6thrust23THRUST_200600_302600_NS6detail15normal_iteratorINS8_10device_ptrIjEEEEPjj11plus_mod_10IjEEE10hipError_tPvRmT1_T2_T3_mT4_P12ihipStream_tbEUlT_E1_NS1_11comp_targetILNS1_3genE10ELNS1_11target_archE1201ELNS1_3gpuE5ELNS1_3repE0EEENS1_30default_config_static_selectorELNS0_4arch9wavefront6targetE1EEEvSK_,comdat
.Lfunc_end617:
	.size	_ZN7rocprim17ROCPRIM_400000_NS6detail17trampoline_kernelINS0_14default_configENS1_22reduce_config_selectorIjEEZNS1_11reduce_implILb1ES3_N6thrust23THRUST_200600_302600_NS6detail15normal_iteratorINS8_10device_ptrIjEEEEPjj11plus_mod_10IjEEE10hipError_tPvRmT1_T2_T3_mT4_P12ihipStream_tbEUlT_E1_NS1_11comp_targetILNS1_3genE10ELNS1_11target_archE1201ELNS1_3gpuE5ELNS1_3repE0EEENS1_30default_config_static_selectorELNS0_4arch9wavefront6targetE1EEEvSK_, .Lfunc_end617-_ZN7rocprim17ROCPRIM_400000_NS6detail17trampoline_kernelINS0_14default_configENS1_22reduce_config_selectorIjEEZNS1_11reduce_implILb1ES3_N6thrust23THRUST_200600_302600_NS6detail15normal_iteratorINS8_10device_ptrIjEEEEPjj11plus_mod_10IjEEE10hipError_tPvRmT1_T2_T3_mT4_P12ihipStream_tbEUlT_E1_NS1_11comp_targetILNS1_3genE10ELNS1_11target_archE1201ELNS1_3gpuE5ELNS1_3repE0EEENS1_30default_config_static_selectorELNS0_4arch9wavefront6targetE1EEEvSK_
                                        ; -- End function
	.set _ZN7rocprim17ROCPRIM_400000_NS6detail17trampoline_kernelINS0_14default_configENS1_22reduce_config_selectorIjEEZNS1_11reduce_implILb1ES3_N6thrust23THRUST_200600_302600_NS6detail15normal_iteratorINS8_10device_ptrIjEEEEPjj11plus_mod_10IjEEE10hipError_tPvRmT1_T2_T3_mT4_P12ihipStream_tbEUlT_E1_NS1_11comp_targetILNS1_3genE10ELNS1_11target_archE1201ELNS1_3gpuE5ELNS1_3repE0EEENS1_30default_config_static_selectorELNS0_4arch9wavefront6targetE1EEEvSK_.num_vgpr, 0
	.set _ZN7rocprim17ROCPRIM_400000_NS6detail17trampoline_kernelINS0_14default_configENS1_22reduce_config_selectorIjEEZNS1_11reduce_implILb1ES3_N6thrust23THRUST_200600_302600_NS6detail15normal_iteratorINS8_10device_ptrIjEEEEPjj11plus_mod_10IjEEE10hipError_tPvRmT1_T2_T3_mT4_P12ihipStream_tbEUlT_E1_NS1_11comp_targetILNS1_3genE10ELNS1_11target_archE1201ELNS1_3gpuE5ELNS1_3repE0EEENS1_30default_config_static_selectorELNS0_4arch9wavefront6targetE1EEEvSK_.num_agpr, 0
	.set _ZN7rocprim17ROCPRIM_400000_NS6detail17trampoline_kernelINS0_14default_configENS1_22reduce_config_selectorIjEEZNS1_11reduce_implILb1ES3_N6thrust23THRUST_200600_302600_NS6detail15normal_iteratorINS8_10device_ptrIjEEEEPjj11plus_mod_10IjEEE10hipError_tPvRmT1_T2_T3_mT4_P12ihipStream_tbEUlT_E1_NS1_11comp_targetILNS1_3genE10ELNS1_11target_archE1201ELNS1_3gpuE5ELNS1_3repE0EEENS1_30default_config_static_selectorELNS0_4arch9wavefront6targetE1EEEvSK_.numbered_sgpr, 0
	.set _ZN7rocprim17ROCPRIM_400000_NS6detail17trampoline_kernelINS0_14default_configENS1_22reduce_config_selectorIjEEZNS1_11reduce_implILb1ES3_N6thrust23THRUST_200600_302600_NS6detail15normal_iteratorINS8_10device_ptrIjEEEEPjj11plus_mod_10IjEEE10hipError_tPvRmT1_T2_T3_mT4_P12ihipStream_tbEUlT_E1_NS1_11comp_targetILNS1_3genE10ELNS1_11target_archE1201ELNS1_3gpuE5ELNS1_3repE0EEENS1_30default_config_static_selectorELNS0_4arch9wavefront6targetE1EEEvSK_.num_named_barrier, 0
	.set _ZN7rocprim17ROCPRIM_400000_NS6detail17trampoline_kernelINS0_14default_configENS1_22reduce_config_selectorIjEEZNS1_11reduce_implILb1ES3_N6thrust23THRUST_200600_302600_NS6detail15normal_iteratorINS8_10device_ptrIjEEEEPjj11plus_mod_10IjEEE10hipError_tPvRmT1_T2_T3_mT4_P12ihipStream_tbEUlT_E1_NS1_11comp_targetILNS1_3genE10ELNS1_11target_archE1201ELNS1_3gpuE5ELNS1_3repE0EEENS1_30default_config_static_selectorELNS0_4arch9wavefront6targetE1EEEvSK_.private_seg_size, 0
	.set _ZN7rocprim17ROCPRIM_400000_NS6detail17trampoline_kernelINS0_14default_configENS1_22reduce_config_selectorIjEEZNS1_11reduce_implILb1ES3_N6thrust23THRUST_200600_302600_NS6detail15normal_iteratorINS8_10device_ptrIjEEEEPjj11plus_mod_10IjEEE10hipError_tPvRmT1_T2_T3_mT4_P12ihipStream_tbEUlT_E1_NS1_11comp_targetILNS1_3genE10ELNS1_11target_archE1201ELNS1_3gpuE5ELNS1_3repE0EEENS1_30default_config_static_selectorELNS0_4arch9wavefront6targetE1EEEvSK_.uses_vcc, 0
	.set _ZN7rocprim17ROCPRIM_400000_NS6detail17trampoline_kernelINS0_14default_configENS1_22reduce_config_selectorIjEEZNS1_11reduce_implILb1ES3_N6thrust23THRUST_200600_302600_NS6detail15normal_iteratorINS8_10device_ptrIjEEEEPjj11plus_mod_10IjEEE10hipError_tPvRmT1_T2_T3_mT4_P12ihipStream_tbEUlT_E1_NS1_11comp_targetILNS1_3genE10ELNS1_11target_archE1201ELNS1_3gpuE5ELNS1_3repE0EEENS1_30default_config_static_selectorELNS0_4arch9wavefront6targetE1EEEvSK_.uses_flat_scratch, 0
	.set _ZN7rocprim17ROCPRIM_400000_NS6detail17trampoline_kernelINS0_14default_configENS1_22reduce_config_selectorIjEEZNS1_11reduce_implILb1ES3_N6thrust23THRUST_200600_302600_NS6detail15normal_iteratorINS8_10device_ptrIjEEEEPjj11plus_mod_10IjEEE10hipError_tPvRmT1_T2_T3_mT4_P12ihipStream_tbEUlT_E1_NS1_11comp_targetILNS1_3genE10ELNS1_11target_archE1201ELNS1_3gpuE5ELNS1_3repE0EEENS1_30default_config_static_selectorELNS0_4arch9wavefront6targetE1EEEvSK_.has_dyn_sized_stack, 0
	.set _ZN7rocprim17ROCPRIM_400000_NS6detail17trampoline_kernelINS0_14default_configENS1_22reduce_config_selectorIjEEZNS1_11reduce_implILb1ES3_N6thrust23THRUST_200600_302600_NS6detail15normal_iteratorINS8_10device_ptrIjEEEEPjj11plus_mod_10IjEEE10hipError_tPvRmT1_T2_T3_mT4_P12ihipStream_tbEUlT_E1_NS1_11comp_targetILNS1_3genE10ELNS1_11target_archE1201ELNS1_3gpuE5ELNS1_3repE0EEENS1_30default_config_static_selectorELNS0_4arch9wavefront6targetE1EEEvSK_.has_recursion, 0
	.set _ZN7rocprim17ROCPRIM_400000_NS6detail17trampoline_kernelINS0_14default_configENS1_22reduce_config_selectorIjEEZNS1_11reduce_implILb1ES3_N6thrust23THRUST_200600_302600_NS6detail15normal_iteratorINS8_10device_ptrIjEEEEPjj11plus_mod_10IjEEE10hipError_tPvRmT1_T2_T3_mT4_P12ihipStream_tbEUlT_E1_NS1_11comp_targetILNS1_3genE10ELNS1_11target_archE1201ELNS1_3gpuE5ELNS1_3repE0EEENS1_30default_config_static_selectorELNS0_4arch9wavefront6targetE1EEEvSK_.has_indirect_call, 0
	.section	.AMDGPU.csdata,"",@progbits
; Kernel info:
; codeLenInByte = 0
; TotalNumSgprs: 6
; NumVgprs: 0
; NumAgprs: 0
; TotalNumVgprs: 0
; ScratchSize: 0
; MemoryBound: 0
; FloatMode: 240
; IeeeMode: 1
; LDSByteSize: 0 bytes/workgroup (compile time only)
; SGPRBlocks: 0
; VGPRBlocks: 0
; NumSGPRsForWavesPerEU: 6
; NumVGPRsForWavesPerEU: 1
; AccumOffset: 4
; Occupancy: 8
; WaveLimiterHint : 0
; COMPUTE_PGM_RSRC2:SCRATCH_EN: 0
; COMPUTE_PGM_RSRC2:USER_SGPR: 2
; COMPUTE_PGM_RSRC2:TRAP_HANDLER: 0
; COMPUTE_PGM_RSRC2:TGID_X_EN: 1
; COMPUTE_PGM_RSRC2:TGID_Y_EN: 0
; COMPUTE_PGM_RSRC2:TGID_Z_EN: 0
; COMPUTE_PGM_RSRC2:TIDIG_COMP_CNT: 0
; COMPUTE_PGM_RSRC3_GFX90A:ACCUM_OFFSET: 0
; COMPUTE_PGM_RSRC3_GFX90A:TG_SPLIT: 0
	.section	.text._ZN7rocprim17ROCPRIM_400000_NS6detail17trampoline_kernelINS0_14default_configENS1_22reduce_config_selectorIjEEZNS1_11reduce_implILb1ES3_N6thrust23THRUST_200600_302600_NS6detail15normal_iteratorINS8_10device_ptrIjEEEEPjj11plus_mod_10IjEEE10hipError_tPvRmT1_T2_T3_mT4_P12ihipStream_tbEUlT_E1_NS1_11comp_targetILNS1_3genE10ELNS1_11target_archE1200ELNS1_3gpuE4ELNS1_3repE0EEENS1_30default_config_static_selectorELNS0_4arch9wavefront6targetE1EEEvSK_,"axG",@progbits,_ZN7rocprim17ROCPRIM_400000_NS6detail17trampoline_kernelINS0_14default_configENS1_22reduce_config_selectorIjEEZNS1_11reduce_implILb1ES3_N6thrust23THRUST_200600_302600_NS6detail15normal_iteratorINS8_10device_ptrIjEEEEPjj11plus_mod_10IjEEE10hipError_tPvRmT1_T2_T3_mT4_P12ihipStream_tbEUlT_E1_NS1_11comp_targetILNS1_3genE10ELNS1_11target_archE1200ELNS1_3gpuE4ELNS1_3repE0EEENS1_30default_config_static_selectorELNS0_4arch9wavefront6targetE1EEEvSK_,comdat
	.protected	_ZN7rocprim17ROCPRIM_400000_NS6detail17trampoline_kernelINS0_14default_configENS1_22reduce_config_selectorIjEEZNS1_11reduce_implILb1ES3_N6thrust23THRUST_200600_302600_NS6detail15normal_iteratorINS8_10device_ptrIjEEEEPjj11plus_mod_10IjEEE10hipError_tPvRmT1_T2_T3_mT4_P12ihipStream_tbEUlT_E1_NS1_11comp_targetILNS1_3genE10ELNS1_11target_archE1200ELNS1_3gpuE4ELNS1_3repE0EEENS1_30default_config_static_selectorELNS0_4arch9wavefront6targetE1EEEvSK_ ; -- Begin function _ZN7rocprim17ROCPRIM_400000_NS6detail17trampoline_kernelINS0_14default_configENS1_22reduce_config_selectorIjEEZNS1_11reduce_implILb1ES3_N6thrust23THRUST_200600_302600_NS6detail15normal_iteratorINS8_10device_ptrIjEEEEPjj11plus_mod_10IjEEE10hipError_tPvRmT1_T2_T3_mT4_P12ihipStream_tbEUlT_E1_NS1_11comp_targetILNS1_3genE10ELNS1_11target_archE1200ELNS1_3gpuE4ELNS1_3repE0EEENS1_30default_config_static_selectorELNS0_4arch9wavefront6targetE1EEEvSK_
	.globl	_ZN7rocprim17ROCPRIM_400000_NS6detail17trampoline_kernelINS0_14default_configENS1_22reduce_config_selectorIjEEZNS1_11reduce_implILb1ES3_N6thrust23THRUST_200600_302600_NS6detail15normal_iteratorINS8_10device_ptrIjEEEEPjj11plus_mod_10IjEEE10hipError_tPvRmT1_T2_T3_mT4_P12ihipStream_tbEUlT_E1_NS1_11comp_targetILNS1_3genE10ELNS1_11target_archE1200ELNS1_3gpuE4ELNS1_3repE0EEENS1_30default_config_static_selectorELNS0_4arch9wavefront6targetE1EEEvSK_
	.p2align	8
	.type	_ZN7rocprim17ROCPRIM_400000_NS6detail17trampoline_kernelINS0_14default_configENS1_22reduce_config_selectorIjEEZNS1_11reduce_implILb1ES3_N6thrust23THRUST_200600_302600_NS6detail15normal_iteratorINS8_10device_ptrIjEEEEPjj11plus_mod_10IjEEE10hipError_tPvRmT1_T2_T3_mT4_P12ihipStream_tbEUlT_E1_NS1_11comp_targetILNS1_3genE10ELNS1_11target_archE1200ELNS1_3gpuE4ELNS1_3repE0EEENS1_30default_config_static_selectorELNS0_4arch9wavefront6targetE1EEEvSK_,@function
_ZN7rocprim17ROCPRIM_400000_NS6detail17trampoline_kernelINS0_14default_configENS1_22reduce_config_selectorIjEEZNS1_11reduce_implILb1ES3_N6thrust23THRUST_200600_302600_NS6detail15normal_iteratorINS8_10device_ptrIjEEEEPjj11plus_mod_10IjEEE10hipError_tPvRmT1_T2_T3_mT4_P12ihipStream_tbEUlT_E1_NS1_11comp_targetILNS1_3genE10ELNS1_11target_archE1200ELNS1_3gpuE4ELNS1_3repE0EEENS1_30default_config_static_selectorELNS0_4arch9wavefront6targetE1EEEvSK_: ; @_ZN7rocprim17ROCPRIM_400000_NS6detail17trampoline_kernelINS0_14default_configENS1_22reduce_config_selectorIjEEZNS1_11reduce_implILb1ES3_N6thrust23THRUST_200600_302600_NS6detail15normal_iteratorINS8_10device_ptrIjEEEEPjj11plus_mod_10IjEEE10hipError_tPvRmT1_T2_T3_mT4_P12ihipStream_tbEUlT_E1_NS1_11comp_targetILNS1_3genE10ELNS1_11target_archE1200ELNS1_3gpuE4ELNS1_3repE0EEENS1_30default_config_static_selectorELNS0_4arch9wavefront6targetE1EEEvSK_
; %bb.0:
	.section	.rodata,"a",@progbits
	.p2align	6, 0x0
	.amdhsa_kernel _ZN7rocprim17ROCPRIM_400000_NS6detail17trampoline_kernelINS0_14default_configENS1_22reduce_config_selectorIjEEZNS1_11reduce_implILb1ES3_N6thrust23THRUST_200600_302600_NS6detail15normal_iteratorINS8_10device_ptrIjEEEEPjj11plus_mod_10IjEEE10hipError_tPvRmT1_T2_T3_mT4_P12ihipStream_tbEUlT_E1_NS1_11comp_targetILNS1_3genE10ELNS1_11target_archE1200ELNS1_3gpuE4ELNS1_3repE0EEENS1_30default_config_static_selectorELNS0_4arch9wavefront6targetE1EEEvSK_
		.amdhsa_group_segment_fixed_size 0
		.amdhsa_private_segment_fixed_size 0
		.amdhsa_kernarg_size 40
		.amdhsa_user_sgpr_count 2
		.amdhsa_user_sgpr_dispatch_ptr 0
		.amdhsa_user_sgpr_queue_ptr 0
		.amdhsa_user_sgpr_kernarg_segment_ptr 1
		.amdhsa_user_sgpr_dispatch_id 0
		.amdhsa_user_sgpr_kernarg_preload_length 0
		.amdhsa_user_sgpr_kernarg_preload_offset 0
		.amdhsa_user_sgpr_private_segment_size 0
		.amdhsa_uses_dynamic_stack 0
		.amdhsa_enable_private_segment 0
		.amdhsa_system_sgpr_workgroup_id_x 1
		.amdhsa_system_sgpr_workgroup_id_y 0
		.amdhsa_system_sgpr_workgroup_id_z 0
		.amdhsa_system_sgpr_workgroup_info 0
		.amdhsa_system_vgpr_workitem_id 0
		.amdhsa_next_free_vgpr 1
		.amdhsa_next_free_sgpr 0
		.amdhsa_accum_offset 4
		.amdhsa_reserve_vcc 0
		.amdhsa_float_round_mode_32 0
		.amdhsa_float_round_mode_16_64 0
		.amdhsa_float_denorm_mode_32 3
		.amdhsa_float_denorm_mode_16_64 3
		.amdhsa_dx10_clamp 1
		.amdhsa_ieee_mode 1
		.amdhsa_fp16_overflow 0
		.amdhsa_tg_split 0
		.amdhsa_exception_fp_ieee_invalid_op 0
		.amdhsa_exception_fp_denorm_src 0
		.amdhsa_exception_fp_ieee_div_zero 0
		.amdhsa_exception_fp_ieee_overflow 0
		.amdhsa_exception_fp_ieee_underflow 0
		.amdhsa_exception_fp_ieee_inexact 0
		.amdhsa_exception_int_div_zero 0
	.end_amdhsa_kernel
	.section	.text._ZN7rocprim17ROCPRIM_400000_NS6detail17trampoline_kernelINS0_14default_configENS1_22reduce_config_selectorIjEEZNS1_11reduce_implILb1ES3_N6thrust23THRUST_200600_302600_NS6detail15normal_iteratorINS8_10device_ptrIjEEEEPjj11plus_mod_10IjEEE10hipError_tPvRmT1_T2_T3_mT4_P12ihipStream_tbEUlT_E1_NS1_11comp_targetILNS1_3genE10ELNS1_11target_archE1200ELNS1_3gpuE4ELNS1_3repE0EEENS1_30default_config_static_selectorELNS0_4arch9wavefront6targetE1EEEvSK_,"axG",@progbits,_ZN7rocprim17ROCPRIM_400000_NS6detail17trampoline_kernelINS0_14default_configENS1_22reduce_config_selectorIjEEZNS1_11reduce_implILb1ES3_N6thrust23THRUST_200600_302600_NS6detail15normal_iteratorINS8_10device_ptrIjEEEEPjj11plus_mod_10IjEEE10hipError_tPvRmT1_T2_T3_mT4_P12ihipStream_tbEUlT_E1_NS1_11comp_targetILNS1_3genE10ELNS1_11target_archE1200ELNS1_3gpuE4ELNS1_3repE0EEENS1_30default_config_static_selectorELNS0_4arch9wavefront6targetE1EEEvSK_,comdat
.Lfunc_end618:
	.size	_ZN7rocprim17ROCPRIM_400000_NS6detail17trampoline_kernelINS0_14default_configENS1_22reduce_config_selectorIjEEZNS1_11reduce_implILb1ES3_N6thrust23THRUST_200600_302600_NS6detail15normal_iteratorINS8_10device_ptrIjEEEEPjj11plus_mod_10IjEEE10hipError_tPvRmT1_T2_T3_mT4_P12ihipStream_tbEUlT_E1_NS1_11comp_targetILNS1_3genE10ELNS1_11target_archE1200ELNS1_3gpuE4ELNS1_3repE0EEENS1_30default_config_static_selectorELNS0_4arch9wavefront6targetE1EEEvSK_, .Lfunc_end618-_ZN7rocprim17ROCPRIM_400000_NS6detail17trampoline_kernelINS0_14default_configENS1_22reduce_config_selectorIjEEZNS1_11reduce_implILb1ES3_N6thrust23THRUST_200600_302600_NS6detail15normal_iteratorINS8_10device_ptrIjEEEEPjj11plus_mod_10IjEEE10hipError_tPvRmT1_T2_T3_mT4_P12ihipStream_tbEUlT_E1_NS1_11comp_targetILNS1_3genE10ELNS1_11target_archE1200ELNS1_3gpuE4ELNS1_3repE0EEENS1_30default_config_static_selectorELNS0_4arch9wavefront6targetE1EEEvSK_
                                        ; -- End function
	.set _ZN7rocprim17ROCPRIM_400000_NS6detail17trampoline_kernelINS0_14default_configENS1_22reduce_config_selectorIjEEZNS1_11reduce_implILb1ES3_N6thrust23THRUST_200600_302600_NS6detail15normal_iteratorINS8_10device_ptrIjEEEEPjj11plus_mod_10IjEEE10hipError_tPvRmT1_T2_T3_mT4_P12ihipStream_tbEUlT_E1_NS1_11comp_targetILNS1_3genE10ELNS1_11target_archE1200ELNS1_3gpuE4ELNS1_3repE0EEENS1_30default_config_static_selectorELNS0_4arch9wavefront6targetE1EEEvSK_.num_vgpr, 0
	.set _ZN7rocprim17ROCPRIM_400000_NS6detail17trampoline_kernelINS0_14default_configENS1_22reduce_config_selectorIjEEZNS1_11reduce_implILb1ES3_N6thrust23THRUST_200600_302600_NS6detail15normal_iteratorINS8_10device_ptrIjEEEEPjj11plus_mod_10IjEEE10hipError_tPvRmT1_T2_T3_mT4_P12ihipStream_tbEUlT_E1_NS1_11comp_targetILNS1_3genE10ELNS1_11target_archE1200ELNS1_3gpuE4ELNS1_3repE0EEENS1_30default_config_static_selectorELNS0_4arch9wavefront6targetE1EEEvSK_.num_agpr, 0
	.set _ZN7rocprim17ROCPRIM_400000_NS6detail17trampoline_kernelINS0_14default_configENS1_22reduce_config_selectorIjEEZNS1_11reduce_implILb1ES3_N6thrust23THRUST_200600_302600_NS6detail15normal_iteratorINS8_10device_ptrIjEEEEPjj11plus_mod_10IjEEE10hipError_tPvRmT1_T2_T3_mT4_P12ihipStream_tbEUlT_E1_NS1_11comp_targetILNS1_3genE10ELNS1_11target_archE1200ELNS1_3gpuE4ELNS1_3repE0EEENS1_30default_config_static_selectorELNS0_4arch9wavefront6targetE1EEEvSK_.numbered_sgpr, 0
	.set _ZN7rocprim17ROCPRIM_400000_NS6detail17trampoline_kernelINS0_14default_configENS1_22reduce_config_selectorIjEEZNS1_11reduce_implILb1ES3_N6thrust23THRUST_200600_302600_NS6detail15normal_iteratorINS8_10device_ptrIjEEEEPjj11plus_mod_10IjEEE10hipError_tPvRmT1_T2_T3_mT4_P12ihipStream_tbEUlT_E1_NS1_11comp_targetILNS1_3genE10ELNS1_11target_archE1200ELNS1_3gpuE4ELNS1_3repE0EEENS1_30default_config_static_selectorELNS0_4arch9wavefront6targetE1EEEvSK_.num_named_barrier, 0
	.set _ZN7rocprim17ROCPRIM_400000_NS6detail17trampoline_kernelINS0_14default_configENS1_22reduce_config_selectorIjEEZNS1_11reduce_implILb1ES3_N6thrust23THRUST_200600_302600_NS6detail15normal_iteratorINS8_10device_ptrIjEEEEPjj11plus_mod_10IjEEE10hipError_tPvRmT1_T2_T3_mT4_P12ihipStream_tbEUlT_E1_NS1_11comp_targetILNS1_3genE10ELNS1_11target_archE1200ELNS1_3gpuE4ELNS1_3repE0EEENS1_30default_config_static_selectorELNS0_4arch9wavefront6targetE1EEEvSK_.private_seg_size, 0
	.set _ZN7rocprim17ROCPRIM_400000_NS6detail17trampoline_kernelINS0_14default_configENS1_22reduce_config_selectorIjEEZNS1_11reduce_implILb1ES3_N6thrust23THRUST_200600_302600_NS6detail15normal_iteratorINS8_10device_ptrIjEEEEPjj11plus_mod_10IjEEE10hipError_tPvRmT1_T2_T3_mT4_P12ihipStream_tbEUlT_E1_NS1_11comp_targetILNS1_3genE10ELNS1_11target_archE1200ELNS1_3gpuE4ELNS1_3repE0EEENS1_30default_config_static_selectorELNS0_4arch9wavefront6targetE1EEEvSK_.uses_vcc, 0
	.set _ZN7rocprim17ROCPRIM_400000_NS6detail17trampoline_kernelINS0_14default_configENS1_22reduce_config_selectorIjEEZNS1_11reduce_implILb1ES3_N6thrust23THRUST_200600_302600_NS6detail15normal_iteratorINS8_10device_ptrIjEEEEPjj11plus_mod_10IjEEE10hipError_tPvRmT1_T2_T3_mT4_P12ihipStream_tbEUlT_E1_NS1_11comp_targetILNS1_3genE10ELNS1_11target_archE1200ELNS1_3gpuE4ELNS1_3repE0EEENS1_30default_config_static_selectorELNS0_4arch9wavefront6targetE1EEEvSK_.uses_flat_scratch, 0
	.set _ZN7rocprim17ROCPRIM_400000_NS6detail17trampoline_kernelINS0_14default_configENS1_22reduce_config_selectorIjEEZNS1_11reduce_implILb1ES3_N6thrust23THRUST_200600_302600_NS6detail15normal_iteratorINS8_10device_ptrIjEEEEPjj11plus_mod_10IjEEE10hipError_tPvRmT1_T2_T3_mT4_P12ihipStream_tbEUlT_E1_NS1_11comp_targetILNS1_3genE10ELNS1_11target_archE1200ELNS1_3gpuE4ELNS1_3repE0EEENS1_30default_config_static_selectorELNS0_4arch9wavefront6targetE1EEEvSK_.has_dyn_sized_stack, 0
	.set _ZN7rocprim17ROCPRIM_400000_NS6detail17trampoline_kernelINS0_14default_configENS1_22reduce_config_selectorIjEEZNS1_11reduce_implILb1ES3_N6thrust23THRUST_200600_302600_NS6detail15normal_iteratorINS8_10device_ptrIjEEEEPjj11plus_mod_10IjEEE10hipError_tPvRmT1_T2_T3_mT4_P12ihipStream_tbEUlT_E1_NS1_11comp_targetILNS1_3genE10ELNS1_11target_archE1200ELNS1_3gpuE4ELNS1_3repE0EEENS1_30default_config_static_selectorELNS0_4arch9wavefront6targetE1EEEvSK_.has_recursion, 0
	.set _ZN7rocprim17ROCPRIM_400000_NS6detail17trampoline_kernelINS0_14default_configENS1_22reduce_config_selectorIjEEZNS1_11reduce_implILb1ES3_N6thrust23THRUST_200600_302600_NS6detail15normal_iteratorINS8_10device_ptrIjEEEEPjj11plus_mod_10IjEEE10hipError_tPvRmT1_T2_T3_mT4_P12ihipStream_tbEUlT_E1_NS1_11comp_targetILNS1_3genE10ELNS1_11target_archE1200ELNS1_3gpuE4ELNS1_3repE0EEENS1_30default_config_static_selectorELNS0_4arch9wavefront6targetE1EEEvSK_.has_indirect_call, 0
	.section	.AMDGPU.csdata,"",@progbits
; Kernel info:
; codeLenInByte = 0
; TotalNumSgprs: 6
; NumVgprs: 0
; NumAgprs: 0
; TotalNumVgprs: 0
; ScratchSize: 0
; MemoryBound: 0
; FloatMode: 240
; IeeeMode: 1
; LDSByteSize: 0 bytes/workgroup (compile time only)
; SGPRBlocks: 0
; VGPRBlocks: 0
; NumSGPRsForWavesPerEU: 6
; NumVGPRsForWavesPerEU: 1
; AccumOffset: 4
; Occupancy: 8
; WaveLimiterHint : 0
; COMPUTE_PGM_RSRC2:SCRATCH_EN: 0
; COMPUTE_PGM_RSRC2:USER_SGPR: 2
; COMPUTE_PGM_RSRC2:TRAP_HANDLER: 0
; COMPUTE_PGM_RSRC2:TGID_X_EN: 1
; COMPUTE_PGM_RSRC2:TGID_Y_EN: 0
; COMPUTE_PGM_RSRC2:TGID_Z_EN: 0
; COMPUTE_PGM_RSRC2:TIDIG_COMP_CNT: 0
; COMPUTE_PGM_RSRC3_GFX90A:ACCUM_OFFSET: 0
; COMPUTE_PGM_RSRC3_GFX90A:TG_SPLIT: 0
	.section	.text._ZN7rocprim17ROCPRIM_400000_NS6detail17trampoline_kernelINS0_14default_configENS1_22reduce_config_selectorIjEEZNS1_11reduce_implILb1ES3_N6thrust23THRUST_200600_302600_NS6detail15normal_iteratorINS8_10device_ptrIjEEEEPjj11plus_mod_10IjEEE10hipError_tPvRmT1_T2_T3_mT4_P12ihipStream_tbEUlT_E1_NS1_11comp_targetILNS1_3genE9ELNS1_11target_archE1100ELNS1_3gpuE3ELNS1_3repE0EEENS1_30default_config_static_selectorELNS0_4arch9wavefront6targetE1EEEvSK_,"axG",@progbits,_ZN7rocprim17ROCPRIM_400000_NS6detail17trampoline_kernelINS0_14default_configENS1_22reduce_config_selectorIjEEZNS1_11reduce_implILb1ES3_N6thrust23THRUST_200600_302600_NS6detail15normal_iteratorINS8_10device_ptrIjEEEEPjj11plus_mod_10IjEEE10hipError_tPvRmT1_T2_T3_mT4_P12ihipStream_tbEUlT_E1_NS1_11comp_targetILNS1_3genE9ELNS1_11target_archE1100ELNS1_3gpuE3ELNS1_3repE0EEENS1_30default_config_static_selectorELNS0_4arch9wavefront6targetE1EEEvSK_,comdat
	.protected	_ZN7rocprim17ROCPRIM_400000_NS6detail17trampoline_kernelINS0_14default_configENS1_22reduce_config_selectorIjEEZNS1_11reduce_implILb1ES3_N6thrust23THRUST_200600_302600_NS6detail15normal_iteratorINS8_10device_ptrIjEEEEPjj11plus_mod_10IjEEE10hipError_tPvRmT1_T2_T3_mT4_P12ihipStream_tbEUlT_E1_NS1_11comp_targetILNS1_3genE9ELNS1_11target_archE1100ELNS1_3gpuE3ELNS1_3repE0EEENS1_30default_config_static_selectorELNS0_4arch9wavefront6targetE1EEEvSK_ ; -- Begin function _ZN7rocprim17ROCPRIM_400000_NS6detail17trampoline_kernelINS0_14default_configENS1_22reduce_config_selectorIjEEZNS1_11reduce_implILb1ES3_N6thrust23THRUST_200600_302600_NS6detail15normal_iteratorINS8_10device_ptrIjEEEEPjj11plus_mod_10IjEEE10hipError_tPvRmT1_T2_T3_mT4_P12ihipStream_tbEUlT_E1_NS1_11comp_targetILNS1_3genE9ELNS1_11target_archE1100ELNS1_3gpuE3ELNS1_3repE0EEENS1_30default_config_static_selectorELNS0_4arch9wavefront6targetE1EEEvSK_
	.globl	_ZN7rocprim17ROCPRIM_400000_NS6detail17trampoline_kernelINS0_14default_configENS1_22reduce_config_selectorIjEEZNS1_11reduce_implILb1ES3_N6thrust23THRUST_200600_302600_NS6detail15normal_iteratorINS8_10device_ptrIjEEEEPjj11plus_mod_10IjEEE10hipError_tPvRmT1_T2_T3_mT4_P12ihipStream_tbEUlT_E1_NS1_11comp_targetILNS1_3genE9ELNS1_11target_archE1100ELNS1_3gpuE3ELNS1_3repE0EEENS1_30default_config_static_selectorELNS0_4arch9wavefront6targetE1EEEvSK_
	.p2align	8
	.type	_ZN7rocprim17ROCPRIM_400000_NS6detail17trampoline_kernelINS0_14default_configENS1_22reduce_config_selectorIjEEZNS1_11reduce_implILb1ES3_N6thrust23THRUST_200600_302600_NS6detail15normal_iteratorINS8_10device_ptrIjEEEEPjj11plus_mod_10IjEEE10hipError_tPvRmT1_T2_T3_mT4_P12ihipStream_tbEUlT_E1_NS1_11comp_targetILNS1_3genE9ELNS1_11target_archE1100ELNS1_3gpuE3ELNS1_3repE0EEENS1_30default_config_static_selectorELNS0_4arch9wavefront6targetE1EEEvSK_,@function
_ZN7rocprim17ROCPRIM_400000_NS6detail17trampoline_kernelINS0_14default_configENS1_22reduce_config_selectorIjEEZNS1_11reduce_implILb1ES3_N6thrust23THRUST_200600_302600_NS6detail15normal_iteratorINS8_10device_ptrIjEEEEPjj11plus_mod_10IjEEE10hipError_tPvRmT1_T2_T3_mT4_P12ihipStream_tbEUlT_E1_NS1_11comp_targetILNS1_3genE9ELNS1_11target_archE1100ELNS1_3gpuE3ELNS1_3repE0EEENS1_30default_config_static_selectorELNS0_4arch9wavefront6targetE1EEEvSK_: ; @_ZN7rocprim17ROCPRIM_400000_NS6detail17trampoline_kernelINS0_14default_configENS1_22reduce_config_selectorIjEEZNS1_11reduce_implILb1ES3_N6thrust23THRUST_200600_302600_NS6detail15normal_iteratorINS8_10device_ptrIjEEEEPjj11plus_mod_10IjEEE10hipError_tPvRmT1_T2_T3_mT4_P12ihipStream_tbEUlT_E1_NS1_11comp_targetILNS1_3genE9ELNS1_11target_archE1100ELNS1_3gpuE3ELNS1_3repE0EEENS1_30default_config_static_selectorELNS0_4arch9wavefront6targetE1EEEvSK_
; %bb.0:
	.section	.rodata,"a",@progbits
	.p2align	6, 0x0
	.amdhsa_kernel _ZN7rocprim17ROCPRIM_400000_NS6detail17trampoline_kernelINS0_14default_configENS1_22reduce_config_selectorIjEEZNS1_11reduce_implILb1ES3_N6thrust23THRUST_200600_302600_NS6detail15normal_iteratorINS8_10device_ptrIjEEEEPjj11plus_mod_10IjEEE10hipError_tPvRmT1_T2_T3_mT4_P12ihipStream_tbEUlT_E1_NS1_11comp_targetILNS1_3genE9ELNS1_11target_archE1100ELNS1_3gpuE3ELNS1_3repE0EEENS1_30default_config_static_selectorELNS0_4arch9wavefront6targetE1EEEvSK_
		.amdhsa_group_segment_fixed_size 0
		.amdhsa_private_segment_fixed_size 0
		.amdhsa_kernarg_size 40
		.amdhsa_user_sgpr_count 2
		.amdhsa_user_sgpr_dispatch_ptr 0
		.amdhsa_user_sgpr_queue_ptr 0
		.amdhsa_user_sgpr_kernarg_segment_ptr 1
		.amdhsa_user_sgpr_dispatch_id 0
		.amdhsa_user_sgpr_kernarg_preload_length 0
		.amdhsa_user_sgpr_kernarg_preload_offset 0
		.amdhsa_user_sgpr_private_segment_size 0
		.amdhsa_uses_dynamic_stack 0
		.amdhsa_enable_private_segment 0
		.amdhsa_system_sgpr_workgroup_id_x 1
		.amdhsa_system_sgpr_workgroup_id_y 0
		.amdhsa_system_sgpr_workgroup_id_z 0
		.amdhsa_system_sgpr_workgroup_info 0
		.amdhsa_system_vgpr_workitem_id 0
		.amdhsa_next_free_vgpr 1
		.amdhsa_next_free_sgpr 0
		.amdhsa_accum_offset 4
		.amdhsa_reserve_vcc 0
		.amdhsa_float_round_mode_32 0
		.amdhsa_float_round_mode_16_64 0
		.amdhsa_float_denorm_mode_32 3
		.amdhsa_float_denorm_mode_16_64 3
		.amdhsa_dx10_clamp 1
		.amdhsa_ieee_mode 1
		.amdhsa_fp16_overflow 0
		.amdhsa_tg_split 0
		.amdhsa_exception_fp_ieee_invalid_op 0
		.amdhsa_exception_fp_denorm_src 0
		.amdhsa_exception_fp_ieee_div_zero 0
		.amdhsa_exception_fp_ieee_overflow 0
		.amdhsa_exception_fp_ieee_underflow 0
		.amdhsa_exception_fp_ieee_inexact 0
		.amdhsa_exception_int_div_zero 0
	.end_amdhsa_kernel
	.section	.text._ZN7rocprim17ROCPRIM_400000_NS6detail17trampoline_kernelINS0_14default_configENS1_22reduce_config_selectorIjEEZNS1_11reduce_implILb1ES3_N6thrust23THRUST_200600_302600_NS6detail15normal_iteratorINS8_10device_ptrIjEEEEPjj11plus_mod_10IjEEE10hipError_tPvRmT1_T2_T3_mT4_P12ihipStream_tbEUlT_E1_NS1_11comp_targetILNS1_3genE9ELNS1_11target_archE1100ELNS1_3gpuE3ELNS1_3repE0EEENS1_30default_config_static_selectorELNS0_4arch9wavefront6targetE1EEEvSK_,"axG",@progbits,_ZN7rocprim17ROCPRIM_400000_NS6detail17trampoline_kernelINS0_14default_configENS1_22reduce_config_selectorIjEEZNS1_11reduce_implILb1ES3_N6thrust23THRUST_200600_302600_NS6detail15normal_iteratorINS8_10device_ptrIjEEEEPjj11plus_mod_10IjEEE10hipError_tPvRmT1_T2_T3_mT4_P12ihipStream_tbEUlT_E1_NS1_11comp_targetILNS1_3genE9ELNS1_11target_archE1100ELNS1_3gpuE3ELNS1_3repE0EEENS1_30default_config_static_selectorELNS0_4arch9wavefront6targetE1EEEvSK_,comdat
.Lfunc_end619:
	.size	_ZN7rocprim17ROCPRIM_400000_NS6detail17trampoline_kernelINS0_14default_configENS1_22reduce_config_selectorIjEEZNS1_11reduce_implILb1ES3_N6thrust23THRUST_200600_302600_NS6detail15normal_iteratorINS8_10device_ptrIjEEEEPjj11plus_mod_10IjEEE10hipError_tPvRmT1_T2_T3_mT4_P12ihipStream_tbEUlT_E1_NS1_11comp_targetILNS1_3genE9ELNS1_11target_archE1100ELNS1_3gpuE3ELNS1_3repE0EEENS1_30default_config_static_selectorELNS0_4arch9wavefront6targetE1EEEvSK_, .Lfunc_end619-_ZN7rocprim17ROCPRIM_400000_NS6detail17trampoline_kernelINS0_14default_configENS1_22reduce_config_selectorIjEEZNS1_11reduce_implILb1ES3_N6thrust23THRUST_200600_302600_NS6detail15normal_iteratorINS8_10device_ptrIjEEEEPjj11plus_mod_10IjEEE10hipError_tPvRmT1_T2_T3_mT4_P12ihipStream_tbEUlT_E1_NS1_11comp_targetILNS1_3genE9ELNS1_11target_archE1100ELNS1_3gpuE3ELNS1_3repE0EEENS1_30default_config_static_selectorELNS0_4arch9wavefront6targetE1EEEvSK_
                                        ; -- End function
	.set _ZN7rocprim17ROCPRIM_400000_NS6detail17trampoline_kernelINS0_14default_configENS1_22reduce_config_selectorIjEEZNS1_11reduce_implILb1ES3_N6thrust23THRUST_200600_302600_NS6detail15normal_iteratorINS8_10device_ptrIjEEEEPjj11plus_mod_10IjEEE10hipError_tPvRmT1_T2_T3_mT4_P12ihipStream_tbEUlT_E1_NS1_11comp_targetILNS1_3genE9ELNS1_11target_archE1100ELNS1_3gpuE3ELNS1_3repE0EEENS1_30default_config_static_selectorELNS0_4arch9wavefront6targetE1EEEvSK_.num_vgpr, 0
	.set _ZN7rocprim17ROCPRIM_400000_NS6detail17trampoline_kernelINS0_14default_configENS1_22reduce_config_selectorIjEEZNS1_11reduce_implILb1ES3_N6thrust23THRUST_200600_302600_NS6detail15normal_iteratorINS8_10device_ptrIjEEEEPjj11plus_mod_10IjEEE10hipError_tPvRmT1_T2_T3_mT4_P12ihipStream_tbEUlT_E1_NS1_11comp_targetILNS1_3genE9ELNS1_11target_archE1100ELNS1_3gpuE3ELNS1_3repE0EEENS1_30default_config_static_selectorELNS0_4arch9wavefront6targetE1EEEvSK_.num_agpr, 0
	.set _ZN7rocprim17ROCPRIM_400000_NS6detail17trampoline_kernelINS0_14default_configENS1_22reduce_config_selectorIjEEZNS1_11reduce_implILb1ES3_N6thrust23THRUST_200600_302600_NS6detail15normal_iteratorINS8_10device_ptrIjEEEEPjj11plus_mod_10IjEEE10hipError_tPvRmT1_T2_T3_mT4_P12ihipStream_tbEUlT_E1_NS1_11comp_targetILNS1_3genE9ELNS1_11target_archE1100ELNS1_3gpuE3ELNS1_3repE0EEENS1_30default_config_static_selectorELNS0_4arch9wavefront6targetE1EEEvSK_.numbered_sgpr, 0
	.set _ZN7rocprim17ROCPRIM_400000_NS6detail17trampoline_kernelINS0_14default_configENS1_22reduce_config_selectorIjEEZNS1_11reduce_implILb1ES3_N6thrust23THRUST_200600_302600_NS6detail15normal_iteratorINS8_10device_ptrIjEEEEPjj11plus_mod_10IjEEE10hipError_tPvRmT1_T2_T3_mT4_P12ihipStream_tbEUlT_E1_NS1_11comp_targetILNS1_3genE9ELNS1_11target_archE1100ELNS1_3gpuE3ELNS1_3repE0EEENS1_30default_config_static_selectorELNS0_4arch9wavefront6targetE1EEEvSK_.num_named_barrier, 0
	.set _ZN7rocprim17ROCPRIM_400000_NS6detail17trampoline_kernelINS0_14default_configENS1_22reduce_config_selectorIjEEZNS1_11reduce_implILb1ES3_N6thrust23THRUST_200600_302600_NS6detail15normal_iteratorINS8_10device_ptrIjEEEEPjj11plus_mod_10IjEEE10hipError_tPvRmT1_T2_T3_mT4_P12ihipStream_tbEUlT_E1_NS1_11comp_targetILNS1_3genE9ELNS1_11target_archE1100ELNS1_3gpuE3ELNS1_3repE0EEENS1_30default_config_static_selectorELNS0_4arch9wavefront6targetE1EEEvSK_.private_seg_size, 0
	.set _ZN7rocprim17ROCPRIM_400000_NS6detail17trampoline_kernelINS0_14default_configENS1_22reduce_config_selectorIjEEZNS1_11reduce_implILb1ES3_N6thrust23THRUST_200600_302600_NS6detail15normal_iteratorINS8_10device_ptrIjEEEEPjj11plus_mod_10IjEEE10hipError_tPvRmT1_T2_T3_mT4_P12ihipStream_tbEUlT_E1_NS1_11comp_targetILNS1_3genE9ELNS1_11target_archE1100ELNS1_3gpuE3ELNS1_3repE0EEENS1_30default_config_static_selectorELNS0_4arch9wavefront6targetE1EEEvSK_.uses_vcc, 0
	.set _ZN7rocprim17ROCPRIM_400000_NS6detail17trampoline_kernelINS0_14default_configENS1_22reduce_config_selectorIjEEZNS1_11reduce_implILb1ES3_N6thrust23THRUST_200600_302600_NS6detail15normal_iteratorINS8_10device_ptrIjEEEEPjj11plus_mod_10IjEEE10hipError_tPvRmT1_T2_T3_mT4_P12ihipStream_tbEUlT_E1_NS1_11comp_targetILNS1_3genE9ELNS1_11target_archE1100ELNS1_3gpuE3ELNS1_3repE0EEENS1_30default_config_static_selectorELNS0_4arch9wavefront6targetE1EEEvSK_.uses_flat_scratch, 0
	.set _ZN7rocprim17ROCPRIM_400000_NS6detail17trampoline_kernelINS0_14default_configENS1_22reduce_config_selectorIjEEZNS1_11reduce_implILb1ES3_N6thrust23THRUST_200600_302600_NS6detail15normal_iteratorINS8_10device_ptrIjEEEEPjj11plus_mod_10IjEEE10hipError_tPvRmT1_T2_T3_mT4_P12ihipStream_tbEUlT_E1_NS1_11comp_targetILNS1_3genE9ELNS1_11target_archE1100ELNS1_3gpuE3ELNS1_3repE0EEENS1_30default_config_static_selectorELNS0_4arch9wavefront6targetE1EEEvSK_.has_dyn_sized_stack, 0
	.set _ZN7rocprim17ROCPRIM_400000_NS6detail17trampoline_kernelINS0_14default_configENS1_22reduce_config_selectorIjEEZNS1_11reduce_implILb1ES3_N6thrust23THRUST_200600_302600_NS6detail15normal_iteratorINS8_10device_ptrIjEEEEPjj11plus_mod_10IjEEE10hipError_tPvRmT1_T2_T3_mT4_P12ihipStream_tbEUlT_E1_NS1_11comp_targetILNS1_3genE9ELNS1_11target_archE1100ELNS1_3gpuE3ELNS1_3repE0EEENS1_30default_config_static_selectorELNS0_4arch9wavefront6targetE1EEEvSK_.has_recursion, 0
	.set _ZN7rocprim17ROCPRIM_400000_NS6detail17trampoline_kernelINS0_14default_configENS1_22reduce_config_selectorIjEEZNS1_11reduce_implILb1ES3_N6thrust23THRUST_200600_302600_NS6detail15normal_iteratorINS8_10device_ptrIjEEEEPjj11plus_mod_10IjEEE10hipError_tPvRmT1_T2_T3_mT4_P12ihipStream_tbEUlT_E1_NS1_11comp_targetILNS1_3genE9ELNS1_11target_archE1100ELNS1_3gpuE3ELNS1_3repE0EEENS1_30default_config_static_selectorELNS0_4arch9wavefront6targetE1EEEvSK_.has_indirect_call, 0
	.section	.AMDGPU.csdata,"",@progbits
; Kernel info:
; codeLenInByte = 0
; TotalNumSgprs: 6
; NumVgprs: 0
; NumAgprs: 0
; TotalNumVgprs: 0
; ScratchSize: 0
; MemoryBound: 0
; FloatMode: 240
; IeeeMode: 1
; LDSByteSize: 0 bytes/workgroup (compile time only)
; SGPRBlocks: 0
; VGPRBlocks: 0
; NumSGPRsForWavesPerEU: 6
; NumVGPRsForWavesPerEU: 1
; AccumOffset: 4
; Occupancy: 8
; WaveLimiterHint : 0
; COMPUTE_PGM_RSRC2:SCRATCH_EN: 0
; COMPUTE_PGM_RSRC2:USER_SGPR: 2
; COMPUTE_PGM_RSRC2:TRAP_HANDLER: 0
; COMPUTE_PGM_RSRC2:TGID_X_EN: 1
; COMPUTE_PGM_RSRC2:TGID_Y_EN: 0
; COMPUTE_PGM_RSRC2:TGID_Z_EN: 0
; COMPUTE_PGM_RSRC2:TIDIG_COMP_CNT: 0
; COMPUTE_PGM_RSRC3_GFX90A:ACCUM_OFFSET: 0
; COMPUTE_PGM_RSRC3_GFX90A:TG_SPLIT: 0
	.section	.text._ZN7rocprim17ROCPRIM_400000_NS6detail17trampoline_kernelINS0_14default_configENS1_22reduce_config_selectorIjEEZNS1_11reduce_implILb1ES3_N6thrust23THRUST_200600_302600_NS6detail15normal_iteratorINS8_10device_ptrIjEEEEPjj11plus_mod_10IjEEE10hipError_tPvRmT1_T2_T3_mT4_P12ihipStream_tbEUlT_E1_NS1_11comp_targetILNS1_3genE8ELNS1_11target_archE1030ELNS1_3gpuE2ELNS1_3repE0EEENS1_30default_config_static_selectorELNS0_4arch9wavefront6targetE1EEEvSK_,"axG",@progbits,_ZN7rocprim17ROCPRIM_400000_NS6detail17trampoline_kernelINS0_14default_configENS1_22reduce_config_selectorIjEEZNS1_11reduce_implILb1ES3_N6thrust23THRUST_200600_302600_NS6detail15normal_iteratorINS8_10device_ptrIjEEEEPjj11plus_mod_10IjEEE10hipError_tPvRmT1_T2_T3_mT4_P12ihipStream_tbEUlT_E1_NS1_11comp_targetILNS1_3genE8ELNS1_11target_archE1030ELNS1_3gpuE2ELNS1_3repE0EEENS1_30default_config_static_selectorELNS0_4arch9wavefront6targetE1EEEvSK_,comdat
	.protected	_ZN7rocprim17ROCPRIM_400000_NS6detail17trampoline_kernelINS0_14default_configENS1_22reduce_config_selectorIjEEZNS1_11reduce_implILb1ES3_N6thrust23THRUST_200600_302600_NS6detail15normal_iteratorINS8_10device_ptrIjEEEEPjj11plus_mod_10IjEEE10hipError_tPvRmT1_T2_T3_mT4_P12ihipStream_tbEUlT_E1_NS1_11comp_targetILNS1_3genE8ELNS1_11target_archE1030ELNS1_3gpuE2ELNS1_3repE0EEENS1_30default_config_static_selectorELNS0_4arch9wavefront6targetE1EEEvSK_ ; -- Begin function _ZN7rocprim17ROCPRIM_400000_NS6detail17trampoline_kernelINS0_14default_configENS1_22reduce_config_selectorIjEEZNS1_11reduce_implILb1ES3_N6thrust23THRUST_200600_302600_NS6detail15normal_iteratorINS8_10device_ptrIjEEEEPjj11plus_mod_10IjEEE10hipError_tPvRmT1_T2_T3_mT4_P12ihipStream_tbEUlT_E1_NS1_11comp_targetILNS1_3genE8ELNS1_11target_archE1030ELNS1_3gpuE2ELNS1_3repE0EEENS1_30default_config_static_selectorELNS0_4arch9wavefront6targetE1EEEvSK_
	.globl	_ZN7rocprim17ROCPRIM_400000_NS6detail17trampoline_kernelINS0_14default_configENS1_22reduce_config_selectorIjEEZNS1_11reduce_implILb1ES3_N6thrust23THRUST_200600_302600_NS6detail15normal_iteratorINS8_10device_ptrIjEEEEPjj11plus_mod_10IjEEE10hipError_tPvRmT1_T2_T3_mT4_P12ihipStream_tbEUlT_E1_NS1_11comp_targetILNS1_3genE8ELNS1_11target_archE1030ELNS1_3gpuE2ELNS1_3repE0EEENS1_30default_config_static_selectorELNS0_4arch9wavefront6targetE1EEEvSK_
	.p2align	8
	.type	_ZN7rocprim17ROCPRIM_400000_NS6detail17trampoline_kernelINS0_14default_configENS1_22reduce_config_selectorIjEEZNS1_11reduce_implILb1ES3_N6thrust23THRUST_200600_302600_NS6detail15normal_iteratorINS8_10device_ptrIjEEEEPjj11plus_mod_10IjEEE10hipError_tPvRmT1_T2_T3_mT4_P12ihipStream_tbEUlT_E1_NS1_11comp_targetILNS1_3genE8ELNS1_11target_archE1030ELNS1_3gpuE2ELNS1_3repE0EEENS1_30default_config_static_selectorELNS0_4arch9wavefront6targetE1EEEvSK_,@function
_ZN7rocprim17ROCPRIM_400000_NS6detail17trampoline_kernelINS0_14default_configENS1_22reduce_config_selectorIjEEZNS1_11reduce_implILb1ES3_N6thrust23THRUST_200600_302600_NS6detail15normal_iteratorINS8_10device_ptrIjEEEEPjj11plus_mod_10IjEEE10hipError_tPvRmT1_T2_T3_mT4_P12ihipStream_tbEUlT_E1_NS1_11comp_targetILNS1_3genE8ELNS1_11target_archE1030ELNS1_3gpuE2ELNS1_3repE0EEENS1_30default_config_static_selectorELNS0_4arch9wavefront6targetE1EEEvSK_: ; @_ZN7rocprim17ROCPRIM_400000_NS6detail17trampoline_kernelINS0_14default_configENS1_22reduce_config_selectorIjEEZNS1_11reduce_implILb1ES3_N6thrust23THRUST_200600_302600_NS6detail15normal_iteratorINS8_10device_ptrIjEEEEPjj11plus_mod_10IjEEE10hipError_tPvRmT1_T2_T3_mT4_P12ihipStream_tbEUlT_E1_NS1_11comp_targetILNS1_3genE8ELNS1_11target_archE1030ELNS1_3gpuE2ELNS1_3repE0EEENS1_30default_config_static_selectorELNS0_4arch9wavefront6targetE1EEEvSK_
; %bb.0:
	.section	.rodata,"a",@progbits
	.p2align	6, 0x0
	.amdhsa_kernel _ZN7rocprim17ROCPRIM_400000_NS6detail17trampoline_kernelINS0_14default_configENS1_22reduce_config_selectorIjEEZNS1_11reduce_implILb1ES3_N6thrust23THRUST_200600_302600_NS6detail15normal_iteratorINS8_10device_ptrIjEEEEPjj11plus_mod_10IjEEE10hipError_tPvRmT1_T2_T3_mT4_P12ihipStream_tbEUlT_E1_NS1_11comp_targetILNS1_3genE8ELNS1_11target_archE1030ELNS1_3gpuE2ELNS1_3repE0EEENS1_30default_config_static_selectorELNS0_4arch9wavefront6targetE1EEEvSK_
		.amdhsa_group_segment_fixed_size 0
		.amdhsa_private_segment_fixed_size 0
		.amdhsa_kernarg_size 40
		.amdhsa_user_sgpr_count 2
		.amdhsa_user_sgpr_dispatch_ptr 0
		.amdhsa_user_sgpr_queue_ptr 0
		.amdhsa_user_sgpr_kernarg_segment_ptr 1
		.amdhsa_user_sgpr_dispatch_id 0
		.amdhsa_user_sgpr_kernarg_preload_length 0
		.amdhsa_user_sgpr_kernarg_preload_offset 0
		.amdhsa_user_sgpr_private_segment_size 0
		.amdhsa_uses_dynamic_stack 0
		.amdhsa_enable_private_segment 0
		.amdhsa_system_sgpr_workgroup_id_x 1
		.amdhsa_system_sgpr_workgroup_id_y 0
		.amdhsa_system_sgpr_workgroup_id_z 0
		.amdhsa_system_sgpr_workgroup_info 0
		.amdhsa_system_vgpr_workitem_id 0
		.amdhsa_next_free_vgpr 1
		.amdhsa_next_free_sgpr 0
		.amdhsa_accum_offset 4
		.amdhsa_reserve_vcc 0
		.amdhsa_float_round_mode_32 0
		.amdhsa_float_round_mode_16_64 0
		.amdhsa_float_denorm_mode_32 3
		.amdhsa_float_denorm_mode_16_64 3
		.amdhsa_dx10_clamp 1
		.amdhsa_ieee_mode 1
		.amdhsa_fp16_overflow 0
		.amdhsa_tg_split 0
		.amdhsa_exception_fp_ieee_invalid_op 0
		.amdhsa_exception_fp_denorm_src 0
		.amdhsa_exception_fp_ieee_div_zero 0
		.amdhsa_exception_fp_ieee_overflow 0
		.amdhsa_exception_fp_ieee_underflow 0
		.amdhsa_exception_fp_ieee_inexact 0
		.amdhsa_exception_int_div_zero 0
	.end_amdhsa_kernel
	.section	.text._ZN7rocprim17ROCPRIM_400000_NS6detail17trampoline_kernelINS0_14default_configENS1_22reduce_config_selectorIjEEZNS1_11reduce_implILb1ES3_N6thrust23THRUST_200600_302600_NS6detail15normal_iteratorINS8_10device_ptrIjEEEEPjj11plus_mod_10IjEEE10hipError_tPvRmT1_T2_T3_mT4_P12ihipStream_tbEUlT_E1_NS1_11comp_targetILNS1_3genE8ELNS1_11target_archE1030ELNS1_3gpuE2ELNS1_3repE0EEENS1_30default_config_static_selectorELNS0_4arch9wavefront6targetE1EEEvSK_,"axG",@progbits,_ZN7rocprim17ROCPRIM_400000_NS6detail17trampoline_kernelINS0_14default_configENS1_22reduce_config_selectorIjEEZNS1_11reduce_implILb1ES3_N6thrust23THRUST_200600_302600_NS6detail15normal_iteratorINS8_10device_ptrIjEEEEPjj11plus_mod_10IjEEE10hipError_tPvRmT1_T2_T3_mT4_P12ihipStream_tbEUlT_E1_NS1_11comp_targetILNS1_3genE8ELNS1_11target_archE1030ELNS1_3gpuE2ELNS1_3repE0EEENS1_30default_config_static_selectorELNS0_4arch9wavefront6targetE1EEEvSK_,comdat
.Lfunc_end620:
	.size	_ZN7rocprim17ROCPRIM_400000_NS6detail17trampoline_kernelINS0_14default_configENS1_22reduce_config_selectorIjEEZNS1_11reduce_implILb1ES3_N6thrust23THRUST_200600_302600_NS6detail15normal_iteratorINS8_10device_ptrIjEEEEPjj11plus_mod_10IjEEE10hipError_tPvRmT1_T2_T3_mT4_P12ihipStream_tbEUlT_E1_NS1_11comp_targetILNS1_3genE8ELNS1_11target_archE1030ELNS1_3gpuE2ELNS1_3repE0EEENS1_30default_config_static_selectorELNS0_4arch9wavefront6targetE1EEEvSK_, .Lfunc_end620-_ZN7rocprim17ROCPRIM_400000_NS6detail17trampoline_kernelINS0_14default_configENS1_22reduce_config_selectorIjEEZNS1_11reduce_implILb1ES3_N6thrust23THRUST_200600_302600_NS6detail15normal_iteratorINS8_10device_ptrIjEEEEPjj11plus_mod_10IjEEE10hipError_tPvRmT1_T2_T3_mT4_P12ihipStream_tbEUlT_E1_NS1_11comp_targetILNS1_3genE8ELNS1_11target_archE1030ELNS1_3gpuE2ELNS1_3repE0EEENS1_30default_config_static_selectorELNS0_4arch9wavefront6targetE1EEEvSK_
                                        ; -- End function
	.set _ZN7rocprim17ROCPRIM_400000_NS6detail17trampoline_kernelINS0_14default_configENS1_22reduce_config_selectorIjEEZNS1_11reduce_implILb1ES3_N6thrust23THRUST_200600_302600_NS6detail15normal_iteratorINS8_10device_ptrIjEEEEPjj11plus_mod_10IjEEE10hipError_tPvRmT1_T2_T3_mT4_P12ihipStream_tbEUlT_E1_NS1_11comp_targetILNS1_3genE8ELNS1_11target_archE1030ELNS1_3gpuE2ELNS1_3repE0EEENS1_30default_config_static_selectorELNS0_4arch9wavefront6targetE1EEEvSK_.num_vgpr, 0
	.set _ZN7rocprim17ROCPRIM_400000_NS6detail17trampoline_kernelINS0_14default_configENS1_22reduce_config_selectorIjEEZNS1_11reduce_implILb1ES3_N6thrust23THRUST_200600_302600_NS6detail15normal_iteratorINS8_10device_ptrIjEEEEPjj11plus_mod_10IjEEE10hipError_tPvRmT1_T2_T3_mT4_P12ihipStream_tbEUlT_E1_NS1_11comp_targetILNS1_3genE8ELNS1_11target_archE1030ELNS1_3gpuE2ELNS1_3repE0EEENS1_30default_config_static_selectorELNS0_4arch9wavefront6targetE1EEEvSK_.num_agpr, 0
	.set _ZN7rocprim17ROCPRIM_400000_NS6detail17trampoline_kernelINS0_14default_configENS1_22reduce_config_selectorIjEEZNS1_11reduce_implILb1ES3_N6thrust23THRUST_200600_302600_NS6detail15normal_iteratorINS8_10device_ptrIjEEEEPjj11plus_mod_10IjEEE10hipError_tPvRmT1_T2_T3_mT4_P12ihipStream_tbEUlT_E1_NS1_11comp_targetILNS1_3genE8ELNS1_11target_archE1030ELNS1_3gpuE2ELNS1_3repE0EEENS1_30default_config_static_selectorELNS0_4arch9wavefront6targetE1EEEvSK_.numbered_sgpr, 0
	.set _ZN7rocprim17ROCPRIM_400000_NS6detail17trampoline_kernelINS0_14default_configENS1_22reduce_config_selectorIjEEZNS1_11reduce_implILb1ES3_N6thrust23THRUST_200600_302600_NS6detail15normal_iteratorINS8_10device_ptrIjEEEEPjj11plus_mod_10IjEEE10hipError_tPvRmT1_T2_T3_mT4_P12ihipStream_tbEUlT_E1_NS1_11comp_targetILNS1_3genE8ELNS1_11target_archE1030ELNS1_3gpuE2ELNS1_3repE0EEENS1_30default_config_static_selectorELNS0_4arch9wavefront6targetE1EEEvSK_.num_named_barrier, 0
	.set _ZN7rocprim17ROCPRIM_400000_NS6detail17trampoline_kernelINS0_14default_configENS1_22reduce_config_selectorIjEEZNS1_11reduce_implILb1ES3_N6thrust23THRUST_200600_302600_NS6detail15normal_iteratorINS8_10device_ptrIjEEEEPjj11plus_mod_10IjEEE10hipError_tPvRmT1_T2_T3_mT4_P12ihipStream_tbEUlT_E1_NS1_11comp_targetILNS1_3genE8ELNS1_11target_archE1030ELNS1_3gpuE2ELNS1_3repE0EEENS1_30default_config_static_selectorELNS0_4arch9wavefront6targetE1EEEvSK_.private_seg_size, 0
	.set _ZN7rocprim17ROCPRIM_400000_NS6detail17trampoline_kernelINS0_14default_configENS1_22reduce_config_selectorIjEEZNS1_11reduce_implILb1ES3_N6thrust23THRUST_200600_302600_NS6detail15normal_iteratorINS8_10device_ptrIjEEEEPjj11plus_mod_10IjEEE10hipError_tPvRmT1_T2_T3_mT4_P12ihipStream_tbEUlT_E1_NS1_11comp_targetILNS1_3genE8ELNS1_11target_archE1030ELNS1_3gpuE2ELNS1_3repE0EEENS1_30default_config_static_selectorELNS0_4arch9wavefront6targetE1EEEvSK_.uses_vcc, 0
	.set _ZN7rocprim17ROCPRIM_400000_NS6detail17trampoline_kernelINS0_14default_configENS1_22reduce_config_selectorIjEEZNS1_11reduce_implILb1ES3_N6thrust23THRUST_200600_302600_NS6detail15normal_iteratorINS8_10device_ptrIjEEEEPjj11plus_mod_10IjEEE10hipError_tPvRmT1_T2_T3_mT4_P12ihipStream_tbEUlT_E1_NS1_11comp_targetILNS1_3genE8ELNS1_11target_archE1030ELNS1_3gpuE2ELNS1_3repE0EEENS1_30default_config_static_selectorELNS0_4arch9wavefront6targetE1EEEvSK_.uses_flat_scratch, 0
	.set _ZN7rocprim17ROCPRIM_400000_NS6detail17trampoline_kernelINS0_14default_configENS1_22reduce_config_selectorIjEEZNS1_11reduce_implILb1ES3_N6thrust23THRUST_200600_302600_NS6detail15normal_iteratorINS8_10device_ptrIjEEEEPjj11plus_mod_10IjEEE10hipError_tPvRmT1_T2_T3_mT4_P12ihipStream_tbEUlT_E1_NS1_11comp_targetILNS1_3genE8ELNS1_11target_archE1030ELNS1_3gpuE2ELNS1_3repE0EEENS1_30default_config_static_selectorELNS0_4arch9wavefront6targetE1EEEvSK_.has_dyn_sized_stack, 0
	.set _ZN7rocprim17ROCPRIM_400000_NS6detail17trampoline_kernelINS0_14default_configENS1_22reduce_config_selectorIjEEZNS1_11reduce_implILb1ES3_N6thrust23THRUST_200600_302600_NS6detail15normal_iteratorINS8_10device_ptrIjEEEEPjj11plus_mod_10IjEEE10hipError_tPvRmT1_T2_T3_mT4_P12ihipStream_tbEUlT_E1_NS1_11comp_targetILNS1_3genE8ELNS1_11target_archE1030ELNS1_3gpuE2ELNS1_3repE0EEENS1_30default_config_static_selectorELNS0_4arch9wavefront6targetE1EEEvSK_.has_recursion, 0
	.set _ZN7rocprim17ROCPRIM_400000_NS6detail17trampoline_kernelINS0_14default_configENS1_22reduce_config_selectorIjEEZNS1_11reduce_implILb1ES3_N6thrust23THRUST_200600_302600_NS6detail15normal_iteratorINS8_10device_ptrIjEEEEPjj11plus_mod_10IjEEE10hipError_tPvRmT1_T2_T3_mT4_P12ihipStream_tbEUlT_E1_NS1_11comp_targetILNS1_3genE8ELNS1_11target_archE1030ELNS1_3gpuE2ELNS1_3repE0EEENS1_30default_config_static_selectorELNS0_4arch9wavefront6targetE1EEEvSK_.has_indirect_call, 0
	.section	.AMDGPU.csdata,"",@progbits
; Kernel info:
; codeLenInByte = 0
; TotalNumSgprs: 6
; NumVgprs: 0
; NumAgprs: 0
; TotalNumVgprs: 0
; ScratchSize: 0
; MemoryBound: 0
; FloatMode: 240
; IeeeMode: 1
; LDSByteSize: 0 bytes/workgroup (compile time only)
; SGPRBlocks: 0
; VGPRBlocks: 0
; NumSGPRsForWavesPerEU: 6
; NumVGPRsForWavesPerEU: 1
; AccumOffset: 4
; Occupancy: 8
; WaveLimiterHint : 0
; COMPUTE_PGM_RSRC2:SCRATCH_EN: 0
; COMPUTE_PGM_RSRC2:USER_SGPR: 2
; COMPUTE_PGM_RSRC2:TRAP_HANDLER: 0
; COMPUTE_PGM_RSRC2:TGID_X_EN: 1
; COMPUTE_PGM_RSRC2:TGID_Y_EN: 0
; COMPUTE_PGM_RSRC2:TGID_Z_EN: 0
; COMPUTE_PGM_RSRC2:TIDIG_COMP_CNT: 0
; COMPUTE_PGM_RSRC3_GFX90A:ACCUM_OFFSET: 0
; COMPUTE_PGM_RSRC3_GFX90A:TG_SPLIT: 0
	.section	.text._ZN7rocprim17ROCPRIM_400000_NS6detail17trampoline_kernelINS0_14default_configENS1_22reduce_config_selectorItEEZNS1_11reduce_implILb1ES3_PtS7_t11plus_mod_10ItEEE10hipError_tPvRmT1_T2_T3_mT4_P12ihipStream_tbEUlT_E0_NS1_11comp_targetILNS1_3genE0ELNS1_11target_archE4294967295ELNS1_3gpuE0ELNS1_3repE0EEENS1_30default_config_static_selectorELNS0_4arch9wavefront6targetE1EEEvSD_,"axG",@progbits,_ZN7rocprim17ROCPRIM_400000_NS6detail17trampoline_kernelINS0_14default_configENS1_22reduce_config_selectorItEEZNS1_11reduce_implILb1ES3_PtS7_t11plus_mod_10ItEEE10hipError_tPvRmT1_T2_T3_mT4_P12ihipStream_tbEUlT_E0_NS1_11comp_targetILNS1_3genE0ELNS1_11target_archE4294967295ELNS1_3gpuE0ELNS1_3repE0EEENS1_30default_config_static_selectorELNS0_4arch9wavefront6targetE1EEEvSD_,comdat
	.protected	_ZN7rocprim17ROCPRIM_400000_NS6detail17trampoline_kernelINS0_14default_configENS1_22reduce_config_selectorItEEZNS1_11reduce_implILb1ES3_PtS7_t11plus_mod_10ItEEE10hipError_tPvRmT1_T2_T3_mT4_P12ihipStream_tbEUlT_E0_NS1_11comp_targetILNS1_3genE0ELNS1_11target_archE4294967295ELNS1_3gpuE0ELNS1_3repE0EEENS1_30default_config_static_selectorELNS0_4arch9wavefront6targetE1EEEvSD_ ; -- Begin function _ZN7rocprim17ROCPRIM_400000_NS6detail17trampoline_kernelINS0_14default_configENS1_22reduce_config_selectorItEEZNS1_11reduce_implILb1ES3_PtS7_t11plus_mod_10ItEEE10hipError_tPvRmT1_T2_T3_mT4_P12ihipStream_tbEUlT_E0_NS1_11comp_targetILNS1_3genE0ELNS1_11target_archE4294967295ELNS1_3gpuE0ELNS1_3repE0EEENS1_30default_config_static_selectorELNS0_4arch9wavefront6targetE1EEEvSD_
	.globl	_ZN7rocprim17ROCPRIM_400000_NS6detail17trampoline_kernelINS0_14default_configENS1_22reduce_config_selectorItEEZNS1_11reduce_implILb1ES3_PtS7_t11plus_mod_10ItEEE10hipError_tPvRmT1_T2_T3_mT4_P12ihipStream_tbEUlT_E0_NS1_11comp_targetILNS1_3genE0ELNS1_11target_archE4294967295ELNS1_3gpuE0ELNS1_3repE0EEENS1_30default_config_static_selectorELNS0_4arch9wavefront6targetE1EEEvSD_
	.p2align	8
	.type	_ZN7rocprim17ROCPRIM_400000_NS6detail17trampoline_kernelINS0_14default_configENS1_22reduce_config_selectorItEEZNS1_11reduce_implILb1ES3_PtS7_t11plus_mod_10ItEEE10hipError_tPvRmT1_T2_T3_mT4_P12ihipStream_tbEUlT_E0_NS1_11comp_targetILNS1_3genE0ELNS1_11target_archE4294967295ELNS1_3gpuE0ELNS1_3repE0EEENS1_30default_config_static_selectorELNS0_4arch9wavefront6targetE1EEEvSD_,@function
_ZN7rocprim17ROCPRIM_400000_NS6detail17trampoline_kernelINS0_14default_configENS1_22reduce_config_selectorItEEZNS1_11reduce_implILb1ES3_PtS7_t11plus_mod_10ItEEE10hipError_tPvRmT1_T2_T3_mT4_P12ihipStream_tbEUlT_E0_NS1_11comp_targetILNS1_3genE0ELNS1_11target_archE4294967295ELNS1_3gpuE0ELNS1_3repE0EEENS1_30default_config_static_selectorELNS0_4arch9wavefront6targetE1EEEvSD_: ; @_ZN7rocprim17ROCPRIM_400000_NS6detail17trampoline_kernelINS0_14default_configENS1_22reduce_config_selectorItEEZNS1_11reduce_implILb1ES3_PtS7_t11plus_mod_10ItEEE10hipError_tPvRmT1_T2_T3_mT4_P12ihipStream_tbEUlT_E0_NS1_11comp_targetILNS1_3genE0ELNS1_11target_archE4294967295ELNS1_3gpuE0ELNS1_3repE0EEENS1_30default_config_static_selectorELNS0_4arch9wavefront6targetE1EEEvSD_
; %bb.0:
	s_load_dwordx8 s[12:19], s[0:1], 0x0
	s_load_dwordx4 s[20:23], s[0:1], 0x20
	v_lshlrev_b32_e32 v6, 1, v0
	v_mbcnt_lo_u32_b32 v1, -1, 0
	s_waitcnt lgkmcnt(0)
	s_lshl_b64 s[4:5], s[14:15], 1
	s_add_u32 s10, s12, s4
	s_addc_u32 s11, s13, s5
	s_lshl_b32 s4, s2, 10
	s_mov_b32 s5, 0
	s_lshr_b64 s[6:7], s[16:17], 10
	s_lshl_b64 s[8:9], s[4:5], 1
	s_add_u32 s14, s10, s8
	s_mov_b32 s3, s5
	s_addc_u32 s15, s11, s9
	s_cmp_lg_u64 s[6:7], s[2:3]
	s_cbranch_scc0 .LBB621_6
; %bb.1:
	global_load_ushort v2, v6, s[14:15] offset:256
	global_load_ushort v5, v6, s[14:15]
	global_load_ushort v7, v6, s[14:15] offset:512
	global_load_ushort v8, v6, s[14:15] offset:768
	;; [unrolled: 1-line block ×6, first 2 shown]
	s_mov_b32 s5, 0xcccd
	v_mbcnt_hi_u32_b32 v3, -1, v1
	v_lshlrev_b32_e32 v4, 2, v3
	v_cmp_eq_u32_e32 vcc, 0, v3
	s_waitcnt vmcnt(7)
	v_mul_u32_u24_sdwa v13, v2, s5 dst_sel:DWORD dst_unused:UNUSED_PAD src0_sel:WORD_0 src1_sel:DWORD
	s_waitcnt vmcnt(6)
	v_mul_u32_u24_sdwa v14, v5, s5 dst_sel:DWORD dst_unused:UNUSED_PAD src0_sel:WORD_0 src1_sel:DWORD
	v_lshrrev_b32_e32 v13, 19, v13
	v_lshrrev_b32_e32 v14, 19, v14
	v_mul_lo_u16_e32 v13, 10, v13
	v_mul_lo_u16_e32 v14, 10, v14
	v_sub_u16_e32 v2, v2, v13
	v_sub_u16_e32 v5, v5, v14
	v_add_u16_e32 v2, v2, v5
	v_add_u16_e32 v5, -10, v2
	v_min_u16_e32 v2, v2, v5
	s_waitcnt vmcnt(5)
	v_mul_u32_u24_sdwa v15, v7, s5 dst_sel:DWORD dst_unused:UNUSED_PAD src0_sel:WORD_0 src1_sel:DWORD
	v_mul_u32_u24_e32 v5, 0xcccd, v2
	v_lshrrev_b32_e32 v15, 19, v15
	v_lshrrev_b32_e32 v5, 19, v5
	v_mul_lo_u16_e32 v15, 10, v15
	v_mul_lo_u16_e32 v5, 10, v5
	v_sub_u16_e32 v7, v7, v15
	v_sub_u16_e32 v2, v2, v5
	v_add_u16_e32 v2, v2, v7
	v_add_u16_e32 v5, -10, v2
	v_min_u16_e32 v2, v2, v5
	s_waitcnt vmcnt(4)
	v_mul_u32_u24_sdwa v16, v8, s5 dst_sel:DWORD dst_unused:UNUSED_PAD src0_sel:WORD_0 src1_sel:DWORD
	v_mul_u32_u24_e32 v5, 0xcccd, v2
	;; [unrolled: 12-line block ×6, first 2 shown]
	v_lshrrev_b32_e32 v20, 19, v20
	v_lshrrev_b32_e32 v5, 19, v5
	v_mul_lo_u16_e32 v20, 10, v20
	v_mul_lo_u16_e32 v5, 10, v5
	v_sub_u16_e32 v12, v12, v20
	v_sub_u16_e32 v2, v2, v5
	v_add_u16_e32 v2, v2, v12
	v_add_u16_e32 v5, -10, v2
	v_min_u16_e32 v2, v2, v5
	v_mul_u32_u24_e32 v7, 0xcccd, v2
	v_lshrrev_b32_e32 v7, 19, v7
	v_mov_b32_dpp v5, v2 quad_perm:[1,0,3,2] row_mask:0xf bank_mask:0xf bound_ctrl:1
	v_mul_u32_u24_sdwa v8, v5, s5 dst_sel:DWORD dst_unused:UNUSED_PAD src0_sel:WORD_0 src1_sel:DWORD
	v_mul_lo_u16_e32 v7, 10, v7
	v_lshrrev_b32_e32 v8, 19, v8
	v_sub_u16_e32 v2, v2, v7
	v_mul_lo_u16_e32 v7, 10, v8
	v_sub_u16_e32 v5, v5, v7
	v_add_u16_e32 v2, v2, v5
	v_add_u16_e32 v5, -10, v2
	v_min_u16_e32 v2, v2, v5
	s_nop 1
	v_mov_b32_dpp v5, v2 quad_perm:[2,3,0,1] row_mask:0xf bank_mask:0xf bound_ctrl:1
	v_mul_u32_u24_sdwa v7, v5, s5 dst_sel:DWORD dst_unused:UNUSED_PAD src0_sel:WORD_0 src1_sel:DWORD
	v_lshrrev_b32_e32 v7, 19, v7
	v_mul_lo_u16_e32 v7, 10, v7
	v_sub_u16_e32 v5, v5, v7
	v_add_u16_e32 v2, v2, v5
	v_add_u16_e32 v5, -10, v2
	v_min_u16_e32 v2, v2, v5
	v_mul_u32_u24_e32 v7, 0xcccd, v2
	v_lshrrev_b32_e32 v7, 19, v7
	v_mov_b32_dpp v5, v2 row_ror:4 row_mask:0xf bank_mask:0xf bound_ctrl:1
	v_mul_u32_u24_sdwa v8, v5, s5 dst_sel:DWORD dst_unused:UNUSED_PAD src0_sel:WORD_0 src1_sel:DWORD
	v_mul_lo_u16_e32 v7, 10, v7
	v_lshrrev_b32_e32 v8, 19, v8
	v_sub_u16_e32 v2, v2, v7
	v_mul_lo_u16_e32 v7, 10, v8
	v_sub_u16_e32 v5, v5, v7
	v_add_u16_e32 v2, v2, v5
	v_add_u16_e32 v5, -10, v2
	v_min_u16_e32 v2, v2, v5
	v_mul_u32_u24_e32 v7, 0xcccd, v2
	v_lshrrev_b32_e32 v7, 19, v7
	v_mov_b32_dpp v5, v2 row_ror:8 row_mask:0xf bank_mask:0xf bound_ctrl:1
	v_mul_u32_u24_sdwa v8, v5, s5 dst_sel:DWORD dst_unused:UNUSED_PAD src0_sel:WORD_0 src1_sel:DWORD
	v_mul_lo_u16_e32 v7, 10, v7
	v_lshrrev_b32_e32 v8, 19, v8
	v_sub_u16_e32 v2, v2, v7
	v_mul_lo_u16_e32 v7, 10, v8
	v_sub_u16_e32 v5, v5, v7
	v_add_u16_e32 v2, v2, v5
	v_add_u16_e32 v5, -10, v2
	v_min_u16_e32 v2, v2, v5
	v_mul_u32_u24_e32 v7, 0xcccd, v2
	v_lshrrev_b32_e32 v7, 19, v7
	v_mov_b32_dpp v5, v2 row_bcast:15 row_mask:0xf bank_mask:0xf bound_ctrl:1
	v_mul_u32_u24_sdwa v8, v5, s5 dst_sel:DWORD dst_unused:UNUSED_PAD src0_sel:WORD_0 src1_sel:DWORD
	v_mul_lo_u16_e32 v7, 10, v7
	v_lshrrev_b32_e32 v8, 19, v8
	v_sub_u16_e32 v2, v2, v7
	v_mul_lo_u16_e32 v7, 10, v8
	v_sub_u16_e32 v5, v5, v7
	v_add_u16_e32 v2, v2, v5
	v_add_u16_e32 v5, -10, v2
	v_min_u16_e32 v2, v2, v5
	v_mul_u32_u24_e32 v7, 0xcccd, v2
	v_lshrrev_b32_e32 v7, 19, v7
	v_mov_b32_dpp v5, v2 row_bcast:31 row_mask:0xf bank_mask:0xf bound_ctrl:1
	v_mul_u32_u24_sdwa v8, v5, s5 dst_sel:DWORD dst_unused:UNUSED_PAD src0_sel:WORD_0 src1_sel:DWORD
	v_mul_lo_u16_e32 v7, 10, v7
	v_lshrrev_b32_e32 v8, 19, v8
	v_sub_u16_e32 v2, v2, v7
	v_mul_lo_u16_e32 v7, 10, v8
	v_sub_u16_e32 v5, v5, v7
	v_add_u16_e32 v2, v2, v5
	v_add_u16_e32 v5, -10, v2
	v_or_b32_e32 v7, 0xfc, v4
	v_min_u16_e32 v2, v2, v5
	ds_bpermute_b32 v2, v7, v2
	s_and_saveexec_b64 s[6:7], vcc
	s_cbranch_execz .LBB621_3
; %bb.2:
	v_lshrrev_b32_e32 v5, 5, v0
	v_and_b32_e32 v5, 2, v5
	s_waitcnt lgkmcnt(0)
	ds_write_b16 v5, v2 offset:4
.LBB621_3:
	s_or_b64 exec, exec, s[6:7]
	v_cmp_gt_u32_e32 vcc, 64, v0
	s_waitcnt lgkmcnt(0)
	s_barrier
	s_and_saveexec_b64 s[6:7], vcc
	s_cbranch_execz .LBB621_5
; %bb.4:
	v_and_b32_e32 v2, 1, v3
	v_lshlrev_b32_e32 v2, 1, v2
	ds_read_u16 v2, v2 offset:4
	v_or_b32_e32 v3, 4, v4
	s_waitcnt lgkmcnt(0)
	v_and_b32_e32 v4, 0xffff, v2
	ds_bpermute_b32 v3, v3, v4
	v_mul_u32_u24_e32 v4, 0xcccd, v4
	v_lshrrev_b32_e32 v4, 19, v4
	v_mul_lo_u16_e32 v4, 10, v4
	v_sub_u16_e32 v2, v2, v4
	s_waitcnt lgkmcnt(0)
	v_mul_u32_u24_sdwa v5, v3, s5 dst_sel:DWORD dst_unused:UNUSED_PAD src0_sel:WORD_0 src1_sel:DWORD
	v_lshrrev_b32_e32 v5, 19, v5
	v_mul_lo_u16_e32 v5, 10, v5
	v_sub_u16_e32 v3, v3, v5
	v_add_u16_e32 v2, v3, v2
	v_add_u16_e32 v3, -10, v2
	v_min_u16_e32 v2, v2, v3
.LBB621_5:
	s_or_b64 exec, exec, s[6:7]
	s_load_dword s26, s[0:1], 0x30
	s_branch .LBB621_49
.LBB621_6:
                                        ; implicit-def: $vgpr2
	s_load_dword s26, s[0:1], 0x30
	s_cbranch_execz .LBB621_49
; %bb.7:
	s_sub_i32 s27, s16, s4
	v_mov_b32_e32 v2, 0
	v_cmp_gt_u32_e32 vcc, s27, v0
	v_mov_b32_e32 v3, v2
	v_mov_b32_e32 v4, v2
	;; [unrolled: 1-line block ×3, first 2 shown]
	s_and_saveexec_b64 s[0:1], vcc
	s_cbranch_execz .LBB621_9
; %bb.8:
	global_load_ushort v3, v6, s[14:15]
	v_mov_b32_e32 v9, v2
	v_mov_b32_e32 v10, v2
	;; [unrolled: 1-line block ×3, first 2 shown]
	s_waitcnt vmcnt(0)
	v_and_b32_e32 v8, 0xffff, v3
	v_mov_b64_e32 v[2:3], v[8:9]
	v_mov_b64_e32 v[4:5], v[10:11]
.LBB621_9:
	s_or_b64 exec, exec, s[0:1]
	v_or_b32_e32 v7, 0x80, v0
	v_cmp_gt_u32_e64 s[12:13], s27, v7
	s_and_saveexec_b64 s[0:1], s[12:13]
	s_cbranch_execz .LBB621_11
; %bb.10:
	global_load_ushort v7, v6, s[14:15] offset:256
	s_mov_b32 s4, 0x5040100
	s_waitcnt vmcnt(0)
	v_perm_b32 v2, v7, v2, s4
.LBB621_11:
	s_or_b64 exec, exec, s[0:1]
	v_or_b32_e32 v7, 0x100, v0
	v_cmp_gt_u32_e64 s[10:11], s27, v7
	s_and_saveexec_b64 s[0:1], s[10:11]
	s_cbranch_execz .LBB621_13
; %bb.12:
	global_load_ushort v7, v6, s[14:15] offset:512
	s_mov_b32 s4, 0xffff
	s_waitcnt vmcnt(0)
	v_bfi_b32 v3, s4, v7, v3
.LBB621_13:
	s_or_b64 exec, exec, s[0:1]
	v_or_b32_e32 v7, 0x180, v0
	v_cmp_gt_u32_e64 s[8:9], s27, v7
	s_and_saveexec_b64 s[0:1], s[8:9]
	s_cbranch_execz .LBB621_15
; %bb.14:
	global_load_ushort v7, v6, s[14:15] offset:768
	s_mov_b32 s4, 0x5040100
	s_waitcnt vmcnt(0)
	v_perm_b32 v3, v7, v3, s4
.LBB621_15:
	s_or_b64 exec, exec, s[0:1]
	v_or_b32_e32 v7, 0x200, v0
	v_cmp_gt_u32_e64 s[6:7], s27, v7
	s_and_saveexec_b64 s[0:1], s[6:7]
	s_cbranch_execz .LBB621_17
; %bb.16:
	global_load_ushort v7, v6, s[14:15] offset:1024
	s_mov_b32 s4, 0xffff
	s_waitcnt vmcnt(0)
	v_bfi_b32 v4, s4, v7, v4
.LBB621_17:
	;; [unrolled: 22-line block ×3, first 2 shown]
	s_or_b64 exec, exec, s[24:25]
	v_or_b32_e32 v7, 0x380, v0
	v_cmp_gt_u32_e32 vcc, s27, v7
	s_and_saveexec_b64 s[24:25], vcc
	s_cbranch_execnz .LBB621_52
; %bb.22:
	s_or_b64 exec, exec, s[24:25]
	s_and_saveexec_b64 s[14:15], s[12:13]
	s_cbranch_execnz .LBB621_53
.LBB621_23:
	s_or_b64 exec, exec, s[14:15]
	s_and_saveexec_b64 s[12:13], s[10:11]
	s_cbranch_execnz .LBB621_54
.LBB621_24:
	s_or_b64 exec, exec, s[12:13]
	s_and_saveexec_b64 s[10:11], s[8:9]
	s_cbranch_execnz .LBB621_55
.LBB621_25:
	s_or_b64 exec, exec, s[10:11]
	s_and_saveexec_b64 s[8:9], s[6:7]
	s_cbranch_execnz .LBB621_56
.LBB621_26:
	s_or_b64 exec, exec, s[8:9]
	s_and_saveexec_b64 s[6:7], s[4:5]
	s_cbranch_execnz .LBB621_57
.LBB621_27:
	s_or_b64 exec, exec, s[6:7]
	s_and_saveexec_b64 s[4:5], s[0:1]
	s_cbranch_execnz .LBB621_58
.LBB621_28:
	s_or_b64 exec, exec, s[4:5]
	s_and_saveexec_b64 s[0:1], vcc
	s_cbranch_execz .LBB621_30
.LBB621_29:
	s_mov_b32 s4, 0xcccd
	v_mul_u32_u24_sdwa v3, v5, s4 dst_sel:DWORD dst_unused:UNUSED_PAD src0_sel:WORD_1 src1_sel:DWORD
	v_mul_u32_u24_sdwa v4, v2, s4 dst_sel:DWORD dst_unused:UNUSED_PAD src0_sel:WORD_0 src1_sel:DWORD
	v_lshrrev_b32_e32 v3, 19, v3
	v_lshrrev_b32_e32 v4, 19, v4
	v_mul_lo_u16_e32 v3, 10, v3
	v_mul_lo_u16_e32 v4, 10, v4
	v_sub_u16_sdwa v3, v5, v3 dst_sel:DWORD dst_unused:UNUSED_PAD src0_sel:WORD_1 src1_sel:DWORD
	v_sub_u16_e32 v2, v2, v4
	v_add_u16_e32 v2, v2, v3
	v_add_u16_e32 v3, -10, v2
	v_min_u16_e32 v2, v2, v3
.LBB621_30:
	s_or_b64 exec, exec, s[0:1]
	v_mbcnt_hi_u32_b32 v1, -1, v1
	v_and_b32_e32 v3, 63, v1
	v_cmp_ne_u32_e32 vcc, 63, v3
	v_and_b32_e32 v5, 0xffff, v2
	s_min_u32 s4, s27, 0x80
	v_addc_co_u32_e32 v4, vcc, 0, v1, vcc
	v_lshlrev_b32_e32 v4, 2, v4
	ds_bpermute_b32 v6, v4, v5
	v_and_b32_e32 v4, 64, v0
	v_sub_u32_e64 v4, s4, v4 clamp
	v_add_u32_e32 v7, 1, v3
	v_cmp_lt_u32_e32 vcc, v7, v4
	s_and_saveexec_b64 s[0:1], vcc
	s_xor_b64 s[0:1], exec, s[0:1]
	s_cbranch_execz .LBB621_32
; %bb.31:
	s_mov_b32 s5, 0xcccd
	s_waitcnt lgkmcnt(0)
	v_mul_u32_u24_sdwa v5, v6, s5 dst_sel:DWORD dst_unused:UNUSED_PAD src0_sel:WORD_0 src1_sel:DWORD
	v_lshrrev_b32_e32 v5, 19, v5
	v_mul_lo_u16_e32 v5, 10, v5
	v_sub_u16_e32 v5, v6, v5
	v_mul_u32_u24_sdwa v6, v2, s5 dst_sel:DWORD dst_unused:UNUSED_PAD src0_sel:WORD_0 src1_sel:DWORD
	v_lshrrev_b32_e32 v6, 19, v6
	v_mul_lo_u16_e32 v6, 10, v6
	v_sub_u16_e32 v2, v2, v6
	v_add_u16_e32 v5, v5, v2
	v_add_u16_e32 v6, -10, v5
	v_min_u16_e32 v2, v5, v6
	v_min_u16_e32 v5, v5, v6
.LBB621_32:
	s_or_b64 exec, exec, s[0:1]
	v_cmp_gt_u32_e32 vcc, 62, v3
	v_add_u32_e32 v7, 2, v3
	s_waitcnt lgkmcnt(0)
	v_cndmask_b32_e64 v6, 0, 2, vcc
	v_add_lshl_u32 v6, v6, v1, 2
	ds_bpermute_b32 v6, v6, v5
	v_cmp_lt_u32_e32 vcc, v7, v4
	s_and_saveexec_b64 s[0:1], vcc
	s_cbranch_execz .LBB621_34
; %bb.33:
	s_mov_b32 s5, 0xcccd
	s_waitcnt lgkmcnt(0)
	v_mul_u32_u24_sdwa v5, v6, s5 dst_sel:DWORD dst_unused:UNUSED_PAD src0_sel:WORD_0 src1_sel:DWORD
	v_lshrrev_b32_e32 v5, 19, v5
	v_mul_lo_u16_e32 v5, 10, v5
	v_sub_u16_e32 v5, v6, v5
	v_mul_u32_u24_sdwa v6, v2, s5 dst_sel:DWORD dst_unused:UNUSED_PAD src0_sel:WORD_0 src1_sel:DWORD
	v_lshrrev_b32_e32 v6, 19, v6
	v_mul_lo_u16_e32 v6, 10, v6
	v_sub_u16_e32 v2, v2, v6
	v_add_u16_e32 v5, v5, v2
	v_add_u16_e32 v6, -10, v5
	v_min_u16_e32 v2, v5, v6
	v_min_u16_e32 v5, v5, v6
.LBB621_34:
	s_or_b64 exec, exec, s[0:1]
	v_cmp_gt_u32_e32 vcc, 60, v3
	v_add_u32_e32 v7, 4, v3
	s_waitcnt lgkmcnt(0)
	v_cndmask_b32_e64 v6, 0, 4, vcc
	v_add_lshl_u32 v6, v6, v1, 2
	ds_bpermute_b32 v6, v6, v5
	v_cmp_lt_u32_e32 vcc, v7, v4
	s_and_saveexec_b64 s[0:1], vcc
	;; [unrolled: 26-line block ×4, first 2 shown]
	s_cbranch_execz .LBB621_40
; %bb.39:
	s_mov_b32 s5, 0xcccd
	s_waitcnt lgkmcnt(0)
	v_mul_u32_u24_sdwa v5, v6, s5 dst_sel:DWORD dst_unused:UNUSED_PAD src0_sel:WORD_0 src1_sel:DWORD
	v_lshrrev_b32_e32 v5, 19, v5
	v_mul_lo_u16_e32 v5, 10, v5
	v_sub_u16_e32 v5, v6, v5
	v_mul_u32_u24_sdwa v6, v2, s5 dst_sel:DWORD dst_unused:UNUSED_PAD src0_sel:WORD_0 src1_sel:DWORD
	v_lshrrev_b32_e32 v6, 19, v6
	v_mul_lo_u16_e32 v6, 10, v6
	v_sub_u16_e32 v2, v2, v6
	v_add_u16_e32 v5, v5, v2
	v_add_u16_e32 v6, -10, v5
	v_min_u16_e32 v2, v5, v6
	v_min_u16_e32 v5, v5, v6
.LBB621_40:
	s_or_b64 exec, exec, s[0:1]
	s_waitcnt lgkmcnt(0)
	v_lshlrev_b32_e32 v6, 2, v1
	v_or_b32_e32 v7, 0x80, v6
	ds_bpermute_b32 v5, v7, v5
	v_add_u32_e32 v3, 32, v3
	v_cmp_lt_u32_e32 vcc, v3, v4
	s_and_saveexec_b64 s[0:1], vcc
	s_cbranch_execz .LBB621_42
; %bb.41:
	s_mov_b32 s5, 0xcccd
	s_waitcnt lgkmcnt(0)
	v_mul_u32_u24_sdwa v3, v5, s5 dst_sel:DWORD dst_unused:UNUSED_PAD src0_sel:WORD_0 src1_sel:DWORD
	v_mul_u32_u24_sdwa v4, v2, s5 dst_sel:DWORD dst_unused:UNUSED_PAD src0_sel:WORD_0 src1_sel:DWORD
	v_lshrrev_b32_e32 v3, 19, v3
	v_lshrrev_b32_e32 v4, 19, v4
	v_mul_lo_u16_e32 v3, 10, v3
	v_mul_lo_u16_e32 v4, 10, v4
	v_sub_u16_e32 v3, v5, v3
	v_sub_u16_e32 v2, v2, v4
	v_add_u16_e32 v2, v3, v2
	v_add_u16_e32 v3, -10, v2
	v_min_u16_e32 v2, v2, v3
.LBB621_42:
	s_or_b64 exec, exec, s[0:1]
	v_cmp_eq_u32_e32 vcc, 0, v1
	s_and_saveexec_b64 s[0:1], vcc
; %bb.43:
	v_lshrrev_b32_e32 v3, 5, v0
	v_and_b32_e32 v3, 2, v3
	ds_write_b16 v3, v2
; %bb.44:
	s_or_b64 exec, exec, s[0:1]
	v_cmp_gt_u32_e32 vcc, 2, v0
	s_waitcnt lgkmcnt(0)
	s_barrier
	s_and_saveexec_b64 s[0:1], vcc
	s_cbranch_execz .LBB621_48
; %bb.45:
	v_lshlrev_b32_e32 v2, 1, v1
	ds_read_u16 v2, v2
	v_or_b32_e32 v4, 4, v6
	s_add_i32 s4, s4, 63
	v_and_b32_e32 v1, 1, v1
	s_lshr_b32 s4, s4, 6
	s_waitcnt lgkmcnt(0)
	v_and_b32_e32 v3, 0xffff, v2
	ds_bpermute_b32 v4, v4, v3
	v_add_u32_e32 v1, 1, v1
	v_cmp_gt_u32_e32 vcc, s4, v1
	s_and_saveexec_b64 s[4:5], vcc
	s_cbranch_execz .LBB621_47
; %bb.46:
	s_mov_b32 s6, 0xcccd
	s_waitcnt lgkmcnt(0)
	v_mul_u32_u24_sdwa v1, v4, s6 dst_sel:DWORD dst_unused:UNUSED_PAD src0_sel:WORD_0 src1_sel:DWORD
	v_mul_u32_u24_e32 v3, 0xcccd, v3
	v_lshrrev_b32_e32 v1, 19, v1
	v_lshrrev_b32_e32 v3, 19, v3
	v_mul_lo_u16_e32 v1, 10, v1
	v_mul_lo_u16_e32 v3, 10, v3
	v_sub_u16_e32 v1, v4, v1
	v_sub_u16_e32 v2, v2, v3
	v_add_u16_e32 v1, v1, v2
	v_add_u16_e32 v2, -10, v1
	v_min_u16_e32 v2, v1, v2
.LBB621_47:
	s_or_b64 exec, exec, s[4:5]
.LBB621_48:
	s_or_b64 exec, exec, s[0:1]
.LBB621_49:
	v_cmp_eq_u32_e32 vcc, 0, v0
	s_and_saveexec_b64 s[0:1], vcc
	s_cbranch_execnz .LBB621_51
; %bb.50:
	s_endpgm
.LBB621_51:
	s_mul_i32 s0, s22, s21
	s_mul_hi_u32 s1, s22, s20
	s_add_i32 s0, s1, s0
	s_mul_i32 s1, s23, s20
	s_add_i32 s1, s0, s1
	s_mul_i32 s0, s22, s20
	s_lshl_b64 s[0:1], s[0:1], 1
	s_add_u32 s4, s18, s0
	s_addc_u32 s5, s19, s1
	s_cmp_eq_u64 s[16:17], 0
	s_cselect_b64 vcc, -1, 0
	s_lshl_b64 s[0:1], s[2:3], 1
	s_waitcnt lgkmcnt(0)
	v_mov_b32_e32 v0, s26
	s_add_u32 s0, s4, s0
	v_cndmask_b32_e32 v0, v2, v0, vcc
	s_addc_u32 s1, s5, s1
	v_mov_b32_e32 v1, 0
	global_store_short v1, v0, s[0:1]
	s_endpgm
.LBB621_52:
	global_load_ushort v6, v6, s[14:15] offset:1792
	s_mov_b32 s14, 0x5040100
	s_waitcnt vmcnt(0)
	v_perm_b32 v5, v6, v5, s14
	s_or_b64 exec, exec, s[24:25]
	s_and_saveexec_b64 s[14:15], s[12:13]
	s_cbranch_execz .LBB621_23
.LBB621_53:
	s_mov_b32 s12, 0xcccd
	v_mul_u32_u24_sdwa v6, v2, s12 dst_sel:DWORD dst_unused:UNUSED_PAD src0_sel:WORD_1 src1_sel:DWORD
	v_mul_u32_u24_sdwa v7, v2, s12 dst_sel:DWORD dst_unused:UNUSED_PAD src0_sel:WORD_0 src1_sel:DWORD
	v_lshrrev_b32_e32 v6, 19, v6
	v_lshrrev_b32_e32 v7, 19, v7
	v_mul_lo_u16_e32 v6, 10, v6
	v_mul_lo_u16_e32 v7, 10, v7
	v_sub_u16_sdwa v6, v2, v6 dst_sel:DWORD dst_unused:UNUSED_PAD src0_sel:WORD_1 src1_sel:DWORD
	v_sub_u16_e32 v2, v2, v7
	v_add_u16_e32 v2, v6, v2
	v_add_u16_e32 v6, -10, v2
	v_min_u16_e32 v2, v2, v6
	s_or_b64 exec, exec, s[14:15]
	s_and_saveexec_b64 s[12:13], s[10:11]
	s_cbranch_execz .LBB621_24
.LBB621_54:
	s_mov_b32 s10, 0xcccd
	v_mul_u32_u24_sdwa v6, v3, s10 dst_sel:DWORD dst_unused:UNUSED_PAD src0_sel:WORD_0 src1_sel:DWORD
	v_mul_u32_u24_sdwa v7, v2, s10 dst_sel:DWORD dst_unused:UNUSED_PAD src0_sel:WORD_0 src1_sel:DWORD
	v_lshrrev_b32_e32 v6, 19, v6
	v_lshrrev_b32_e32 v7, 19, v7
	v_mul_lo_u16_e32 v6, 10, v6
	v_mul_lo_u16_e32 v7, 10, v7
	v_sub_u16_e32 v6, v3, v6
	v_sub_u16_e32 v2, v2, v7
	v_add_u16_e32 v2, v2, v6
	v_add_u16_e32 v6, -10, v2
	v_min_u16_e32 v2, v2, v6
	s_or_b64 exec, exec, s[12:13]
	s_and_saveexec_b64 s[10:11], s[8:9]
	s_cbranch_execz .LBB621_25
.LBB621_55:
	s_mov_b32 s8, 0xcccd
	v_mul_u32_u24_sdwa v6, v3, s8 dst_sel:DWORD dst_unused:UNUSED_PAD src0_sel:WORD_1 src1_sel:DWORD
	v_lshrrev_b32_e32 v6, 19, v6
	v_mul_lo_u16_e32 v6, 10, v6
	v_sub_u16_sdwa v3, v3, v6 dst_sel:DWORD dst_unused:UNUSED_PAD src0_sel:WORD_1 src1_sel:DWORD
	v_mul_u32_u24_sdwa v6, v2, s8 dst_sel:DWORD dst_unused:UNUSED_PAD src0_sel:WORD_0 src1_sel:DWORD
	v_lshrrev_b32_e32 v6, 19, v6
	v_mul_lo_u16_e32 v6, 10, v6
	v_sub_u16_e32 v2, v2, v6
	v_add_u16_e32 v2, v2, v3
	v_add_u16_e32 v3, -10, v2
	v_min_u16_e32 v2, v2, v3
	s_or_b64 exec, exec, s[10:11]
	s_and_saveexec_b64 s[8:9], s[6:7]
	s_cbranch_execz .LBB621_26
.LBB621_56:
	s_mov_b32 s6, 0xcccd
	v_mul_u32_u24_sdwa v3, v4, s6 dst_sel:DWORD dst_unused:UNUSED_PAD src0_sel:WORD_0 src1_sel:DWORD
	v_mul_u32_u24_sdwa v6, v2, s6 dst_sel:DWORD dst_unused:UNUSED_PAD src0_sel:WORD_0 src1_sel:DWORD
	v_lshrrev_b32_e32 v3, 19, v3
	v_lshrrev_b32_e32 v6, 19, v6
	v_mul_lo_u16_e32 v3, 10, v3
	v_mul_lo_u16_e32 v6, 10, v6
	v_sub_u16_e32 v3, v4, v3
	v_sub_u16_e32 v2, v2, v6
	v_add_u16_e32 v2, v2, v3
	v_add_u16_e32 v3, -10, v2
	v_min_u16_e32 v2, v2, v3
	s_or_b64 exec, exec, s[8:9]
	s_and_saveexec_b64 s[6:7], s[4:5]
	s_cbranch_execz .LBB621_27
.LBB621_57:
	s_mov_b32 s4, 0xcccd
	v_mul_u32_u24_sdwa v3, v4, s4 dst_sel:DWORD dst_unused:UNUSED_PAD src0_sel:WORD_1 src1_sel:DWORD
	v_lshrrev_b32_e32 v3, 19, v3
	v_mul_lo_u16_e32 v3, 10, v3
	v_sub_u16_sdwa v3, v4, v3 dst_sel:DWORD dst_unused:UNUSED_PAD src0_sel:WORD_1 src1_sel:DWORD
	v_mul_u32_u24_sdwa v4, v2, s4 dst_sel:DWORD dst_unused:UNUSED_PAD src0_sel:WORD_0 src1_sel:DWORD
	v_lshrrev_b32_e32 v4, 19, v4
	v_mul_lo_u16_e32 v4, 10, v4
	v_sub_u16_e32 v2, v2, v4
	v_add_u16_e32 v2, v2, v3
	v_add_u16_e32 v3, -10, v2
	v_min_u16_e32 v2, v2, v3
	s_or_b64 exec, exec, s[6:7]
	s_and_saveexec_b64 s[4:5], s[0:1]
	s_cbranch_execz .LBB621_28
.LBB621_58:
	s_mov_b32 s0, 0xcccd
	v_mul_u32_u24_sdwa v3, v5, s0 dst_sel:DWORD dst_unused:UNUSED_PAD src0_sel:WORD_0 src1_sel:DWORD
	v_mul_u32_u24_sdwa v4, v2, s0 dst_sel:DWORD dst_unused:UNUSED_PAD src0_sel:WORD_0 src1_sel:DWORD
	v_lshrrev_b32_e32 v3, 19, v3
	v_lshrrev_b32_e32 v4, 19, v4
	v_mul_lo_u16_e32 v3, 10, v3
	v_mul_lo_u16_e32 v4, 10, v4
	v_sub_u16_e32 v3, v5, v3
	v_sub_u16_e32 v2, v2, v4
	v_add_u16_e32 v2, v2, v3
	v_add_u16_e32 v3, -10, v2
	v_min_u16_e32 v2, v2, v3
	s_or_b64 exec, exec, s[4:5]
	s_and_saveexec_b64 s[0:1], vcc
	s_cbranch_execnz .LBB621_29
	s_branch .LBB621_30
	.section	.rodata,"a",@progbits
	.p2align	6, 0x0
	.amdhsa_kernel _ZN7rocprim17ROCPRIM_400000_NS6detail17trampoline_kernelINS0_14default_configENS1_22reduce_config_selectorItEEZNS1_11reduce_implILb1ES3_PtS7_t11plus_mod_10ItEEE10hipError_tPvRmT1_T2_T3_mT4_P12ihipStream_tbEUlT_E0_NS1_11comp_targetILNS1_3genE0ELNS1_11target_archE4294967295ELNS1_3gpuE0ELNS1_3repE0EEENS1_30default_config_static_selectorELNS0_4arch9wavefront6targetE1EEEvSD_
		.amdhsa_group_segment_fixed_size 8
		.amdhsa_private_segment_fixed_size 0
		.amdhsa_kernarg_size 56
		.amdhsa_user_sgpr_count 2
		.amdhsa_user_sgpr_dispatch_ptr 0
		.amdhsa_user_sgpr_queue_ptr 0
		.amdhsa_user_sgpr_kernarg_segment_ptr 1
		.amdhsa_user_sgpr_dispatch_id 0
		.amdhsa_user_sgpr_kernarg_preload_length 0
		.amdhsa_user_sgpr_kernarg_preload_offset 0
		.amdhsa_user_sgpr_private_segment_size 0
		.amdhsa_uses_dynamic_stack 0
		.amdhsa_enable_private_segment 0
		.amdhsa_system_sgpr_workgroup_id_x 1
		.amdhsa_system_sgpr_workgroup_id_y 0
		.amdhsa_system_sgpr_workgroup_id_z 0
		.amdhsa_system_sgpr_workgroup_info 0
		.amdhsa_system_vgpr_workitem_id 0
		.amdhsa_next_free_vgpr 21
		.amdhsa_next_free_sgpr 29
		.amdhsa_accum_offset 24
		.amdhsa_reserve_vcc 1
		.amdhsa_float_round_mode_32 0
		.amdhsa_float_round_mode_16_64 0
		.amdhsa_float_denorm_mode_32 3
		.amdhsa_float_denorm_mode_16_64 3
		.amdhsa_dx10_clamp 1
		.amdhsa_ieee_mode 1
		.amdhsa_fp16_overflow 0
		.amdhsa_tg_split 0
		.amdhsa_exception_fp_ieee_invalid_op 0
		.amdhsa_exception_fp_denorm_src 0
		.amdhsa_exception_fp_ieee_div_zero 0
		.amdhsa_exception_fp_ieee_overflow 0
		.amdhsa_exception_fp_ieee_underflow 0
		.amdhsa_exception_fp_ieee_inexact 0
		.amdhsa_exception_int_div_zero 0
	.end_amdhsa_kernel
	.section	.text._ZN7rocprim17ROCPRIM_400000_NS6detail17trampoline_kernelINS0_14default_configENS1_22reduce_config_selectorItEEZNS1_11reduce_implILb1ES3_PtS7_t11plus_mod_10ItEEE10hipError_tPvRmT1_T2_T3_mT4_P12ihipStream_tbEUlT_E0_NS1_11comp_targetILNS1_3genE0ELNS1_11target_archE4294967295ELNS1_3gpuE0ELNS1_3repE0EEENS1_30default_config_static_selectorELNS0_4arch9wavefront6targetE1EEEvSD_,"axG",@progbits,_ZN7rocprim17ROCPRIM_400000_NS6detail17trampoline_kernelINS0_14default_configENS1_22reduce_config_selectorItEEZNS1_11reduce_implILb1ES3_PtS7_t11plus_mod_10ItEEE10hipError_tPvRmT1_T2_T3_mT4_P12ihipStream_tbEUlT_E0_NS1_11comp_targetILNS1_3genE0ELNS1_11target_archE4294967295ELNS1_3gpuE0ELNS1_3repE0EEENS1_30default_config_static_selectorELNS0_4arch9wavefront6targetE1EEEvSD_,comdat
.Lfunc_end621:
	.size	_ZN7rocprim17ROCPRIM_400000_NS6detail17trampoline_kernelINS0_14default_configENS1_22reduce_config_selectorItEEZNS1_11reduce_implILb1ES3_PtS7_t11plus_mod_10ItEEE10hipError_tPvRmT1_T2_T3_mT4_P12ihipStream_tbEUlT_E0_NS1_11comp_targetILNS1_3genE0ELNS1_11target_archE4294967295ELNS1_3gpuE0ELNS1_3repE0EEENS1_30default_config_static_selectorELNS0_4arch9wavefront6targetE1EEEvSD_, .Lfunc_end621-_ZN7rocprim17ROCPRIM_400000_NS6detail17trampoline_kernelINS0_14default_configENS1_22reduce_config_selectorItEEZNS1_11reduce_implILb1ES3_PtS7_t11plus_mod_10ItEEE10hipError_tPvRmT1_T2_T3_mT4_P12ihipStream_tbEUlT_E0_NS1_11comp_targetILNS1_3genE0ELNS1_11target_archE4294967295ELNS1_3gpuE0ELNS1_3repE0EEENS1_30default_config_static_selectorELNS0_4arch9wavefront6targetE1EEEvSD_
                                        ; -- End function
	.set _ZN7rocprim17ROCPRIM_400000_NS6detail17trampoline_kernelINS0_14default_configENS1_22reduce_config_selectorItEEZNS1_11reduce_implILb1ES3_PtS7_t11plus_mod_10ItEEE10hipError_tPvRmT1_T2_T3_mT4_P12ihipStream_tbEUlT_E0_NS1_11comp_targetILNS1_3genE0ELNS1_11target_archE4294967295ELNS1_3gpuE0ELNS1_3repE0EEENS1_30default_config_static_selectorELNS0_4arch9wavefront6targetE1EEEvSD_.num_vgpr, 21
	.set _ZN7rocprim17ROCPRIM_400000_NS6detail17trampoline_kernelINS0_14default_configENS1_22reduce_config_selectorItEEZNS1_11reduce_implILb1ES3_PtS7_t11plus_mod_10ItEEE10hipError_tPvRmT1_T2_T3_mT4_P12ihipStream_tbEUlT_E0_NS1_11comp_targetILNS1_3genE0ELNS1_11target_archE4294967295ELNS1_3gpuE0ELNS1_3repE0EEENS1_30default_config_static_selectorELNS0_4arch9wavefront6targetE1EEEvSD_.num_agpr, 0
	.set _ZN7rocprim17ROCPRIM_400000_NS6detail17trampoline_kernelINS0_14default_configENS1_22reduce_config_selectorItEEZNS1_11reduce_implILb1ES3_PtS7_t11plus_mod_10ItEEE10hipError_tPvRmT1_T2_T3_mT4_P12ihipStream_tbEUlT_E0_NS1_11comp_targetILNS1_3genE0ELNS1_11target_archE4294967295ELNS1_3gpuE0ELNS1_3repE0EEENS1_30default_config_static_selectorELNS0_4arch9wavefront6targetE1EEEvSD_.numbered_sgpr, 29
	.set _ZN7rocprim17ROCPRIM_400000_NS6detail17trampoline_kernelINS0_14default_configENS1_22reduce_config_selectorItEEZNS1_11reduce_implILb1ES3_PtS7_t11plus_mod_10ItEEE10hipError_tPvRmT1_T2_T3_mT4_P12ihipStream_tbEUlT_E0_NS1_11comp_targetILNS1_3genE0ELNS1_11target_archE4294967295ELNS1_3gpuE0ELNS1_3repE0EEENS1_30default_config_static_selectorELNS0_4arch9wavefront6targetE1EEEvSD_.num_named_barrier, 0
	.set _ZN7rocprim17ROCPRIM_400000_NS6detail17trampoline_kernelINS0_14default_configENS1_22reduce_config_selectorItEEZNS1_11reduce_implILb1ES3_PtS7_t11plus_mod_10ItEEE10hipError_tPvRmT1_T2_T3_mT4_P12ihipStream_tbEUlT_E0_NS1_11comp_targetILNS1_3genE0ELNS1_11target_archE4294967295ELNS1_3gpuE0ELNS1_3repE0EEENS1_30default_config_static_selectorELNS0_4arch9wavefront6targetE1EEEvSD_.private_seg_size, 0
	.set _ZN7rocprim17ROCPRIM_400000_NS6detail17trampoline_kernelINS0_14default_configENS1_22reduce_config_selectorItEEZNS1_11reduce_implILb1ES3_PtS7_t11plus_mod_10ItEEE10hipError_tPvRmT1_T2_T3_mT4_P12ihipStream_tbEUlT_E0_NS1_11comp_targetILNS1_3genE0ELNS1_11target_archE4294967295ELNS1_3gpuE0ELNS1_3repE0EEENS1_30default_config_static_selectorELNS0_4arch9wavefront6targetE1EEEvSD_.uses_vcc, 1
	.set _ZN7rocprim17ROCPRIM_400000_NS6detail17trampoline_kernelINS0_14default_configENS1_22reduce_config_selectorItEEZNS1_11reduce_implILb1ES3_PtS7_t11plus_mod_10ItEEE10hipError_tPvRmT1_T2_T3_mT4_P12ihipStream_tbEUlT_E0_NS1_11comp_targetILNS1_3genE0ELNS1_11target_archE4294967295ELNS1_3gpuE0ELNS1_3repE0EEENS1_30default_config_static_selectorELNS0_4arch9wavefront6targetE1EEEvSD_.uses_flat_scratch, 0
	.set _ZN7rocprim17ROCPRIM_400000_NS6detail17trampoline_kernelINS0_14default_configENS1_22reduce_config_selectorItEEZNS1_11reduce_implILb1ES3_PtS7_t11plus_mod_10ItEEE10hipError_tPvRmT1_T2_T3_mT4_P12ihipStream_tbEUlT_E0_NS1_11comp_targetILNS1_3genE0ELNS1_11target_archE4294967295ELNS1_3gpuE0ELNS1_3repE0EEENS1_30default_config_static_selectorELNS0_4arch9wavefront6targetE1EEEvSD_.has_dyn_sized_stack, 0
	.set _ZN7rocprim17ROCPRIM_400000_NS6detail17trampoline_kernelINS0_14default_configENS1_22reduce_config_selectorItEEZNS1_11reduce_implILb1ES3_PtS7_t11plus_mod_10ItEEE10hipError_tPvRmT1_T2_T3_mT4_P12ihipStream_tbEUlT_E0_NS1_11comp_targetILNS1_3genE0ELNS1_11target_archE4294967295ELNS1_3gpuE0ELNS1_3repE0EEENS1_30default_config_static_selectorELNS0_4arch9wavefront6targetE1EEEvSD_.has_recursion, 0
	.set _ZN7rocprim17ROCPRIM_400000_NS6detail17trampoline_kernelINS0_14default_configENS1_22reduce_config_selectorItEEZNS1_11reduce_implILb1ES3_PtS7_t11plus_mod_10ItEEE10hipError_tPvRmT1_T2_T3_mT4_P12ihipStream_tbEUlT_E0_NS1_11comp_targetILNS1_3genE0ELNS1_11target_archE4294967295ELNS1_3gpuE0ELNS1_3repE0EEENS1_30default_config_static_selectorELNS0_4arch9wavefront6targetE1EEEvSD_.has_indirect_call, 0
	.section	.AMDGPU.csdata,"",@progbits
; Kernel info:
; codeLenInByte = 3196
; TotalNumSgprs: 35
; NumVgprs: 21
; NumAgprs: 0
; TotalNumVgprs: 21
; ScratchSize: 0
; MemoryBound: 0
; FloatMode: 240
; IeeeMode: 1
; LDSByteSize: 8 bytes/workgroup (compile time only)
; SGPRBlocks: 4
; VGPRBlocks: 2
; NumSGPRsForWavesPerEU: 35
; NumVGPRsForWavesPerEU: 21
; AccumOffset: 24
; Occupancy: 8
; WaveLimiterHint : 1
; COMPUTE_PGM_RSRC2:SCRATCH_EN: 0
; COMPUTE_PGM_RSRC2:USER_SGPR: 2
; COMPUTE_PGM_RSRC2:TRAP_HANDLER: 0
; COMPUTE_PGM_RSRC2:TGID_X_EN: 1
; COMPUTE_PGM_RSRC2:TGID_Y_EN: 0
; COMPUTE_PGM_RSRC2:TGID_Z_EN: 0
; COMPUTE_PGM_RSRC2:TIDIG_COMP_CNT: 0
; COMPUTE_PGM_RSRC3_GFX90A:ACCUM_OFFSET: 5
; COMPUTE_PGM_RSRC3_GFX90A:TG_SPLIT: 0
	.section	.text._ZN7rocprim17ROCPRIM_400000_NS6detail17trampoline_kernelINS0_14default_configENS1_22reduce_config_selectorItEEZNS1_11reduce_implILb1ES3_PtS7_t11plus_mod_10ItEEE10hipError_tPvRmT1_T2_T3_mT4_P12ihipStream_tbEUlT_E0_NS1_11comp_targetILNS1_3genE5ELNS1_11target_archE942ELNS1_3gpuE9ELNS1_3repE0EEENS1_30default_config_static_selectorELNS0_4arch9wavefront6targetE1EEEvSD_,"axG",@progbits,_ZN7rocprim17ROCPRIM_400000_NS6detail17trampoline_kernelINS0_14default_configENS1_22reduce_config_selectorItEEZNS1_11reduce_implILb1ES3_PtS7_t11plus_mod_10ItEEE10hipError_tPvRmT1_T2_T3_mT4_P12ihipStream_tbEUlT_E0_NS1_11comp_targetILNS1_3genE5ELNS1_11target_archE942ELNS1_3gpuE9ELNS1_3repE0EEENS1_30default_config_static_selectorELNS0_4arch9wavefront6targetE1EEEvSD_,comdat
	.protected	_ZN7rocprim17ROCPRIM_400000_NS6detail17trampoline_kernelINS0_14default_configENS1_22reduce_config_selectorItEEZNS1_11reduce_implILb1ES3_PtS7_t11plus_mod_10ItEEE10hipError_tPvRmT1_T2_T3_mT4_P12ihipStream_tbEUlT_E0_NS1_11comp_targetILNS1_3genE5ELNS1_11target_archE942ELNS1_3gpuE9ELNS1_3repE0EEENS1_30default_config_static_selectorELNS0_4arch9wavefront6targetE1EEEvSD_ ; -- Begin function _ZN7rocprim17ROCPRIM_400000_NS6detail17trampoline_kernelINS0_14default_configENS1_22reduce_config_selectorItEEZNS1_11reduce_implILb1ES3_PtS7_t11plus_mod_10ItEEE10hipError_tPvRmT1_T2_T3_mT4_P12ihipStream_tbEUlT_E0_NS1_11comp_targetILNS1_3genE5ELNS1_11target_archE942ELNS1_3gpuE9ELNS1_3repE0EEENS1_30default_config_static_selectorELNS0_4arch9wavefront6targetE1EEEvSD_
	.globl	_ZN7rocprim17ROCPRIM_400000_NS6detail17trampoline_kernelINS0_14default_configENS1_22reduce_config_selectorItEEZNS1_11reduce_implILb1ES3_PtS7_t11plus_mod_10ItEEE10hipError_tPvRmT1_T2_T3_mT4_P12ihipStream_tbEUlT_E0_NS1_11comp_targetILNS1_3genE5ELNS1_11target_archE942ELNS1_3gpuE9ELNS1_3repE0EEENS1_30default_config_static_selectorELNS0_4arch9wavefront6targetE1EEEvSD_
	.p2align	8
	.type	_ZN7rocprim17ROCPRIM_400000_NS6detail17trampoline_kernelINS0_14default_configENS1_22reduce_config_selectorItEEZNS1_11reduce_implILb1ES3_PtS7_t11plus_mod_10ItEEE10hipError_tPvRmT1_T2_T3_mT4_P12ihipStream_tbEUlT_E0_NS1_11comp_targetILNS1_3genE5ELNS1_11target_archE942ELNS1_3gpuE9ELNS1_3repE0EEENS1_30default_config_static_selectorELNS0_4arch9wavefront6targetE1EEEvSD_,@function
_ZN7rocprim17ROCPRIM_400000_NS6detail17trampoline_kernelINS0_14default_configENS1_22reduce_config_selectorItEEZNS1_11reduce_implILb1ES3_PtS7_t11plus_mod_10ItEEE10hipError_tPvRmT1_T2_T3_mT4_P12ihipStream_tbEUlT_E0_NS1_11comp_targetILNS1_3genE5ELNS1_11target_archE942ELNS1_3gpuE9ELNS1_3repE0EEENS1_30default_config_static_selectorELNS0_4arch9wavefront6targetE1EEEvSD_: ; @_ZN7rocprim17ROCPRIM_400000_NS6detail17trampoline_kernelINS0_14default_configENS1_22reduce_config_selectorItEEZNS1_11reduce_implILb1ES3_PtS7_t11plus_mod_10ItEEE10hipError_tPvRmT1_T2_T3_mT4_P12ihipStream_tbEUlT_E0_NS1_11comp_targetILNS1_3genE5ELNS1_11target_archE942ELNS1_3gpuE9ELNS1_3repE0EEENS1_30default_config_static_selectorELNS0_4arch9wavefront6targetE1EEEvSD_
; %bb.0:
	.section	.rodata,"a",@progbits
	.p2align	6, 0x0
	.amdhsa_kernel _ZN7rocprim17ROCPRIM_400000_NS6detail17trampoline_kernelINS0_14default_configENS1_22reduce_config_selectorItEEZNS1_11reduce_implILb1ES3_PtS7_t11plus_mod_10ItEEE10hipError_tPvRmT1_T2_T3_mT4_P12ihipStream_tbEUlT_E0_NS1_11comp_targetILNS1_3genE5ELNS1_11target_archE942ELNS1_3gpuE9ELNS1_3repE0EEENS1_30default_config_static_selectorELNS0_4arch9wavefront6targetE1EEEvSD_
		.amdhsa_group_segment_fixed_size 0
		.amdhsa_private_segment_fixed_size 0
		.amdhsa_kernarg_size 56
		.amdhsa_user_sgpr_count 2
		.amdhsa_user_sgpr_dispatch_ptr 0
		.amdhsa_user_sgpr_queue_ptr 0
		.amdhsa_user_sgpr_kernarg_segment_ptr 1
		.amdhsa_user_sgpr_dispatch_id 0
		.amdhsa_user_sgpr_kernarg_preload_length 0
		.amdhsa_user_sgpr_kernarg_preload_offset 0
		.amdhsa_user_sgpr_private_segment_size 0
		.amdhsa_uses_dynamic_stack 0
		.amdhsa_enable_private_segment 0
		.amdhsa_system_sgpr_workgroup_id_x 1
		.amdhsa_system_sgpr_workgroup_id_y 0
		.amdhsa_system_sgpr_workgroup_id_z 0
		.amdhsa_system_sgpr_workgroup_info 0
		.amdhsa_system_vgpr_workitem_id 0
		.amdhsa_next_free_vgpr 1
		.amdhsa_next_free_sgpr 0
		.amdhsa_accum_offset 4
		.amdhsa_reserve_vcc 0
		.amdhsa_float_round_mode_32 0
		.amdhsa_float_round_mode_16_64 0
		.amdhsa_float_denorm_mode_32 3
		.amdhsa_float_denorm_mode_16_64 3
		.amdhsa_dx10_clamp 1
		.amdhsa_ieee_mode 1
		.amdhsa_fp16_overflow 0
		.amdhsa_tg_split 0
		.amdhsa_exception_fp_ieee_invalid_op 0
		.amdhsa_exception_fp_denorm_src 0
		.amdhsa_exception_fp_ieee_div_zero 0
		.amdhsa_exception_fp_ieee_overflow 0
		.amdhsa_exception_fp_ieee_underflow 0
		.amdhsa_exception_fp_ieee_inexact 0
		.amdhsa_exception_int_div_zero 0
	.end_amdhsa_kernel
	.section	.text._ZN7rocprim17ROCPRIM_400000_NS6detail17trampoline_kernelINS0_14default_configENS1_22reduce_config_selectorItEEZNS1_11reduce_implILb1ES3_PtS7_t11plus_mod_10ItEEE10hipError_tPvRmT1_T2_T3_mT4_P12ihipStream_tbEUlT_E0_NS1_11comp_targetILNS1_3genE5ELNS1_11target_archE942ELNS1_3gpuE9ELNS1_3repE0EEENS1_30default_config_static_selectorELNS0_4arch9wavefront6targetE1EEEvSD_,"axG",@progbits,_ZN7rocprim17ROCPRIM_400000_NS6detail17trampoline_kernelINS0_14default_configENS1_22reduce_config_selectorItEEZNS1_11reduce_implILb1ES3_PtS7_t11plus_mod_10ItEEE10hipError_tPvRmT1_T2_T3_mT4_P12ihipStream_tbEUlT_E0_NS1_11comp_targetILNS1_3genE5ELNS1_11target_archE942ELNS1_3gpuE9ELNS1_3repE0EEENS1_30default_config_static_selectorELNS0_4arch9wavefront6targetE1EEEvSD_,comdat
.Lfunc_end622:
	.size	_ZN7rocprim17ROCPRIM_400000_NS6detail17trampoline_kernelINS0_14default_configENS1_22reduce_config_selectorItEEZNS1_11reduce_implILb1ES3_PtS7_t11plus_mod_10ItEEE10hipError_tPvRmT1_T2_T3_mT4_P12ihipStream_tbEUlT_E0_NS1_11comp_targetILNS1_3genE5ELNS1_11target_archE942ELNS1_3gpuE9ELNS1_3repE0EEENS1_30default_config_static_selectorELNS0_4arch9wavefront6targetE1EEEvSD_, .Lfunc_end622-_ZN7rocprim17ROCPRIM_400000_NS6detail17trampoline_kernelINS0_14default_configENS1_22reduce_config_selectorItEEZNS1_11reduce_implILb1ES3_PtS7_t11plus_mod_10ItEEE10hipError_tPvRmT1_T2_T3_mT4_P12ihipStream_tbEUlT_E0_NS1_11comp_targetILNS1_3genE5ELNS1_11target_archE942ELNS1_3gpuE9ELNS1_3repE0EEENS1_30default_config_static_selectorELNS0_4arch9wavefront6targetE1EEEvSD_
                                        ; -- End function
	.set _ZN7rocprim17ROCPRIM_400000_NS6detail17trampoline_kernelINS0_14default_configENS1_22reduce_config_selectorItEEZNS1_11reduce_implILb1ES3_PtS7_t11plus_mod_10ItEEE10hipError_tPvRmT1_T2_T3_mT4_P12ihipStream_tbEUlT_E0_NS1_11comp_targetILNS1_3genE5ELNS1_11target_archE942ELNS1_3gpuE9ELNS1_3repE0EEENS1_30default_config_static_selectorELNS0_4arch9wavefront6targetE1EEEvSD_.num_vgpr, 0
	.set _ZN7rocprim17ROCPRIM_400000_NS6detail17trampoline_kernelINS0_14default_configENS1_22reduce_config_selectorItEEZNS1_11reduce_implILb1ES3_PtS7_t11plus_mod_10ItEEE10hipError_tPvRmT1_T2_T3_mT4_P12ihipStream_tbEUlT_E0_NS1_11comp_targetILNS1_3genE5ELNS1_11target_archE942ELNS1_3gpuE9ELNS1_3repE0EEENS1_30default_config_static_selectorELNS0_4arch9wavefront6targetE1EEEvSD_.num_agpr, 0
	.set _ZN7rocprim17ROCPRIM_400000_NS6detail17trampoline_kernelINS0_14default_configENS1_22reduce_config_selectorItEEZNS1_11reduce_implILb1ES3_PtS7_t11plus_mod_10ItEEE10hipError_tPvRmT1_T2_T3_mT4_P12ihipStream_tbEUlT_E0_NS1_11comp_targetILNS1_3genE5ELNS1_11target_archE942ELNS1_3gpuE9ELNS1_3repE0EEENS1_30default_config_static_selectorELNS0_4arch9wavefront6targetE1EEEvSD_.numbered_sgpr, 0
	.set _ZN7rocprim17ROCPRIM_400000_NS6detail17trampoline_kernelINS0_14default_configENS1_22reduce_config_selectorItEEZNS1_11reduce_implILb1ES3_PtS7_t11plus_mod_10ItEEE10hipError_tPvRmT1_T2_T3_mT4_P12ihipStream_tbEUlT_E0_NS1_11comp_targetILNS1_3genE5ELNS1_11target_archE942ELNS1_3gpuE9ELNS1_3repE0EEENS1_30default_config_static_selectorELNS0_4arch9wavefront6targetE1EEEvSD_.num_named_barrier, 0
	.set _ZN7rocprim17ROCPRIM_400000_NS6detail17trampoline_kernelINS0_14default_configENS1_22reduce_config_selectorItEEZNS1_11reduce_implILb1ES3_PtS7_t11plus_mod_10ItEEE10hipError_tPvRmT1_T2_T3_mT4_P12ihipStream_tbEUlT_E0_NS1_11comp_targetILNS1_3genE5ELNS1_11target_archE942ELNS1_3gpuE9ELNS1_3repE0EEENS1_30default_config_static_selectorELNS0_4arch9wavefront6targetE1EEEvSD_.private_seg_size, 0
	.set _ZN7rocprim17ROCPRIM_400000_NS6detail17trampoline_kernelINS0_14default_configENS1_22reduce_config_selectorItEEZNS1_11reduce_implILb1ES3_PtS7_t11plus_mod_10ItEEE10hipError_tPvRmT1_T2_T3_mT4_P12ihipStream_tbEUlT_E0_NS1_11comp_targetILNS1_3genE5ELNS1_11target_archE942ELNS1_3gpuE9ELNS1_3repE0EEENS1_30default_config_static_selectorELNS0_4arch9wavefront6targetE1EEEvSD_.uses_vcc, 0
	.set _ZN7rocprim17ROCPRIM_400000_NS6detail17trampoline_kernelINS0_14default_configENS1_22reduce_config_selectorItEEZNS1_11reduce_implILb1ES3_PtS7_t11plus_mod_10ItEEE10hipError_tPvRmT1_T2_T3_mT4_P12ihipStream_tbEUlT_E0_NS1_11comp_targetILNS1_3genE5ELNS1_11target_archE942ELNS1_3gpuE9ELNS1_3repE0EEENS1_30default_config_static_selectorELNS0_4arch9wavefront6targetE1EEEvSD_.uses_flat_scratch, 0
	.set _ZN7rocprim17ROCPRIM_400000_NS6detail17trampoline_kernelINS0_14default_configENS1_22reduce_config_selectorItEEZNS1_11reduce_implILb1ES3_PtS7_t11plus_mod_10ItEEE10hipError_tPvRmT1_T2_T3_mT4_P12ihipStream_tbEUlT_E0_NS1_11comp_targetILNS1_3genE5ELNS1_11target_archE942ELNS1_3gpuE9ELNS1_3repE0EEENS1_30default_config_static_selectorELNS0_4arch9wavefront6targetE1EEEvSD_.has_dyn_sized_stack, 0
	.set _ZN7rocprim17ROCPRIM_400000_NS6detail17trampoline_kernelINS0_14default_configENS1_22reduce_config_selectorItEEZNS1_11reduce_implILb1ES3_PtS7_t11plus_mod_10ItEEE10hipError_tPvRmT1_T2_T3_mT4_P12ihipStream_tbEUlT_E0_NS1_11comp_targetILNS1_3genE5ELNS1_11target_archE942ELNS1_3gpuE9ELNS1_3repE0EEENS1_30default_config_static_selectorELNS0_4arch9wavefront6targetE1EEEvSD_.has_recursion, 0
	.set _ZN7rocprim17ROCPRIM_400000_NS6detail17trampoline_kernelINS0_14default_configENS1_22reduce_config_selectorItEEZNS1_11reduce_implILb1ES3_PtS7_t11plus_mod_10ItEEE10hipError_tPvRmT1_T2_T3_mT4_P12ihipStream_tbEUlT_E0_NS1_11comp_targetILNS1_3genE5ELNS1_11target_archE942ELNS1_3gpuE9ELNS1_3repE0EEENS1_30default_config_static_selectorELNS0_4arch9wavefront6targetE1EEEvSD_.has_indirect_call, 0
	.section	.AMDGPU.csdata,"",@progbits
; Kernel info:
; codeLenInByte = 0
; TotalNumSgprs: 6
; NumVgprs: 0
; NumAgprs: 0
; TotalNumVgprs: 0
; ScratchSize: 0
; MemoryBound: 0
; FloatMode: 240
; IeeeMode: 1
; LDSByteSize: 0 bytes/workgroup (compile time only)
; SGPRBlocks: 0
; VGPRBlocks: 0
; NumSGPRsForWavesPerEU: 6
; NumVGPRsForWavesPerEU: 1
; AccumOffset: 4
; Occupancy: 8
; WaveLimiterHint : 0
; COMPUTE_PGM_RSRC2:SCRATCH_EN: 0
; COMPUTE_PGM_RSRC2:USER_SGPR: 2
; COMPUTE_PGM_RSRC2:TRAP_HANDLER: 0
; COMPUTE_PGM_RSRC2:TGID_X_EN: 1
; COMPUTE_PGM_RSRC2:TGID_Y_EN: 0
; COMPUTE_PGM_RSRC2:TGID_Z_EN: 0
; COMPUTE_PGM_RSRC2:TIDIG_COMP_CNT: 0
; COMPUTE_PGM_RSRC3_GFX90A:ACCUM_OFFSET: 0
; COMPUTE_PGM_RSRC3_GFX90A:TG_SPLIT: 0
	.section	.text._ZN7rocprim17ROCPRIM_400000_NS6detail17trampoline_kernelINS0_14default_configENS1_22reduce_config_selectorItEEZNS1_11reduce_implILb1ES3_PtS7_t11plus_mod_10ItEEE10hipError_tPvRmT1_T2_T3_mT4_P12ihipStream_tbEUlT_E0_NS1_11comp_targetILNS1_3genE4ELNS1_11target_archE910ELNS1_3gpuE8ELNS1_3repE0EEENS1_30default_config_static_selectorELNS0_4arch9wavefront6targetE1EEEvSD_,"axG",@progbits,_ZN7rocprim17ROCPRIM_400000_NS6detail17trampoline_kernelINS0_14default_configENS1_22reduce_config_selectorItEEZNS1_11reduce_implILb1ES3_PtS7_t11plus_mod_10ItEEE10hipError_tPvRmT1_T2_T3_mT4_P12ihipStream_tbEUlT_E0_NS1_11comp_targetILNS1_3genE4ELNS1_11target_archE910ELNS1_3gpuE8ELNS1_3repE0EEENS1_30default_config_static_selectorELNS0_4arch9wavefront6targetE1EEEvSD_,comdat
	.protected	_ZN7rocprim17ROCPRIM_400000_NS6detail17trampoline_kernelINS0_14default_configENS1_22reduce_config_selectorItEEZNS1_11reduce_implILb1ES3_PtS7_t11plus_mod_10ItEEE10hipError_tPvRmT1_T2_T3_mT4_P12ihipStream_tbEUlT_E0_NS1_11comp_targetILNS1_3genE4ELNS1_11target_archE910ELNS1_3gpuE8ELNS1_3repE0EEENS1_30default_config_static_selectorELNS0_4arch9wavefront6targetE1EEEvSD_ ; -- Begin function _ZN7rocprim17ROCPRIM_400000_NS6detail17trampoline_kernelINS0_14default_configENS1_22reduce_config_selectorItEEZNS1_11reduce_implILb1ES3_PtS7_t11plus_mod_10ItEEE10hipError_tPvRmT1_T2_T3_mT4_P12ihipStream_tbEUlT_E0_NS1_11comp_targetILNS1_3genE4ELNS1_11target_archE910ELNS1_3gpuE8ELNS1_3repE0EEENS1_30default_config_static_selectorELNS0_4arch9wavefront6targetE1EEEvSD_
	.globl	_ZN7rocprim17ROCPRIM_400000_NS6detail17trampoline_kernelINS0_14default_configENS1_22reduce_config_selectorItEEZNS1_11reduce_implILb1ES3_PtS7_t11plus_mod_10ItEEE10hipError_tPvRmT1_T2_T3_mT4_P12ihipStream_tbEUlT_E0_NS1_11comp_targetILNS1_3genE4ELNS1_11target_archE910ELNS1_3gpuE8ELNS1_3repE0EEENS1_30default_config_static_selectorELNS0_4arch9wavefront6targetE1EEEvSD_
	.p2align	8
	.type	_ZN7rocprim17ROCPRIM_400000_NS6detail17trampoline_kernelINS0_14default_configENS1_22reduce_config_selectorItEEZNS1_11reduce_implILb1ES3_PtS7_t11plus_mod_10ItEEE10hipError_tPvRmT1_T2_T3_mT4_P12ihipStream_tbEUlT_E0_NS1_11comp_targetILNS1_3genE4ELNS1_11target_archE910ELNS1_3gpuE8ELNS1_3repE0EEENS1_30default_config_static_selectorELNS0_4arch9wavefront6targetE1EEEvSD_,@function
_ZN7rocprim17ROCPRIM_400000_NS6detail17trampoline_kernelINS0_14default_configENS1_22reduce_config_selectorItEEZNS1_11reduce_implILb1ES3_PtS7_t11plus_mod_10ItEEE10hipError_tPvRmT1_T2_T3_mT4_P12ihipStream_tbEUlT_E0_NS1_11comp_targetILNS1_3genE4ELNS1_11target_archE910ELNS1_3gpuE8ELNS1_3repE0EEENS1_30default_config_static_selectorELNS0_4arch9wavefront6targetE1EEEvSD_: ; @_ZN7rocprim17ROCPRIM_400000_NS6detail17trampoline_kernelINS0_14default_configENS1_22reduce_config_selectorItEEZNS1_11reduce_implILb1ES3_PtS7_t11plus_mod_10ItEEE10hipError_tPvRmT1_T2_T3_mT4_P12ihipStream_tbEUlT_E0_NS1_11comp_targetILNS1_3genE4ELNS1_11target_archE910ELNS1_3gpuE8ELNS1_3repE0EEENS1_30default_config_static_selectorELNS0_4arch9wavefront6targetE1EEEvSD_
; %bb.0:
	.section	.rodata,"a",@progbits
	.p2align	6, 0x0
	.amdhsa_kernel _ZN7rocprim17ROCPRIM_400000_NS6detail17trampoline_kernelINS0_14default_configENS1_22reduce_config_selectorItEEZNS1_11reduce_implILb1ES3_PtS7_t11plus_mod_10ItEEE10hipError_tPvRmT1_T2_T3_mT4_P12ihipStream_tbEUlT_E0_NS1_11comp_targetILNS1_3genE4ELNS1_11target_archE910ELNS1_3gpuE8ELNS1_3repE0EEENS1_30default_config_static_selectorELNS0_4arch9wavefront6targetE1EEEvSD_
		.amdhsa_group_segment_fixed_size 0
		.amdhsa_private_segment_fixed_size 0
		.amdhsa_kernarg_size 56
		.amdhsa_user_sgpr_count 2
		.amdhsa_user_sgpr_dispatch_ptr 0
		.amdhsa_user_sgpr_queue_ptr 0
		.amdhsa_user_sgpr_kernarg_segment_ptr 1
		.amdhsa_user_sgpr_dispatch_id 0
		.amdhsa_user_sgpr_kernarg_preload_length 0
		.amdhsa_user_sgpr_kernarg_preload_offset 0
		.amdhsa_user_sgpr_private_segment_size 0
		.amdhsa_uses_dynamic_stack 0
		.amdhsa_enable_private_segment 0
		.amdhsa_system_sgpr_workgroup_id_x 1
		.amdhsa_system_sgpr_workgroup_id_y 0
		.amdhsa_system_sgpr_workgroup_id_z 0
		.amdhsa_system_sgpr_workgroup_info 0
		.amdhsa_system_vgpr_workitem_id 0
		.amdhsa_next_free_vgpr 1
		.amdhsa_next_free_sgpr 0
		.amdhsa_accum_offset 4
		.amdhsa_reserve_vcc 0
		.amdhsa_float_round_mode_32 0
		.amdhsa_float_round_mode_16_64 0
		.amdhsa_float_denorm_mode_32 3
		.amdhsa_float_denorm_mode_16_64 3
		.amdhsa_dx10_clamp 1
		.amdhsa_ieee_mode 1
		.amdhsa_fp16_overflow 0
		.amdhsa_tg_split 0
		.amdhsa_exception_fp_ieee_invalid_op 0
		.amdhsa_exception_fp_denorm_src 0
		.amdhsa_exception_fp_ieee_div_zero 0
		.amdhsa_exception_fp_ieee_overflow 0
		.amdhsa_exception_fp_ieee_underflow 0
		.amdhsa_exception_fp_ieee_inexact 0
		.amdhsa_exception_int_div_zero 0
	.end_amdhsa_kernel
	.section	.text._ZN7rocprim17ROCPRIM_400000_NS6detail17trampoline_kernelINS0_14default_configENS1_22reduce_config_selectorItEEZNS1_11reduce_implILb1ES3_PtS7_t11plus_mod_10ItEEE10hipError_tPvRmT1_T2_T3_mT4_P12ihipStream_tbEUlT_E0_NS1_11comp_targetILNS1_3genE4ELNS1_11target_archE910ELNS1_3gpuE8ELNS1_3repE0EEENS1_30default_config_static_selectorELNS0_4arch9wavefront6targetE1EEEvSD_,"axG",@progbits,_ZN7rocprim17ROCPRIM_400000_NS6detail17trampoline_kernelINS0_14default_configENS1_22reduce_config_selectorItEEZNS1_11reduce_implILb1ES3_PtS7_t11plus_mod_10ItEEE10hipError_tPvRmT1_T2_T3_mT4_P12ihipStream_tbEUlT_E0_NS1_11comp_targetILNS1_3genE4ELNS1_11target_archE910ELNS1_3gpuE8ELNS1_3repE0EEENS1_30default_config_static_selectorELNS0_4arch9wavefront6targetE1EEEvSD_,comdat
.Lfunc_end623:
	.size	_ZN7rocprim17ROCPRIM_400000_NS6detail17trampoline_kernelINS0_14default_configENS1_22reduce_config_selectorItEEZNS1_11reduce_implILb1ES3_PtS7_t11plus_mod_10ItEEE10hipError_tPvRmT1_T2_T3_mT4_P12ihipStream_tbEUlT_E0_NS1_11comp_targetILNS1_3genE4ELNS1_11target_archE910ELNS1_3gpuE8ELNS1_3repE0EEENS1_30default_config_static_selectorELNS0_4arch9wavefront6targetE1EEEvSD_, .Lfunc_end623-_ZN7rocprim17ROCPRIM_400000_NS6detail17trampoline_kernelINS0_14default_configENS1_22reduce_config_selectorItEEZNS1_11reduce_implILb1ES3_PtS7_t11plus_mod_10ItEEE10hipError_tPvRmT1_T2_T3_mT4_P12ihipStream_tbEUlT_E0_NS1_11comp_targetILNS1_3genE4ELNS1_11target_archE910ELNS1_3gpuE8ELNS1_3repE0EEENS1_30default_config_static_selectorELNS0_4arch9wavefront6targetE1EEEvSD_
                                        ; -- End function
	.set _ZN7rocprim17ROCPRIM_400000_NS6detail17trampoline_kernelINS0_14default_configENS1_22reduce_config_selectorItEEZNS1_11reduce_implILb1ES3_PtS7_t11plus_mod_10ItEEE10hipError_tPvRmT1_T2_T3_mT4_P12ihipStream_tbEUlT_E0_NS1_11comp_targetILNS1_3genE4ELNS1_11target_archE910ELNS1_3gpuE8ELNS1_3repE0EEENS1_30default_config_static_selectorELNS0_4arch9wavefront6targetE1EEEvSD_.num_vgpr, 0
	.set _ZN7rocprim17ROCPRIM_400000_NS6detail17trampoline_kernelINS0_14default_configENS1_22reduce_config_selectorItEEZNS1_11reduce_implILb1ES3_PtS7_t11plus_mod_10ItEEE10hipError_tPvRmT1_T2_T3_mT4_P12ihipStream_tbEUlT_E0_NS1_11comp_targetILNS1_3genE4ELNS1_11target_archE910ELNS1_3gpuE8ELNS1_3repE0EEENS1_30default_config_static_selectorELNS0_4arch9wavefront6targetE1EEEvSD_.num_agpr, 0
	.set _ZN7rocprim17ROCPRIM_400000_NS6detail17trampoline_kernelINS0_14default_configENS1_22reduce_config_selectorItEEZNS1_11reduce_implILb1ES3_PtS7_t11plus_mod_10ItEEE10hipError_tPvRmT1_T2_T3_mT4_P12ihipStream_tbEUlT_E0_NS1_11comp_targetILNS1_3genE4ELNS1_11target_archE910ELNS1_3gpuE8ELNS1_3repE0EEENS1_30default_config_static_selectorELNS0_4arch9wavefront6targetE1EEEvSD_.numbered_sgpr, 0
	.set _ZN7rocprim17ROCPRIM_400000_NS6detail17trampoline_kernelINS0_14default_configENS1_22reduce_config_selectorItEEZNS1_11reduce_implILb1ES3_PtS7_t11plus_mod_10ItEEE10hipError_tPvRmT1_T2_T3_mT4_P12ihipStream_tbEUlT_E0_NS1_11comp_targetILNS1_3genE4ELNS1_11target_archE910ELNS1_3gpuE8ELNS1_3repE0EEENS1_30default_config_static_selectorELNS0_4arch9wavefront6targetE1EEEvSD_.num_named_barrier, 0
	.set _ZN7rocprim17ROCPRIM_400000_NS6detail17trampoline_kernelINS0_14default_configENS1_22reduce_config_selectorItEEZNS1_11reduce_implILb1ES3_PtS7_t11plus_mod_10ItEEE10hipError_tPvRmT1_T2_T3_mT4_P12ihipStream_tbEUlT_E0_NS1_11comp_targetILNS1_3genE4ELNS1_11target_archE910ELNS1_3gpuE8ELNS1_3repE0EEENS1_30default_config_static_selectorELNS0_4arch9wavefront6targetE1EEEvSD_.private_seg_size, 0
	.set _ZN7rocprim17ROCPRIM_400000_NS6detail17trampoline_kernelINS0_14default_configENS1_22reduce_config_selectorItEEZNS1_11reduce_implILb1ES3_PtS7_t11plus_mod_10ItEEE10hipError_tPvRmT1_T2_T3_mT4_P12ihipStream_tbEUlT_E0_NS1_11comp_targetILNS1_3genE4ELNS1_11target_archE910ELNS1_3gpuE8ELNS1_3repE0EEENS1_30default_config_static_selectorELNS0_4arch9wavefront6targetE1EEEvSD_.uses_vcc, 0
	.set _ZN7rocprim17ROCPRIM_400000_NS6detail17trampoline_kernelINS0_14default_configENS1_22reduce_config_selectorItEEZNS1_11reduce_implILb1ES3_PtS7_t11plus_mod_10ItEEE10hipError_tPvRmT1_T2_T3_mT4_P12ihipStream_tbEUlT_E0_NS1_11comp_targetILNS1_3genE4ELNS1_11target_archE910ELNS1_3gpuE8ELNS1_3repE0EEENS1_30default_config_static_selectorELNS0_4arch9wavefront6targetE1EEEvSD_.uses_flat_scratch, 0
	.set _ZN7rocprim17ROCPRIM_400000_NS6detail17trampoline_kernelINS0_14default_configENS1_22reduce_config_selectorItEEZNS1_11reduce_implILb1ES3_PtS7_t11plus_mod_10ItEEE10hipError_tPvRmT1_T2_T3_mT4_P12ihipStream_tbEUlT_E0_NS1_11comp_targetILNS1_3genE4ELNS1_11target_archE910ELNS1_3gpuE8ELNS1_3repE0EEENS1_30default_config_static_selectorELNS0_4arch9wavefront6targetE1EEEvSD_.has_dyn_sized_stack, 0
	.set _ZN7rocprim17ROCPRIM_400000_NS6detail17trampoline_kernelINS0_14default_configENS1_22reduce_config_selectorItEEZNS1_11reduce_implILb1ES3_PtS7_t11plus_mod_10ItEEE10hipError_tPvRmT1_T2_T3_mT4_P12ihipStream_tbEUlT_E0_NS1_11comp_targetILNS1_3genE4ELNS1_11target_archE910ELNS1_3gpuE8ELNS1_3repE0EEENS1_30default_config_static_selectorELNS0_4arch9wavefront6targetE1EEEvSD_.has_recursion, 0
	.set _ZN7rocprim17ROCPRIM_400000_NS6detail17trampoline_kernelINS0_14default_configENS1_22reduce_config_selectorItEEZNS1_11reduce_implILb1ES3_PtS7_t11plus_mod_10ItEEE10hipError_tPvRmT1_T2_T3_mT4_P12ihipStream_tbEUlT_E0_NS1_11comp_targetILNS1_3genE4ELNS1_11target_archE910ELNS1_3gpuE8ELNS1_3repE0EEENS1_30default_config_static_selectorELNS0_4arch9wavefront6targetE1EEEvSD_.has_indirect_call, 0
	.section	.AMDGPU.csdata,"",@progbits
; Kernel info:
; codeLenInByte = 0
; TotalNumSgprs: 6
; NumVgprs: 0
; NumAgprs: 0
; TotalNumVgprs: 0
; ScratchSize: 0
; MemoryBound: 0
; FloatMode: 240
; IeeeMode: 1
; LDSByteSize: 0 bytes/workgroup (compile time only)
; SGPRBlocks: 0
; VGPRBlocks: 0
; NumSGPRsForWavesPerEU: 6
; NumVGPRsForWavesPerEU: 1
; AccumOffset: 4
; Occupancy: 8
; WaveLimiterHint : 0
; COMPUTE_PGM_RSRC2:SCRATCH_EN: 0
; COMPUTE_PGM_RSRC2:USER_SGPR: 2
; COMPUTE_PGM_RSRC2:TRAP_HANDLER: 0
; COMPUTE_PGM_RSRC2:TGID_X_EN: 1
; COMPUTE_PGM_RSRC2:TGID_Y_EN: 0
; COMPUTE_PGM_RSRC2:TGID_Z_EN: 0
; COMPUTE_PGM_RSRC2:TIDIG_COMP_CNT: 0
; COMPUTE_PGM_RSRC3_GFX90A:ACCUM_OFFSET: 0
; COMPUTE_PGM_RSRC3_GFX90A:TG_SPLIT: 0
	.section	.text._ZN7rocprim17ROCPRIM_400000_NS6detail17trampoline_kernelINS0_14default_configENS1_22reduce_config_selectorItEEZNS1_11reduce_implILb1ES3_PtS7_t11plus_mod_10ItEEE10hipError_tPvRmT1_T2_T3_mT4_P12ihipStream_tbEUlT_E0_NS1_11comp_targetILNS1_3genE3ELNS1_11target_archE908ELNS1_3gpuE7ELNS1_3repE0EEENS1_30default_config_static_selectorELNS0_4arch9wavefront6targetE1EEEvSD_,"axG",@progbits,_ZN7rocprim17ROCPRIM_400000_NS6detail17trampoline_kernelINS0_14default_configENS1_22reduce_config_selectorItEEZNS1_11reduce_implILb1ES3_PtS7_t11plus_mod_10ItEEE10hipError_tPvRmT1_T2_T3_mT4_P12ihipStream_tbEUlT_E0_NS1_11comp_targetILNS1_3genE3ELNS1_11target_archE908ELNS1_3gpuE7ELNS1_3repE0EEENS1_30default_config_static_selectorELNS0_4arch9wavefront6targetE1EEEvSD_,comdat
	.protected	_ZN7rocprim17ROCPRIM_400000_NS6detail17trampoline_kernelINS0_14default_configENS1_22reduce_config_selectorItEEZNS1_11reduce_implILb1ES3_PtS7_t11plus_mod_10ItEEE10hipError_tPvRmT1_T2_T3_mT4_P12ihipStream_tbEUlT_E0_NS1_11comp_targetILNS1_3genE3ELNS1_11target_archE908ELNS1_3gpuE7ELNS1_3repE0EEENS1_30default_config_static_selectorELNS0_4arch9wavefront6targetE1EEEvSD_ ; -- Begin function _ZN7rocprim17ROCPRIM_400000_NS6detail17trampoline_kernelINS0_14default_configENS1_22reduce_config_selectorItEEZNS1_11reduce_implILb1ES3_PtS7_t11plus_mod_10ItEEE10hipError_tPvRmT1_T2_T3_mT4_P12ihipStream_tbEUlT_E0_NS1_11comp_targetILNS1_3genE3ELNS1_11target_archE908ELNS1_3gpuE7ELNS1_3repE0EEENS1_30default_config_static_selectorELNS0_4arch9wavefront6targetE1EEEvSD_
	.globl	_ZN7rocprim17ROCPRIM_400000_NS6detail17trampoline_kernelINS0_14default_configENS1_22reduce_config_selectorItEEZNS1_11reduce_implILb1ES3_PtS7_t11plus_mod_10ItEEE10hipError_tPvRmT1_T2_T3_mT4_P12ihipStream_tbEUlT_E0_NS1_11comp_targetILNS1_3genE3ELNS1_11target_archE908ELNS1_3gpuE7ELNS1_3repE0EEENS1_30default_config_static_selectorELNS0_4arch9wavefront6targetE1EEEvSD_
	.p2align	8
	.type	_ZN7rocprim17ROCPRIM_400000_NS6detail17trampoline_kernelINS0_14default_configENS1_22reduce_config_selectorItEEZNS1_11reduce_implILb1ES3_PtS7_t11plus_mod_10ItEEE10hipError_tPvRmT1_T2_T3_mT4_P12ihipStream_tbEUlT_E0_NS1_11comp_targetILNS1_3genE3ELNS1_11target_archE908ELNS1_3gpuE7ELNS1_3repE0EEENS1_30default_config_static_selectorELNS0_4arch9wavefront6targetE1EEEvSD_,@function
_ZN7rocprim17ROCPRIM_400000_NS6detail17trampoline_kernelINS0_14default_configENS1_22reduce_config_selectorItEEZNS1_11reduce_implILb1ES3_PtS7_t11plus_mod_10ItEEE10hipError_tPvRmT1_T2_T3_mT4_P12ihipStream_tbEUlT_E0_NS1_11comp_targetILNS1_3genE3ELNS1_11target_archE908ELNS1_3gpuE7ELNS1_3repE0EEENS1_30default_config_static_selectorELNS0_4arch9wavefront6targetE1EEEvSD_: ; @_ZN7rocprim17ROCPRIM_400000_NS6detail17trampoline_kernelINS0_14default_configENS1_22reduce_config_selectorItEEZNS1_11reduce_implILb1ES3_PtS7_t11plus_mod_10ItEEE10hipError_tPvRmT1_T2_T3_mT4_P12ihipStream_tbEUlT_E0_NS1_11comp_targetILNS1_3genE3ELNS1_11target_archE908ELNS1_3gpuE7ELNS1_3repE0EEENS1_30default_config_static_selectorELNS0_4arch9wavefront6targetE1EEEvSD_
; %bb.0:
	.section	.rodata,"a",@progbits
	.p2align	6, 0x0
	.amdhsa_kernel _ZN7rocprim17ROCPRIM_400000_NS6detail17trampoline_kernelINS0_14default_configENS1_22reduce_config_selectorItEEZNS1_11reduce_implILb1ES3_PtS7_t11plus_mod_10ItEEE10hipError_tPvRmT1_T2_T3_mT4_P12ihipStream_tbEUlT_E0_NS1_11comp_targetILNS1_3genE3ELNS1_11target_archE908ELNS1_3gpuE7ELNS1_3repE0EEENS1_30default_config_static_selectorELNS0_4arch9wavefront6targetE1EEEvSD_
		.amdhsa_group_segment_fixed_size 0
		.amdhsa_private_segment_fixed_size 0
		.amdhsa_kernarg_size 56
		.amdhsa_user_sgpr_count 2
		.amdhsa_user_sgpr_dispatch_ptr 0
		.amdhsa_user_sgpr_queue_ptr 0
		.amdhsa_user_sgpr_kernarg_segment_ptr 1
		.amdhsa_user_sgpr_dispatch_id 0
		.amdhsa_user_sgpr_kernarg_preload_length 0
		.amdhsa_user_sgpr_kernarg_preload_offset 0
		.amdhsa_user_sgpr_private_segment_size 0
		.amdhsa_uses_dynamic_stack 0
		.amdhsa_enable_private_segment 0
		.amdhsa_system_sgpr_workgroup_id_x 1
		.amdhsa_system_sgpr_workgroup_id_y 0
		.amdhsa_system_sgpr_workgroup_id_z 0
		.amdhsa_system_sgpr_workgroup_info 0
		.amdhsa_system_vgpr_workitem_id 0
		.amdhsa_next_free_vgpr 1
		.amdhsa_next_free_sgpr 0
		.amdhsa_accum_offset 4
		.amdhsa_reserve_vcc 0
		.amdhsa_float_round_mode_32 0
		.amdhsa_float_round_mode_16_64 0
		.amdhsa_float_denorm_mode_32 3
		.amdhsa_float_denorm_mode_16_64 3
		.amdhsa_dx10_clamp 1
		.amdhsa_ieee_mode 1
		.amdhsa_fp16_overflow 0
		.amdhsa_tg_split 0
		.amdhsa_exception_fp_ieee_invalid_op 0
		.amdhsa_exception_fp_denorm_src 0
		.amdhsa_exception_fp_ieee_div_zero 0
		.amdhsa_exception_fp_ieee_overflow 0
		.amdhsa_exception_fp_ieee_underflow 0
		.amdhsa_exception_fp_ieee_inexact 0
		.amdhsa_exception_int_div_zero 0
	.end_amdhsa_kernel
	.section	.text._ZN7rocprim17ROCPRIM_400000_NS6detail17trampoline_kernelINS0_14default_configENS1_22reduce_config_selectorItEEZNS1_11reduce_implILb1ES3_PtS7_t11plus_mod_10ItEEE10hipError_tPvRmT1_T2_T3_mT4_P12ihipStream_tbEUlT_E0_NS1_11comp_targetILNS1_3genE3ELNS1_11target_archE908ELNS1_3gpuE7ELNS1_3repE0EEENS1_30default_config_static_selectorELNS0_4arch9wavefront6targetE1EEEvSD_,"axG",@progbits,_ZN7rocprim17ROCPRIM_400000_NS6detail17trampoline_kernelINS0_14default_configENS1_22reduce_config_selectorItEEZNS1_11reduce_implILb1ES3_PtS7_t11plus_mod_10ItEEE10hipError_tPvRmT1_T2_T3_mT4_P12ihipStream_tbEUlT_E0_NS1_11comp_targetILNS1_3genE3ELNS1_11target_archE908ELNS1_3gpuE7ELNS1_3repE0EEENS1_30default_config_static_selectorELNS0_4arch9wavefront6targetE1EEEvSD_,comdat
.Lfunc_end624:
	.size	_ZN7rocprim17ROCPRIM_400000_NS6detail17trampoline_kernelINS0_14default_configENS1_22reduce_config_selectorItEEZNS1_11reduce_implILb1ES3_PtS7_t11plus_mod_10ItEEE10hipError_tPvRmT1_T2_T3_mT4_P12ihipStream_tbEUlT_E0_NS1_11comp_targetILNS1_3genE3ELNS1_11target_archE908ELNS1_3gpuE7ELNS1_3repE0EEENS1_30default_config_static_selectorELNS0_4arch9wavefront6targetE1EEEvSD_, .Lfunc_end624-_ZN7rocprim17ROCPRIM_400000_NS6detail17trampoline_kernelINS0_14default_configENS1_22reduce_config_selectorItEEZNS1_11reduce_implILb1ES3_PtS7_t11plus_mod_10ItEEE10hipError_tPvRmT1_T2_T3_mT4_P12ihipStream_tbEUlT_E0_NS1_11comp_targetILNS1_3genE3ELNS1_11target_archE908ELNS1_3gpuE7ELNS1_3repE0EEENS1_30default_config_static_selectorELNS0_4arch9wavefront6targetE1EEEvSD_
                                        ; -- End function
	.set _ZN7rocprim17ROCPRIM_400000_NS6detail17trampoline_kernelINS0_14default_configENS1_22reduce_config_selectorItEEZNS1_11reduce_implILb1ES3_PtS7_t11plus_mod_10ItEEE10hipError_tPvRmT1_T2_T3_mT4_P12ihipStream_tbEUlT_E0_NS1_11comp_targetILNS1_3genE3ELNS1_11target_archE908ELNS1_3gpuE7ELNS1_3repE0EEENS1_30default_config_static_selectorELNS0_4arch9wavefront6targetE1EEEvSD_.num_vgpr, 0
	.set _ZN7rocprim17ROCPRIM_400000_NS6detail17trampoline_kernelINS0_14default_configENS1_22reduce_config_selectorItEEZNS1_11reduce_implILb1ES3_PtS7_t11plus_mod_10ItEEE10hipError_tPvRmT1_T2_T3_mT4_P12ihipStream_tbEUlT_E0_NS1_11comp_targetILNS1_3genE3ELNS1_11target_archE908ELNS1_3gpuE7ELNS1_3repE0EEENS1_30default_config_static_selectorELNS0_4arch9wavefront6targetE1EEEvSD_.num_agpr, 0
	.set _ZN7rocprim17ROCPRIM_400000_NS6detail17trampoline_kernelINS0_14default_configENS1_22reduce_config_selectorItEEZNS1_11reduce_implILb1ES3_PtS7_t11plus_mod_10ItEEE10hipError_tPvRmT1_T2_T3_mT4_P12ihipStream_tbEUlT_E0_NS1_11comp_targetILNS1_3genE3ELNS1_11target_archE908ELNS1_3gpuE7ELNS1_3repE0EEENS1_30default_config_static_selectorELNS0_4arch9wavefront6targetE1EEEvSD_.numbered_sgpr, 0
	.set _ZN7rocprim17ROCPRIM_400000_NS6detail17trampoline_kernelINS0_14default_configENS1_22reduce_config_selectorItEEZNS1_11reduce_implILb1ES3_PtS7_t11plus_mod_10ItEEE10hipError_tPvRmT1_T2_T3_mT4_P12ihipStream_tbEUlT_E0_NS1_11comp_targetILNS1_3genE3ELNS1_11target_archE908ELNS1_3gpuE7ELNS1_3repE0EEENS1_30default_config_static_selectorELNS0_4arch9wavefront6targetE1EEEvSD_.num_named_barrier, 0
	.set _ZN7rocprim17ROCPRIM_400000_NS6detail17trampoline_kernelINS0_14default_configENS1_22reduce_config_selectorItEEZNS1_11reduce_implILb1ES3_PtS7_t11plus_mod_10ItEEE10hipError_tPvRmT1_T2_T3_mT4_P12ihipStream_tbEUlT_E0_NS1_11comp_targetILNS1_3genE3ELNS1_11target_archE908ELNS1_3gpuE7ELNS1_3repE0EEENS1_30default_config_static_selectorELNS0_4arch9wavefront6targetE1EEEvSD_.private_seg_size, 0
	.set _ZN7rocprim17ROCPRIM_400000_NS6detail17trampoline_kernelINS0_14default_configENS1_22reduce_config_selectorItEEZNS1_11reduce_implILb1ES3_PtS7_t11plus_mod_10ItEEE10hipError_tPvRmT1_T2_T3_mT4_P12ihipStream_tbEUlT_E0_NS1_11comp_targetILNS1_3genE3ELNS1_11target_archE908ELNS1_3gpuE7ELNS1_3repE0EEENS1_30default_config_static_selectorELNS0_4arch9wavefront6targetE1EEEvSD_.uses_vcc, 0
	.set _ZN7rocprim17ROCPRIM_400000_NS6detail17trampoline_kernelINS0_14default_configENS1_22reduce_config_selectorItEEZNS1_11reduce_implILb1ES3_PtS7_t11plus_mod_10ItEEE10hipError_tPvRmT1_T2_T3_mT4_P12ihipStream_tbEUlT_E0_NS1_11comp_targetILNS1_3genE3ELNS1_11target_archE908ELNS1_3gpuE7ELNS1_3repE0EEENS1_30default_config_static_selectorELNS0_4arch9wavefront6targetE1EEEvSD_.uses_flat_scratch, 0
	.set _ZN7rocprim17ROCPRIM_400000_NS6detail17trampoline_kernelINS0_14default_configENS1_22reduce_config_selectorItEEZNS1_11reduce_implILb1ES3_PtS7_t11plus_mod_10ItEEE10hipError_tPvRmT1_T2_T3_mT4_P12ihipStream_tbEUlT_E0_NS1_11comp_targetILNS1_3genE3ELNS1_11target_archE908ELNS1_3gpuE7ELNS1_3repE0EEENS1_30default_config_static_selectorELNS0_4arch9wavefront6targetE1EEEvSD_.has_dyn_sized_stack, 0
	.set _ZN7rocprim17ROCPRIM_400000_NS6detail17trampoline_kernelINS0_14default_configENS1_22reduce_config_selectorItEEZNS1_11reduce_implILb1ES3_PtS7_t11plus_mod_10ItEEE10hipError_tPvRmT1_T2_T3_mT4_P12ihipStream_tbEUlT_E0_NS1_11comp_targetILNS1_3genE3ELNS1_11target_archE908ELNS1_3gpuE7ELNS1_3repE0EEENS1_30default_config_static_selectorELNS0_4arch9wavefront6targetE1EEEvSD_.has_recursion, 0
	.set _ZN7rocprim17ROCPRIM_400000_NS6detail17trampoline_kernelINS0_14default_configENS1_22reduce_config_selectorItEEZNS1_11reduce_implILb1ES3_PtS7_t11plus_mod_10ItEEE10hipError_tPvRmT1_T2_T3_mT4_P12ihipStream_tbEUlT_E0_NS1_11comp_targetILNS1_3genE3ELNS1_11target_archE908ELNS1_3gpuE7ELNS1_3repE0EEENS1_30default_config_static_selectorELNS0_4arch9wavefront6targetE1EEEvSD_.has_indirect_call, 0
	.section	.AMDGPU.csdata,"",@progbits
; Kernel info:
; codeLenInByte = 0
; TotalNumSgprs: 6
; NumVgprs: 0
; NumAgprs: 0
; TotalNumVgprs: 0
; ScratchSize: 0
; MemoryBound: 0
; FloatMode: 240
; IeeeMode: 1
; LDSByteSize: 0 bytes/workgroup (compile time only)
; SGPRBlocks: 0
; VGPRBlocks: 0
; NumSGPRsForWavesPerEU: 6
; NumVGPRsForWavesPerEU: 1
; AccumOffset: 4
; Occupancy: 8
; WaveLimiterHint : 0
; COMPUTE_PGM_RSRC2:SCRATCH_EN: 0
; COMPUTE_PGM_RSRC2:USER_SGPR: 2
; COMPUTE_PGM_RSRC2:TRAP_HANDLER: 0
; COMPUTE_PGM_RSRC2:TGID_X_EN: 1
; COMPUTE_PGM_RSRC2:TGID_Y_EN: 0
; COMPUTE_PGM_RSRC2:TGID_Z_EN: 0
; COMPUTE_PGM_RSRC2:TIDIG_COMP_CNT: 0
; COMPUTE_PGM_RSRC3_GFX90A:ACCUM_OFFSET: 0
; COMPUTE_PGM_RSRC3_GFX90A:TG_SPLIT: 0
	.section	.text._ZN7rocprim17ROCPRIM_400000_NS6detail17trampoline_kernelINS0_14default_configENS1_22reduce_config_selectorItEEZNS1_11reduce_implILb1ES3_PtS7_t11plus_mod_10ItEEE10hipError_tPvRmT1_T2_T3_mT4_P12ihipStream_tbEUlT_E0_NS1_11comp_targetILNS1_3genE2ELNS1_11target_archE906ELNS1_3gpuE6ELNS1_3repE0EEENS1_30default_config_static_selectorELNS0_4arch9wavefront6targetE1EEEvSD_,"axG",@progbits,_ZN7rocprim17ROCPRIM_400000_NS6detail17trampoline_kernelINS0_14default_configENS1_22reduce_config_selectorItEEZNS1_11reduce_implILb1ES3_PtS7_t11plus_mod_10ItEEE10hipError_tPvRmT1_T2_T3_mT4_P12ihipStream_tbEUlT_E0_NS1_11comp_targetILNS1_3genE2ELNS1_11target_archE906ELNS1_3gpuE6ELNS1_3repE0EEENS1_30default_config_static_selectorELNS0_4arch9wavefront6targetE1EEEvSD_,comdat
	.protected	_ZN7rocprim17ROCPRIM_400000_NS6detail17trampoline_kernelINS0_14default_configENS1_22reduce_config_selectorItEEZNS1_11reduce_implILb1ES3_PtS7_t11plus_mod_10ItEEE10hipError_tPvRmT1_T2_T3_mT4_P12ihipStream_tbEUlT_E0_NS1_11comp_targetILNS1_3genE2ELNS1_11target_archE906ELNS1_3gpuE6ELNS1_3repE0EEENS1_30default_config_static_selectorELNS0_4arch9wavefront6targetE1EEEvSD_ ; -- Begin function _ZN7rocprim17ROCPRIM_400000_NS6detail17trampoline_kernelINS0_14default_configENS1_22reduce_config_selectorItEEZNS1_11reduce_implILb1ES3_PtS7_t11plus_mod_10ItEEE10hipError_tPvRmT1_T2_T3_mT4_P12ihipStream_tbEUlT_E0_NS1_11comp_targetILNS1_3genE2ELNS1_11target_archE906ELNS1_3gpuE6ELNS1_3repE0EEENS1_30default_config_static_selectorELNS0_4arch9wavefront6targetE1EEEvSD_
	.globl	_ZN7rocprim17ROCPRIM_400000_NS6detail17trampoline_kernelINS0_14default_configENS1_22reduce_config_selectorItEEZNS1_11reduce_implILb1ES3_PtS7_t11plus_mod_10ItEEE10hipError_tPvRmT1_T2_T3_mT4_P12ihipStream_tbEUlT_E0_NS1_11comp_targetILNS1_3genE2ELNS1_11target_archE906ELNS1_3gpuE6ELNS1_3repE0EEENS1_30default_config_static_selectorELNS0_4arch9wavefront6targetE1EEEvSD_
	.p2align	8
	.type	_ZN7rocprim17ROCPRIM_400000_NS6detail17trampoline_kernelINS0_14default_configENS1_22reduce_config_selectorItEEZNS1_11reduce_implILb1ES3_PtS7_t11plus_mod_10ItEEE10hipError_tPvRmT1_T2_T3_mT4_P12ihipStream_tbEUlT_E0_NS1_11comp_targetILNS1_3genE2ELNS1_11target_archE906ELNS1_3gpuE6ELNS1_3repE0EEENS1_30default_config_static_selectorELNS0_4arch9wavefront6targetE1EEEvSD_,@function
_ZN7rocprim17ROCPRIM_400000_NS6detail17trampoline_kernelINS0_14default_configENS1_22reduce_config_selectorItEEZNS1_11reduce_implILb1ES3_PtS7_t11plus_mod_10ItEEE10hipError_tPvRmT1_T2_T3_mT4_P12ihipStream_tbEUlT_E0_NS1_11comp_targetILNS1_3genE2ELNS1_11target_archE906ELNS1_3gpuE6ELNS1_3repE0EEENS1_30default_config_static_selectorELNS0_4arch9wavefront6targetE1EEEvSD_: ; @_ZN7rocprim17ROCPRIM_400000_NS6detail17trampoline_kernelINS0_14default_configENS1_22reduce_config_selectorItEEZNS1_11reduce_implILb1ES3_PtS7_t11plus_mod_10ItEEE10hipError_tPvRmT1_T2_T3_mT4_P12ihipStream_tbEUlT_E0_NS1_11comp_targetILNS1_3genE2ELNS1_11target_archE906ELNS1_3gpuE6ELNS1_3repE0EEENS1_30default_config_static_selectorELNS0_4arch9wavefront6targetE1EEEvSD_
; %bb.0:
	.section	.rodata,"a",@progbits
	.p2align	6, 0x0
	.amdhsa_kernel _ZN7rocprim17ROCPRIM_400000_NS6detail17trampoline_kernelINS0_14default_configENS1_22reduce_config_selectorItEEZNS1_11reduce_implILb1ES3_PtS7_t11plus_mod_10ItEEE10hipError_tPvRmT1_T2_T3_mT4_P12ihipStream_tbEUlT_E0_NS1_11comp_targetILNS1_3genE2ELNS1_11target_archE906ELNS1_3gpuE6ELNS1_3repE0EEENS1_30default_config_static_selectorELNS0_4arch9wavefront6targetE1EEEvSD_
		.amdhsa_group_segment_fixed_size 0
		.amdhsa_private_segment_fixed_size 0
		.amdhsa_kernarg_size 56
		.amdhsa_user_sgpr_count 2
		.amdhsa_user_sgpr_dispatch_ptr 0
		.amdhsa_user_sgpr_queue_ptr 0
		.amdhsa_user_sgpr_kernarg_segment_ptr 1
		.amdhsa_user_sgpr_dispatch_id 0
		.amdhsa_user_sgpr_kernarg_preload_length 0
		.amdhsa_user_sgpr_kernarg_preload_offset 0
		.amdhsa_user_sgpr_private_segment_size 0
		.amdhsa_uses_dynamic_stack 0
		.amdhsa_enable_private_segment 0
		.amdhsa_system_sgpr_workgroup_id_x 1
		.amdhsa_system_sgpr_workgroup_id_y 0
		.amdhsa_system_sgpr_workgroup_id_z 0
		.amdhsa_system_sgpr_workgroup_info 0
		.amdhsa_system_vgpr_workitem_id 0
		.amdhsa_next_free_vgpr 1
		.amdhsa_next_free_sgpr 0
		.amdhsa_accum_offset 4
		.amdhsa_reserve_vcc 0
		.amdhsa_float_round_mode_32 0
		.amdhsa_float_round_mode_16_64 0
		.amdhsa_float_denorm_mode_32 3
		.amdhsa_float_denorm_mode_16_64 3
		.amdhsa_dx10_clamp 1
		.amdhsa_ieee_mode 1
		.amdhsa_fp16_overflow 0
		.amdhsa_tg_split 0
		.amdhsa_exception_fp_ieee_invalid_op 0
		.amdhsa_exception_fp_denorm_src 0
		.amdhsa_exception_fp_ieee_div_zero 0
		.amdhsa_exception_fp_ieee_overflow 0
		.amdhsa_exception_fp_ieee_underflow 0
		.amdhsa_exception_fp_ieee_inexact 0
		.amdhsa_exception_int_div_zero 0
	.end_amdhsa_kernel
	.section	.text._ZN7rocprim17ROCPRIM_400000_NS6detail17trampoline_kernelINS0_14default_configENS1_22reduce_config_selectorItEEZNS1_11reduce_implILb1ES3_PtS7_t11plus_mod_10ItEEE10hipError_tPvRmT1_T2_T3_mT4_P12ihipStream_tbEUlT_E0_NS1_11comp_targetILNS1_3genE2ELNS1_11target_archE906ELNS1_3gpuE6ELNS1_3repE0EEENS1_30default_config_static_selectorELNS0_4arch9wavefront6targetE1EEEvSD_,"axG",@progbits,_ZN7rocprim17ROCPRIM_400000_NS6detail17trampoline_kernelINS0_14default_configENS1_22reduce_config_selectorItEEZNS1_11reduce_implILb1ES3_PtS7_t11plus_mod_10ItEEE10hipError_tPvRmT1_T2_T3_mT4_P12ihipStream_tbEUlT_E0_NS1_11comp_targetILNS1_3genE2ELNS1_11target_archE906ELNS1_3gpuE6ELNS1_3repE0EEENS1_30default_config_static_selectorELNS0_4arch9wavefront6targetE1EEEvSD_,comdat
.Lfunc_end625:
	.size	_ZN7rocprim17ROCPRIM_400000_NS6detail17trampoline_kernelINS0_14default_configENS1_22reduce_config_selectorItEEZNS1_11reduce_implILb1ES3_PtS7_t11plus_mod_10ItEEE10hipError_tPvRmT1_T2_T3_mT4_P12ihipStream_tbEUlT_E0_NS1_11comp_targetILNS1_3genE2ELNS1_11target_archE906ELNS1_3gpuE6ELNS1_3repE0EEENS1_30default_config_static_selectorELNS0_4arch9wavefront6targetE1EEEvSD_, .Lfunc_end625-_ZN7rocprim17ROCPRIM_400000_NS6detail17trampoline_kernelINS0_14default_configENS1_22reduce_config_selectorItEEZNS1_11reduce_implILb1ES3_PtS7_t11plus_mod_10ItEEE10hipError_tPvRmT1_T2_T3_mT4_P12ihipStream_tbEUlT_E0_NS1_11comp_targetILNS1_3genE2ELNS1_11target_archE906ELNS1_3gpuE6ELNS1_3repE0EEENS1_30default_config_static_selectorELNS0_4arch9wavefront6targetE1EEEvSD_
                                        ; -- End function
	.set _ZN7rocprim17ROCPRIM_400000_NS6detail17trampoline_kernelINS0_14default_configENS1_22reduce_config_selectorItEEZNS1_11reduce_implILb1ES3_PtS7_t11plus_mod_10ItEEE10hipError_tPvRmT1_T2_T3_mT4_P12ihipStream_tbEUlT_E0_NS1_11comp_targetILNS1_3genE2ELNS1_11target_archE906ELNS1_3gpuE6ELNS1_3repE0EEENS1_30default_config_static_selectorELNS0_4arch9wavefront6targetE1EEEvSD_.num_vgpr, 0
	.set _ZN7rocprim17ROCPRIM_400000_NS6detail17trampoline_kernelINS0_14default_configENS1_22reduce_config_selectorItEEZNS1_11reduce_implILb1ES3_PtS7_t11plus_mod_10ItEEE10hipError_tPvRmT1_T2_T3_mT4_P12ihipStream_tbEUlT_E0_NS1_11comp_targetILNS1_3genE2ELNS1_11target_archE906ELNS1_3gpuE6ELNS1_3repE0EEENS1_30default_config_static_selectorELNS0_4arch9wavefront6targetE1EEEvSD_.num_agpr, 0
	.set _ZN7rocprim17ROCPRIM_400000_NS6detail17trampoline_kernelINS0_14default_configENS1_22reduce_config_selectorItEEZNS1_11reduce_implILb1ES3_PtS7_t11plus_mod_10ItEEE10hipError_tPvRmT1_T2_T3_mT4_P12ihipStream_tbEUlT_E0_NS1_11comp_targetILNS1_3genE2ELNS1_11target_archE906ELNS1_3gpuE6ELNS1_3repE0EEENS1_30default_config_static_selectorELNS0_4arch9wavefront6targetE1EEEvSD_.numbered_sgpr, 0
	.set _ZN7rocprim17ROCPRIM_400000_NS6detail17trampoline_kernelINS0_14default_configENS1_22reduce_config_selectorItEEZNS1_11reduce_implILb1ES3_PtS7_t11plus_mod_10ItEEE10hipError_tPvRmT1_T2_T3_mT4_P12ihipStream_tbEUlT_E0_NS1_11comp_targetILNS1_3genE2ELNS1_11target_archE906ELNS1_3gpuE6ELNS1_3repE0EEENS1_30default_config_static_selectorELNS0_4arch9wavefront6targetE1EEEvSD_.num_named_barrier, 0
	.set _ZN7rocprim17ROCPRIM_400000_NS6detail17trampoline_kernelINS0_14default_configENS1_22reduce_config_selectorItEEZNS1_11reduce_implILb1ES3_PtS7_t11plus_mod_10ItEEE10hipError_tPvRmT1_T2_T3_mT4_P12ihipStream_tbEUlT_E0_NS1_11comp_targetILNS1_3genE2ELNS1_11target_archE906ELNS1_3gpuE6ELNS1_3repE0EEENS1_30default_config_static_selectorELNS0_4arch9wavefront6targetE1EEEvSD_.private_seg_size, 0
	.set _ZN7rocprim17ROCPRIM_400000_NS6detail17trampoline_kernelINS0_14default_configENS1_22reduce_config_selectorItEEZNS1_11reduce_implILb1ES3_PtS7_t11plus_mod_10ItEEE10hipError_tPvRmT1_T2_T3_mT4_P12ihipStream_tbEUlT_E0_NS1_11comp_targetILNS1_3genE2ELNS1_11target_archE906ELNS1_3gpuE6ELNS1_3repE0EEENS1_30default_config_static_selectorELNS0_4arch9wavefront6targetE1EEEvSD_.uses_vcc, 0
	.set _ZN7rocprim17ROCPRIM_400000_NS6detail17trampoline_kernelINS0_14default_configENS1_22reduce_config_selectorItEEZNS1_11reduce_implILb1ES3_PtS7_t11plus_mod_10ItEEE10hipError_tPvRmT1_T2_T3_mT4_P12ihipStream_tbEUlT_E0_NS1_11comp_targetILNS1_3genE2ELNS1_11target_archE906ELNS1_3gpuE6ELNS1_3repE0EEENS1_30default_config_static_selectorELNS0_4arch9wavefront6targetE1EEEvSD_.uses_flat_scratch, 0
	.set _ZN7rocprim17ROCPRIM_400000_NS6detail17trampoline_kernelINS0_14default_configENS1_22reduce_config_selectorItEEZNS1_11reduce_implILb1ES3_PtS7_t11plus_mod_10ItEEE10hipError_tPvRmT1_T2_T3_mT4_P12ihipStream_tbEUlT_E0_NS1_11comp_targetILNS1_3genE2ELNS1_11target_archE906ELNS1_3gpuE6ELNS1_3repE0EEENS1_30default_config_static_selectorELNS0_4arch9wavefront6targetE1EEEvSD_.has_dyn_sized_stack, 0
	.set _ZN7rocprim17ROCPRIM_400000_NS6detail17trampoline_kernelINS0_14default_configENS1_22reduce_config_selectorItEEZNS1_11reduce_implILb1ES3_PtS7_t11plus_mod_10ItEEE10hipError_tPvRmT1_T2_T3_mT4_P12ihipStream_tbEUlT_E0_NS1_11comp_targetILNS1_3genE2ELNS1_11target_archE906ELNS1_3gpuE6ELNS1_3repE0EEENS1_30default_config_static_selectorELNS0_4arch9wavefront6targetE1EEEvSD_.has_recursion, 0
	.set _ZN7rocprim17ROCPRIM_400000_NS6detail17trampoline_kernelINS0_14default_configENS1_22reduce_config_selectorItEEZNS1_11reduce_implILb1ES3_PtS7_t11plus_mod_10ItEEE10hipError_tPvRmT1_T2_T3_mT4_P12ihipStream_tbEUlT_E0_NS1_11comp_targetILNS1_3genE2ELNS1_11target_archE906ELNS1_3gpuE6ELNS1_3repE0EEENS1_30default_config_static_selectorELNS0_4arch9wavefront6targetE1EEEvSD_.has_indirect_call, 0
	.section	.AMDGPU.csdata,"",@progbits
; Kernel info:
; codeLenInByte = 0
; TotalNumSgprs: 6
; NumVgprs: 0
; NumAgprs: 0
; TotalNumVgprs: 0
; ScratchSize: 0
; MemoryBound: 0
; FloatMode: 240
; IeeeMode: 1
; LDSByteSize: 0 bytes/workgroup (compile time only)
; SGPRBlocks: 0
; VGPRBlocks: 0
; NumSGPRsForWavesPerEU: 6
; NumVGPRsForWavesPerEU: 1
; AccumOffset: 4
; Occupancy: 8
; WaveLimiterHint : 0
; COMPUTE_PGM_RSRC2:SCRATCH_EN: 0
; COMPUTE_PGM_RSRC2:USER_SGPR: 2
; COMPUTE_PGM_RSRC2:TRAP_HANDLER: 0
; COMPUTE_PGM_RSRC2:TGID_X_EN: 1
; COMPUTE_PGM_RSRC2:TGID_Y_EN: 0
; COMPUTE_PGM_RSRC2:TGID_Z_EN: 0
; COMPUTE_PGM_RSRC2:TIDIG_COMP_CNT: 0
; COMPUTE_PGM_RSRC3_GFX90A:ACCUM_OFFSET: 0
; COMPUTE_PGM_RSRC3_GFX90A:TG_SPLIT: 0
	.section	.text._ZN7rocprim17ROCPRIM_400000_NS6detail17trampoline_kernelINS0_14default_configENS1_22reduce_config_selectorItEEZNS1_11reduce_implILb1ES3_PtS7_t11plus_mod_10ItEEE10hipError_tPvRmT1_T2_T3_mT4_P12ihipStream_tbEUlT_E0_NS1_11comp_targetILNS1_3genE10ELNS1_11target_archE1201ELNS1_3gpuE5ELNS1_3repE0EEENS1_30default_config_static_selectorELNS0_4arch9wavefront6targetE1EEEvSD_,"axG",@progbits,_ZN7rocprim17ROCPRIM_400000_NS6detail17trampoline_kernelINS0_14default_configENS1_22reduce_config_selectorItEEZNS1_11reduce_implILb1ES3_PtS7_t11plus_mod_10ItEEE10hipError_tPvRmT1_T2_T3_mT4_P12ihipStream_tbEUlT_E0_NS1_11comp_targetILNS1_3genE10ELNS1_11target_archE1201ELNS1_3gpuE5ELNS1_3repE0EEENS1_30default_config_static_selectorELNS0_4arch9wavefront6targetE1EEEvSD_,comdat
	.protected	_ZN7rocprim17ROCPRIM_400000_NS6detail17trampoline_kernelINS0_14default_configENS1_22reduce_config_selectorItEEZNS1_11reduce_implILb1ES3_PtS7_t11plus_mod_10ItEEE10hipError_tPvRmT1_T2_T3_mT4_P12ihipStream_tbEUlT_E0_NS1_11comp_targetILNS1_3genE10ELNS1_11target_archE1201ELNS1_3gpuE5ELNS1_3repE0EEENS1_30default_config_static_selectorELNS0_4arch9wavefront6targetE1EEEvSD_ ; -- Begin function _ZN7rocprim17ROCPRIM_400000_NS6detail17trampoline_kernelINS0_14default_configENS1_22reduce_config_selectorItEEZNS1_11reduce_implILb1ES3_PtS7_t11plus_mod_10ItEEE10hipError_tPvRmT1_T2_T3_mT4_P12ihipStream_tbEUlT_E0_NS1_11comp_targetILNS1_3genE10ELNS1_11target_archE1201ELNS1_3gpuE5ELNS1_3repE0EEENS1_30default_config_static_selectorELNS0_4arch9wavefront6targetE1EEEvSD_
	.globl	_ZN7rocprim17ROCPRIM_400000_NS6detail17trampoline_kernelINS0_14default_configENS1_22reduce_config_selectorItEEZNS1_11reduce_implILb1ES3_PtS7_t11plus_mod_10ItEEE10hipError_tPvRmT1_T2_T3_mT4_P12ihipStream_tbEUlT_E0_NS1_11comp_targetILNS1_3genE10ELNS1_11target_archE1201ELNS1_3gpuE5ELNS1_3repE0EEENS1_30default_config_static_selectorELNS0_4arch9wavefront6targetE1EEEvSD_
	.p2align	8
	.type	_ZN7rocprim17ROCPRIM_400000_NS6detail17trampoline_kernelINS0_14default_configENS1_22reduce_config_selectorItEEZNS1_11reduce_implILb1ES3_PtS7_t11plus_mod_10ItEEE10hipError_tPvRmT1_T2_T3_mT4_P12ihipStream_tbEUlT_E0_NS1_11comp_targetILNS1_3genE10ELNS1_11target_archE1201ELNS1_3gpuE5ELNS1_3repE0EEENS1_30default_config_static_selectorELNS0_4arch9wavefront6targetE1EEEvSD_,@function
_ZN7rocprim17ROCPRIM_400000_NS6detail17trampoline_kernelINS0_14default_configENS1_22reduce_config_selectorItEEZNS1_11reduce_implILb1ES3_PtS7_t11plus_mod_10ItEEE10hipError_tPvRmT1_T2_T3_mT4_P12ihipStream_tbEUlT_E0_NS1_11comp_targetILNS1_3genE10ELNS1_11target_archE1201ELNS1_3gpuE5ELNS1_3repE0EEENS1_30default_config_static_selectorELNS0_4arch9wavefront6targetE1EEEvSD_: ; @_ZN7rocprim17ROCPRIM_400000_NS6detail17trampoline_kernelINS0_14default_configENS1_22reduce_config_selectorItEEZNS1_11reduce_implILb1ES3_PtS7_t11plus_mod_10ItEEE10hipError_tPvRmT1_T2_T3_mT4_P12ihipStream_tbEUlT_E0_NS1_11comp_targetILNS1_3genE10ELNS1_11target_archE1201ELNS1_3gpuE5ELNS1_3repE0EEENS1_30default_config_static_selectorELNS0_4arch9wavefront6targetE1EEEvSD_
; %bb.0:
	.section	.rodata,"a",@progbits
	.p2align	6, 0x0
	.amdhsa_kernel _ZN7rocprim17ROCPRIM_400000_NS6detail17trampoline_kernelINS0_14default_configENS1_22reduce_config_selectorItEEZNS1_11reduce_implILb1ES3_PtS7_t11plus_mod_10ItEEE10hipError_tPvRmT1_T2_T3_mT4_P12ihipStream_tbEUlT_E0_NS1_11comp_targetILNS1_3genE10ELNS1_11target_archE1201ELNS1_3gpuE5ELNS1_3repE0EEENS1_30default_config_static_selectorELNS0_4arch9wavefront6targetE1EEEvSD_
		.amdhsa_group_segment_fixed_size 0
		.amdhsa_private_segment_fixed_size 0
		.amdhsa_kernarg_size 56
		.amdhsa_user_sgpr_count 2
		.amdhsa_user_sgpr_dispatch_ptr 0
		.amdhsa_user_sgpr_queue_ptr 0
		.amdhsa_user_sgpr_kernarg_segment_ptr 1
		.amdhsa_user_sgpr_dispatch_id 0
		.amdhsa_user_sgpr_kernarg_preload_length 0
		.amdhsa_user_sgpr_kernarg_preload_offset 0
		.amdhsa_user_sgpr_private_segment_size 0
		.amdhsa_uses_dynamic_stack 0
		.amdhsa_enable_private_segment 0
		.amdhsa_system_sgpr_workgroup_id_x 1
		.amdhsa_system_sgpr_workgroup_id_y 0
		.amdhsa_system_sgpr_workgroup_id_z 0
		.amdhsa_system_sgpr_workgroup_info 0
		.amdhsa_system_vgpr_workitem_id 0
		.amdhsa_next_free_vgpr 1
		.amdhsa_next_free_sgpr 0
		.amdhsa_accum_offset 4
		.amdhsa_reserve_vcc 0
		.amdhsa_float_round_mode_32 0
		.amdhsa_float_round_mode_16_64 0
		.amdhsa_float_denorm_mode_32 3
		.amdhsa_float_denorm_mode_16_64 3
		.amdhsa_dx10_clamp 1
		.amdhsa_ieee_mode 1
		.amdhsa_fp16_overflow 0
		.amdhsa_tg_split 0
		.amdhsa_exception_fp_ieee_invalid_op 0
		.amdhsa_exception_fp_denorm_src 0
		.amdhsa_exception_fp_ieee_div_zero 0
		.amdhsa_exception_fp_ieee_overflow 0
		.amdhsa_exception_fp_ieee_underflow 0
		.amdhsa_exception_fp_ieee_inexact 0
		.amdhsa_exception_int_div_zero 0
	.end_amdhsa_kernel
	.section	.text._ZN7rocprim17ROCPRIM_400000_NS6detail17trampoline_kernelINS0_14default_configENS1_22reduce_config_selectorItEEZNS1_11reduce_implILb1ES3_PtS7_t11plus_mod_10ItEEE10hipError_tPvRmT1_T2_T3_mT4_P12ihipStream_tbEUlT_E0_NS1_11comp_targetILNS1_3genE10ELNS1_11target_archE1201ELNS1_3gpuE5ELNS1_3repE0EEENS1_30default_config_static_selectorELNS0_4arch9wavefront6targetE1EEEvSD_,"axG",@progbits,_ZN7rocprim17ROCPRIM_400000_NS6detail17trampoline_kernelINS0_14default_configENS1_22reduce_config_selectorItEEZNS1_11reduce_implILb1ES3_PtS7_t11plus_mod_10ItEEE10hipError_tPvRmT1_T2_T3_mT4_P12ihipStream_tbEUlT_E0_NS1_11comp_targetILNS1_3genE10ELNS1_11target_archE1201ELNS1_3gpuE5ELNS1_3repE0EEENS1_30default_config_static_selectorELNS0_4arch9wavefront6targetE1EEEvSD_,comdat
.Lfunc_end626:
	.size	_ZN7rocprim17ROCPRIM_400000_NS6detail17trampoline_kernelINS0_14default_configENS1_22reduce_config_selectorItEEZNS1_11reduce_implILb1ES3_PtS7_t11plus_mod_10ItEEE10hipError_tPvRmT1_T2_T3_mT4_P12ihipStream_tbEUlT_E0_NS1_11comp_targetILNS1_3genE10ELNS1_11target_archE1201ELNS1_3gpuE5ELNS1_3repE0EEENS1_30default_config_static_selectorELNS0_4arch9wavefront6targetE1EEEvSD_, .Lfunc_end626-_ZN7rocprim17ROCPRIM_400000_NS6detail17trampoline_kernelINS0_14default_configENS1_22reduce_config_selectorItEEZNS1_11reduce_implILb1ES3_PtS7_t11plus_mod_10ItEEE10hipError_tPvRmT1_T2_T3_mT4_P12ihipStream_tbEUlT_E0_NS1_11comp_targetILNS1_3genE10ELNS1_11target_archE1201ELNS1_3gpuE5ELNS1_3repE0EEENS1_30default_config_static_selectorELNS0_4arch9wavefront6targetE1EEEvSD_
                                        ; -- End function
	.set _ZN7rocprim17ROCPRIM_400000_NS6detail17trampoline_kernelINS0_14default_configENS1_22reduce_config_selectorItEEZNS1_11reduce_implILb1ES3_PtS7_t11plus_mod_10ItEEE10hipError_tPvRmT1_T2_T3_mT4_P12ihipStream_tbEUlT_E0_NS1_11comp_targetILNS1_3genE10ELNS1_11target_archE1201ELNS1_3gpuE5ELNS1_3repE0EEENS1_30default_config_static_selectorELNS0_4arch9wavefront6targetE1EEEvSD_.num_vgpr, 0
	.set _ZN7rocprim17ROCPRIM_400000_NS6detail17trampoline_kernelINS0_14default_configENS1_22reduce_config_selectorItEEZNS1_11reduce_implILb1ES3_PtS7_t11plus_mod_10ItEEE10hipError_tPvRmT1_T2_T3_mT4_P12ihipStream_tbEUlT_E0_NS1_11comp_targetILNS1_3genE10ELNS1_11target_archE1201ELNS1_3gpuE5ELNS1_3repE0EEENS1_30default_config_static_selectorELNS0_4arch9wavefront6targetE1EEEvSD_.num_agpr, 0
	.set _ZN7rocprim17ROCPRIM_400000_NS6detail17trampoline_kernelINS0_14default_configENS1_22reduce_config_selectorItEEZNS1_11reduce_implILb1ES3_PtS7_t11plus_mod_10ItEEE10hipError_tPvRmT1_T2_T3_mT4_P12ihipStream_tbEUlT_E0_NS1_11comp_targetILNS1_3genE10ELNS1_11target_archE1201ELNS1_3gpuE5ELNS1_3repE0EEENS1_30default_config_static_selectorELNS0_4arch9wavefront6targetE1EEEvSD_.numbered_sgpr, 0
	.set _ZN7rocprim17ROCPRIM_400000_NS6detail17trampoline_kernelINS0_14default_configENS1_22reduce_config_selectorItEEZNS1_11reduce_implILb1ES3_PtS7_t11plus_mod_10ItEEE10hipError_tPvRmT1_T2_T3_mT4_P12ihipStream_tbEUlT_E0_NS1_11comp_targetILNS1_3genE10ELNS1_11target_archE1201ELNS1_3gpuE5ELNS1_3repE0EEENS1_30default_config_static_selectorELNS0_4arch9wavefront6targetE1EEEvSD_.num_named_barrier, 0
	.set _ZN7rocprim17ROCPRIM_400000_NS6detail17trampoline_kernelINS0_14default_configENS1_22reduce_config_selectorItEEZNS1_11reduce_implILb1ES3_PtS7_t11plus_mod_10ItEEE10hipError_tPvRmT1_T2_T3_mT4_P12ihipStream_tbEUlT_E0_NS1_11comp_targetILNS1_3genE10ELNS1_11target_archE1201ELNS1_3gpuE5ELNS1_3repE0EEENS1_30default_config_static_selectorELNS0_4arch9wavefront6targetE1EEEvSD_.private_seg_size, 0
	.set _ZN7rocprim17ROCPRIM_400000_NS6detail17trampoline_kernelINS0_14default_configENS1_22reduce_config_selectorItEEZNS1_11reduce_implILb1ES3_PtS7_t11plus_mod_10ItEEE10hipError_tPvRmT1_T2_T3_mT4_P12ihipStream_tbEUlT_E0_NS1_11comp_targetILNS1_3genE10ELNS1_11target_archE1201ELNS1_3gpuE5ELNS1_3repE0EEENS1_30default_config_static_selectorELNS0_4arch9wavefront6targetE1EEEvSD_.uses_vcc, 0
	.set _ZN7rocprim17ROCPRIM_400000_NS6detail17trampoline_kernelINS0_14default_configENS1_22reduce_config_selectorItEEZNS1_11reduce_implILb1ES3_PtS7_t11plus_mod_10ItEEE10hipError_tPvRmT1_T2_T3_mT4_P12ihipStream_tbEUlT_E0_NS1_11comp_targetILNS1_3genE10ELNS1_11target_archE1201ELNS1_3gpuE5ELNS1_3repE0EEENS1_30default_config_static_selectorELNS0_4arch9wavefront6targetE1EEEvSD_.uses_flat_scratch, 0
	.set _ZN7rocprim17ROCPRIM_400000_NS6detail17trampoline_kernelINS0_14default_configENS1_22reduce_config_selectorItEEZNS1_11reduce_implILb1ES3_PtS7_t11plus_mod_10ItEEE10hipError_tPvRmT1_T2_T3_mT4_P12ihipStream_tbEUlT_E0_NS1_11comp_targetILNS1_3genE10ELNS1_11target_archE1201ELNS1_3gpuE5ELNS1_3repE0EEENS1_30default_config_static_selectorELNS0_4arch9wavefront6targetE1EEEvSD_.has_dyn_sized_stack, 0
	.set _ZN7rocprim17ROCPRIM_400000_NS6detail17trampoline_kernelINS0_14default_configENS1_22reduce_config_selectorItEEZNS1_11reduce_implILb1ES3_PtS7_t11plus_mod_10ItEEE10hipError_tPvRmT1_T2_T3_mT4_P12ihipStream_tbEUlT_E0_NS1_11comp_targetILNS1_3genE10ELNS1_11target_archE1201ELNS1_3gpuE5ELNS1_3repE0EEENS1_30default_config_static_selectorELNS0_4arch9wavefront6targetE1EEEvSD_.has_recursion, 0
	.set _ZN7rocprim17ROCPRIM_400000_NS6detail17trampoline_kernelINS0_14default_configENS1_22reduce_config_selectorItEEZNS1_11reduce_implILb1ES3_PtS7_t11plus_mod_10ItEEE10hipError_tPvRmT1_T2_T3_mT4_P12ihipStream_tbEUlT_E0_NS1_11comp_targetILNS1_3genE10ELNS1_11target_archE1201ELNS1_3gpuE5ELNS1_3repE0EEENS1_30default_config_static_selectorELNS0_4arch9wavefront6targetE1EEEvSD_.has_indirect_call, 0
	.section	.AMDGPU.csdata,"",@progbits
; Kernel info:
; codeLenInByte = 0
; TotalNumSgprs: 6
; NumVgprs: 0
; NumAgprs: 0
; TotalNumVgprs: 0
; ScratchSize: 0
; MemoryBound: 0
; FloatMode: 240
; IeeeMode: 1
; LDSByteSize: 0 bytes/workgroup (compile time only)
; SGPRBlocks: 0
; VGPRBlocks: 0
; NumSGPRsForWavesPerEU: 6
; NumVGPRsForWavesPerEU: 1
; AccumOffset: 4
; Occupancy: 8
; WaveLimiterHint : 0
; COMPUTE_PGM_RSRC2:SCRATCH_EN: 0
; COMPUTE_PGM_RSRC2:USER_SGPR: 2
; COMPUTE_PGM_RSRC2:TRAP_HANDLER: 0
; COMPUTE_PGM_RSRC2:TGID_X_EN: 1
; COMPUTE_PGM_RSRC2:TGID_Y_EN: 0
; COMPUTE_PGM_RSRC2:TGID_Z_EN: 0
; COMPUTE_PGM_RSRC2:TIDIG_COMP_CNT: 0
; COMPUTE_PGM_RSRC3_GFX90A:ACCUM_OFFSET: 0
; COMPUTE_PGM_RSRC3_GFX90A:TG_SPLIT: 0
	.section	.text._ZN7rocprim17ROCPRIM_400000_NS6detail17trampoline_kernelINS0_14default_configENS1_22reduce_config_selectorItEEZNS1_11reduce_implILb1ES3_PtS7_t11plus_mod_10ItEEE10hipError_tPvRmT1_T2_T3_mT4_P12ihipStream_tbEUlT_E0_NS1_11comp_targetILNS1_3genE10ELNS1_11target_archE1200ELNS1_3gpuE4ELNS1_3repE0EEENS1_30default_config_static_selectorELNS0_4arch9wavefront6targetE1EEEvSD_,"axG",@progbits,_ZN7rocprim17ROCPRIM_400000_NS6detail17trampoline_kernelINS0_14default_configENS1_22reduce_config_selectorItEEZNS1_11reduce_implILb1ES3_PtS7_t11plus_mod_10ItEEE10hipError_tPvRmT1_T2_T3_mT4_P12ihipStream_tbEUlT_E0_NS1_11comp_targetILNS1_3genE10ELNS1_11target_archE1200ELNS1_3gpuE4ELNS1_3repE0EEENS1_30default_config_static_selectorELNS0_4arch9wavefront6targetE1EEEvSD_,comdat
	.protected	_ZN7rocprim17ROCPRIM_400000_NS6detail17trampoline_kernelINS0_14default_configENS1_22reduce_config_selectorItEEZNS1_11reduce_implILb1ES3_PtS7_t11plus_mod_10ItEEE10hipError_tPvRmT1_T2_T3_mT4_P12ihipStream_tbEUlT_E0_NS1_11comp_targetILNS1_3genE10ELNS1_11target_archE1200ELNS1_3gpuE4ELNS1_3repE0EEENS1_30default_config_static_selectorELNS0_4arch9wavefront6targetE1EEEvSD_ ; -- Begin function _ZN7rocprim17ROCPRIM_400000_NS6detail17trampoline_kernelINS0_14default_configENS1_22reduce_config_selectorItEEZNS1_11reduce_implILb1ES3_PtS7_t11plus_mod_10ItEEE10hipError_tPvRmT1_T2_T3_mT4_P12ihipStream_tbEUlT_E0_NS1_11comp_targetILNS1_3genE10ELNS1_11target_archE1200ELNS1_3gpuE4ELNS1_3repE0EEENS1_30default_config_static_selectorELNS0_4arch9wavefront6targetE1EEEvSD_
	.globl	_ZN7rocprim17ROCPRIM_400000_NS6detail17trampoline_kernelINS0_14default_configENS1_22reduce_config_selectorItEEZNS1_11reduce_implILb1ES3_PtS7_t11plus_mod_10ItEEE10hipError_tPvRmT1_T2_T3_mT4_P12ihipStream_tbEUlT_E0_NS1_11comp_targetILNS1_3genE10ELNS1_11target_archE1200ELNS1_3gpuE4ELNS1_3repE0EEENS1_30default_config_static_selectorELNS0_4arch9wavefront6targetE1EEEvSD_
	.p2align	8
	.type	_ZN7rocprim17ROCPRIM_400000_NS6detail17trampoline_kernelINS0_14default_configENS1_22reduce_config_selectorItEEZNS1_11reduce_implILb1ES3_PtS7_t11plus_mod_10ItEEE10hipError_tPvRmT1_T2_T3_mT4_P12ihipStream_tbEUlT_E0_NS1_11comp_targetILNS1_3genE10ELNS1_11target_archE1200ELNS1_3gpuE4ELNS1_3repE0EEENS1_30default_config_static_selectorELNS0_4arch9wavefront6targetE1EEEvSD_,@function
_ZN7rocprim17ROCPRIM_400000_NS6detail17trampoline_kernelINS0_14default_configENS1_22reduce_config_selectorItEEZNS1_11reduce_implILb1ES3_PtS7_t11plus_mod_10ItEEE10hipError_tPvRmT1_T2_T3_mT4_P12ihipStream_tbEUlT_E0_NS1_11comp_targetILNS1_3genE10ELNS1_11target_archE1200ELNS1_3gpuE4ELNS1_3repE0EEENS1_30default_config_static_selectorELNS0_4arch9wavefront6targetE1EEEvSD_: ; @_ZN7rocprim17ROCPRIM_400000_NS6detail17trampoline_kernelINS0_14default_configENS1_22reduce_config_selectorItEEZNS1_11reduce_implILb1ES3_PtS7_t11plus_mod_10ItEEE10hipError_tPvRmT1_T2_T3_mT4_P12ihipStream_tbEUlT_E0_NS1_11comp_targetILNS1_3genE10ELNS1_11target_archE1200ELNS1_3gpuE4ELNS1_3repE0EEENS1_30default_config_static_selectorELNS0_4arch9wavefront6targetE1EEEvSD_
; %bb.0:
	.section	.rodata,"a",@progbits
	.p2align	6, 0x0
	.amdhsa_kernel _ZN7rocprim17ROCPRIM_400000_NS6detail17trampoline_kernelINS0_14default_configENS1_22reduce_config_selectorItEEZNS1_11reduce_implILb1ES3_PtS7_t11plus_mod_10ItEEE10hipError_tPvRmT1_T2_T3_mT4_P12ihipStream_tbEUlT_E0_NS1_11comp_targetILNS1_3genE10ELNS1_11target_archE1200ELNS1_3gpuE4ELNS1_3repE0EEENS1_30default_config_static_selectorELNS0_4arch9wavefront6targetE1EEEvSD_
		.amdhsa_group_segment_fixed_size 0
		.amdhsa_private_segment_fixed_size 0
		.amdhsa_kernarg_size 56
		.amdhsa_user_sgpr_count 2
		.amdhsa_user_sgpr_dispatch_ptr 0
		.amdhsa_user_sgpr_queue_ptr 0
		.amdhsa_user_sgpr_kernarg_segment_ptr 1
		.amdhsa_user_sgpr_dispatch_id 0
		.amdhsa_user_sgpr_kernarg_preload_length 0
		.amdhsa_user_sgpr_kernarg_preload_offset 0
		.amdhsa_user_sgpr_private_segment_size 0
		.amdhsa_uses_dynamic_stack 0
		.amdhsa_enable_private_segment 0
		.amdhsa_system_sgpr_workgroup_id_x 1
		.amdhsa_system_sgpr_workgroup_id_y 0
		.amdhsa_system_sgpr_workgroup_id_z 0
		.amdhsa_system_sgpr_workgroup_info 0
		.amdhsa_system_vgpr_workitem_id 0
		.amdhsa_next_free_vgpr 1
		.amdhsa_next_free_sgpr 0
		.amdhsa_accum_offset 4
		.amdhsa_reserve_vcc 0
		.amdhsa_float_round_mode_32 0
		.amdhsa_float_round_mode_16_64 0
		.amdhsa_float_denorm_mode_32 3
		.amdhsa_float_denorm_mode_16_64 3
		.amdhsa_dx10_clamp 1
		.amdhsa_ieee_mode 1
		.amdhsa_fp16_overflow 0
		.amdhsa_tg_split 0
		.amdhsa_exception_fp_ieee_invalid_op 0
		.amdhsa_exception_fp_denorm_src 0
		.amdhsa_exception_fp_ieee_div_zero 0
		.amdhsa_exception_fp_ieee_overflow 0
		.amdhsa_exception_fp_ieee_underflow 0
		.amdhsa_exception_fp_ieee_inexact 0
		.amdhsa_exception_int_div_zero 0
	.end_amdhsa_kernel
	.section	.text._ZN7rocprim17ROCPRIM_400000_NS6detail17trampoline_kernelINS0_14default_configENS1_22reduce_config_selectorItEEZNS1_11reduce_implILb1ES3_PtS7_t11plus_mod_10ItEEE10hipError_tPvRmT1_T2_T3_mT4_P12ihipStream_tbEUlT_E0_NS1_11comp_targetILNS1_3genE10ELNS1_11target_archE1200ELNS1_3gpuE4ELNS1_3repE0EEENS1_30default_config_static_selectorELNS0_4arch9wavefront6targetE1EEEvSD_,"axG",@progbits,_ZN7rocprim17ROCPRIM_400000_NS6detail17trampoline_kernelINS0_14default_configENS1_22reduce_config_selectorItEEZNS1_11reduce_implILb1ES3_PtS7_t11plus_mod_10ItEEE10hipError_tPvRmT1_T2_T3_mT4_P12ihipStream_tbEUlT_E0_NS1_11comp_targetILNS1_3genE10ELNS1_11target_archE1200ELNS1_3gpuE4ELNS1_3repE0EEENS1_30default_config_static_selectorELNS0_4arch9wavefront6targetE1EEEvSD_,comdat
.Lfunc_end627:
	.size	_ZN7rocprim17ROCPRIM_400000_NS6detail17trampoline_kernelINS0_14default_configENS1_22reduce_config_selectorItEEZNS1_11reduce_implILb1ES3_PtS7_t11plus_mod_10ItEEE10hipError_tPvRmT1_T2_T3_mT4_P12ihipStream_tbEUlT_E0_NS1_11comp_targetILNS1_3genE10ELNS1_11target_archE1200ELNS1_3gpuE4ELNS1_3repE0EEENS1_30default_config_static_selectorELNS0_4arch9wavefront6targetE1EEEvSD_, .Lfunc_end627-_ZN7rocprim17ROCPRIM_400000_NS6detail17trampoline_kernelINS0_14default_configENS1_22reduce_config_selectorItEEZNS1_11reduce_implILb1ES3_PtS7_t11plus_mod_10ItEEE10hipError_tPvRmT1_T2_T3_mT4_P12ihipStream_tbEUlT_E0_NS1_11comp_targetILNS1_3genE10ELNS1_11target_archE1200ELNS1_3gpuE4ELNS1_3repE0EEENS1_30default_config_static_selectorELNS0_4arch9wavefront6targetE1EEEvSD_
                                        ; -- End function
	.set _ZN7rocprim17ROCPRIM_400000_NS6detail17trampoline_kernelINS0_14default_configENS1_22reduce_config_selectorItEEZNS1_11reduce_implILb1ES3_PtS7_t11plus_mod_10ItEEE10hipError_tPvRmT1_T2_T3_mT4_P12ihipStream_tbEUlT_E0_NS1_11comp_targetILNS1_3genE10ELNS1_11target_archE1200ELNS1_3gpuE4ELNS1_3repE0EEENS1_30default_config_static_selectorELNS0_4arch9wavefront6targetE1EEEvSD_.num_vgpr, 0
	.set _ZN7rocprim17ROCPRIM_400000_NS6detail17trampoline_kernelINS0_14default_configENS1_22reduce_config_selectorItEEZNS1_11reduce_implILb1ES3_PtS7_t11plus_mod_10ItEEE10hipError_tPvRmT1_T2_T3_mT4_P12ihipStream_tbEUlT_E0_NS1_11comp_targetILNS1_3genE10ELNS1_11target_archE1200ELNS1_3gpuE4ELNS1_3repE0EEENS1_30default_config_static_selectorELNS0_4arch9wavefront6targetE1EEEvSD_.num_agpr, 0
	.set _ZN7rocprim17ROCPRIM_400000_NS6detail17trampoline_kernelINS0_14default_configENS1_22reduce_config_selectorItEEZNS1_11reduce_implILb1ES3_PtS7_t11plus_mod_10ItEEE10hipError_tPvRmT1_T2_T3_mT4_P12ihipStream_tbEUlT_E0_NS1_11comp_targetILNS1_3genE10ELNS1_11target_archE1200ELNS1_3gpuE4ELNS1_3repE0EEENS1_30default_config_static_selectorELNS0_4arch9wavefront6targetE1EEEvSD_.numbered_sgpr, 0
	.set _ZN7rocprim17ROCPRIM_400000_NS6detail17trampoline_kernelINS0_14default_configENS1_22reduce_config_selectorItEEZNS1_11reduce_implILb1ES3_PtS7_t11plus_mod_10ItEEE10hipError_tPvRmT1_T2_T3_mT4_P12ihipStream_tbEUlT_E0_NS1_11comp_targetILNS1_3genE10ELNS1_11target_archE1200ELNS1_3gpuE4ELNS1_3repE0EEENS1_30default_config_static_selectorELNS0_4arch9wavefront6targetE1EEEvSD_.num_named_barrier, 0
	.set _ZN7rocprim17ROCPRIM_400000_NS6detail17trampoline_kernelINS0_14default_configENS1_22reduce_config_selectorItEEZNS1_11reduce_implILb1ES3_PtS7_t11plus_mod_10ItEEE10hipError_tPvRmT1_T2_T3_mT4_P12ihipStream_tbEUlT_E0_NS1_11comp_targetILNS1_3genE10ELNS1_11target_archE1200ELNS1_3gpuE4ELNS1_3repE0EEENS1_30default_config_static_selectorELNS0_4arch9wavefront6targetE1EEEvSD_.private_seg_size, 0
	.set _ZN7rocprim17ROCPRIM_400000_NS6detail17trampoline_kernelINS0_14default_configENS1_22reduce_config_selectorItEEZNS1_11reduce_implILb1ES3_PtS7_t11plus_mod_10ItEEE10hipError_tPvRmT1_T2_T3_mT4_P12ihipStream_tbEUlT_E0_NS1_11comp_targetILNS1_3genE10ELNS1_11target_archE1200ELNS1_3gpuE4ELNS1_3repE0EEENS1_30default_config_static_selectorELNS0_4arch9wavefront6targetE1EEEvSD_.uses_vcc, 0
	.set _ZN7rocprim17ROCPRIM_400000_NS6detail17trampoline_kernelINS0_14default_configENS1_22reduce_config_selectorItEEZNS1_11reduce_implILb1ES3_PtS7_t11plus_mod_10ItEEE10hipError_tPvRmT1_T2_T3_mT4_P12ihipStream_tbEUlT_E0_NS1_11comp_targetILNS1_3genE10ELNS1_11target_archE1200ELNS1_3gpuE4ELNS1_3repE0EEENS1_30default_config_static_selectorELNS0_4arch9wavefront6targetE1EEEvSD_.uses_flat_scratch, 0
	.set _ZN7rocprim17ROCPRIM_400000_NS6detail17trampoline_kernelINS0_14default_configENS1_22reduce_config_selectorItEEZNS1_11reduce_implILb1ES3_PtS7_t11plus_mod_10ItEEE10hipError_tPvRmT1_T2_T3_mT4_P12ihipStream_tbEUlT_E0_NS1_11comp_targetILNS1_3genE10ELNS1_11target_archE1200ELNS1_3gpuE4ELNS1_3repE0EEENS1_30default_config_static_selectorELNS0_4arch9wavefront6targetE1EEEvSD_.has_dyn_sized_stack, 0
	.set _ZN7rocprim17ROCPRIM_400000_NS6detail17trampoline_kernelINS0_14default_configENS1_22reduce_config_selectorItEEZNS1_11reduce_implILb1ES3_PtS7_t11plus_mod_10ItEEE10hipError_tPvRmT1_T2_T3_mT4_P12ihipStream_tbEUlT_E0_NS1_11comp_targetILNS1_3genE10ELNS1_11target_archE1200ELNS1_3gpuE4ELNS1_3repE0EEENS1_30default_config_static_selectorELNS0_4arch9wavefront6targetE1EEEvSD_.has_recursion, 0
	.set _ZN7rocprim17ROCPRIM_400000_NS6detail17trampoline_kernelINS0_14default_configENS1_22reduce_config_selectorItEEZNS1_11reduce_implILb1ES3_PtS7_t11plus_mod_10ItEEE10hipError_tPvRmT1_T2_T3_mT4_P12ihipStream_tbEUlT_E0_NS1_11comp_targetILNS1_3genE10ELNS1_11target_archE1200ELNS1_3gpuE4ELNS1_3repE0EEENS1_30default_config_static_selectorELNS0_4arch9wavefront6targetE1EEEvSD_.has_indirect_call, 0
	.section	.AMDGPU.csdata,"",@progbits
; Kernel info:
; codeLenInByte = 0
; TotalNumSgprs: 6
; NumVgprs: 0
; NumAgprs: 0
; TotalNumVgprs: 0
; ScratchSize: 0
; MemoryBound: 0
; FloatMode: 240
; IeeeMode: 1
; LDSByteSize: 0 bytes/workgroup (compile time only)
; SGPRBlocks: 0
; VGPRBlocks: 0
; NumSGPRsForWavesPerEU: 6
; NumVGPRsForWavesPerEU: 1
; AccumOffset: 4
; Occupancy: 8
; WaveLimiterHint : 0
; COMPUTE_PGM_RSRC2:SCRATCH_EN: 0
; COMPUTE_PGM_RSRC2:USER_SGPR: 2
; COMPUTE_PGM_RSRC2:TRAP_HANDLER: 0
; COMPUTE_PGM_RSRC2:TGID_X_EN: 1
; COMPUTE_PGM_RSRC2:TGID_Y_EN: 0
; COMPUTE_PGM_RSRC2:TGID_Z_EN: 0
; COMPUTE_PGM_RSRC2:TIDIG_COMP_CNT: 0
; COMPUTE_PGM_RSRC3_GFX90A:ACCUM_OFFSET: 0
; COMPUTE_PGM_RSRC3_GFX90A:TG_SPLIT: 0
	.section	.text._ZN7rocprim17ROCPRIM_400000_NS6detail17trampoline_kernelINS0_14default_configENS1_22reduce_config_selectorItEEZNS1_11reduce_implILb1ES3_PtS7_t11plus_mod_10ItEEE10hipError_tPvRmT1_T2_T3_mT4_P12ihipStream_tbEUlT_E0_NS1_11comp_targetILNS1_3genE9ELNS1_11target_archE1100ELNS1_3gpuE3ELNS1_3repE0EEENS1_30default_config_static_selectorELNS0_4arch9wavefront6targetE1EEEvSD_,"axG",@progbits,_ZN7rocprim17ROCPRIM_400000_NS6detail17trampoline_kernelINS0_14default_configENS1_22reduce_config_selectorItEEZNS1_11reduce_implILb1ES3_PtS7_t11plus_mod_10ItEEE10hipError_tPvRmT1_T2_T3_mT4_P12ihipStream_tbEUlT_E0_NS1_11comp_targetILNS1_3genE9ELNS1_11target_archE1100ELNS1_3gpuE3ELNS1_3repE0EEENS1_30default_config_static_selectorELNS0_4arch9wavefront6targetE1EEEvSD_,comdat
	.protected	_ZN7rocprim17ROCPRIM_400000_NS6detail17trampoline_kernelINS0_14default_configENS1_22reduce_config_selectorItEEZNS1_11reduce_implILb1ES3_PtS7_t11plus_mod_10ItEEE10hipError_tPvRmT1_T2_T3_mT4_P12ihipStream_tbEUlT_E0_NS1_11comp_targetILNS1_3genE9ELNS1_11target_archE1100ELNS1_3gpuE3ELNS1_3repE0EEENS1_30default_config_static_selectorELNS0_4arch9wavefront6targetE1EEEvSD_ ; -- Begin function _ZN7rocprim17ROCPRIM_400000_NS6detail17trampoline_kernelINS0_14default_configENS1_22reduce_config_selectorItEEZNS1_11reduce_implILb1ES3_PtS7_t11plus_mod_10ItEEE10hipError_tPvRmT1_T2_T3_mT4_P12ihipStream_tbEUlT_E0_NS1_11comp_targetILNS1_3genE9ELNS1_11target_archE1100ELNS1_3gpuE3ELNS1_3repE0EEENS1_30default_config_static_selectorELNS0_4arch9wavefront6targetE1EEEvSD_
	.globl	_ZN7rocprim17ROCPRIM_400000_NS6detail17trampoline_kernelINS0_14default_configENS1_22reduce_config_selectorItEEZNS1_11reduce_implILb1ES3_PtS7_t11plus_mod_10ItEEE10hipError_tPvRmT1_T2_T3_mT4_P12ihipStream_tbEUlT_E0_NS1_11comp_targetILNS1_3genE9ELNS1_11target_archE1100ELNS1_3gpuE3ELNS1_3repE0EEENS1_30default_config_static_selectorELNS0_4arch9wavefront6targetE1EEEvSD_
	.p2align	8
	.type	_ZN7rocprim17ROCPRIM_400000_NS6detail17trampoline_kernelINS0_14default_configENS1_22reduce_config_selectorItEEZNS1_11reduce_implILb1ES3_PtS7_t11plus_mod_10ItEEE10hipError_tPvRmT1_T2_T3_mT4_P12ihipStream_tbEUlT_E0_NS1_11comp_targetILNS1_3genE9ELNS1_11target_archE1100ELNS1_3gpuE3ELNS1_3repE0EEENS1_30default_config_static_selectorELNS0_4arch9wavefront6targetE1EEEvSD_,@function
_ZN7rocprim17ROCPRIM_400000_NS6detail17trampoline_kernelINS0_14default_configENS1_22reduce_config_selectorItEEZNS1_11reduce_implILb1ES3_PtS7_t11plus_mod_10ItEEE10hipError_tPvRmT1_T2_T3_mT4_P12ihipStream_tbEUlT_E0_NS1_11comp_targetILNS1_3genE9ELNS1_11target_archE1100ELNS1_3gpuE3ELNS1_3repE0EEENS1_30default_config_static_selectorELNS0_4arch9wavefront6targetE1EEEvSD_: ; @_ZN7rocprim17ROCPRIM_400000_NS6detail17trampoline_kernelINS0_14default_configENS1_22reduce_config_selectorItEEZNS1_11reduce_implILb1ES3_PtS7_t11plus_mod_10ItEEE10hipError_tPvRmT1_T2_T3_mT4_P12ihipStream_tbEUlT_E0_NS1_11comp_targetILNS1_3genE9ELNS1_11target_archE1100ELNS1_3gpuE3ELNS1_3repE0EEENS1_30default_config_static_selectorELNS0_4arch9wavefront6targetE1EEEvSD_
; %bb.0:
	.section	.rodata,"a",@progbits
	.p2align	6, 0x0
	.amdhsa_kernel _ZN7rocprim17ROCPRIM_400000_NS6detail17trampoline_kernelINS0_14default_configENS1_22reduce_config_selectorItEEZNS1_11reduce_implILb1ES3_PtS7_t11plus_mod_10ItEEE10hipError_tPvRmT1_T2_T3_mT4_P12ihipStream_tbEUlT_E0_NS1_11comp_targetILNS1_3genE9ELNS1_11target_archE1100ELNS1_3gpuE3ELNS1_3repE0EEENS1_30default_config_static_selectorELNS0_4arch9wavefront6targetE1EEEvSD_
		.amdhsa_group_segment_fixed_size 0
		.amdhsa_private_segment_fixed_size 0
		.amdhsa_kernarg_size 56
		.amdhsa_user_sgpr_count 2
		.amdhsa_user_sgpr_dispatch_ptr 0
		.amdhsa_user_sgpr_queue_ptr 0
		.amdhsa_user_sgpr_kernarg_segment_ptr 1
		.amdhsa_user_sgpr_dispatch_id 0
		.amdhsa_user_sgpr_kernarg_preload_length 0
		.amdhsa_user_sgpr_kernarg_preload_offset 0
		.amdhsa_user_sgpr_private_segment_size 0
		.amdhsa_uses_dynamic_stack 0
		.amdhsa_enable_private_segment 0
		.amdhsa_system_sgpr_workgroup_id_x 1
		.amdhsa_system_sgpr_workgroup_id_y 0
		.amdhsa_system_sgpr_workgroup_id_z 0
		.amdhsa_system_sgpr_workgroup_info 0
		.amdhsa_system_vgpr_workitem_id 0
		.amdhsa_next_free_vgpr 1
		.amdhsa_next_free_sgpr 0
		.amdhsa_accum_offset 4
		.amdhsa_reserve_vcc 0
		.amdhsa_float_round_mode_32 0
		.amdhsa_float_round_mode_16_64 0
		.amdhsa_float_denorm_mode_32 3
		.amdhsa_float_denorm_mode_16_64 3
		.amdhsa_dx10_clamp 1
		.amdhsa_ieee_mode 1
		.amdhsa_fp16_overflow 0
		.amdhsa_tg_split 0
		.amdhsa_exception_fp_ieee_invalid_op 0
		.amdhsa_exception_fp_denorm_src 0
		.amdhsa_exception_fp_ieee_div_zero 0
		.amdhsa_exception_fp_ieee_overflow 0
		.amdhsa_exception_fp_ieee_underflow 0
		.amdhsa_exception_fp_ieee_inexact 0
		.amdhsa_exception_int_div_zero 0
	.end_amdhsa_kernel
	.section	.text._ZN7rocprim17ROCPRIM_400000_NS6detail17trampoline_kernelINS0_14default_configENS1_22reduce_config_selectorItEEZNS1_11reduce_implILb1ES3_PtS7_t11plus_mod_10ItEEE10hipError_tPvRmT1_T2_T3_mT4_P12ihipStream_tbEUlT_E0_NS1_11comp_targetILNS1_3genE9ELNS1_11target_archE1100ELNS1_3gpuE3ELNS1_3repE0EEENS1_30default_config_static_selectorELNS0_4arch9wavefront6targetE1EEEvSD_,"axG",@progbits,_ZN7rocprim17ROCPRIM_400000_NS6detail17trampoline_kernelINS0_14default_configENS1_22reduce_config_selectorItEEZNS1_11reduce_implILb1ES3_PtS7_t11plus_mod_10ItEEE10hipError_tPvRmT1_T2_T3_mT4_P12ihipStream_tbEUlT_E0_NS1_11comp_targetILNS1_3genE9ELNS1_11target_archE1100ELNS1_3gpuE3ELNS1_3repE0EEENS1_30default_config_static_selectorELNS0_4arch9wavefront6targetE1EEEvSD_,comdat
.Lfunc_end628:
	.size	_ZN7rocprim17ROCPRIM_400000_NS6detail17trampoline_kernelINS0_14default_configENS1_22reduce_config_selectorItEEZNS1_11reduce_implILb1ES3_PtS7_t11plus_mod_10ItEEE10hipError_tPvRmT1_T2_T3_mT4_P12ihipStream_tbEUlT_E0_NS1_11comp_targetILNS1_3genE9ELNS1_11target_archE1100ELNS1_3gpuE3ELNS1_3repE0EEENS1_30default_config_static_selectorELNS0_4arch9wavefront6targetE1EEEvSD_, .Lfunc_end628-_ZN7rocprim17ROCPRIM_400000_NS6detail17trampoline_kernelINS0_14default_configENS1_22reduce_config_selectorItEEZNS1_11reduce_implILb1ES3_PtS7_t11plus_mod_10ItEEE10hipError_tPvRmT1_T2_T3_mT4_P12ihipStream_tbEUlT_E0_NS1_11comp_targetILNS1_3genE9ELNS1_11target_archE1100ELNS1_3gpuE3ELNS1_3repE0EEENS1_30default_config_static_selectorELNS0_4arch9wavefront6targetE1EEEvSD_
                                        ; -- End function
	.set _ZN7rocprim17ROCPRIM_400000_NS6detail17trampoline_kernelINS0_14default_configENS1_22reduce_config_selectorItEEZNS1_11reduce_implILb1ES3_PtS7_t11plus_mod_10ItEEE10hipError_tPvRmT1_T2_T3_mT4_P12ihipStream_tbEUlT_E0_NS1_11comp_targetILNS1_3genE9ELNS1_11target_archE1100ELNS1_3gpuE3ELNS1_3repE0EEENS1_30default_config_static_selectorELNS0_4arch9wavefront6targetE1EEEvSD_.num_vgpr, 0
	.set _ZN7rocprim17ROCPRIM_400000_NS6detail17trampoline_kernelINS0_14default_configENS1_22reduce_config_selectorItEEZNS1_11reduce_implILb1ES3_PtS7_t11plus_mod_10ItEEE10hipError_tPvRmT1_T2_T3_mT4_P12ihipStream_tbEUlT_E0_NS1_11comp_targetILNS1_3genE9ELNS1_11target_archE1100ELNS1_3gpuE3ELNS1_3repE0EEENS1_30default_config_static_selectorELNS0_4arch9wavefront6targetE1EEEvSD_.num_agpr, 0
	.set _ZN7rocprim17ROCPRIM_400000_NS6detail17trampoline_kernelINS0_14default_configENS1_22reduce_config_selectorItEEZNS1_11reduce_implILb1ES3_PtS7_t11plus_mod_10ItEEE10hipError_tPvRmT1_T2_T3_mT4_P12ihipStream_tbEUlT_E0_NS1_11comp_targetILNS1_3genE9ELNS1_11target_archE1100ELNS1_3gpuE3ELNS1_3repE0EEENS1_30default_config_static_selectorELNS0_4arch9wavefront6targetE1EEEvSD_.numbered_sgpr, 0
	.set _ZN7rocprim17ROCPRIM_400000_NS6detail17trampoline_kernelINS0_14default_configENS1_22reduce_config_selectorItEEZNS1_11reduce_implILb1ES3_PtS7_t11plus_mod_10ItEEE10hipError_tPvRmT1_T2_T3_mT4_P12ihipStream_tbEUlT_E0_NS1_11comp_targetILNS1_3genE9ELNS1_11target_archE1100ELNS1_3gpuE3ELNS1_3repE0EEENS1_30default_config_static_selectorELNS0_4arch9wavefront6targetE1EEEvSD_.num_named_barrier, 0
	.set _ZN7rocprim17ROCPRIM_400000_NS6detail17trampoline_kernelINS0_14default_configENS1_22reduce_config_selectorItEEZNS1_11reduce_implILb1ES3_PtS7_t11plus_mod_10ItEEE10hipError_tPvRmT1_T2_T3_mT4_P12ihipStream_tbEUlT_E0_NS1_11comp_targetILNS1_3genE9ELNS1_11target_archE1100ELNS1_3gpuE3ELNS1_3repE0EEENS1_30default_config_static_selectorELNS0_4arch9wavefront6targetE1EEEvSD_.private_seg_size, 0
	.set _ZN7rocprim17ROCPRIM_400000_NS6detail17trampoline_kernelINS0_14default_configENS1_22reduce_config_selectorItEEZNS1_11reduce_implILb1ES3_PtS7_t11plus_mod_10ItEEE10hipError_tPvRmT1_T2_T3_mT4_P12ihipStream_tbEUlT_E0_NS1_11comp_targetILNS1_3genE9ELNS1_11target_archE1100ELNS1_3gpuE3ELNS1_3repE0EEENS1_30default_config_static_selectorELNS0_4arch9wavefront6targetE1EEEvSD_.uses_vcc, 0
	.set _ZN7rocprim17ROCPRIM_400000_NS6detail17trampoline_kernelINS0_14default_configENS1_22reduce_config_selectorItEEZNS1_11reduce_implILb1ES3_PtS7_t11plus_mod_10ItEEE10hipError_tPvRmT1_T2_T3_mT4_P12ihipStream_tbEUlT_E0_NS1_11comp_targetILNS1_3genE9ELNS1_11target_archE1100ELNS1_3gpuE3ELNS1_3repE0EEENS1_30default_config_static_selectorELNS0_4arch9wavefront6targetE1EEEvSD_.uses_flat_scratch, 0
	.set _ZN7rocprim17ROCPRIM_400000_NS6detail17trampoline_kernelINS0_14default_configENS1_22reduce_config_selectorItEEZNS1_11reduce_implILb1ES3_PtS7_t11plus_mod_10ItEEE10hipError_tPvRmT1_T2_T3_mT4_P12ihipStream_tbEUlT_E0_NS1_11comp_targetILNS1_3genE9ELNS1_11target_archE1100ELNS1_3gpuE3ELNS1_3repE0EEENS1_30default_config_static_selectorELNS0_4arch9wavefront6targetE1EEEvSD_.has_dyn_sized_stack, 0
	.set _ZN7rocprim17ROCPRIM_400000_NS6detail17trampoline_kernelINS0_14default_configENS1_22reduce_config_selectorItEEZNS1_11reduce_implILb1ES3_PtS7_t11plus_mod_10ItEEE10hipError_tPvRmT1_T2_T3_mT4_P12ihipStream_tbEUlT_E0_NS1_11comp_targetILNS1_3genE9ELNS1_11target_archE1100ELNS1_3gpuE3ELNS1_3repE0EEENS1_30default_config_static_selectorELNS0_4arch9wavefront6targetE1EEEvSD_.has_recursion, 0
	.set _ZN7rocprim17ROCPRIM_400000_NS6detail17trampoline_kernelINS0_14default_configENS1_22reduce_config_selectorItEEZNS1_11reduce_implILb1ES3_PtS7_t11plus_mod_10ItEEE10hipError_tPvRmT1_T2_T3_mT4_P12ihipStream_tbEUlT_E0_NS1_11comp_targetILNS1_3genE9ELNS1_11target_archE1100ELNS1_3gpuE3ELNS1_3repE0EEENS1_30default_config_static_selectorELNS0_4arch9wavefront6targetE1EEEvSD_.has_indirect_call, 0
	.section	.AMDGPU.csdata,"",@progbits
; Kernel info:
; codeLenInByte = 0
; TotalNumSgprs: 6
; NumVgprs: 0
; NumAgprs: 0
; TotalNumVgprs: 0
; ScratchSize: 0
; MemoryBound: 0
; FloatMode: 240
; IeeeMode: 1
; LDSByteSize: 0 bytes/workgroup (compile time only)
; SGPRBlocks: 0
; VGPRBlocks: 0
; NumSGPRsForWavesPerEU: 6
; NumVGPRsForWavesPerEU: 1
; AccumOffset: 4
; Occupancy: 8
; WaveLimiterHint : 0
; COMPUTE_PGM_RSRC2:SCRATCH_EN: 0
; COMPUTE_PGM_RSRC2:USER_SGPR: 2
; COMPUTE_PGM_RSRC2:TRAP_HANDLER: 0
; COMPUTE_PGM_RSRC2:TGID_X_EN: 1
; COMPUTE_PGM_RSRC2:TGID_Y_EN: 0
; COMPUTE_PGM_RSRC2:TGID_Z_EN: 0
; COMPUTE_PGM_RSRC2:TIDIG_COMP_CNT: 0
; COMPUTE_PGM_RSRC3_GFX90A:ACCUM_OFFSET: 0
; COMPUTE_PGM_RSRC3_GFX90A:TG_SPLIT: 0
	.section	.text._ZN7rocprim17ROCPRIM_400000_NS6detail17trampoline_kernelINS0_14default_configENS1_22reduce_config_selectorItEEZNS1_11reduce_implILb1ES3_PtS7_t11plus_mod_10ItEEE10hipError_tPvRmT1_T2_T3_mT4_P12ihipStream_tbEUlT_E0_NS1_11comp_targetILNS1_3genE8ELNS1_11target_archE1030ELNS1_3gpuE2ELNS1_3repE0EEENS1_30default_config_static_selectorELNS0_4arch9wavefront6targetE1EEEvSD_,"axG",@progbits,_ZN7rocprim17ROCPRIM_400000_NS6detail17trampoline_kernelINS0_14default_configENS1_22reduce_config_selectorItEEZNS1_11reduce_implILb1ES3_PtS7_t11plus_mod_10ItEEE10hipError_tPvRmT1_T2_T3_mT4_P12ihipStream_tbEUlT_E0_NS1_11comp_targetILNS1_3genE8ELNS1_11target_archE1030ELNS1_3gpuE2ELNS1_3repE0EEENS1_30default_config_static_selectorELNS0_4arch9wavefront6targetE1EEEvSD_,comdat
	.protected	_ZN7rocprim17ROCPRIM_400000_NS6detail17trampoline_kernelINS0_14default_configENS1_22reduce_config_selectorItEEZNS1_11reduce_implILb1ES3_PtS7_t11plus_mod_10ItEEE10hipError_tPvRmT1_T2_T3_mT4_P12ihipStream_tbEUlT_E0_NS1_11comp_targetILNS1_3genE8ELNS1_11target_archE1030ELNS1_3gpuE2ELNS1_3repE0EEENS1_30default_config_static_selectorELNS0_4arch9wavefront6targetE1EEEvSD_ ; -- Begin function _ZN7rocprim17ROCPRIM_400000_NS6detail17trampoline_kernelINS0_14default_configENS1_22reduce_config_selectorItEEZNS1_11reduce_implILb1ES3_PtS7_t11plus_mod_10ItEEE10hipError_tPvRmT1_T2_T3_mT4_P12ihipStream_tbEUlT_E0_NS1_11comp_targetILNS1_3genE8ELNS1_11target_archE1030ELNS1_3gpuE2ELNS1_3repE0EEENS1_30default_config_static_selectorELNS0_4arch9wavefront6targetE1EEEvSD_
	.globl	_ZN7rocprim17ROCPRIM_400000_NS6detail17trampoline_kernelINS0_14default_configENS1_22reduce_config_selectorItEEZNS1_11reduce_implILb1ES3_PtS7_t11plus_mod_10ItEEE10hipError_tPvRmT1_T2_T3_mT4_P12ihipStream_tbEUlT_E0_NS1_11comp_targetILNS1_3genE8ELNS1_11target_archE1030ELNS1_3gpuE2ELNS1_3repE0EEENS1_30default_config_static_selectorELNS0_4arch9wavefront6targetE1EEEvSD_
	.p2align	8
	.type	_ZN7rocprim17ROCPRIM_400000_NS6detail17trampoline_kernelINS0_14default_configENS1_22reduce_config_selectorItEEZNS1_11reduce_implILb1ES3_PtS7_t11plus_mod_10ItEEE10hipError_tPvRmT1_T2_T3_mT4_P12ihipStream_tbEUlT_E0_NS1_11comp_targetILNS1_3genE8ELNS1_11target_archE1030ELNS1_3gpuE2ELNS1_3repE0EEENS1_30default_config_static_selectorELNS0_4arch9wavefront6targetE1EEEvSD_,@function
_ZN7rocprim17ROCPRIM_400000_NS6detail17trampoline_kernelINS0_14default_configENS1_22reduce_config_selectorItEEZNS1_11reduce_implILb1ES3_PtS7_t11plus_mod_10ItEEE10hipError_tPvRmT1_T2_T3_mT4_P12ihipStream_tbEUlT_E0_NS1_11comp_targetILNS1_3genE8ELNS1_11target_archE1030ELNS1_3gpuE2ELNS1_3repE0EEENS1_30default_config_static_selectorELNS0_4arch9wavefront6targetE1EEEvSD_: ; @_ZN7rocprim17ROCPRIM_400000_NS6detail17trampoline_kernelINS0_14default_configENS1_22reduce_config_selectorItEEZNS1_11reduce_implILb1ES3_PtS7_t11plus_mod_10ItEEE10hipError_tPvRmT1_T2_T3_mT4_P12ihipStream_tbEUlT_E0_NS1_11comp_targetILNS1_3genE8ELNS1_11target_archE1030ELNS1_3gpuE2ELNS1_3repE0EEENS1_30default_config_static_selectorELNS0_4arch9wavefront6targetE1EEEvSD_
; %bb.0:
	.section	.rodata,"a",@progbits
	.p2align	6, 0x0
	.amdhsa_kernel _ZN7rocprim17ROCPRIM_400000_NS6detail17trampoline_kernelINS0_14default_configENS1_22reduce_config_selectorItEEZNS1_11reduce_implILb1ES3_PtS7_t11plus_mod_10ItEEE10hipError_tPvRmT1_T2_T3_mT4_P12ihipStream_tbEUlT_E0_NS1_11comp_targetILNS1_3genE8ELNS1_11target_archE1030ELNS1_3gpuE2ELNS1_3repE0EEENS1_30default_config_static_selectorELNS0_4arch9wavefront6targetE1EEEvSD_
		.amdhsa_group_segment_fixed_size 0
		.amdhsa_private_segment_fixed_size 0
		.amdhsa_kernarg_size 56
		.amdhsa_user_sgpr_count 2
		.amdhsa_user_sgpr_dispatch_ptr 0
		.amdhsa_user_sgpr_queue_ptr 0
		.amdhsa_user_sgpr_kernarg_segment_ptr 1
		.amdhsa_user_sgpr_dispatch_id 0
		.amdhsa_user_sgpr_kernarg_preload_length 0
		.amdhsa_user_sgpr_kernarg_preload_offset 0
		.amdhsa_user_sgpr_private_segment_size 0
		.amdhsa_uses_dynamic_stack 0
		.amdhsa_enable_private_segment 0
		.amdhsa_system_sgpr_workgroup_id_x 1
		.amdhsa_system_sgpr_workgroup_id_y 0
		.amdhsa_system_sgpr_workgroup_id_z 0
		.amdhsa_system_sgpr_workgroup_info 0
		.amdhsa_system_vgpr_workitem_id 0
		.amdhsa_next_free_vgpr 1
		.amdhsa_next_free_sgpr 0
		.amdhsa_accum_offset 4
		.amdhsa_reserve_vcc 0
		.amdhsa_float_round_mode_32 0
		.amdhsa_float_round_mode_16_64 0
		.amdhsa_float_denorm_mode_32 3
		.amdhsa_float_denorm_mode_16_64 3
		.amdhsa_dx10_clamp 1
		.amdhsa_ieee_mode 1
		.amdhsa_fp16_overflow 0
		.amdhsa_tg_split 0
		.amdhsa_exception_fp_ieee_invalid_op 0
		.amdhsa_exception_fp_denorm_src 0
		.amdhsa_exception_fp_ieee_div_zero 0
		.amdhsa_exception_fp_ieee_overflow 0
		.amdhsa_exception_fp_ieee_underflow 0
		.amdhsa_exception_fp_ieee_inexact 0
		.amdhsa_exception_int_div_zero 0
	.end_amdhsa_kernel
	.section	.text._ZN7rocprim17ROCPRIM_400000_NS6detail17trampoline_kernelINS0_14default_configENS1_22reduce_config_selectorItEEZNS1_11reduce_implILb1ES3_PtS7_t11plus_mod_10ItEEE10hipError_tPvRmT1_T2_T3_mT4_P12ihipStream_tbEUlT_E0_NS1_11comp_targetILNS1_3genE8ELNS1_11target_archE1030ELNS1_3gpuE2ELNS1_3repE0EEENS1_30default_config_static_selectorELNS0_4arch9wavefront6targetE1EEEvSD_,"axG",@progbits,_ZN7rocprim17ROCPRIM_400000_NS6detail17trampoline_kernelINS0_14default_configENS1_22reduce_config_selectorItEEZNS1_11reduce_implILb1ES3_PtS7_t11plus_mod_10ItEEE10hipError_tPvRmT1_T2_T3_mT4_P12ihipStream_tbEUlT_E0_NS1_11comp_targetILNS1_3genE8ELNS1_11target_archE1030ELNS1_3gpuE2ELNS1_3repE0EEENS1_30default_config_static_selectorELNS0_4arch9wavefront6targetE1EEEvSD_,comdat
.Lfunc_end629:
	.size	_ZN7rocprim17ROCPRIM_400000_NS6detail17trampoline_kernelINS0_14default_configENS1_22reduce_config_selectorItEEZNS1_11reduce_implILb1ES3_PtS7_t11plus_mod_10ItEEE10hipError_tPvRmT1_T2_T3_mT4_P12ihipStream_tbEUlT_E0_NS1_11comp_targetILNS1_3genE8ELNS1_11target_archE1030ELNS1_3gpuE2ELNS1_3repE0EEENS1_30default_config_static_selectorELNS0_4arch9wavefront6targetE1EEEvSD_, .Lfunc_end629-_ZN7rocprim17ROCPRIM_400000_NS6detail17trampoline_kernelINS0_14default_configENS1_22reduce_config_selectorItEEZNS1_11reduce_implILb1ES3_PtS7_t11plus_mod_10ItEEE10hipError_tPvRmT1_T2_T3_mT4_P12ihipStream_tbEUlT_E0_NS1_11comp_targetILNS1_3genE8ELNS1_11target_archE1030ELNS1_3gpuE2ELNS1_3repE0EEENS1_30default_config_static_selectorELNS0_4arch9wavefront6targetE1EEEvSD_
                                        ; -- End function
	.set _ZN7rocprim17ROCPRIM_400000_NS6detail17trampoline_kernelINS0_14default_configENS1_22reduce_config_selectorItEEZNS1_11reduce_implILb1ES3_PtS7_t11plus_mod_10ItEEE10hipError_tPvRmT1_T2_T3_mT4_P12ihipStream_tbEUlT_E0_NS1_11comp_targetILNS1_3genE8ELNS1_11target_archE1030ELNS1_3gpuE2ELNS1_3repE0EEENS1_30default_config_static_selectorELNS0_4arch9wavefront6targetE1EEEvSD_.num_vgpr, 0
	.set _ZN7rocprim17ROCPRIM_400000_NS6detail17trampoline_kernelINS0_14default_configENS1_22reduce_config_selectorItEEZNS1_11reduce_implILb1ES3_PtS7_t11plus_mod_10ItEEE10hipError_tPvRmT1_T2_T3_mT4_P12ihipStream_tbEUlT_E0_NS1_11comp_targetILNS1_3genE8ELNS1_11target_archE1030ELNS1_3gpuE2ELNS1_3repE0EEENS1_30default_config_static_selectorELNS0_4arch9wavefront6targetE1EEEvSD_.num_agpr, 0
	.set _ZN7rocprim17ROCPRIM_400000_NS6detail17trampoline_kernelINS0_14default_configENS1_22reduce_config_selectorItEEZNS1_11reduce_implILb1ES3_PtS7_t11plus_mod_10ItEEE10hipError_tPvRmT1_T2_T3_mT4_P12ihipStream_tbEUlT_E0_NS1_11comp_targetILNS1_3genE8ELNS1_11target_archE1030ELNS1_3gpuE2ELNS1_3repE0EEENS1_30default_config_static_selectorELNS0_4arch9wavefront6targetE1EEEvSD_.numbered_sgpr, 0
	.set _ZN7rocprim17ROCPRIM_400000_NS6detail17trampoline_kernelINS0_14default_configENS1_22reduce_config_selectorItEEZNS1_11reduce_implILb1ES3_PtS7_t11plus_mod_10ItEEE10hipError_tPvRmT1_T2_T3_mT4_P12ihipStream_tbEUlT_E0_NS1_11comp_targetILNS1_3genE8ELNS1_11target_archE1030ELNS1_3gpuE2ELNS1_3repE0EEENS1_30default_config_static_selectorELNS0_4arch9wavefront6targetE1EEEvSD_.num_named_barrier, 0
	.set _ZN7rocprim17ROCPRIM_400000_NS6detail17trampoline_kernelINS0_14default_configENS1_22reduce_config_selectorItEEZNS1_11reduce_implILb1ES3_PtS7_t11plus_mod_10ItEEE10hipError_tPvRmT1_T2_T3_mT4_P12ihipStream_tbEUlT_E0_NS1_11comp_targetILNS1_3genE8ELNS1_11target_archE1030ELNS1_3gpuE2ELNS1_3repE0EEENS1_30default_config_static_selectorELNS0_4arch9wavefront6targetE1EEEvSD_.private_seg_size, 0
	.set _ZN7rocprim17ROCPRIM_400000_NS6detail17trampoline_kernelINS0_14default_configENS1_22reduce_config_selectorItEEZNS1_11reduce_implILb1ES3_PtS7_t11plus_mod_10ItEEE10hipError_tPvRmT1_T2_T3_mT4_P12ihipStream_tbEUlT_E0_NS1_11comp_targetILNS1_3genE8ELNS1_11target_archE1030ELNS1_3gpuE2ELNS1_3repE0EEENS1_30default_config_static_selectorELNS0_4arch9wavefront6targetE1EEEvSD_.uses_vcc, 0
	.set _ZN7rocprim17ROCPRIM_400000_NS6detail17trampoline_kernelINS0_14default_configENS1_22reduce_config_selectorItEEZNS1_11reduce_implILb1ES3_PtS7_t11plus_mod_10ItEEE10hipError_tPvRmT1_T2_T3_mT4_P12ihipStream_tbEUlT_E0_NS1_11comp_targetILNS1_3genE8ELNS1_11target_archE1030ELNS1_3gpuE2ELNS1_3repE0EEENS1_30default_config_static_selectorELNS0_4arch9wavefront6targetE1EEEvSD_.uses_flat_scratch, 0
	.set _ZN7rocprim17ROCPRIM_400000_NS6detail17trampoline_kernelINS0_14default_configENS1_22reduce_config_selectorItEEZNS1_11reduce_implILb1ES3_PtS7_t11plus_mod_10ItEEE10hipError_tPvRmT1_T2_T3_mT4_P12ihipStream_tbEUlT_E0_NS1_11comp_targetILNS1_3genE8ELNS1_11target_archE1030ELNS1_3gpuE2ELNS1_3repE0EEENS1_30default_config_static_selectorELNS0_4arch9wavefront6targetE1EEEvSD_.has_dyn_sized_stack, 0
	.set _ZN7rocprim17ROCPRIM_400000_NS6detail17trampoline_kernelINS0_14default_configENS1_22reduce_config_selectorItEEZNS1_11reduce_implILb1ES3_PtS7_t11plus_mod_10ItEEE10hipError_tPvRmT1_T2_T3_mT4_P12ihipStream_tbEUlT_E0_NS1_11comp_targetILNS1_3genE8ELNS1_11target_archE1030ELNS1_3gpuE2ELNS1_3repE0EEENS1_30default_config_static_selectorELNS0_4arch9wavefront6targetE1EEEvSD_.has_recursion, 0
	.set _ZN7rocprim17ROCPRIM_400000_NS6detail17trampoline_kernelINS0_14default_configENS1_22reduce_config_selectorItEEZNS1_11reduce_implILb1ES3_PtS7_t11plus_mod_10ItEEE10hipError_tPvRmT1_T2_T3_mT4_P12ihipStream_tbEUlT_E0_NS1_11comp_targetILNS1_3genE8ELNS1_11target_archE1030ELNS1_3gpuE2ELNS1_3repE0EEENS1_30default_config_static_selectorELNS0_4arch9wavefront6targetE1EEEvSD_.has_indirect_call, 0
	.section	.AMDGPU.csdata,"",@progbits
; Kernel info:
; codeLenInByte = 0
; TotalNumSgprs: 6
; NumVgprs: 0
; NumAgprs: 0
; TotalNumVgprs: 0
; ScratchSize: 0
; MemoryBound: 0
; FloatMode: 240
; IeeeMode: 1
; LDSByteSize: 0 bytes/workgroup (compile time only)
; SGPRBlocks: 0
; VGPRBlocks: 0
; NumSGPRsForWavesPerEU: 6
; NumVGPRsForWavesPerEU: 1
; AccumOffset: 4
; Occupancy: 8
; WaveLimiterHint : 0
; COMPUTE_PGM_RSRC2:SCRATCH_EN: 0
; COMPUTE_PGM_RSRC2:USER_SGPR: 2
; COMPUTE_PGM_RSRC2:TRAP_HANDLER: 0
; COMPUTE_PGM_RSRC2:TGID_X_EN: 1
; COMPUTE_PGM_RSRC2:TGID_Y_EN: 0
; COMPUTE_PGM_RSRC2:TGID_Z_EN: 0
; COMPUTE_PGM_RSRC2:TIDIG_COMP_CNT: 0
; COMPUTE_PGM_RSRC3_GFX90A:ACCUM_OFFSET: 0
; COMPUTE_PGM_RSRC3_GFX90A:TG_SPLIT: 0
	.section	.text._ZN7rocprim17ROCPRIM_400000_NS6detail17trampoline_kernelINS0_14default_configENS1_22reduce_config_selectorItEEZNS1_11reduce_implILb1ES3_PtS7_t11plus_mod_10ItEEE10hipError_tPvRmT1_T2_T3_mT4_P12ihipStream_tbEUlT_E1_NS1_11comp_targetILNS1_3genE0ELNS1_11target_archE4294967295ELNS1_3gpuE0ELNS1_3repE0EEENS1_30default_config_static_selectorELNS0_4arch9wavefront6targetE1EEEvSD_,"axG",@progbits,_ZN7rocprim17ROCPRIM_400000_NS6detail17trampoline_kernelINS0_14default_configENS1_22reduce_config_selectorItEEZNS1_11reduce_implILb1ES3_PtS7_t11plus_mod_10ItEEE10hipError_tPvRmT1_T2_T3_mT4_P12ihipStream_tbEUlT_E1_NS1_11comp_targetILNS1_3genE0ELNS1_11target_archE4294967295ELNS1_3gpuE0ELNS1_3repE0EEENS1_30default_config_static_selectorELNS0_4arch9wavefront6targetE1EEEvSD_,comdat
	.protected	_ZN7rocprim17ROCPRIM_400000_NS6detail17trampoline_kernelINS0_14default_configENS1_22reduce_config_selectorItEEZNS1_11reduce_implILb1ES3_PtS7_t11plus_mod_10ItEEE10hipError_tPvRmT1_T2_T3_mT4_P12ihipStream_tbEUlT_E1_NS1_11comp_targetILNS1_3genE0ELNS1_11target_archE4294967295ELNS1_3gpuE0ELNS1_3repE0EEENS1_30default_config_static_selectorELNS0_4arch9wavefront6targetE1EEEvSD_ ; -- Begin function _ZN7rocprim17ROCPRIM_400000_NS6detail17trampoline_kernelINS0_14default_configENS1_22reduce_config_selectorItEEZNS1_11reduce_implILb1ES3_PtS7_t11plus_mod_10ItEEE10hipError_tPvRmT1_T2_T3_mT4_P12ihipStream_tbEUlT_E1_NS1_11comp_targetILNS1_3genE0ELNS1_11target_archE4294967295ELNS1_3gpuE0ELNS1_3repE0EEENS1_30default_config_static_selectorELNS0_4arch9wavefront6targetE1EEEvSD_
	.globl	_ZN7rocprim17ROCPRIM_400000_NS6detail17trampoline_kernelINS0_14default_configENS1_22reduce_config_selectorItEEZNS1_11reduce_implILb1ES3_PtS7_t11plus_mod_10ItEEE10hipError_tPvRmT1_T2_T3_mT4_P12ihipStream_tbEUlT_E1_NS1_11comp_targetILNS1_3genE0ELNS1_11target_archE4294967295ELNS1_3gpuE0ELNS1_3repE0EEENS1_30default_config_static_selectorELNS0_4arch9wavefront6targetE1EEEvSD_
	.p2align	8
	.type	_ZN7rocprim17ROCPRIM_400000_NS6detail17trampoline_kernelINS0_14default_configENS1_22reduce_config_selectorItEEZNS1_11reduce_implILb1ES3_PtS7_t11plus_mod_10ItEEE10hipError_tPvRmT1_T2_T3_mT4_P12ihipStream_tbEUlT_E1_NS1_11comp_targetILNS1_3genE0ELNS1_11target_archE4294967295ELNS1_3gpuE0ELNS1_3repE0EEENS1_30default_config_static_selectorELNS0_4arch9wavefront6targetE1EEEvSD_,@function
_ZN7rocprim17ROCPRIM_400000_NS6detail17trampoline_kernelINS0_14default_configENS1_22reduce_config_selectorItEEZNS1_11reduce_implILb1ES3_PtS7_t11plus_mod_10ItEEE10hipError_tPvRmT1_T2_T3_mT4_P12ihipStream_tbEUlT_E1_NS1_11comp_targetILNS1_3genE0ELNS1_11target_archE4294967295ELNS1_3gpuE0ELNS1_3repE0EEENS1_30default_config_static_selectorELNS0_4arch9wavefront6targetE1EEEvSD_: ; @_ZN7rocprim17ROCPRIM_400000_NS6detail17trampoline_kernelINS0_14default_configENS1_22reduce_config_selectorItEEZNS1_11reduce_implILb1ES3_PtS7_t11plus_mod_10ItEEE10hipError_tPvRmT1_T2_T3_mT4_P12ihipStream_tbEUlT_E1_NS1_11comp_targetILNS1_3genE0ELNS1_11target_archE4294967295ELNS1_3gpuE0ELNS1_3repE0EEENS1_30default_config_static_selectorELNS0_4arch9wavefront6targetE1EEEvSD_
; %bb.0:
	s_load_dword s76, s[0:1], 0x4
	s_load_dwordx4 s[68:71], s[0:1], 0x8
	s_load_dword s33, s[0:1], 0x20
	s_waitcnt lgkmcnt(0)
	s_cmp_lt_i32 s76, 8
	s_cbranch_scc1 .LBB630_10
; %bb.1:
	s_cmp_gt_i32 s76, 31
	s_cbranch_scc0 .LBB630_11
; %bb.2:
	s_cmp_gt_i32 s76, 63
	s_cbranch_scc0 .LBB630_12
; %bb.3:
	s_cmp_eq_u32 s76, 64
	s_mov_b64 s[38:39], 0
	s_cbranch_scc0 .LBB630_13
; %bb.4:
	s_mov_b32 s3, 0
	s_lshl_b32 s4, s2, 13
	s_mov_b32 s5, s3
	s_lshr_b64 s[6:7], s[70:71], 13
	s_lshl_b64 s[8:9], s[4:5], 1
	s_add_u32 s40, s68, s8
	s_addc_u32 s41, s69, s9
	s_cmp_lg_u64 s[6:7], s[2:3]
	s_cbranch_scc0 .LBB630_22
; %bb.5:
	v_lshlrev_b32_e32 v2, 1, v0
	global_load_ushort v21, v2, s[40:41] offset:256
	global_load_ushort v24, v2, s[40:41]
	global_load_ushort v25, v2, s[40:41] offset:512
	global_load_ushort v26, v2, s[40:41] offset:768
	;; [unrolled: 1-line block ×7, first 2 shown]
	v_mov_b32_e32 v3, 0
	v_lshl_add_u64 v[4:5], s[40:41], 0, v[2:3]
	s_movk_i32 s5, 0x1000
	v_add_co_u32_e32 v6, vcc, s5, v4
	s_movk_i32 s5, 0x2000
	s_nop 0
	v_addc_co_u32_e32 v7, vcc, 0, v5, vcc
	v_add_co_u32_e32 v8, vcc, s5, v4
	s_movk_i32 s5, 0x3000
	s_nop 0
	v_addc_co_u32_e32 v9, vcc, 0, v5, vcc
	v_add_co_u32_e32 v22, vcc, s5, v4
	s_mov_b32 s5, 0xcccd
	global_load_ushort v32, v2, s[40:41] offset:2304
	global_load_ushort v33, v2, s[40:41] offset:2560
	;; [unrolled: 1-line block ×7, first 2 shown]
	global_load_ushort v39, v[8:9], off offset:-4096
	global_load_ushort v40, v[6:7], off offset:256
	global_load_ushort v41, v[6:7], off offset:512
	global_load_ushort v42, v[6:7], off offset:768
	global_load_ushort v43, v[6:7], off offset:1024
	global_load_ushort v44, v[6:7], off offset:1280
	global_load_ushort v45, v[6:7], off offset:1536
	global_load_ushort v46, v[6:7], off offset:1792
                                        ; kill: killed $vgpr2
	global_load_ushort v47, v[6:7], off offset:2048
	global_load_ushort v48, v[8:9], off
	global_load_ushort v49, v[8:9], off offset:256
	global_load_ushort v50, v[8:9], off offset:512
	;; [unrolled: 1-line block ×15, first 2 shown]
	v_addc_co_u32_e32 v23, vcc, 0, v5, vcc
	global_load_ushort v60, v[6:7], off offset:2304
	global_load_ushort v61, v[6:7], off offset:2560
	global_load_ushort v62, v[6:7], off offset:2816
	global_load_ushort v63, v[6:7], off offset:3072
	global_load_ushort v64, v[6:7], off offset:3328
	global_load_ushort v65, v[6:7], off offset:3584
	global_load_ushort v66, v[6:7], off offset:3840
	global_load_ushort v17, v[22:23], off
	global_load_ushort v15, v[22:23], off offset:256
	global_load_ushort v14, v[22:23], off offset:512
	;; [unrolled: 1-line block ×7, first 2 shown]
                                        ; kill: killed $vgpr6 killed $vgpr7
	global_load_ushort v8, v[22:23], off offset:2048
	global_load_ushort v7, v[22:23], off offset:2304
	;; [unrolled: 1-line block ×8, first 2 shown]
	s_waitcnt vmcnt(62)
	v_mul_u32_u24_sdwa v22, v21, s5 dst_sel:DWORD dst_unused:UNUSED_PAD src0_sel:WORD_0 src1_sel:DWORD
	v_lshrrev_b32_e32 v22, 19, v22
	v_mul_lo_u16_e32 v22, 10, v22
	v_sub_u16_e32 v21, v21, v22
	v_mul_u32_u24_sdwa v22, v24, s5 dst_sel:DWORD dst_unused:UNUSED_PAD src0_sel:WORD_0 src1_sel:DWORD
	v_lshrrev_b32_e32 v22, 19, v22
	v_mul_lo_u16_e32 v22, 10, v22
	v_sub_u16_e32 v22, v24, v22
	v_add_u16_e32 v21, v21, v22
	v_add_u16_e32 v22, -10, v21
	v_min_u16_e32 v21, v21, v22
	s_waitcnt vmcnt(61)
	v_mul_u32_u24_sdwa v22, v25, s5 dst_sel:DWORD dst_unused:UNUSED_PAD src0_sel:WORD_0 src1_sel:DWORD
	v_mul_u32_u24_e32 v23, 0xcccd, v21
	v_lshrrev_b32_e32 v22, 19, v22
	v_lshrrev_b32_e32 v23, 19, v23
	v_mul_lo_u16_e32 v22, 10, v22
	v_mul_lo_u16_e32 v23, 10, v23
	v_sub_u16_e32 v22, v25, v22
	v_sub_u16_e32 v21, v21, v23
	v_add_u16_e32 v21, v21, v22
	v_add_u16_e32 v22, -10, v21
	v_min_u16_e32 v21, v21, v22
	s_waitcnt vmcnt(60)
	v_mul_u32_u24_sdwa v22, v26, s5 dst_sel:DWORD dst_unused:UNUSED_PAD src0_sel:WORD_0 src1_sel:DWORD
	v_mul_u32_u24_e32 v23, 0xcccd, v21
	v_lshrrev_b32_e32 v22, 19, v22
	v_lshrrev_b32_e32 v23, 19, v23
	v_mul_lo_u16_e32 v22, 10, v22
	v_mul_lo_u16_e32 v23, 10, v23
	v_sub_u16_e32 v22, v26, v22
	;; [unrolled: 12-line block ×30, first 2 shown]
	v_sub_u16_e32 v21, v21, v23
	v_add_u16_e32 v21, v21, v22
	v_add_u16_e32 v22, -10, v21
	v_min_u16_e32 v21, v21, v22
	v_mul_u32_u24_sdwa v22, v48, s5 dst_sel:DWORD dst_unused:UNUSED_PAD src0_sel:WORD_0 src1_sel:DWORD
	v_mul_u32_u24_e32 v23, 0xcccd, v21
	v_lshrrev_b32_e32 v22, 19, v22
	v_lshrrev_b32_e32 v23, 19, v23
	v_mul_lo_u16_e32 v22, 10, v22
	v_mul_lo_u16_e32 v23, 10, v23
	v_sub_u16_e32 v22, v48, v22
	v_sub_u16_e32 v21, v21, v23
	v_add_u16_e32 v21, v21, v22
	v_add_u16_e32 v22, -10, v21
	v_min_u16_e32 v21, v21, v22
	v_mul_u32_u24_sdwa v22, v49, s5 dst_sel:DWORD dst_unused:UNUSED_PAD src0_sel:WORD_0 src1_sel:DWORD
	v_mul_u32_u24_e32 v23, 0xcccd, v21
	v_lshrrev_b32_e32 v22, 19, v22
	v_lshrrev_b32_e32 v23, 19, v23
	v_mul_lo_u16_e32 v22, 10, v22
	v_mul_lo_u16_e32 v23, 10, v23
	v_sub_u16_e32 v22, v49, v22
	;; [unrolled: 11-line block ×12, first 2 shown]
	v_sub_u16_e32 v21, v21, v23
	v_add_u16_e32 v21, v21, v22
	v_add_u16_e32 v22, -10, v21
	v_min_u16_e32 v21, v21, v22
	v_mul_u32_u24_sdwa v22, v20, s5 dst_sel:DWORD dst_unused:UNUSED_PAD src0_sel:WORD_0 src1_sel:DWORD
	v_lshrrev_b32_e32 v22, 19, v22
	v_mul_lo_u16_e32 v22, 10, v22
	v_sub_u16_e32 v20, v20, v22
	v_mul_u32_u24_e32 v22, 0xcccd, v21
	v_lshrrev_b32_e32 v22, 19, v22
	v_mul_lo_u16_e32 v22, 10, v22
	v_sub_u16_e32 v21, v21, v22
	v_add_u16_e32 v20, v21, v20
	v_add_u16_e32 v21, -10, v20
	v_min_u16_e32 v20, v20, v21
	v_mul_u32_u24_sdwa v21, v19, s5 dst_sel:DWORD dst_unused:UNUSED_PAD src0_sel:WORD_0 src1_sel:DWORD
	v_lshrrev_b32_e32 v21, 19, v21
	v_mul_lo_u16_e32 v21, 10, v21
	v_sub_u16_e32 v19, v19, v21
	v_mul_u32_u24_e32 v21, 0xcccd, v20
	v_lshrrev_b32_e32 v21, 19, v21
	v_mul_lo_u16_e32 v21, 10, v21
	;; [unrolled: 11-line block ×4, first 2 shown]
	v_sub_u16_e32 v18, v18, v19
	v_add_u16_e32 v16, v18, v16
	v_add_u16_e32 v18, -10, v16
	v_min_u16_e32 v16, v16, v18
	s_waitcnt vmcnt(15)
	v_mul_u32_u24_sdwa v18, v17, s5 dst_sel:DWORD dst_unused:UNUSED_PAD src0_sel:WORD_0 src1_sel:DWORD
	v_lshrrev_b32_e32 v18, 19, v18
	v_mul_lo_u16_e32 v18, 10, v18
	v_sub_u16_e32 v17, v17, v18
	v_mul_u32_u24_e32 v18, 0xcccd, v16
	v_lshrrev_b32_e32 v18, 19, v18
	v_mul_lo_u16_e32 v18, 10, v18
	v_sub_u16_e32 v16, v16, v18
	v_add_u16_e32 v16, v16, v17
	v_add_u16_e32 v17, -10, v16
	v_min_u16_e32 v16, v16, v17
	s_waitcnt vmcnt(14)
	v_mul_u32_u24_sdwa v17, v15, s5 dst_sel:DWORD dst_unused:UNUSED_PAD src0_sel:WORD_0 src1_sel:DWORD
	v_lshrrev_b32_e32 v17, 19, v17
	v_mul_lo_u16_e32 v17, 10, v17
	v_sub_u16_e32 v15, v15, v17
	v_mul_u32_u24_e32 v17, 0xcccd, v16
	v_lshrrev_b32_e32 v17, 19, v17
	v_mul_lo_u16_e32 v17, 10, v17
	;; [unrolled: 12-line block ×16, first 2 shown]
	v_sub_u16_e32 v2, v2, v3
	v_add_u16_e32 v1, v2, v1
	v_add_u16_e32 v2, -10, v1
	v_min_u16_e32 v2, v1, v2
	v_mul_u32_u24_e32 v4, 0xcccd, v2
	v_lshrrev_b32_e32 v4, 19, v4
	v_mov_b32_dpp v3, v2 quad_perm:[1,0,3,2] row_mask:0xf bank_mask:0xf bound_ctrl:1
	v_mul_lo_u16_e32 v4, 10, v4
	v_sub_u16_e32 v2, v2, v4
	v_mul_u32_u24_sdwa v4, v3, s5 dst_sel:DWORD dst_unused:UNUSED_PAD src0_sel:WORD_0 src1_sel:DWORD
	v_lshrrev_b32_e32 v4, 19, v4
	v_mul_lo_u16_e32 v4, 10, v4
	v_sub_u16_e32 v3, v3, v4
	v_add_u16_e32 v2, v2, v3
	v_add_u16_e32 v3, -10, v2
	v_min_u16_e32 v2, v2, v3
	v_mbcnt_lo_u32_b32 v1, -1, 0
	v_mbcnt_hi_u32_b32 v1, -1, v1
	v_mov_b32_dpp v3, v2 quad_perm:[2,3,0,1] row_mask:0xf bank_mask:0xf bound_ctrl:1
	v_mul_u32_u24_sdwa v4, v3, s5 dst_sel:DWORD dst_unused:UNUSED_PAD src0_sel:WORD_0 src1_sel:DWORD
	v_lshrrev_b32_e32 v4, 19, v4
	v_mul_lo_u16_e32 v4, 10, v4
	v_sub_u16_e32 v3, v3, v4
	v_add_u16_e32 v2, v2, v3
	v_add_u16_e32 v3, -10, v2
	v_min_u16_e32 v2, v2, v3
	v_mul_u32_u24_e32 v4, 0xcccd, v2
	v_lshrrev_b32_e32 v4, 19, v4
	v_mov_b32_dpp v3, v2 row_ror:4 row_mask:0xf bank_mask:0xf bound_ctrl:1
	v_mul_lo_u16_e32 v4, 10, v4
	v_sub_u16_e32 v2, v2, v4
	v_mul_u32_u24_sdwa v4, v3, s5 dst_sel:DWORD dst_unused:UNUSED_PAD src0_sel:WORD_0 src1_sel:DWORD
	v_lshrrev_b32_e32 v4, 19, v4
	v_mul_lo_u16_e32 v4, 10, v4
	v_sub_u16_e32 v3, v3, v4
	v_add_u16_e32 v2, v2, v3
	v_add_u16_e32 v3, -10, v2
	v_min_u16_e32 v2, v2, v3
	v_mul_u32_u24_e32 v4, 0xcccd, v2
	v_lshrrev_b32_e32 v4, 19, v4
	v_mov_b32_dpp v3, v2 row_ror:8 row_mask:0xf bank_mask:0xf bound_ctrl:1
	v_mul_lo_u16_e32 v4, 10, v4
	v_sub_u16_e32 v2, v2, v4
	v_mul_u32_u24_sdwa v4, v3, s5 dst_sel:DWORD dst_unused:UNUSED_PAD src0_sel:WORD_0 src1_sel:DWORD
	v_lshrrev_b32_e32 v4, 19, v4
	v_mul_lo_u16_e32 v4, 10, v4
	v_sub_u16_e32 v3, v3, v4
	v_add_u16_e32 v2, v2, v3
	v_add_u16_e32 v3, -10, v2
	v_min_u16_e32 v2, v2, v3
	v_mul_u32_u24_e32 v4, 0xcccd, v2
	v_lshrrev_b32_e32 v4, 19, v4
	v_mov_b32_dpp v3, v2 row_bcast:15 row_mask:0xf bank_mask:0xf bound_ctrl:1
	v_mul_lo_u16_e32 v4, 10, v4
	v_sub_u16_e32 v2, v2, v4
	v_mul_u32_u24_sdwa v4, v3, s5 dst_sel:DWORD dst_unused:UNUSED_PAD src0_sel:WORD_0 src1_sel:DWORD
	v_lshrrev_b32_e32 v4, 19, v4
	v_mul_lo_u16_e32 v4, 10, v4
	v_sub_u16_e32 v3, v3, v4
	v_add_u16_e32 v2, v2, v3
	v_add_u16_e32 v3, -10, v2
	v_min_u16_e32 v2, v2, v3
	v_mul_u32_u24_e32 v4, 0xcccd, v2
	v_lshrrev_b32_e32 v4, 19, v4
	v_mov_b32_dpp v3, v2 row_bcast:31 row_mask:0xf bank_mask:0xf bound_ctrl:1
	v_mul_lo_u16_e32 v4, 10, v4
	v_sub_u16_e32 v2, v2, v4
	v_mul_u32_u24_sdwa v4, v3, s5 dst_sel:DWORD dst_unused:UNUSED_PAD src0_sel:WORD_0 src1_sel:DWORD
	v_lshrrev_b32_e32 v4, 19, v4
	v_mul_lo_u16_e32 v4, 10, v4
	v_sub_u16_e32 v3, v3, v4
	v_add_u16_e32 v2, v2, v3
	v_add_u16_e32 v4, -10, v2
	v_lshlrev_b32_e32 v3, 2, v1
	v_or_b32_e32 v5, 0xfc, v3
	v_min_u16_e32 v2, v2, v4
	ds_bpermute_b32 v2, v5, v2
	v_cmp_eq_u32_e32 vcc, 0, v1
	s_and_saveexec_b64 s[6:7], vcc
	s_cbranch_execz .LBB630_7
; %bb.6:
	v_lshrrev_b32_e32 v4, 5, v0
	v_and_b32_e32 v4, 2, v4
	s_waitcnt lgkmcnt(0)
	ds_write_b16 v4, v2 offset:24
.LBB630_7:
	s_or_b64 exec, exec, s[6:7]
	v_cmp_gt_u32_e32 vcc, 64, v0
	s_waitcnt lgkmcnt(0)
	s_barrier
	s_and_saveexec_b64 s[6:7], vcc
	s_cbranch_execz .LBB630_9
; %bb.8:
	v_and_b32_e32 v1, 1, v1
	v_lshlrev_b32_e32 v1, 1, v1
	ds_read_u16 v1, v1 offset:24
	v_or_b32_e32 v2, 4, v3
	s_waitcnt lgkmcnt(0)
	v_and_b32_e32 v3, 0xffff, v1
	ds_bpermute_b32 v2, v2, v3
	v_mul_u32_u24_e32 v3, 0xcccd, v3
	v_lshrrev_b32_e32 v3, 19, v3
	v_mul_lo_u16_e32 v3, 10, v3
	v_sub_u16_e32 v1, v1, v3
	s_waitcnt lgkmcnt(0)
	v_mul_u32_u24_sdwa v4, v2, s5 dst_sel:DWORD dst_unused:UNUSED_PAD src0_sel:WORD_0 src1_sel:DWORD
	v_lshrrev_b32_e32 v4, 19, v4
	v_mul_lo_u16_e32 v4, 10, v4
	v_sub_u16_e32 v2, v2, v4
	v_add_u16_e32 v1, v2, v1
	v_add_u16_e32 v2, -10, v1
	v_min_u16_e32 v2, v1, v2
.LBB630_9:
	s_or_b64 exec, exec, s[6:7]
	s_mov_b64 s[6:7], 0
	s_branch .LBB630_23
.LBB630_10:
	s_mov_b64 s[66:67], 0
                                        ; implicit-def: $vgpr1
	s_cbranch_execz .LBB630_719
	s_branch .LBB630_562
.LBB630_11:
	s_mov_b64 s[66:67], 0
                                        ; implicit-def: $vgpr1
	s_cbranch_execnz .LBB630_455
	s_branch .LBB630_561
.LBB630_12:
	s_mov_b64 s[38:39], -1
.LBB630_13:
	s_mov_b64 s[66:67], 0
                                        ; implicit-def: $vgpr1
	s_and_b64 vcc, exec, s[38:39]
	s_cbranch_vccz .LBB630_398
.LBB630_14:
	s_cmp_eq_u32 s76, 32
	s_cbranch_scc0 .LBB630_21
; %bb.15:
	s_mov_b32 s3, 0
	s_lshl_b32 s4, s2, 12
	s_mov_b32 s5, s3
	s_lshr_b64 s[6:7], s[70:71], 12
	s_lshl_b64 s[8:9], s[4:5], 1
	s_add_u32 s72, s68, s8
	s_addc_u32 s73, s69, s9
	s_cmp_lg_u64 s[6:7], s[2:3]
	s_cbranch_scc0 .LBB630_236
; %bb.16:
	v_lshlrev_b32_e32 v2, 1, v0
	global_load_ushort v1, v2, s[72:73] offset:256
	global_load_ushort v6, v2, s[72:73]
	global_load_ushort v7, v2, s[72:73] offset:512
	global_load_ushort v8, v2, s[72:73] offset:768
	;; [unrolled: 1-line block ×14, first 2 shown]
	v_mov_b32_e32 v3, 0
	s_movk_i32 s6, 0x1000
	s_waitcnt lgkmcnt(0)
	v_lshl_add_u64 v[4:5], s[72:73], 0, v[2:3]
	v_add_co_u32_e32 v2, vcc, s6, v4
	s_mov_b32 s5, 0xcccd
	s_nop 0
	v_addc_co_u32_e32 v3, vcc, 0, v5, vcc
	global_load_ushort v4, v[2:3], off
	global_load_ushort v5, v[2:3], off offset:256
	global_load_ushort v21, v[2:3], off offset:512
	;; [unrolled: 1-line block ×14, first 2 shown]
	s_nop 0
	global_load_ushort v2, v[2:3], off offset:3840
	s_waitcnt vmcnt(31)
	v_mul_u32_u24_sdwa v3, v1, s5 dst_sel:DWORD dst_unused:UNUSED_PAD src0_sel:WORD_0 src1_sel:DWORD
	s_waitcnt vmcnt(30)
	v_mul_u32_u24_sdwa v34, v6, s5 dst_sel:DWORD dst_unused:UNUSED_PAD src0_sel:WORD_0 src1_sel:DWORD
	v_lshrrev_b32_e32 v3, 19, v3
	v_lshrrev_b32_e32 v34, 19, v34
	v_mul_lo_u16_e32 v3, 10, v3
	v_mul_lo_u16_e32 v34, 10, v34
	v_sub_u16_e32 v1, v1, v3
	v_sub_u16_e32 v3, v6, v34
	v_add_u16_e32 v1, v1, v3
	v_add_u16_e32 v3, -10, v1
	v_min_u16_e32 v1, v1, v3
	s_waitcnt vmcnt(29)
	v_mul_u32_u24_sdwa v35, v7, s5 dst_sel:DWORD dst_unused:UNUSED_PAD src0_sel:WORD_0 src1_sel:DWORD
	v_mul_u32_u24_e32 v3, 0xcccd, v1
	v_lshrrev_b32_e32 v35, 19, v35
	v_lshrrev_b32_e32 v3, 19, v3
	v_mul_lo_u16_e32 v35, 10, v35
	v_mul_lo_u16_e32 v3, 10, v3
	v_sub_u16_e32 v6, v7, v35
	v_sub_u16_e32 v1, v1, v3
	v_add_u16_e32 v1, v1, v6
	v_add_u16_e32 v3, -10, v1
	v_min_u16_e32 v1, v1, v3
	s_waitcnt vmcnt(28)
	v_mul_u32_u24_sdwa v36, v8, s5 dst_sel:DWORD dst_unused:UNUSED_PAD src0_sel:WORD_0 src1_sel:DWORD
	v_mul_u32_u24_e32 v3, 0xcccd, v1
	;; [unrolled: 12-line block ×14, first 2 shown]
	v_lshrrev_b32_e32 v3, 19, v3
	v_lshrrev_b32_e32 v6, 19, v6
	v_mul_lo_u16_e32 v3, 10, v3
	v_mul_lo_u16_e32 v6, 10, v6
	v_sub_u16_e32 v3, v20, v3
	v_sub_u16_e32 v1, v1, v6
	v_add_u16_e32 v1, v1, v3
	v_add_u16_e32 v3, -10, v1
	v_min_u16_e32 v1, v1, v3
	s_waitcnt vmcnt(15)
	v_mul_u32_u24_sdwa v3, v4, s5 dst_sel:DWORD dst_unused:UNUSED_PAD src0_sel:WORD_0 src1_sel:DWORD
	v_lshrrev_b32_e32 v3, 19, v3
	v_mul_lo_u16_e32 v3, 10, v3
	v_sub_u16_e32 v3, v4, v3
	v_mul_u32_u24_e32 v4, 0xcccd, v1
	v_lshrrev_b32_e32 v4, 19, v4
	v_mul_lo_u16_e32 v4, 10, v4
	v_sub_u16_e32 v1, v1, v4
	v_add_u16_e32 v1, v1, v3
	v_add_u16_e32 v3, -10, v1
	v_min_u16_e32 v1, v1, v3
	s_waitcnt vmcnt(14)
	v_mul_u32_u24_sdwa v3, v5, s5 dst_sel:DWORD dst_unused:UNUSED_PAD src0_sel:WORD_0 src1_sel:DWORD
	v_mul_u32_u24_e32 v4, 0xcccd, v1
	v_lshrrev_b32_e32 v3, 19, v3
	v_lshrrev_b32_e32 v4, 19, v4
	v_mul_lo_u16_e32 v3, 10, v3
	v_mul_lo_u16_e32 v4, 10, v4
	v_sub_u16_e32 v3, v5, v3
	v_sub_u16_e32 v1, v1, v4
	v_add_u16_e32 v1, v1, v3
	v_add_u16_e32 v3, -10, v1
	v_min_u16_e32 v1, v1, v3
	s_waitcnt vmcnt(13)
	v_mul_u32_u24_sdwa v3, v21, s5 dst_sel:DWORD dst_unused:UNUSED_PAD src0_sel:WORD_0 src1_sel:DWORD
	v_mul_u32_u24_e32 v4, 0xcccd, v1
	v_lshrrev_b32_e32 v3, 19, v3
	v_lshrrev_b32_e32 v4, 19, v4
	v_mul_lo_u16_e32 v3, 10, v3
	v_mul_lo_u16_e32 v4, 10, v4
	v_sub_u16_e32 v3, v21, v3
	;; [unrolled: 12-line block ×14, first 2 shown]
	v_sub_u16_e32 v1, v1, v4
	v_add_u16_e32 v1, v1, v3
	v_add_u16_e32 v3, -10, v1
	v_min_u16_e32 v1, v1, v3
	s_waitcnt vmcnt(0)
	v_mul_u32_u24_sdwa v3, v2, s5 dst_sel:DWORD dst_unused:UNUSED_PAD src0_sel:WORD_0 src1_sel:DWORD
	v_lshrrev_b32_e32 v3, 19, v3
	v_mul_lo_u16_e32 v3, 10, v3
	v_sub_u16_e32 v2, v2, v3
	v_mul_u32_u24_e32 v3, 0xcccd, v1
	v_lshrrev_b32_e32 v3, 19, v3
	v_mul_lo_u16_e32 v3, 10, v3
	v_sub_u16_e32 v1, v1, v3
	v_add_u16_e32 v1, v1, v2
	v_add_u16_e32 v2, -10, v1
	v_min_u16_e32 v2, v1, v2
	v_mul_u32_u24_e32 v4, 0xcccd, v2
	v_lshrrev_b32_e32 v4, 19, v4
	v_mov_b32_dpp v3, v2 quad_perm:[1,0,3,2] row_mask:0xf bank_mask:0xf bound_ctrl:1
	v_mul_lo_u16_e32 v4, 10, v4
	v_sub_u16_e32 v2, v2, v4
	v_mul_u32_u24_sdwa v4, v3, s5 dst_sel:DWORD dst_unused:UNUSED_PAD src0_sel:WORD_0 src1_sel:DWORD
	v_lshrrev_b32_e32 v4, 19, v4
	v_mul_lo_u16_e32 v4, 10, v4
	v_sub_u16_e32 v3, v3, v4
	v_add_u16_e32 v2, v2, v3
	v_add_u16_e32 v3, -10, v2
	v_min_u16_e32 v2, v2, v3
	v_mbcnt_lo_u32_b32 v1, -1, 0
	v_mbcnt_hi_u32_b32 v1, -1, v1
	v_mov_b32_dpp v3, v2 quad_perm:[2,3,0,1] row_mask:0xf bank_mask:0xf bound_ctrl:1
	v_mul_u32_u24_sdwa v4, v3, s5 dst_sel:DWORD dst_unused:UNUSED_PAD src0_sel:WORD_0 src1_sel:DWORD
	v_lshrrev_b32_e32 v4, 19, v4
	v_mul_lo_u16_e32 v4, 10, v4
	v_sub_u16_e32 v3, v3, v4
	v_add_u16_e32 v2, v2, v3
	v_add_u16_e32 v3, -10, v2
	v_min_u16_e32 v2, v2, v3
	v_mul_u32_u24_e32 v4, 0xcccd, v2
	v_lshrrev_b32_e32 v4, 19, v4
	v_mov_b32_dpp v3, v2 row_ror:4 row_mask:0xf bank_mask:0xf bound_ctrl:1
	v_mul_lo_u16_e32 v4, 10, v4
	v_sub_u16_e32 v2, v2, v4
	v_mul_u32_u24_sdwa v4, v3, s5 dst_sel:DWORD dst_unused:UNUSED_PAD src0_sel:WORD_0 src1_sel:DWORD
	v_lshrrev_b32_e32 v4, 19, v4
	v_mul_lo_u16_e32 v4, 10, v4
	v_sub_u16_e32 v3, v3, v4
	v_add_u16_e32 v2, v2, v3
	v_add_u16_e32 v3, -10, v2
	v_min_u16_e32 v2, v2, v3
	v_mul_u32_u24_e32 v4, 0xcccd, v2
	v_lshrrev_b32_e32 v4, 19, v4
	v_mov_b32_dpp v3, v2 row_ror:8 row_mask:0xf bank_mask:0xf bound_ctrl:1
	v_mul_lo_u16_e32 v4, 10, v4
	v_sub_u16_e32 v2, v2, v4
	v_mul_u32_u24_sdwa v4, v3, s5 dst_sel:DWORD dst_unused:UNUSED_PAD src0_sel:WORD_0 src1_sel:DWORD
	v_lshrrev_b32_e32 v4, 19, v4
	v_mul_lo_u16_e32 v4, 10, v4
	v_sub_u16_e32 v3, v3, v4
	v_add_u16_e32 v2, v2, v3
	v_add_u16_e32 v3, -10, v2
	v_min_u16_e32 v2, v2, v3
	v_mul_u32_u24_e32 v4, 0xcccd, v2
	v_lshrrev_b32_e32 v4, 19, v4
	v_mov_b32_dpp v3, v2 row_bcast:15 row_mask:0xf bank_mask:0xf bound_ctrl:1
	v_mul_lo_u16_e32 v4, 10, v4
	v_sub_u16_e32 v2, v2, v4
	v_mul_u32_u24_sdwa v4, v3, s5 dst_sel:DWORD dst_unused:UNUSED_PAD src0_sel:WORD_0 src1_sel:DWORD
	v_lshrrev_b32_e32 v4, 19, v4
	v_mul_lo_u16_e32 v4, 10, v4
	v_sub_u16_e32 v3, v3, v4
	v_add_u16_e32 v2, v2, v3
	v_add_u16_e32 v3, -10, v2
	v_min_u16_e32 v2, v2, v3
	v_mul_u32_u24_e32 v4, 0xcccd, v2
	v_lshrrev_b32_e32 v4, 19, v4
	v_mov_b32_dpp v3, v2 row_bcast:31 row_mask:0xf bank_mask:0xf bound_ctrl:1
	v_mul_lo_u16_e32 v4, 10, v4
	v_sub_u16_e32 v2, v2, v4
	v_mul_u32_u24_sdwa v4, v3, s5 dst_sel:DWORD dst_unused:UNUSED_PAD src0_sel:WORD_0 src1_sel:DWORD
	v_lshrrev_b32_e32 v4, 19, v4
	v_mul_lo_u16_e32 v4, 10, v4
	v_sub_u16_e32 v3, v3, v4
	v_add_u16_e32 v2, v2, v3
	v_add_u16_e32 v4, -10, v2
	v_lshlrev_b32_e32 v3, 2, v1
	v_or_b32_e32 v5, 0xfc, v3
	v_min_u16_e32 v2, v2, v4
	ds_bpermute_b32 v2, v5, v2
	v_cmp_eq_u32_e32 vcc, 0, v1
	s_and_saveexec_b64 s[6:7], vcc
	s_cbranch_execz .LBB630_18
; %bb.17:
	v_lshrrev_b32_e32 v4, 5, v0
	v_and_b32_e32 v4, 2, v4
	s_waitcnt lgkmcnt(0)
	ds_write_b16 v4, v2 offset:16
.LBB630_18:
	s_or_b64 exec, exec, s[6:7]
	v_cmp_gt_u32_e32 vcc, 64, v0
	s_waitcnt lgkmcnt(0)
	s_barrier
	s_and_saveexec_b64 s[6:7], vcc
	s_cbranch_execz .LBB630_20
; %bb.19:
	v_and_b32_e32 v1, 1, v1
	v_lshlrev_b32_e32 v1, 1, v1
	ds_read_u16 v1, v1 offset:16
	v_or_b32_e32 v2, 4, v3
	s_waitcnt lgkmcnt(0)
	v_and_b32_e32 v3, 0xffff, v1
	ds_bpermute_b32 v2, v2, v3
	v_mul_u32_u24_e32 v3, 0xcccd, v3
	v_lshrrev_b32_e32 v3, 19, v3
	v_mul_lo_u16_e32 v3, 10, v3
	v_sub_u16_e32 v1, v1, v3
	s_waitcnt lgkmcnt(0)
	v_mul_u32_u24_sdwa v4, v2, s5 dst_sel:DWORD dst_unused:UNUSED_PAD src0_sel:WORD_0 src1_sel:DWORD
	v_lshrrev_b32_e32 v4, 19, v4
	v_mul_lo_u16_e32 v4, 10, v4
	v_sub_u16_e32 v2, v2, v4
	v_add_u16_e32 v1, v2, v1
	v_add_u16_e32 v2, -10, v1
	v_min_u16_e32 v2, v1, v2
.LBB630_20:
	s_or_b64 exec, exec, s[6:7]
	s_mov_b64 s[6:7], 0
	s_branch .LBB630_237
.LBB630_21:
                                        ; implicit-def: $vgpr1
	s_branch .LBB630_561
.LBB630_22:
	s_mov_b64 s[6:7], -1
                                        ; implicit-def: $vgpr2
.LBB630_23:
	s_and_b64 vcc, exec, s[6:7]
	s_cbranch_vccz .LBB630_393
; %bb.24:
	s_sub_i32 s77, s70, s4
	s_mov_b32 s4, 0
	s_mov_b32 s5, s4
	;; [unrolled: 1-line block ×16, first 2 shown]
	v_mov_b64_e32 v[2:3], s[4:5]
	v_mov_b64_e32 v[16:17], s[18:19]
	;; [unrolled: 1-line block ×9, first 2 shown]
	v_cmp_gt_u32_e32 vcc, s77, v0
	v_mov_b64_e32 v[30:31], v[14:15]
	v_mov_b64_e32 v[28:29], v[12:13]
	;; [unrolled: 1-line block ×7, first 2 shown]
	s_and_saveexec_b64 s[4:5], vcc
	s_cbranch_execz .LBB630_26
; %bb.25:
	v_lshlrev_b32_e32 v1, 1, v0
	global_load_ushort v1, v1, s[40:41]
	v_mov_b32_e32 v3, 0
	v_mov_b32_e32 v4, v3
	;; [unrolled: 1-line block ×31, first 2 shown]
	s_waitcnt vmcnt(0)
	v_and_b32_e32 v2, 0xffff, v1
.LBB630_26:
	s_or_b64 exec, exec, s[4:5]
	v_or_b32_e32 v1, 0x80, v0
	v_cmp_gt_u32_e64 s[6:7], s77, v1
	s_mov_b64 s[4:5], exec
                                        ; implicit-def: $vgpr67 : SGPR spill to VGPR lane
	s_nop 0
	v_writelane_b32 v67, s6, 0
	s_nop 1
	v_writelane_b32 v67, s7, 1
	s_and_b64 s[6:7], s[4:5], s[6:7]
	s_mov_b64 exec, s[6:7]
	s_cbranch_execz .LBB630_28
; %bb.27:
	v_lshlrev_b32_e32 v1, 1, v0
	global_load_ushort v1, v1, s[40:41] offset:256
	s_mov_b32 s6, 0x5040100
	s_waitcnt vmcnt(0)
	v_perm_b32 v2, v1, v2, s6
.LBB630_28:
	s_or_b64 exec, exec, s[4:5]
	v_or_b32_e32 v1, 0x100, v0
	v_cmp_gt_u32_e64 s[6:7], s77, v1
	s_mov_b64 s[4:5], exec
	s_nop 0
	v_writelane_b32 v67, s6, 2
	s_nop 1
	v_writelane_b32 v67, s7, 3
	s_and_b64 s[6:7], s[4:5], s[6:7]
	s_mov_b64 exec, s[6:7]
	s_cbranch_execz .LBB630_30
; %bb.29:
	v_lshlrev_b32_e32 v1, 1, v0
	global_load_ushort v1, v1, s[40:41] offset:512
	s_mov_b32 s6, 0xffff
	s_waitcnt vmcnt(0)
	v_bfi_b32 v3, s6, v1, v3
.LBB630_30:
	s_or_b64 exec, exec, s[4:5]
	v_or_b32_e32 v1, 0x180, v0
	v_cmp_gt_u32_e64 s[6:7], s77, v1
	s_mov_b64 s[4:5], exec
	s_nop 0
	v_writelane_b32 v67, s6, 4
	s_nop 1
	v_writelane_b32 v67, s7, 5
	s_and_b64 s[6:7], s[4:5], s[6:7]
	s_mov_b64 exec, s[6:7]
	s_cbranch_execz .LBB630_32
; %bb.31:
	v_lshlrev_b32_e32 v1, 1, v0
	global_load_ushort v1, v1, s[40:41] offset:768
	s_mov_b32 s6, 0x5040100
	s_waitcnt vmcnt(0)
	v_perm_b32 v3, v1, v3, s6
.LBB630_32:
	s_or_b64 exec, exec, s[4:5]
	v_or_b32_e32 v1, 0x200, v0
	v_cmp_gt_u32_e64 s[6:7], s77, v1
	s_mov_b64 s[4:5], exec
	s_nop 0
	v_writelane_b32 v67, s6, 6
	s_nop 1
	v_writelane_b32 v67, s7, 7
	s_and_b64 s[6:7], s[4:5], s[6:7]
	s_mov_b64 exec, s[6:7]
	s_cbranch_execz .LBB630_34
; %bb.33:
	v_lshlrev_b32_e32 v1, 1, v0
	global_load_ushort v1, v1, s[40:41] offset:1024
	s_mov_b32 s6, 0xffff
	s_waitcnt vmcnt(0)
	v_bfi_b32 v4, s6, v1, v4
.LBB630_34:
	s_or_b64 exec, exec, s[4:5]
	v_or_b32_e32 v1, 0x280, v0
	v_cmp_gt_u32_e64 s[6:7], s77, v1
	s_mov_b64 s[4:5], exec
	;; [unrolled: 36-line block ×7, first 2 shown]
	s_nop 0
	v_writelane_b32 v67, s6, 28
	s_nop 1
	v_writelane_b32 v67, s7, 29
	s_and_b64 s[6:7], s[4:5], s[6:7]
	s_mov_b64 exec, s[6:7]
	s_cbranch_execz .LBB630_56
; %bb.55:
	v_lshlrev_b32_e32 v1, 1, v0
	global_load_ushort v1, v1, s[40:41] offset:3840
	s_mov_b32 s6, 0x5040100
	s_waitcnt vmcnt(0)
	v_perm_b32 v9, v1, v9, s6
.LBB630_56:
	s_or_b64 exec, exec, s[4:5]
	v_or_b32_e32 v1, 0x800, v0
	v_cmp_gt_u32_e64 s[6:7], s77, v1
	s_mov_b64 s[4:5], exec
	s_nop 0
	v_writelane_b32 v67, s6, 30
	s_nop 1
	v_writelane_b32 v67, s7, 31
	s_and_b64 s[6:7], s[4:5], s[6:7]
	s_mov_b64 exec, s[6:7]
	s_cbranch_execz .LBB630_58
; %bb.57:
	v_lshlrev_b32_e32 v1, 1, v1
	global_load_ushort v1, v1, s[40:41]
	s_mov_b32 s6, 0xffff
	s_waitcnt vmcnt(0)
	v_bfi_b32 v10, s6, v1, v10
.LBB630_58:
	s_or_b64 exec, exec, s[4:5]
	v_or_b32_e32 v1, 0x880, v0
	v_cmp_gt_u32_e64 s[6:7], s77, v1
	s_mov_b64 s[4:5], exec
	s_nop 0
	v_writelane_b32 v67, s6, 32
	s_nop 1
	v_writelane_b32 v67, s7, 33
	s_and_b64 s[6:7], s[4:5], s[6:7]
	s_mov_b64 exec, s[6:7]
	s_cbranch_execz .LBB630_60
; %bb.59:
	v_lshlrev_b32_e32 v1, 1, v1
	global_load_ushort v1, v1, s[40:41]
	s_mov_b32 s6, 0x5040100
	s_waitcnt vmcnt(0)
	v_perm_b32 v10, v1, v10, s6
.LBB630_60:
	s_or_b64 exec, exec, s[4:5]
	v_or_b32_e32 v1, 0x900, v0
	v_cmp_gt_u32_e64 s[6:7], s77, v1
	s_mov_b64 s[4:5], exec
	s_nop 0
	v_writelane_b32 v67, s6, 34
	s_nop 1
	v_writelane_b32 v67, s7, 35
	s_and_b64 s[6:7], s[4:5], s[6:7]
	s_mov_b64 exec, s[6:7]
	s_cbranch_execz .LBB630_62
; %bb.61:
	v_lshlrev_b32_e32 v1, 1, v1
	global_load_ushort v1, v1, s[40:41]
	s_mov_b32 s6, 0xffff
	s_waitcnt vmcnt(0)
	v_bfi_b32 v11, s6, v1, v11
.LBB630_62:
	s_or_b64 exec, exec, s[4:5]
	v_or_b32_e32 v1, 0x980, v0
	v_cmp_gt_u32_e64 s[6:7], s77, v1
	s_mov_b64 s[4:5], exec
	s_nop 0
	v_writelane_b32 v67, s6, 36
	s_nop 1
	v_writelane_b32 v67, s7, 37
	s_and_b64 s[6:7], s[4:5], s[6:7]
	s_mov_b64 exec, s[6:7]
	s_cbranch_execz .LBB630_64
; %bb.63:
	v_lshlrev_b32_e32 v1, 1, v1
	global_load_ushort v1, v1, s[40:41]
	s_mov_b32 s6, 0x5040100
	s_waitcnt vmcnt(0)
	v_perm_b32 v11, v1, v11, s6
.LBB630_64:
	;; [unrolled: 36-line block ×3, first 2 shown]
	s_or_b64 exec, exec, s[4:5]
	v_or_b32_e32 v1, 0xb00, v0
	v_cmp_gt_u32_e64 s[6:7], s77, v1
	s_mov_b64 s[4:5], exec
	s_nop 0
	v_writelane_b32 v67, s6, 42
	s_nop 1
	v_writelane_b32 v67, s7, 43
	s_and_b64 s[6:7], s[4:5], s[6:7]
	s_mov_b64 exec, s[6:7]
	s_cbranch_execz .LBB630_70
; %bb.69:
	v_lshlrev_b32_e32 v1, 1, v1
	global_load_ushort v1, v1, s[40:41]
	s_mov_b32 s6, 0xffff
	s_waitcnt vmcnt(0)
	v_bfi_b32 v13, s6, v1, v13
.LBB630_70:
	s_or_b64 exec, exec, s[4:5]
	v_or_b32_e32 v1, 0xb80, v0
	v_cmp_gt_u32_e64 s[48:49], s77, v1
	s_and_saveexec_b64 s[4:5], s[48:49]
	s_cbranch_execz .LBB630_72
; %bb.71:
	v_lshlrev_b32_e32 v1, 1, v1
	global_load_ushort v1, v1, s[40:41]
	s_mov_b32 s6, 0x5040100
	s_waitcnt vmcnt(0)
	v_perm_b32 v13, v1, v13, s6
.LBB630_72:
	s_or_b64 exec, exec, s[4:5]
	v_or_b32_e32 v1, 0xc00, v0
	v_cmp_gt_u32_e64 s[50:51], s77, v1
	s_and_saveexec_b64 s[4:5], s[50:51]
	s_cbranch_execz .LBB630_74
; %bb.73:
	v_lshlrev_b32_e32 v1, 1, v1
	global_load_ushort v1, v1, s[40:41]
	s_mov_b32 s6, 0xffff
	s_waitcnt vmcnt(0)
	v_bfi_b32 v14, s6, v1, v14
.LBB630_74:
	s_or_b64 exec, exec, s[4:5]
	v_or_b32_e32 v1, 0xc80, v0
	v_cmp_gt_u32_e64 s[52:53], s77, v1
	s_and_saveexec_b64 s[4:5], s[52:53]
	s_cbranch_execz .LBB630_76
; %bb.75:
	v_lshlrev_b32_e32 v1, 1, v1
	global_load_ushort v1, v1, s[40:41]
	s_mov_b32 s6, 0x5040100
	s_waitcnt vmcnt(0)
	v_perm_b32 v14, v1, v14, s6
.LBB630_76:
	s_or_b64 exec, exec, s[4:5]
	v_or_b32_e32 v1, 0xd00, v0
	v_cmp_gt_u32_e64 s[54:55], s77, v1
	s_and_saveexec_b64 s[4:5], s[54:55]
	;; [unrolled: 24-line block ×19, first 2 shown]
	s_cbranch_execz .LBB630_146
; %bb.145:
	v_lshlrev_b32_e32 v1, 1, v1
	global_load_ushort v1, v1, s[40:41]
	s_mov_b32 s30, 0xffff
	s_waitcnt vmcnt(0)
	v_bfi_b32 v32, s30, v1, v32
.LBB630_146:
	s_or_b64 exec, exec, s[28:29]
	v_or_b32_e32 v1, 0x1e80, v0
	v_cmp_gt_u32_e64 s[28:29], s77, v1
	s_and_saveexec_b64 s[30:31], s[28:29]
	s_cbranch_execz .LBB630_148
; %bb.147:
	v_lshlrev_b32_e32 v1, 1, v1
	global_load_ushort v1, v1, s[40:41]
	s_mov_b32 s42, 0x5040100
	s_waitcnt vmcnt(0)
	v_perm_b32 v32, v1, v32, s42
.LBB630_148:
	s_or_b64 exec, exec, s[30:31]
	v_or_b32_e32 v1, 0x1f00, v0
	v_cmp_gt_u32_e64 s[30:31], s77, v1
	s_and_saveexec_b64 vcc, s[30:31]
	s_cbranch_execz .LBB630_150
; %bb.149:
	v_lshlrev_b32_e32 v1, 1, v1
	global_load_ushort v1, v1, s[40:41]
	s_mov_b32 s42, 0xffff
	s_waitcnt vmcnt(0)
	v_bfi_b32 v33, s42, v1, v33
.LBB630_150:
	s_or_b64 exec, exec, vcc
	v_or_b32_e32 v1, 0x1f80, v0
	v_cmp_gt_u32_e32 vcc, s77, v1
	s_and_saveexec_b64 s[42:43], vcc
	s_cbranch_execz .LBB630_152
; %bb.151:
	v_lshlrev_b32_e32 v1, 1, v1
	global_load_ushort v1, v1, s[40:41]
	s_mov_b32 s40, 0x5040100
	s_waitcnt vmcnt(0)
	v_perm_b32 v33, v1, v33, s40
.LBB630_152:
	s_or_b64 exec, exec, s[42:43]
	s_mov_b64 s[40:41], exec
	v_readlane_b32 s42, v67, 0
	v_readlane_b32 s43, v67, 1
	s_and_b64 s[42:43], s[40:41], s[42:43]
	s_mov_b64 exec, s[42:43]
	s_cbranch_execz .LBB630_154
; %bb.153:
	s_mov_b32 s42, 0xcccd
	v_mul_u32_u24_sdwa v1, v2, s42 dst_sel:DWORD dst_unused:UNUSED_PAD src0_sel:WORD_1 src1_sel:DWORD
	v_mul_u32_u24_sdwa v34, v2, s42 dst_sel:DWORD dst_unused:UNUSED_PAD src0_sel:WORD_0 src1_sel:DWORD
	v_lshrrev_b32_e32 v1, 19, v1
	v_lshrrev_b32_e32 v34, 19, v34
	v_mul_lo_u16_e32 v1, 10, v1
	v_mul_lo_u16_e32 v34, 10, v34
	v_sub_u16_sdwa v1, v2, v1 dst_sel:DWORD dst_unused:UNUSED_PAD src0_sel:WORD_1 src1_sel:DWORD
	v_sub_u16_e32 v2, v2, v34
	v_add_u16_e32 v1, v1, v2
	v_add_u16_e32 v2, -10, v1
	v_min_u16_e32 v2, v1, v2
.LBB630_154:
	s_or_b64 exec, exec, s[40:41]
	s_mov_b64 s[40:41], exec
	v_readlane_b32 s42, v67, 2
	v_readlane_b32 s43, v67, 3
	s_and_b64 s[42:43], s[40:41], s[42:43]
	s_mov_b64 exec, s[42:43]
	s_cbranch_execz .LBB630_156
; %bb.155:
	s_mov_b32 s42, 0xcccd
	v_mul_u32_u24_sdwa v1, v3, s42 dst_sel:DWORD dst_unused:UNUSED_PAD src0_sel:WORD_0 src1_sel:DWORD
	v_mul_u32_u24_sdwa v34, v2, s42 dst_sel:DWORD dst_unused:UNUSED_PAD src0_sel:WORD_0 src1_sel:DWORD
	v_lshrrev_b32_e32 v1, 19, v1
	v_lshrrev_b32_e32 v34, 19, v34
	v_mul_lo_u16_e32 v1, 10, v1
	v_mul_lo_u16_e32 v34, 10, v34
	v_sub_u16_e32 v1, v3, v1
	v_sub_u16_e32 v2, v2, v34
	v_add_u16_e32 v1, v2, v1
	v_add_u16_e32 v2, -10, v1
	v_min_u16_e32 v2, v1, v2
.LBB630_156:
	s_or_b64 exec, exec, s[40:41]
	s_mov_b64 s[40:41], exec
	v_readlane_b32 s42, v67, 4
	v_readlane_b32 s43, v67, 5
	s_and_b64 s[42:43], s[40:41], s[42:43]
	s_mov_b64 exec, s[42:43]
	s_cbranch_execz .LBB630_158
; %bb.157:
	s_mov_b32 s42, 0xcccd
	v_mul_u32_u24_sdwa v1, v3, s42 dst_sel:DWORD dst_unused:UNUSED_PAD src0_sel:WORD_1 src1_sel:DWORD
	v_lshrrev_b32_e32 v1, 19, v1
	v_mul_lo_u16_e32 v1, 10, v1
	v_sub_u16_sdwa v1, v3, v1 dst_sel:DWORD dst_unused:UNUSED_PAD src0_sel:WORD_1 src1_sel:DWORD
	v_mul_u32_u24_sdwa v3, v2, s42 dst_sel:DWORD dst_unused:UNUSED_PAD src0_sel:WORD_0 src1_sel:DWORD
	v_lshrrev_b32_e32 v3, 19, v3
	v_mul_lo_u16_e32 v3, 10, v3
	v_sub_u16_e32 v2, v2, v3
	v_add_u16_e32 v1, v2, v1
	v_add_u16_e32 v2, -10, v1
	v_min_u16_e32 v2, v1, v2
.LBB630_158:
	s_or_b64 exec, exec, s[40:41]
	s_mov_b64 s[40:41], exec
	v_readlane_b32 s42, v67, 6
	v_readlane_b32 s43, v67, 7
	s_and_b64 s[42:43], s[40:41], s[42:43]
	s_mov_b64 exec, s[42:43]
	s_cbranch_execz .LBB630_160
; %bb.159:
	s_mov_b32 s42, 0xcccd
	v_mul_u32_u24_sdwa v1, v4, s42 dst_sel:DWORD dst_unused:UNUSED_PAD src0_sel:WORD_0 src1_sel:DWORD
	v_mul_u32_u24_sdwa v3, v2, s42 dst_sel:DWORD dst_unused:UNUSED_PAD src0_sel:WORD_0 src1_sel:DWORD
	v_lshrrev_b32_e32 v1, 19, v1
	v_lshrrev_b32_e32 v3, 19, v3
	v_mul_lo_u16_e32 v1, 10, v1
	v_mul_lo_u16_e32 v3, 10, v3
	v_sub_u16_e32 v1, v4, v1
	v_sub_u16_e32 v2, v2, v3
	v_add_u16_e32 v1, v2, v1
	v_add_u16_e32 v2, -10, v1
	v_min_u16_e32 v2, v1, v2
.LBB630_160:
	s_or_b64 exec, exec, s[40:41]
	s_mov_b64 s[40:41], exec
	v_readlane_b32 s42, v67, 8
	v_readlane_b32 s43, v67, 9
	s_and_b64 s[42:43], s[40:41], s[42:43]
	s_mov_b64 exec, s[42:43]
	s_cbranch_execz .LBB630_162
; %bb.161:
	s_mov_b32 s42, 0xcccd
	v_mul_u32_u24_sdwa v1, v4, s42 dst_sel:DWORD dst_unused:UNUSED_PAD src0_sel:WORD_1 src1_sel:DWORD
	v_mul_u32_u24_sdwa v3, v2, s42 dst_sel:DWORD dst_unused:UNUSED_PAD src0_sel:WORD_0 src1_sel:DWORD
	v_lshrrev_b32_e32 v1, 19, v1
	v_lshrrev_b32_e32 v3, 19, v3
	v_mul_lo_u16_e32 v1, 10, v1
	v_mul_lo_u16_e32 v3, 10, v3
	v_sub_u16_sdwa v1, v4, v1 dst_sel:DWORD dst_unused:UNUSED_PAD src0_sel:WORD_1 src1_sel:DWORD
	v_sub_u16_e32 v2, v2, v3
	v_add_u16_e32 v1, v2, v1
	v_add_u16_e32 v2, -10, v1
	v_min_u16_e32 v2, v1, v2
.LBB630_162:
	s_or_b64 exec, exec, s[40:41]
	s_mov_b64 s[40:41], exec
	v_readlane_b32 s42, v67, 10
	v_readlane_b32 s43, v67, 11
	s_and_b64 s[42:43], s[40:41], s[42:43]
	s_mov_b64 exec, s[42:43]
	s_cbranch_execz .LBB630_164
; %bb.163:
	s_mov_b32 s42, 0xcccd
	v_mul_u32_u24_sdwa v1, v5, s42 dst_sel:DWORD dst_unused:UNUSED_PAD src0_sel:WORD_0 src1_sel:DWORD
	v_mul_u32_u24_sdwa v3, v2, s42 dst_sel:DWORD dst_unused:UNUSED_PAD src0_sel:WORD_0 src1_sel:DWORD
	v_lshrrev_b32_e32 v1, 19, v1
	v_lshrrev_b32_e32 v3, 19, v3
	v_mul_lo_u16_e32 v1, 10, v1
	v_mul_lo_u16_e32 v3, 10, v3
	v_sub_u16_e32 v1, v5, v1
	v_sub_u16_e32 v2, v2, v3
	v_add_u16_e32 v1, v2, v1
	v_add_u16_e32 v2, -10, v1
	v_min_u16_e32 v2, v1, v2
.LBB630_164:
	s_or_b64 exec, exec, s[40:41]
	s_mov_b64 s[40:41], exec
	v_readlane_b32 s42, v67, 12
	v_readlane_b32 s43, v67, 13
	s_and_b64 s[42:43], s[40:41], s[42:43]
	s_mov_b64 exec, s[42:43]
	s_cbranch_execz .LBB630_166
; %bb.165:
	s_mov_b32 s42, 0xcccd
	v_mul_u32_u24_sdwa v1, v5, s42 dst_sel:DWORD dst_unused:UNUSED_PAD src0_sel:WORD_1 src1_sel:DWORD
	v_mul_u32_u24_sdwa v3, v2, s42 dst_sel:DWORD dst_unused:UNUSED_PAD src0_sel:WORD_0 src1_sel:DWORD
	v_lshrrev_b32_e32 v1, 19, v1
	v_lshrrev_b32_e32 v3, 19, v3
	v_mul_lo_u16_e32 v1, 10, v1
	v_mul_lo_u16_e32 v3, 10, v3
	v_sub_u16_sdwa v1, v5, v1 dst_sel:DWORD dst_unused:UNUSED_PAD src0_sel:WORD_1 src1_sel:DWORD
	v_sub_u16_e32 v2, v2, v3
	v_add_u16_e32 v1, v2, v1
	v_add_u16_e32 v2, -10, v1
	v_min_u16_e32 v2, v1, v2
.LBB630_166:
	;; [unrolled: 42-line block ×9, first 2 shown]
	s_or_b64 exec, exec, s[40:41]
	s_mov_b64 s[40:41], exec
	v_readlane_b32 s42, v67, 42
	v_readlane_b32 s43, v67, 43
	s_and_b64 s[42:43], s[40:41], s[42:43]
	s_mov_b64 exec, s[42:43]
	s_cbranch_execz .LBB630_332
; %bb.195:
	s_mov_b32 s42, 0xcccd
	v_mul_u32_u24_sdwa v1, v13, s42 dst_sel:DWORD dst_unused:UNUSED_PAD src0_sel:WORD_0 src1_sel:DWORD
	v_mul_u32_u24_sdwa v3, v2, s42 dst_sel:DWORD dst_unused:UNUSED_PAD src0_sel:WORD_0 src1_sel:DWORD
	v_lshrrev_b32_e32 v1, 19, v1
	v_lshrrev_b32_e32 v3, 19, v3
	v_mul_lo_u16_e32 v1, 10, v1
	v_mul_lo_u16_e32 v3, 10, v3
	v_sub_u16_e32 v1, v13, v1
	v_sub_u16_e32 v2, v2, v3
	v_add_u16_e32 v1, v2, v1
	v_add_u16_e32 v2, -10, v1
	v_min_u16_e32 v2, v1, v2
	s_or_b64 exec, exec, s[40:41]
	s_and_saveexec_b64 s[40:41], s[48:49]
	s_cbranch_execnz .LBB630_333
.LBB630_196:
	s_or_b64 exec, exec, s[40:41]
	s_and_saveexec_b64 s[40:41], s[50:51]
	s_cbranch_execz .LBB630_334
.LBB630_197:
	s_mov_b32 s42, 0xcccd
	v_mul_u32_u24_sdwa v1, v14, s42 dst_sel:DWORD dst_unused:UNUSED_PAD src0_sel:WORD_0 src1_sel:DWORD
	v_mul_u32_u24_sdwa v3, v2, s42 dst_sel:DWORD dst_unused:UNUSED_PAD src0_sel:WORD_0 src1_sel:DWORD
	v_lshrrev_b32_e32 v1, 19, v1
	v_lshrrev_b32_e32 v3, 19, v3
	v_mul_lo_u16_e32 v1, 10, v1
	v_mul_lo_u16_e32 v3, 10, v3
	v_sub_u16_e32 v1, v14, v1
	v_sub_u16_e32 v2, v2, v3
	v_add_u16_e32 v1, v2, v1
	v_add_u16_e32 v2, -10, v1
	v_min_u16_e32 v2, v1, v2
	s_or_b64 exec, exec, s[40:41]
	s_and_saveexec_b64 s[40:41], s[52:53]
	s_cbranch_execnz .LBB630_335
.LBB630_198:
	s_or_b64 exec, exec, s[40:41]
	s_and_saveexec_b64 s[40:41], s[54:55]
	s_cbranch_execz .LBB630_336
.LBB630_199:
	s_mov_b32 s42, 0xcccd
	v_mul_u32_u24_sdwa v1, v15, s42 dst_sel:DWORD dst_unused:UNUSED_PAD src0_sel:WORD_0 src1_sel:DWORD
	v_mul_u32_u24_sdwa v3, v2, s42 dst_sel:DWORD dst_unused:UNUSED_PAD src0_sel:WORD_0 src1_sel:DWORD
	v_lshrrev_b32_e32 v1, 19, v1
	v_lshrrev_b32_e32 v3, 19, v3
	v_mul_lo_u16_e32 v1, 10, v1
	v_mul_lo_u16_e32 v3, 10, v3
	v_sub_u16_e32 v1, v15, v1
	v_sub_u16_e32 v2, v2, v3
	v_add_u16_e32 v1, v2, v1
	v_add_u16_e32 v2, -10, v1
	v_min_u16_e32 v2, v1, v2
	s_or_b64 exec, exec, s[40:41]
	s_and_saveexec_b64 s[40:41], s[56:57]
	s_cbranch_execnz .LBB630_337
.LBB630_200:
	s_or_b64 exec, exec, s[40:41]
	s_and_saveexec_b64 s[40:41], s[58:59]
	s_cbranch_execz .LBB630_338
.LBB630_201:
	s_mov_b32 s42, 0xcccd
	v_mul_u32_u24_sdwa v1, v16, s42 dst_sel:DWORD dst_unused:UNUSED_PAD src0_sel:WORD_0 src1_sel:DWORD
	v_mul_u32_u24_sdwa v3, v2, s42 dst_sel:DWORD dst_unused:UNUSED_PAD src0_sel:WORD_0 src1_sel:DWORD
	v_lshrrev_b32_e32 v1, 19, v1
	v_lshrrev_b32_e32 v3, 19, v3
	v_mul_lo_u16_e32 v1, 10, v1
	v_mul_lo_u16_e32 v3, 10, v3
	v_sub_u16_e32 v1, v16, v1
	v_sub_u16_e32 v2, v2, v3
	v_add_u16_e32 v1, v2, v1
	v_add_u16_e32 v2, -10, v1
	v_min_u16_e32 v2, v1, v2
	s_or_b64 exec, exec, s[40:41]
	s_and_saveexec_b64 s[40:41], s[60:61]
	s_cbranch_execnz .LBB630_339
.LBB630_202:
	s_or_b64 exec, exec, s[40:41]
	s_and_saveexec_b64 s[40:41], s[62:63]
	s_cbranch_execz .LBB630_340
.LBB630_203:
	s_mov_b32 s42, 0xcccd
	v_mul_u32_u24_sdwa v1, v17, s42 dst_sel:DWORD dst_unused:UNUSED_PAD src0_sel:WORD_0 src1_sel:DWORD
	v_mul_u32_u24_sdwa v3, v2, s42 dst_sel:DWORD dst_unused:UNUSED_PAD src0_sel:WORD_0 src1_sel:DWORD
	v_lshrrev_b32_e32 v1, 19, v1
	v_lshrrev_b32_e32 v3, 19, v3
	v_mul_lo_u16_e32 v1, 10, v1
	v_mul_lo_u16_e32 v3, 10, v3
	v_sub_u16_e32 v1, v17, v1
	v_sub_u16_e32 v2, v2, v3
	v_add_u16_e32 v1, v2, v1
	v_add_u16_e32 v2, -10, v1
	v_min_u16_e32 v2, v1, v2
	s_or_b64 exec, exec, s[40:41]
	s_and_saveexec_b64 s[40:41], s[64:65]
	s_cbranch_execnz .LBB630_341
.LBB630_204:
	s_or_b64 exec, exec, s[40:41]
	s_and_saveexec_b64 s[40:41], s[66:67]
	s_cbranch_execz .LBB630_342
.LBB630_205:
	s_mov_b32 s42, 0xcccd
	v_mul_u32_u24_sdwa v1, v18, s42 dst_sel:DWORD dst_unused:UNUSED_PAD src0_sel:WORD_0 src1_sel:DWORD
	v_mul_u32_u24_sdwa v3, v2, s42 dst_sel:DWORD dst_unused:UNUSED_PAD src0_sel:WORD_0 src1_sel:DWORD
	v_lshrrev_b32_e32 v1, 19, v1
	v_lshrrev_b32_e32 v3, 19, v3
	v_mul_lo_u16_e32 v1, 10, v1
	v_mul_lo_u16_e32 v3, 10, v3
	v_sub_u16_e32 v1, v18, v1
	v_sub_u16_e32 v2, v2, v3
	v_add_u16_e32 v1, v2, v1
	v_add_u16_e32 v2, -10, v1
	v_min_u16_e32 v2, v1, v2
	s_or_b64 exec, exec, s[40:41]
	s_and_saveexec_b64 s[40:41], s[34:35]
	s_cbranch_execnz .LBB630_343
.LBB630_206:
	s_or_b64 exec, exec, s[40:41]
	s_and_saveexec_b64 s[34:35], s[36:37]
	s_cbranch_execz .LBB630_344
.LBB630_207:
	s_mov_b32 s36, 0xcccd
	v_mul_u32_u24_sdwa v1, v19, s36 dst_sel:DWORD dst_unused:UNUSED_PAD src0_sel:WORD_0 src1_sel:DWORD
	v_mul_u32_u24_sdwa v3, v2, s36 dst_sel:DWORD dst_unused:UNUSED_PAD src0_sel:WORD_0 src1_sel:DWORD
	v_lshrrev_b32_e32 v1, 19, v1
	v_lshrrev_b32_e32 v3, 19, v3
	v_mul_lo_u16_e32 v1, 10, v1
	v_mul_lo_u16_e32 v3, 10, v3
	v_sub_u16_e32 v1, v19, v1
	v_sub_u16_e32 v2, v2, v3
	v_add_u16_e32 v1, v2, v1
	v_add_u16_e32 v2, -10, v1
	v_min_u16_e32 v2, v1, v2
	s_or_b64 exec, exec, s[34:35]
	s_and_saveexec_b64 s[34:35], s[72:73]
	s_cbranch_execnz .LBB630_345
.LBB630_208:
	s_or_b64 exec, exec, s[34:35]
	s_and_saveexec_b64 s[34:35], s[74:75]
	s_cbranch_execz .LBB630_346
.LBB630_209:
	s_mov_b32 s36, 0xcccd
	v_mul_u32_u24_sdwa v1, v20, s36 dst_sel:DWORD dst_unused:UNUSED_PAD src0_sel:WORD_0 src1_sel:DWORD
	v_mul_u32_u24_sdwa v3, v2, s36 dst_sel:DWORD dst_unused:UNUSED_PAD src0_sel:WORD_0 src1_sel:DWORD
	v_lshrrev_b32_e32 v1, 19, v1
	v_lshrrev_b32_e32 v3, 19, v3
	v_mul_lo_u16_e32 v1, 10, v1
	v_mul_lo_u16_e32 v3, 10, v3
	v_sub_u16_e32 v1, v20, v1
	v_sub_u16_e32 v2, v2, v3
	v_add_u16_e32 v1, v2, v1
	v_add_u16_e32 v2, -10, v1
	v_min_u16_e32 v2, v1, v2
	s_or_b64 exec, exec, s[34:35]
	s_and_saveexec_b64 s[34:35], s[44:45]
	s_cbranch_execnz .LBB630_347
.LBB630_210:
	s_or_b64 exec, exec, s[34:35]
	s_and_saveexec_b64 s[34:35], s[78:79]
	s_cbranch_execz .LBB630_348
.LBB630_211:
	s_mov_b32 s36, 0xcccd
	v_mul_u32_u24_sdwa v1, v21, s36 dst_sel:DWORD dst_unused:UNUSED_PAD src0_sel:WORD_0 src1_sel:DWORD
	v_mul_u32_u24_sdwa v3, v2, s36 dst_sel:DWORD dst_unused:UNUSED_PAD src0_sel:WORD_0 src1_sel:DWORD
	v_lshrrev_b32_e32 v1, 19, v1
	v_lshrrev_b32_e32 v3, 19, v3
	v_mul_lo_u16_e32 v1, 10, v1
	v_mul_lo_u16_e32 v3, 10, v3
	v_sub_u16_e32 v1, v21, v1
	v_sub_u16_e32 v2, v2, v3
	v_add_u16_e32 v1, v2, v1
	v_add_u16_e32 v2, -10, v1
	v_min_u16_e32 v2, v1, v2
	s_or_b64 exec, exec, s[34:35]
	s_and_saveexec_b64 s[34:35], s[80:81]
	s_cbranch_execnz .LBB630_349
.LBB630_212:
	s_or_b64 exec, exec, s[34:35]
	s_and_saveexec_b64 s[34:35], s[82:83]
	s_cbranch_execz .LBB630_350
.LBB630_213:
	s_mov_b32 s36, 0xcccd
	v_mul_u32_u24_sdwa v1, v22, s36 dst_sel:DWORD dst_unused:UNUSED_PAD src0_sel:WORD_0 src1_sel:DWORD
	v_mul_u32_u24_sdwa v3, v2, s36 dst_sel:DWORD dst_unused:UNUSED_PAD src0_sel:WORD_0 src1_sel:DWORD
	v_lshrrev_b32_e32 v1, 19, v1
	v_lshrrev_b32_e32 v3, 19, v3
	v_mul_lo_u16_e32 v1, 10, v1
	v_mul_lo_u16_e32 v3, 10, v3
	v_sub_u16_e32 v1, v22, v1
	v_sub_u16_e32 v2, v2, v3
	v_add_u16_e32 v1, v2, v1
	v_add_u16_e32 v2, -10, v1
	v_min_u16_e32 v2, v1, v2
	s_or_b64 exec, exec, s[34:35]
	s_and_saveexec_b64 s[34:35], s[84:85]
	s_cbranch_execnz .LBB630_351
.LBB630_214:
	s_or_b64 exec, exec, s[34:35]
	s_and_saveexec_b64 s[34:35], s[86:87]
	s_cbranch_execz .LBB630_352
.LBB630_215:
	s_mov_b32 s36, 0xcccd
	v_mul_u32_u24_sdwa v1, v23, s36 dst_sel:DWORD dst_unused:UNUSED_PAD src0_sel:WORD_0 src1_sel:DWORD
	v_mul_u32_u24_sdwa v3, v2, s36 dst_sel:DWORD dst_unused:UNUSED_PAD src0_sel:WORD_0 src1_sel:DWORD
	v_lshrrev_b32_e32 v1, 19, v1
	v_lshrrev_b32_e32 v3, 19, v3
	v_mul_lo_u16_e32 v1, 10, v1
	v_mul_lo_u16_e32 v3, 10, v3
	v_sub_u16_e32 v1, v23, v1
	v_sub_u16_e32 v2, v2, v3
	v_add_u16_e32 v1, v2, v1
	v_add_u16_e32 v2, -10, v1
	v_min_u16_e32 v2, v1, v2
	s_or_b64 exec, exec, s[34:35]
	s_and_saveexec_b64 s[34:35], s[88:89]
	s_cbranch_execnz .LBB630_353
.LBB630_216:
	s_or_b64 exec, exec, s[34:35]
	s_and_saveexec_b64 s[34:35], s[90:91]
	s_cbranch_execz .LBB630_354
.LBB630_217:
	s_mov_b32 s36, 0xcccd
	v_mul_u32_u24_sdwa v1, v24, s36 dst_sel:DWORD dst_unused:UNUSED_PAD src0_sel:WORD_0 src1_sel:DWORD
	v_mul_u32_u24_sdwa v3, v2, s36 dst_sel:DWORD dst_unused:UNUSED_PAD src0_sel:WORD_0 src1_sel:DWORD
	v_lshrrev_b32_e32 v1, 19, v1
	v_lshrrev_b32_e32 v3, 19, v3
	v_mul_lo_u16_e32 v1, 10, v1
	v_mul_lo_u16_e32 v3, 10, v3
	v_sub_u16_e32 v1, v24, v1
	v_sub_u16_e32 v2, v2, v3
	v_add_u16_e32 v1, v2, v1
	v_add_u16_e32 v2, -10, v1
	v_min_u16_e32 v2, v1, v2
	s_or_b64 exec, exec, s[34:35]
	s_and_saveexec_b64 s[34:35], s[92:93]
	s_cbranch_execnz .LBB630_355
.LBB630_218:
	s_or_b64 exec, exec, s[34:35]
	s_and_saveexec_b64 s[34:35], s[94:95]
	s_cbranch_execz .LBB630_356
.LBB630_219:
	s_mov_b32 s36, 0xcccd
	v_mul_u32_u24_sdwa v1, v25, s36 dst_sel:DWORD dst_unused:UNUSED_PAD src0_sel:WORD_0 src1_sel:DWORD
	v_mul_u32_u24_sdwa v3, v2, s36 dst_sel:DWORD dst_unused:UNUSED_PAD src0_sel:WORD_0 src1_sel:DWORD
	v_lshrrev_b32_e32 v1, 19, v1
	v_lshrrev_b32_e32 v3, 19, v3
	v_mul_lo_u16_e32 v1, 10, v1
	v_mul_lo_u16_e32 v3, 10, v3
	v_sub_u16_e32 v1, v25, v1
	v_sub_u16_e32 v2, v2, v3
	v_add_u16_e32 v1, v2, v1
	v_add_u16_e32 v2, -10, v1
	v_min_u16_e32 v2, v1, v2
	s_or_b64 exec, exec, s[34:35]
	s_and_saveexec_b64 s[34:35], s[96:97]
	s_cbranch_execnz .LBB630_357
.LBB630_220:
	s_or_b64 exec, exec, s[34:35]
	s_and_saveexec_b64 s[34:35], s[98:99]
	s_cbranch_execz .LBB630_358
.LBB630_221:
	s_mov_b32 s36, 0xcccd
	v_mul_u32_u24_sdwa v1, v26, s36 dst_sel:DWORD dst_unused:UNUSED_PAD src0_sel:WORD_0 src1_sel:DWORD
	v_mul_u32_u24_sdwa v3, v2, s36 dst_sel:DWORD dst_unused:UNUSED_PAD src0_sel:WORD_0 src1_sel:DWORD
	v_lshrrev_b32_e32 v1, 19, v1
	v_lshrrev_b32_e32 v3, 19, v3
	v_mul_lo_u16_e32 v1, 10, v1
	v_mul_lo_u16_e32 v3, 10, v3
	v_sub_u16_e32 v1, v26, v1
	v_sub_u16_e32 v2, v2, v3
	v_add_u16_e32 v1, v2, v1
	v_add_u16_e32 v2, -10, v1
	v_min_u16_e32 v2, v1, v2
	s_or_b64 exec, exec, s[34:35]
	s_and_saveexec_b64 s[34:35], s[4:5]
	s_cbranch_execnz .LBB630_359
.LBB630_222:
	s_or_b64 exec, exec, s[34:35]
	s_and_saveexec_b64 s[4:5], s[6:7]
	s_cbranch_execz .LBB630_360
.LBB630_223:
	s_mov_b32 s6, 0xcccd
	v_mul_u32_u24_sdwa v1, v27, s6 dst_sel:DWORD dst_unused:UNUSED_PAD src0_sel:WORD_0 src1_sel:DWORD
	v_mul_u32_u24_sdwa v3, v2, s6 dst_sel:DWORD dst_unused:UNUSED_PAD src0_sel:WORD_0 src1_sel:DWORD
	v_lshrrev_b32_e32 v1, 19, v1
	v_lshrrev_b32_e32 v3, 19, v3
	v_mul_lo_u16_e32 v1, 10, v1
	v_mul_lo_u16_e32 v3, 10, v3
	v_sub_u16_e32 v1, v27, v1
	v_sub_u16_e32 v2, v2, v3
	v_add_u16_e32 v1, v2, v1
	v_add_u16_e32 v2, -10, v1
	v_min_u16_e32 v2, v1, v2
	s_or_b64 exec, exec, s[4:5]
	s_and_saveexec_b64 s[4:5], s[8:9]
	s_cbranch_execnz .LBB630_361
.LBB630_224:
	s_or_b64 exec, exec, s[4:5]
	s_and_saveexec_b64 s[4:5], s[10:11]
	s_cbranch_execz .LBB630_362
.LBB630_225:
	s_mov_b32 s6, 0xcccd
	v_mul_u32_u24_sdwa v1, v28, s6 dst_sel:DWORD dst_unused:UNUSED_PAD src0_sel:WORD_0 src1_sel:DWORD
	v_mul_u32_u24_sdwa v3, v2, s6 dst_sel:DWORD dst_unused:UNUSED_PAD src0_sel:WORD_0 src1_sel:DWORD
	v_lshrrev_b32_e32 v1, 19, v1
	v_lshrrev_b32_e32 v3, 19, v3
	v_mul_lo_u16_e32 v1, 10, v1
	v_mul_lo_u16_e32 v3, 10, v3
	v_sub_u16_e32 v1, v28, v1
	v_sub_u16_e32 v2, v2, v3
	v_add_u16_e32 v1, v2, v1
	v_add_u16_e32 v2, -10, v1
	v_min_u16_e32 v2, v1, v2
	s_or_b64 exec, exec, s[4:5]
	s_and_saveexec_b64 s[4:5], s[12:13]
	s_cbranch_execnz .LBB630_363
.LBB630_226:
	s_or_b64 exec, exec, s[4:5]
	s_and_saveexec_b64 s[4:5], s[14:15]
	s_cbranch_execz .LBB630_364
.LBB630_227:
	s_mov_b32 s6, 0xcccd
	v_mul_u32_u24_sdwa v1, v29, s6 dst_sel:DWORD dst_unused:UNUSED_PAD src0_sel:WORD_0 src1_sel:DWORD
	v_mul_u32_u24_sdwa v3, v2, s6 dst_sel:DWORD dst_unused:UNUSED_PAD src0_sel:WORD_0 src1_sel:DWORD
	v_lshrrev_b32_e32 v1, 19, v1
	v_lshrrev_b32_e32 v3, 19, v3
	v_mul_lo_u16_e32 v1, 10, v1
	v_mul_lo_u16_e32 v3, 10, v3
	v_sub_u16_e32 v1, v29, v1
	v_sub_u16_e32 v2, v2, v3
	v_add_u16_e32 v1, v2, v1
	v_add_u16_e32 v2, -10, v1
	v_min_u16_e32 v2, v1, v2
	s_or_b64 exec, exec, s[4:5]
	s_and_saveexec_b64 s[4:5], s[16:17]
	s_cbranch_execnz .LBB630_365
.LBB630_228:
	s_or_b64 exec, exec, s[4:5]
	s_and_saveexec_b64 s[4:5], s[18:19]
	s_cbranch_execz .LBB630_366
.LBB630_229:
	s_mov_b32 s6, 0xcccd
	v_mul_u32_u24_sdwa v1, v30, s6 dst_sel:DWORD dst_unused:UNUSED_PAD src0_sel:WORD_0 src1_sel:DWORD
	v_mul_u32_u24_sdwa v3, v2, s6 dst_sel:DWORD dst_unused:UNUSED_PAD src0_sel:WORD_0 src1_sel:DWORD
	v_lshrrev_b32_e32 v1, 19, v1
	v_lshrrev_b32_e32 v3, 19, v3
	v_mul_lo_u16_e32 v1, 10, v1
	v_mul_lo_u16_e32 v3, 10, v3
	v_sub_u16_e32 v1, v30, v1
	v_sub_u16_e32 v2, v2, v3
	v_add_u16_e32 v1, v2, v1
	v_add_u16_e32 v2, -10, v1
	v_min_u16_e32 v2, v1, v2
	s_or_b64 exec, exec, s[4:5]
	s_and_saveexec_b64 s[4:5], s[20:21]
	s_cbranch_execnz .LBB630_367
.LBB630_230:
	s_or_b64 exec, exec, s[4:5]
	s_and_saveexec_b64 s[4:5], s[22:23]
	s_cbranch_execz .LBB630_368
.LBB630_231:
	s_mov_b32 s6, 0xcccd
	v_mul_u32_u24_sdwa v1, v31, s6 dst_sel:DWORD dst_unused:UNUSED_PAD src0_sel:WORD_0 src1_sel:DWORD
	v_mul_u32_u24_sdwa v3, v2, s6 dst_sel:DWORD dst_unused:UNUSED_PAD src0_sel:WORD_0 src1_sel:DWORD
	v_lshrrev_b32_e32 v1, 19, v1
	v_lshrrev_b32_e32 v3, 19, v3
	v_mul_lo_u16_e32 v1, 10, v1
	v_mul_lo_u16_e32 v3, 10, v3
	v_sub_u16_e32 v1, v31, v1
	v_sub_u16_e32 v2, v2, v3
	v_add_u16_e32 v1, v2, v1
	v_add_u16_e32 v2, -10, v1
	v_min_u16_e32 v2, v1, v2
	s_or_b64 exec, exec, s[4:5]
	s_and_saveexec_b64 s[4:5], s[24:25]
	s_cbranch_execnz .LBB630_369
.LBB630_232:
	s_or_b64 exec, exec, s[4:5]
	s_and_saveexec_b64 s[4:5], s[26:27]
	s_cbranch_execz .LBB630_370
.LBB630_233:
	s_mov_b32 s6, 0xcccd
	v_mul_u32_u24_sdwa v1, v32, s6 dst_sel:DWORD dst_unused:UNUSED_PAD src0_sel:WORD_0 src1_sel:DWORD
	v_mul_u32_u24_sdwa v3, v2, s6 dst_sel:DWORD dst_unused:UNUSED_PAD src0_sel:WORD_0 src1_sel:DWORD
	v_lshrrev_b32_e32 v1, 19, v1
	v_lshrrev_b32_e32 v3, 19, v3
	v_mul_lo_u16_e32 v1, 10, v1
	v_mul_lo_u16_e32 v3, 10, v3
	v_sub_u16_e32 v1, v32, v1
	v_sub_u16_e32 v2, v2, v3
	v_add_u16_e32 v1, v2, v1
	v_add_u16_e32 v2, -10, v1
	v_min_u16_e32 v2, v1, v2
	s_or_b64 exec, exec, s[4:5]
	s_and_saveexec_b64 s[4:5], s[28:29]
	s_cbranch_execnz .LBB630_371
.LBB630_234:
	s_or_b64 exec, exec, s[4:5]
	s_and_saveexec_b64 s[4:5], s[30:31]
	s_cbranch_execz .LBB630_372
.LBB630_235:
	s_mov_b32 s6, 0xcccd
	v_mul_u32_u24_sdwa v1, v33, s6 dst_sel:DWORD dst_unused:UNUSED_PAD src0_sel:WORD_0 src1_sel:DWORD
	v_mul_u32_u24_sdwa v3, v2, s6 dst_sel:DWORD dst_unused:UNUSED_PAD src0_sel:WORD_0 src1_sel:DWORD
	v_lshrrev_b32_e32 v1, 19, v1
	v_lshrrev_b32_e32 v3, 19, v3
	v_mul_lo_u16_e32 v1, 10, v1
	v_mul_lo_u16_e32 v3, 10, v3
	v_sub_u16_e32 v1, v33, v1
	v_sub_u16_e32 v2, v2, v3
	v_add_u16_e32 v1, v2, v1
	v_add_u16_e32 v2, -10, v1
	v_min_u16_e32 v2, v1, v2
	s_or_b64 exec, exec, s[4:5]
	s_and_saveexec_b64 s[4:5], vcc
	s_cbranch_execnz .LBB630_373
	s_branch .LBB630_374
.LBB630_236:
	s_mov_b64 s[6:7], -1
                                        ; implicit-def: $vgpr2
.LBB630_237:
	s_and_b64 vcc, exec, s[6:7]
	s_cbranch_vccz .LBB630_450
; %bb.238:
	s_sub_i32 s77, s70, s4
	v_mov_b32_e32 v2, 0
	v_cmp_gt_u32_e32 vcc, s77, v0
	v_mov_b32_e32 v3, v2
	s_waitcnt lgkmcnt(0)
	v_mov_b32_e32 v4, v2
	v_mov_b32_e32 v5, v2
	;; [unrolled: 1-line block ×14, first 2 shown]
	s_and_saveexec_b64 s[4:5], vcc
	s_cbranch_execz .LBB630_240
; %bb.239:
	v_lshlrev_b32_e32 v1, 1, v0
	global_load_ushort v1, v1, s[72:73]
	v_mov_b32_e32 v5, v2
	v_mov_b32_e32 v6, v2
	;; [unrolled: 1-line block ×15, first 2 shown]
	s_waitcnt vmcnt(0)
	v_and_b32_e32 v4, 0xffff, v1
	v_mov_b64_e32 v[2:3], v[4:5]
	v_mov_b64_e32 v[4:5], v[6:7]
	;; [unrolled: 1-line block ×8, first 2 shown]
.LBB630_240:
	s_or_b64 exec, exec, s[4:5]
	v_or_b32_e32 v1, 0x80, v0
	v_cmp_gt_u32_e32 vcc, s77, v1
	s_and_saveexec_b64 s[4:5], vcc
	s_cbranch_execz .LBB630_242
; %bb.241:
	v_lshlrev_b32_e32 v1, 1, v0
	global_load_ushort v1, v1, s[72:73] offset:256
	s_mov_b32 s6, 0x5040100
	s_waitcnt vmcnt(0)
	v_perm_b32 v2, v1, v2, s6
.LBB630_242:
	s_or_b64 exec, exec, s[4:5]
	v_or_b32_e32 v1, 0x100, v0
	v_cmp_gt_u32_e64 s[4:5], s77, v1
	s_and_saveexec_b64 s[6:7], s[4:5]
	s_cbranch_execz .LBB630_244
; %bb.243:
	v_lshlrev_b32_e32 v1, 1, v0
	global_load_ushort v1, v1, s[72:73] offset:512
	s_mov_b32 s8, 0xffff
	s_waitcnt vmcnt(0)
	v_bfi_b32 v3, s8, v1, v3
.LBB630_244:
	s_or_b64 exec, exec, s[6:7]
	v_or_b32_e32 v1, 0x180, v0
	v_cmp_gt_u32_e64 s[6:7], s77, v1
	s_and_saveexec_b64 s[8:9], s[6:7]
	s_cbranch_execz .LBB630_246
; %bb.245:
	v_lshlrev_b32_e32 v1, 1, v0
	global_load_ushort v1, v1, s[72:73] offset:768
	s_mov_b32 s10, 0x5040100
	s_waitcnt vmcnt(0)
	v_perm_b32 v3, v1, v3, s10
.LBB630_246:
	s_or_b64 exec, exec, s[8:9]
	v_or_b32_e32 v1, 0x200, v0
	v_cmp_gt_u32_e64 s[8:9], s77, v1
	s_and_saveexec_b64 s[10:11], s[8:9]
	s_cbranch_execz .LBB630_248
; %bb.247:
	v_lshlrev_b32_e32 v1, 1, v0
	global_load_ushort v1, v1, s[72:73] offset:1024
	s_mov_b32 s12, 0xffff
	s_waitcnt vmcnt(0)
	v_bfi_b32 v4, s12, v1, v4
.LBB630_248:
	s_or_b64 exec, exec, s[10:11]
	v_or_b32_e32 v1, 0x280, v0
	v_cmp_gt_u32_e64 s[10:11], s77, v1
	s_and_saveexec_b64 s[12:13], s[10:11]
	;; [unrolled: 24-line block ×7, first 2 shown]
	s_cbranch_execz .LBB630_270
; %bb.269:
	v_lshlrev_b32_e32 v1, 1, v0
	global_load_ushort v1, v1, s[72:73] offset:3840
	s_mov_b32 s36, 0x5040100
	s_waitcnt vmcnt(0)
	v_perm_b32 v9, v1, v9, s36
.LBB630_270:
	s_or_b64 exec, exec, s[34:35]
	v_or_b32_e32 v1, 0x800, v0
	v_cmp_gt_u32_e64 s[34:35], s77, v1
	s_and_saveexec_b64 s[36:37], s[34:35]
	s_cbranch_execz .LBB630_272
; %bb.271:
	v_lshlrev_b32_e32 v1, 1, v1
	global_load_ushort v1, v1, s[72:73]
	s_mov_b32 s38, 0xffff
	s_waitcnt vmcnt(0)
	v_bfi_b32 v10, s38, v1, v10
.LBB630_272:
	s_or_b64 exec, exec, s[36:37]
	v_or_b32_e32 v1, 0x880, v0
	v_cmp_gt_u32_e64 s[36:37], s77, v1
	s_and_saveexec_b64 s[38:39], s[36:37]
	s_cbranch_execz .LBB630_274
; %bb.273:
	v_lshlrev_b32_e32 v1, 1, v1
	global_load_ushort v1, v1, s[72:73]
	s_mov_b32 s40, 0x5040100
	s_waitcnt vmcnt(0)
	v_perm_b32 v10, v1, v10, s40
.LBB630_274:
	s_or_b64 exec, exec, s[38:39]
	v_or_b32_e32 v1, 0x900, v0
	v_cmp_gt_u32_e64 s[38:39], s77, v1
	s_and_saveexec_b64 s[40:41], s[38:39]
	s_cbranch_execz .LBB630_276
; %bb.275:
	v_lshlrev_b32_e32 v1, 1, v1
	global_load_ushort v1, v1, s[72:73]
	s_mov_b32 s42, 0xffff
	s_waitcnt vmcnt(0)
	v_bfi_b32 v11, s42, v1, v11
.LBB630_276:
	s_or_b64 exec, exec, s[40:41]
	v_or_b32_e32 v1, 0x980, v0
	v_cmp_gt_u32_e64 s[40:41], s77, v1
	s_and_saveexec_b64 s[42:43], s[40:41]
	s_cbranch_execz .LBB630_278
; %bb.277:
	v_lshlrev_b32_e32 v1, 1, v1
	global_load_ushort v1, v1, s[72:73]
	s_mov_b32 s44, 0x5040100
	s_waitcnt vmcnt(0)
	v_perm_b32 v11, v1, v11, s44
.LBB630_278:
	;; [unrolled: 24-line block ×7, first 2 shown]
	s_or_b64 exec, exec, s[62:63]
	v_or_b32_e32 v1, 0xf00, v0
	v_cmp_gt_u32_e64 s[62:63], s77, v1
	s_and_saveexec_b64 s[64:65], s[62:63]
	s_cbranch_execz .LBB630_300
; %bb.299:
	v_lshlrev_b32_e32 v1, 1, v1
	global_load_ushort v1, v1, s[72:73]
	s_mov_b32 s74, 0xffff
	s_waitcnt vmcnt(0)
	v_bfi_b32 v17, s74, v1, v17
.LBB630_300:
	s_or_b64 exec, exec, s[64:65]
	v_or_b32_e32 v1, 0xf80, v0
	v_cmp_gt_u32_e64 s[64:65], s77, v1
	s_and_saveexec_b64 s[74:75], s[64:65]
	s_cbranch_execz .LBB630_399
; %bb.301:
	v_lshlrev_b32_e32 v1, 1, v1
	global_load_ushort v1, v1, s[72:73]
	s_mov_b32 s72, 0x5040100
	s_waitcnt vmcnt(0)
	v_perm_b32 v17, v1, v17, s72
	s_or_b64 exec, exec, s[74:75]
	s_and_saveexec_b64 s[72:73], vcc
	s_cbranch_execnz .LBB630_400
.LBB630_302:
	s_or_b64 exec, exec, s[72:73]
	s_and_saveexec_b64 s[72:73], s[4:5]
	s_cbranch_execz .LBB630_401
.LBB630_303:
	s_mov_b32 s4, 0xcccd
	v_mul_u32_u24_sdwa v1, v3, s4 dst_sel:DWORD dst_unused:UNUSED_PAD src0_sel:WORD_0 src1_sel:DWORD
	v_mul_u32_u24_sdwa v18, v2, s4 dst_sel:DWORD dst_unused:UNUSED_PAD src0_sel:WORD_0 src1_sel:DWORD
	v_lshrrev_b32_e32 v1, 19, v1
	v_lshrrev_b32_e32 v18, 19, v18
	v_mul_lo_u16_e32 v1, 10, v1
	v_mul_lo_u16_e32 v18, 10, v18
	v_sub_u16_e32 v1, v3, v1
	v_sub_u16_e32 v2, v2, v18
	v_add_u16_e32 v1, v2, v1
	v_add_u16_e32 v2, -10, v1
	v_min_u16_e32 v2, v1, v2
	s_or_b64 exec, exec, s[72:73]
	s_and_saveexec_b64 s[4:5], s[6:7]
	s_cbranch_execnz .LBB630_402
.LBB630_304:
	s_or_b64 exec, exec, s[4:5]
	s_and_saveexec_b64 s[4:5], s[8:9]
	s_cbranch_execz .LBB630_403
.LBB630_305:
	s_mov_b32 s6, 0xcccd
	v_mul_u32_u24_sdwa v1, v4, s6 dst_sel:DWORD dst_unused:UNUSED_PAD src0_sel:WORD_0 src1_sel:DWORD
	v_mul_u32_u24_sdwa v3, v2, s6 dst_sel:DWORD dst_unused:UNUSED_PAD src0_sel:WORD_0 src1_sel:DWORD
	v_lshrrev_b32_e32 v1, 19, v1
	v_lshrrev_b32_e32 v3, 19, v3
	v_mul_lo_u16_e32 v1, 10, v1
	v_mul_lo_u16_e32 v3, 10, v3
	v_sub_u16_e32 v1, v4, v1
	v_sub_u16_e32 v2, v2, v3
	v_add_u16_e32 v1, v2, v1
	v_add_u16_e32 v2, -10, v1
	v_min_u16_e32 v2, v1, v2
	s_or_b64 exec, exec, s[4:5]
	s_and_saveexec_b64 s[4:5], s[10:11]
	s_cbranch_execnz .LBB630_404
.LBB630_306:
	s_or_b64 exec, exec, s[4:5]
	s_and_saveexec_b64 s[4:5], s[12:13]
	s_cbranch_execz .LBB630_405
.LBB630_307:
	s_mov_b32 s6, 0xcccd
	v_mul_u32_u24_sdwa v1, v5, s6 dst_sel:DWORD dst_unused:UNUSED_PAD src0_sel:WORD_0 src1_sel:DWORD
	v_mul_u32_u24_sdwa v3, v2, s6 dst_sel:DWORD dst_unused:UNUSED_PAD src0_sel:WORD_0 src1_sel:DWORD
	v_lshrrev_b32_e32 v1, 19, v1
	v_lshrrev_b32_e32 v3, 19, v3
	v_mul_lo_u16_e32 v1, 10, v1
	v_mul_lo_u16_e32 v3, 10, v3
	v_sub_u16_e32 v1, v5, v1
	v_sub_u16_e32 v2, v2, v3
	v_add_u16_e32 v1, v2, v1
	v_add_u16_e32 v2, -10, v1
	v_min_u16_e32 v2, v1, v2
	s_or_b64 exec, exec, s[4:5]
	s_and_saveexec_b64 s[4:5], s[14:15]
	s_cbranch_execnz .LBB630_406
.LBB630_308:
	s_or_b64 exec, exec, s[4:5]
	s_and_saveexec_b64 s[4:5], s[16:17]
	s_cbranch_execz .LBB630_407
.LBB630_309:
	s_mov_b32 s6, 0xcccd
	v_mul_u32_u24_sdwa v1, v6, s6 dst_sel:DWORD dst_unused:UNUSED_PAD src0_sel:WORD_0 src1_sel:DWORD
	v_mul_u32_u24_sdwa v3, v2, s6 dst_sel:DWORD dst_unused:UNUSED_PAD src0_sel:WORD_0 src1_sel:DWORD
	v_lshrrev_b32_e32 v1, 19, v1
	v_lshrrev_b32_e32 v3, 19, v3
	v_mul_lo_u16_e32 v1, 10, v1
	v_mul_lo_u16_e32 v3, 10, v3
	v_sub_u16_e32 v1, v6, v1
	v_sub_u16_e32 v2, v2, v3
	v_add_u16_e32 v1, v2, v1
	v_add_u16_e32 v2, -10, v1
	v_min_u16_e32 v2, v1, v2
	s_or_b64 exec, exec, s[4:5]
	s_and_saveexec_b64 s[4:5], s[18:19]
	s_cbranch_execnz .LBB630_408
.LBB630_310:
	s_or_b64 exec, exec, s[4:5]
	s_and_saveexec_b64 s[4:5], s[20:21]
	s_cbranch_execz .LBB630_409
.LBB630_311:
	s_mov_b32 s6, 0xcccd
	v_mul_u32_u24_sdwa v1, v7, s6 dst_sel:DWORD dst_unused:UNUSED_PAD src0_sel:WORD_0 src1_sel:DWORD
	v_mul_u32_u24_sdwa v3, v2, s6 dst_sel:DWORD dst_unused:UNUSED_PAD src0_sel:WORD_0 src1_sel:DWORD
	v_lshrrev_b32_e32 v1, 19, v1
	v_lshrrev_b32_e32 v3, 19, v3
	v_mul_lo_u16_e32 v1, 10, v1
	v_mul_lo_u16_e32 v3, 10, v3
	v_sub_u16_e32 v1, v7, v1
	v_sub_u16_e32 v2, v2, v3
	v_add_u16_e32 v1, v2, v1
	v_add_u16_e32 v2, -10, v1
	v_min_u16_e32 v2, v1, v2
	s_or_b64 exec, exec, s[4:5]
	s_and_saveexec_b64 s[4:5], s[22:23]
	s_cbranch_execnz .LBB630_410
.LBB630_312:
	s_or_b64 exec, exec, s[4:5]
	s_and_saveexec_b64 s[4:5], s[24:25]
	s_cbranch_execz .LBB630_411
.LBB630_313:
	s_mov_b32 s6, 0xcccd
	v_mul_u32_u24_sdwa v1, v8, s6 dst_sel:DWORD dst_unused:UNUSED_PAD src0_sel:WORD_0 src1_sel:DWORD
	v_mul_u32_u24_sdwa v3, v2, s6 dst_sel:DWORD dst_unused:UNUSED_PAD src0_sel:WORD_0 src1_sel:DWORD
	v_lshrrev_b32_e32 v1, 19, v1
	v_lshrrev_b32_e32 v3, 19, v3
	v_mul_lo_u16_e32 v1, 10, v1
	v_mul_lo_u16_e32 v3, 10, v3
	v_sub_u16_e32 v1, v8, v1
	v_sub_u16_e32 v2, v2, v3
	v_add_u16_e32 v1, v2, v1
	v_add_u16_e32 v2, -10, v1
	v_min_u16_e32 v2, v1, v2
	s_or_b64 exec, exec, s[4:5]
	s_and_saveexec_b64 s[4:5], s[26:27]
	s_cbranch_execnz .LBB630_412
.LBB630_314:
	s_or_b64 exec, exec, s[4:5]
	s_and_saveexec_b64 s[4:5], s[28:29]
	s_cbranch_execz .LBB630_413
.LBB630_315:
	s_mov_b32 s6, 0xcccd
	v_mul_u32_u24_sdwa v1, v9, s6 dst_sel:DWORD dst_unused:UNUSED_PAD src0_sel:WORD_0 src1_sel:DWORD
	v_mul_u32_u24_sdwa v3, v2, s6 dst_sel:DWORD dst_unused:UNUSED_PAD src0_sel:WORD_0 src1_sel:DWORD
	v_lshrrev_b32_e32 v1, 19, v1
	v_lshrrev_b32_e32 v3, 19, v3
	v_mul_lo_u16_e32 v1, 10, v1
	v_mul_lo_u16_e32 v3, 10, v3
	v_sub_u16_e32 v1, v9, v1
	v_sub_u16_e32 v2, v2, v3
	v_add_u16_e32 v1, v2, v1
	v_add_u16_e32 v2, -10, v1
	v_min_u16_e32 v2, v1, v2
	s_or_b64 exec, exec, s[4:5]
	s_and_saveexec_b64 s[4:5], s[30:31]
	s_cbranch_execnz .LBB630_414
.LBB630_316:
	s_or_b64 exec, exec, s[4:5]
	s_and_saveexec_b64 s[4:5], s[34:35]
	s_cbranch_execz .LBB630_415
.LBB630_317:
	s_mov_b32 s6, 0xcccd
	v_mul_u32_u24_sdwa v1, v10, s6 dst_sel:DWORD dst_unused:UNUSED_PAD src0_sel:WORD_0 src1_sel:DWORD
	v_mul_u32_u24_sdwa v3, v2, s6 dst_sel:DWORD dst_unused:UNUSED_PAD src0_sel:WORD_0 src1_sel:DWORD
	v_lshrrev_b32_e32 v1, 19, v1
	v_lshrrev_b32_e32 v3, 19, v3
	v_mul_lo_u16_e32 v1, 10, v1
	v_mul_lo_u16_e32 v3, 10, v3
	v_sub_u16_e32 v1, v10, v1
	v_sub_u16_e32 v2, v2, v3
	v_add_u16_e32 v1, v2, v1
	v_add_u16_e32 v2, -10, v1
	v_min_u16_e32 v2, v1, v2
	s_or_b64 exec, exec, s[4:5]
	s_and_saveexec_b64 s[4:5], s[36:37]
	s_cbranch_execnz .LBB630_416
.LBB630_318:
	s_or_b64 exec, exec, s[4:5]
	s_and_saveexec_b64 s[4:5], s[38:39]
	s_cbranch_execz .LBB630_417
.LBB630_319:
	s_mov_b32 s6, 0xcccd
	v_mul_u32_u24_sdwa v1, v11, s6 dst_sel:DWORD dst_unused:UNUSED_PAD src0_sel:WORD_0 src1_sel:DWORD
	v_mul_u32_u24_sdwa v3, v2, s6 dst_sel:DWORD dst_unused:UNUSED_PAD src0_sel:WORD_0 src1_sel:DWORD
	v_lshrrev_b32_e32 v1, 19, v1
	v_lshrrev_b32_e32 v3, 19, v3
	v_mul_lo_u16_e32 v1, 10, v1
	v_mul_lo_u16_e32 v3, 10, v3
	v_sub_u16_e32 v1, v11, v1
	v_sub_u16_e32 v2, v2, v3
	v_add_u16_e32 v1, v2, v1
	v_add_u16_e32 v2, -10, v1
	v_min_u16_e32 v2, v1, v2
	s_or_b64 exec, exec, s[4:5]
	s_and_saveexec_b64 s[4:5], s[40:41]
	s_cbranch_execnz .LBB630_418
.LBB630_320:
	s_or_b64 exec, exec, s[4:5]
	s_and_saveexec_b64 s[4:5], s[42:43]
	s_cbranch_execz .LBB630_419
.LBB630_321:
	s_mov_b32 s6, 0xcccd
	v_mul_u32_u24_sdwa v1, v12, s6 dst_sel:DWORD dst_unused:UNUSED_PAD src0_sel:WORD_0 src1_sel:DWORD
	v_mul_u32_u24_sdwa v3, v2, s6 dst_sel:DWORD dst_unused:UNUSED_PAD src0_sel:WORD_0 src1_sel:DWORD
	v_lshrrev_b32_e32 v1, 19, v1
	v_lshrrev_b32_e32 v3, 19, v3
	v_mul_lo_u16_e32 v1, 10, v1
	v_mul_lo_u16_e32 v3, 10, v3
	v_sub_u16_e32 v1, v12, v1
	v_sub_u16_e32 v2, v2, v3
	v_add_u16_e32 v1, v2, v1
	v_add_u16_e32 v2, -10, v1
	v_min_u16_e32 v2, v1, v2
	s_or_b64 exec, exec, s[4:5]
	s_and_saveexec_b64 s[4:5], s[44:45]
	s_cbranch_execnz .LBB630_420
.LBB630_322:
	s_or_b64 exec, exec, s[4:5]
	s_and_saveexec_b64 s[4:5], s[46:47]
	s_cbranch_execz .LBB630_421
.LBB630_323:
	s_mov_b32 s6, 0xcccd
	v_mul_u32_u24_sdwa v1, v13, s6 dst_sel:DWORD dst_unused:UNUSED_PAD src0_sel:WORD_0 src1_sel:DWORD
	v_mul_u32_u24_sdwa v3, v2, s6 dst_sel:DWORD dst_unused:UNUSED_PAD src0_sel:WORD_0 src1_sel:DWORD
	v_lshrrev_b32_e32 v1, 19, v1
	v_lshrrev_b32_e32 v3, 19, v3
	v_mul_lo_u16_e32 v1, 10, v1
	v_mul_lo_u16_e32 v3, 10, v3
	v_sub_u16_e32 v1, v13, v1
	v_sub_u16_e32 v2, v2, v3
	v_add_u16_e32 v1, v2, v1
	v_add_u16_e32 v2, -10, v1
	v_min_u16_e32 v2, v1, v2
	s_or_b64 exec, exec, s[4:5]
	s_and_saveexec_b64 s[4:5], s[48:49]
	s_cbranch_execnz .LBB630_422
.LBB630_324:
	s_or_b64 exec, exec, s[4:5]
	s_and_saveexec_b64 s[4:5], s[50:51]
	s_cbranch_execz .LBB630_423
.LBB630_325:
	s_mov_b32 s6, 0xcccd
	v_mul_u32_u24_sdwa v1, v14, s6 dst_sel:DWORD dst_unused:UNUSED_PAD src0_sel:WORD_0 src1_sel:DWORD
	v_mul_u32_u24_sdwa v3, v2, s6 dst_sel:DWORD dst_unused:UNUSED_PAD src0_sel:WORD_0 src1_sel:DWORD
	v_lshrrev_b32_e32 v1, 19, v1
	v_lshrrev_b32_e32 v3, 19, v3
	v_mul_lo_u16_e32 v1, 10, v1
	v_mul_lo_u16_e32 v3, 10, v3
	v_sub_u16_e32 v1, v14, v1
	v_sub_u16_e32 v2, v2, v3
	v_add_u16_e32 v1, v2, v1
	v_add_u16_e32 v2, -10, v1
	v_min_u16_e32 v2, v1, v2
	s_or_b64 exec, exec, s[4:5]
	s_and_saveexec_b64 s[4:5], s[52:53]
	s_cbranch_execnz .LBB630_424
.LBB630_326:
	s_or_b64 exec, exec, s[4:5]
	s_and_saveexec_b64 s[4:5], s[54:55]
	s_cbranch_execz .LBB630_425
.LBB630_327:
	s_mov_b32 s6, 0xcccd
	v_mul_u32_u24_sdwa v1, v15, s6 dst_sel:DWORD dst_unused:UNUSED_PAD src0_sel:WORD_0 src1_sel:DWORD
	v_mul_u32_u24_sdwa v3, v2, s6 dst_sel:DWORD dst_unused:UNUSED_PAD src0_sel:WORD_0 src1_sel:DWORD
	v_lshrrev_b32_e32 v1, 19, v1
	v_lshrrev_b32_e32 v3, 19, v3
	v_mul_lo_u16_e32 v1, 10, v1
	v_mul_lo_u16_e32 v3, 10, v3
	v_sub_u16_e32 v1, v15, v1
	v_sub_u16_e32 v2, v2, v3
	v_add_u16_e32 v1, v2, v1
	v_add_u16_e32 v2, -10, v1
	v_min_u16_e32 v2, v1, v2
	s_or_b64 exec, exec, s[4:5]
	s_and_saveexec_b64 s[4:5], s[56:57]
	s_cbranch_execnz .LBB630_426
.LBB630_328:
	s_or_b64 exec, exec, s[4:5]
	s_and_saveexec_b64 s[4:5], s[58:59]
	s_cbranch_execz .LBB630_427
.LBB630_329:
	s_mov_b32 s6, 0xcccd
	v_mul_u32_u24_sdwa v1, v16, s6 dst_sel:DWORD dst_unused:UNUSED_PAD src0_sel:WORD_0 src1_sel:DWORD
	v_mul_u32_u24_sdwa v3, v2, s6 dst_sel:DWORD dst_unused:UNUSED_PAD src0_sel:WORD_0 src1_sel:DWORD
	v_lshrrev_b32_e32 v1, 19, v1
	v_lshrrev_b32_e32 v3, 19, v3
	v_mul_lo_u16_e32 v1, 10, v1
	v_mul_lo_u16_e32 v3, 10, v3
	v_sub_u16_e32 v1, v16, v1
	v_sub_u16_e32 v2, v2, v3
	v_add_u16_e32 v1, v2, v1
	v_add_u16_e32 v2, -10, v1
	v_min_u16_e32 v2, v1, v2
	s_or_b64 exec, exec, s[4:5]
	s_and_saveexec_b64 s[4:5], s[60:61]
	s_cbranch_execnz .LBB630_428
.LBB630_330:
	s_or_b64 exec, exec, s[4:5]
	s_and_saveexec_b64 s[4:5], s[62:63]
	s_cbranch_execz .LBB630_429
.LBB630_331:
	s_mov_b32 s6, 0xcccd
	v_mul_u32_u24_sdwa v1, v17, s6 dst_sel:DWORD dst_unused:UNUSED_PAD src0_sel:WORD_0 src1_sel:DWORD
	v_mul_u32_u24_sdwa v3, v2, s6 dst_sel:DWORD dst_unused:UNUSED_PAD src0_sel:WORD_0 src1_sel:DWORD
	v_lshrrev_b32_e32 v1, 19, v1
	v_lshrrev_b32_e32 v3, 19, v3
	v_mul_lo_u16_e32 v1, 10, v1
	v_mul_lo_u16_e32 v3, 10, v3
	v_sub_u16_e32 v1, v17, v1
	v_sub_u16_e32 v2, v2, v3
	v_add_u16_e32 v1, v2, v1
	v_add_u16_e32 v2, -10, v1
	v_min_u16_e32 v2, v1, v2
	s_or_b64 exec, exec, s[4:5]
	s_and_saveexec_b64 s[4:5], s[64:65]
	s_cbranch_execnz .LBB630_430
	s_branch .LBB630_431
.LBB630_332:
	s_or_b64 exec, exec, s[40:41]
	s_and_saveexec_b64 s[40:41], s[48:49]
	s_cbranch_execz .LBB630_196
.LBB630_333:
	s_mov_b32 s42, 0xcccd
	v_mul_u32_u24_sdwa v1, v13, s42 dst_sel:DWORD dst_unused:UNUSED_PAD src0_sel:WORD_1 src1_sel:DWORD
	v_mul_u32_u24_sdwa v3, v2, s42 dst_sel:DWORD dst_unused:UNUSED_PAD src0_sel:WORD_0 src1_sel:DWORD
	v_lshrrev_b32_e32 v1, 19, v1
	v_lshrrev_b32_e32 v3, 19, v3
	v_mul_lo_u16_e32 v1, 10, v1
	v_mul_lo_u16_e32 v3, 10, v3
	v_sub_u16_sdwa v1, v13, v1 dst_sel:DWORD dst_unused:UNUSED_PAD src0_sel:WORD_1 src1_sel:DWORD
	v_sub_u16_e32 v2, v2, v3
	v_add_u16_e32 v1, v2, v1
	v_add_u16_e32 v2, -10, v1
	v_min_u16_e32 v2, v1, v2
	s_or_b64 exec, exec, s[40:41]
	s_and_saveexec_b64 s[40:41], s[50:51]
	s_cbranch_execnz .LBB630_197
.LBB630_334:
	s_or_b64 exec, exec, s[40:41]
	s_and_saveexec_b64 s[40:41], s[52:53]
	s_cbranch_execz .LBB630_198
.LBB630_335:
	s_mov_b32 s42, 0xcccd
	v_mul_u32_u24_sdwa v1, v14, s42 dst_sel:DWORD dst_unused:UNUSED_PAD src0_sel:WORD_1 src1_sel:DWORD
	v_mul_u32_u24_sdwa v3, v2, s42 dst_sel:DWORD dst_unused:UNUSED_PAD src0_sel:WORD_0 src1_sel:DWORD
	v_lshrrev_b32_e32 v1, 19, v1
	v_lshrrev_b32_e32 v3, 19, v3
	v_mul_lo_u16_e32 v1, 10, v1
	v_mul_lo_u16_e32 v3, 10, v3
	v_sub_u16_sdwa v1, v14, v1 dst_sel:DWORD dst_unused:UNUSED_PAD src0_sel:WORD_1 src1_sel:DWORD
	v_sub_u16_e32 v2, v2, v3
	v_add_u16_e32 v1, v2, v1
	v_add_u16_e32 v2, -10, v1
	v_min_u16_e32 v2, v1, v2
	s_or_b64 exec, exec, s[40:41]
	s_and_saveexec_b64 s[40:41], s[54:55]
	s_cbranch_execnz .LBB630_199
.LBB630_336:
	s_or_b64 exec, exec, s[40:41]
	s_and_saveexec_b64 s[40:41], s[56:57]
	s_cbranch_execz .LBB630_200
.LBB630_337:
	s_mov_b32 s42, 0xcccd
	v_mul_u32_u24_sdwa v1, v15, s42 dst_sel:DWORD dst_unused:UNUSED_PAD src0_sel:WORD_1 src1_sel:DWORD
	v_mul_u32_u24_sdwa v3, v2, s42 dst_sel:DWORD dst_unused:UNUSED_PAD src0_sel:WORD_0 src1_sel:DWORD
	v_lshrrev_b32_e32 v1, 19, v1
	v_lshrrev_b32_e32 v3, 19, v3
	v_mul_lo_u16_e32 v1, 10, v1
	v_mul_lo_u16_e32 v3, 10, v3
	v_sub_u16_sdwa v1, v15, v1 dst_sel:DWORD dst_unused:UNUSED_PAD src0_sel:WORD_1 src1_sel:DWORD
	v_sub_u16_e32 v2, v2, v3
	v_add_u16_e32 v1, v2, v1
	v_add_u16_e32 v2, -10, v1
	v_min_u16_e32 v2, v1, v2
	s_or_b64 exec, exec, s[40:41]
	s_and_saveexec_b64 s[40:41], s[58:59]
	s_cbranch_execnz .LBB630_201
.LBB630_338:
	s_or_b64 exec, exec, s[40:41]
	s_and_saveexec_b64 s[40:41], s[60:61]
	s_cbranch_execz .LBB630_202
.LBB630_339:
	s_mov_b32 s42, 0xcccd
	v_mul_u32_u24_sdwa v1, v16, s42 dst_sel:DWORD dst_unused:UNUSED_PAD src0_sel:WORD_1 src1_sel:DWORD
	v_mul_u32_u24_sdwa v3, v2, s42 dst_sel:DWORD dst_unused:UNUSED_PAD src0_sel:WORD_0 src1_sel:DWORD
	v_lshrrev_b32_e32 v1, 19, v1
	v_lshrrev_b32_e32 v3, 19, v3
	v_mul_lo_u16_e32 v1, 10, v1
	v_mul_lo_u16_e32 v3, 10, v3
	v_sub_u16_sdwa v1, v16, v1 dst_sel:DWORD dst_unused:UNUSED_PAD src0_sel:WORD_1 src1_sel:DWORD
	v_sub_u16_e32 v2, v2, v3
	v_add_u16_e32 v1, v2, v1
	v_add_u16_e32 v2, -10, v1
	v_min_u16_e32 v2, v1, v2
	s_or_b64 exec, exec, s[40:41]
	s_and_saveexec_b64 s[40:41], s[62:63]
	s_cbranch_execnz .LBB630_203
.LBB630_340:
	s_or_b64 exec, exec, s[40:41]
	s_and_saveexec_b64 s[40:41], s[64:65]
	s_cbranch_execz .LBB630_204
.LBB630_341:
	s_mov_b32 s42, 0xcccd
	v_mul_u32_u24_sdwa v1, v17, s42 dst_sel:DWORD dst_unused:UNUSED_PAD src0_sel:WORD_1 src1_sel:DWORD
	v_mul_u32_u24_sdwa v3, v2, s42 dst_sel:DWORD dst_unused:UNUSED_PAD src0_sel:WORD_0 src1_sel:DWORD
	v_lshrrev_b32_e32 v1, 19, v1
	v_lshrrev_b32_e32 v3, 19, v3
	v_mul_lo_u16_e32 v1, 10, v1
	v_mul_lo_u16_e32 v3, 10, v3
	v_sub_u16_sdwa v1, v17, v1 dst_sel:DWORD dst_unused:UNUSED_PAD src0_sel:WORD_1 src1_sel:DWORD
	v_sub_u16_e32 v2, v2, v3
	v_add_u16_e32 v1, v2, v1
	v_add_u16_e32 v2, -10, v1
	v_min_u16_e32 v2, v1, v2
	s_or_b64 exec, exec, s[40:41]
	s_and_saveexec_b64 s[40:41], s[66:67]
	s_cbranch_execnz .LBB630_205
.LBB630_342:
	s_or_b64 exec, exec, s[40:41]
	s_and_saveexec_b64 s[40:41], s[34:35]
	s_cbranch_execz .LBB630_206
.LBB630_343:
	s_mov_b32 s34, 0xcccd
	v_mul_u32_u24_sdwa v1, v18, s34 dst_sel:DWORD dst_unused:UNUSED_PAD src0_sel:WORD_1 src1_sel:DWORD
	v_mul_u32_u24_sdwa v3, v2, s34 dst_sel:DWORD dst_unused:UNUSED_PAD src0_sel:WORD_0 src1_sel:DWORD
	v_lshrrev_b32_e32 v1, 19, v1
	v_lshrrev_b32_e32 v3, 19, v3
	v_mul_lo_u16_e32 v1, 10, v1
	v_mul_lo_u16_e32 v3, 10, v3
	v_sub_u16_sdwa v1, v18, v1 dst_sel:DWORD dst_unused:UNUSED_PAD src0_sel:WORD_1 src1_sel:DWORD
	v_sub_u16_e32 v2, v2, v3
	v_add_u16_e32 v1, v2, v1
	v_add_u16_e32 v2, -10, v1
	v_min_u16_e32 v2, v1, v2
	s_or_b64 exec, exec, s[40:41]
	s_and_saveexec_b64 s[34:35], s[36:37]
	s_cbranch_execnz .LBB630_207
.LBB630_344:
	s_or_b64 exec, exec, s[34:35]
	s_and_saveexec_b64 s[34:35], s[72:73]
	s_cbranch_execz .LBB630_208
.LBB630_345:
	s_mov_b32 s36, 0xcccd
	v_mul_u32_u24_sdwa v1, v19, s36 dst_sel:DWORD dst_unused:UNUSED_PAD src0_sel:WORD_1 src1_sel:DWORD
	v_mul_u32_u24_sdwa v3, v2, s36 dst_sel:DWORD dst_unused:UNUSED_PAD src0_sel:WORD_0 src1_sel:DWORD
	v_lshrrev_b32_e32 v1, 19, v1
	v_lshrrev_b32_e32 v3, 19, v3
	v_mul_lo_u16_e32 v1, 10, v1
	v_mul_lo_u16_e32 v3, 10, v3
	v_sub_u16_sdwa v1, v19, v1 dst_sel:DWORD dst_unused:UNUSED_PAD src0_sel:WORD_1 src1_sel:DWORD
	v_sub_u16_e32 v2, v2, v3
	v_add_u16_e32 v1, v2, v1
	v_add_u16_e32 v2, -10, v1
	v_min_u16_e32 v2, v1, v2
	s_or_b64 exec, exec, s[34:35]
	s_and_saveexec_b64 s[34:35], s[74:75]
	s_cbranch_execnz .LBB630_209
.LBB630_346:
	s_or_b64 exec, exec, s[34:35]
	s_and_saveexec_b64 s[34:35], s[44:45]
	s_cbranch_execz .LBB630_210
.LBB630_347:
	s_mov_b32 s36, 0xcccd
	v_mul_u32_u24_sdwa v1, v20, s36 dst_sel:DWORD dst_unused:UNUSED_PAD src0_sel:WORD_1 src1_sel:DWORD
	v_mul_u32_u24_sdwa v3, v2, s36 dst_sel:DWORD dst_unused:UNUSED_PAD src0_sel:WORD_0 src1_sel:DWORD
	v_lshrrev_b32_e32 v1, 19, v1
	v_lshrrev_b32_e32 v3, 19, v3
	v_mul_lo_u16_e32 v1, 10, v1
	v_mul_lo_u16_e32 v3, 10, v3
	v_sub_u16_sdwa v1, v20, v1 dst_sel:DWORD dst_unused:UNUSED_PAD src0_sel:WORD_1 src1_sel:DWORD
	v_sub_u16_e32 v2, v2, v3
	v_add_u16_e32 v1, v2, v1
	v_add_u16_e32 v2, -10, v1
	v_min_u16_e32 v2, v1, v2
	s_or_b64 exec, exec, s[34:35]
	s_and_saveexec_b64 s[34:35], s[78:79]
	s_cbranch_execnz .LBB630_211
.LBB630_348:
	s_or_b64 exec, exec, s[34:35]
	s_and_saveexec_b64 s[34:35], s[80:81]
	s_cbranch_execz .LBB630_212
.LBB630_349:
	s_mov_b32 s36, 0xcccd
	v_mul_u32_u24_sdwa v1, v21, s36 dst_sel:DWORD dst_unused:UNUSED_PAD src0_sel:WORD_1 src1_sel:DWORD
	v_mul_u32_u24_sdwa v3, v2, s36 dst_sel:DWORD dst_unused:UNUSED_PAD src0_sel:WORD_0 src1_sel:DWORD
	v_lshrrev_b32_e32 v1, 19, v1
	v_lshrrev_b32_e32 v3, 19, v3
	v_mul_lo_u16_e32 v1, 10, v1
	v_mul_lo_u16_e32 v3, 10, v3
	v_sub_u16_sdwa v1, v21, v1 dst_sel:DWORD dst_unused:UNUSED_PAD src0_sel:WORD_1 src1_sel:DWORD
	v_sub_u16_e32 v2, v2, v3
	v_add_u16_e32 v1, v2, v1
	v_add_u16_e32 v2, -10, v1
	v_min_u16_e32 v2, v1, v2
	s_or_b64 exec, exec, s[34:35]
	s_and_saveexec_b64 s[34:35], s[82:83]
	s_cbranch_execnz .LBB630_213
.LBB630_350:
	s_or_b64 exec, exec, s[34:35]
	s_and_saveexec_b64 s[34:35], s[84:85]
	s_cbranch_execz .LBB630_214
.LBB630_351:
	s_mov_b32 s36, 0xcccd
	v_mul_u32_u24_sdwa v1, v22, s36 dst_sel:DWORD dst_unused:UNUSED_PAD src0_sel:WORD_1 src1_sel:DWORD
	v_mul_u32_u24_sdwa v3, v2, s36 dst_sel:DWORD dst_unused:UNUSED_PAD src0_sel:WORD_0 src1_sel:DWORD
	v_lshrrev_b32_e32 v1, 19, v1
	v_lshrrev_b32_e32 v3, 19, v3
	v_mul_lo_u16_e32 v1, 10, v1
	v_mul_lo_u16_e32 v3, 10, v3
	v_sub_u16_sdwa v1, v22, v1 dst_sel:DWORD dst_unused:UNUSED_PAD src0_sel:WORD_1 src1_sel:DWORD
	v_sub_u16_e32 v2, v2, v3
	v_add_u16_e32 v1, v2, v1
	v_add_u16_e32 v2, -10, v1
	v_min_u16_e32 v2, v1, v2
	s_or_b64 exec, exec, s[34:35]
	s_and_saveexec_b64 s[34:35], s[86:87]
	s_cbranch_execnz .LBB630_215
.LBB630_352:
	s_or_b64 exec, exec, s[34:35]
	s_and_saveexec_b64 s[34:35], s[88:89]
	s_cbranch_execz .LBB630_216
.LBB630_353:
	s_mov_b32 s36, 0xcccd
	v_mul_u32_u24_sdwa v1, v23, s36 dst_sel:DWORD dst_unused:UNUSED_PAD src0_sel:WORD_1 src1_sel:DWORD
	v_mul_u32_u24_sdwa v3, v2, s36 dst_sel:DWORD dst_unused:UNUSED_PAD src0_sel:WORD_0 src1_sel:DWORD
	v_lshrrev_b32_e32 v1, 19, v1
	v_lshrrev_b32_e32 v3, 19, v3
	v_mul_lo_u16_e32 v1, 10, v1
	v_mul_lo_u16_e32 v3, 10, v3
	v_sub_u16_sdwa v1, v23, v1 dst_sel:DWORD dst_unused:UNUSED_PAD src0_sel:WORD_1 src1_sel:DWORD
	v_sub_u16_e32 v2, v2, v3
	v_add_u16_e32 v1, v2, v1
	v_add_u16_e32 v2, -10, v1
	v_min_u16_e32 v2, v1, v2
	s_or_b64 exec, exec, s[34:35]
	s_and_saveexec_b64 s[34:35], s[90:91]
	s_cbranch_execnz .LBB630_217
.LBB630_354:
	s_or_b64 exec, exec, s[34:35]
	s_and_saveexec_b64 s[34:35], s[92:93]
	s_cbranch_execz .LBB630_218
.LBB630_355:
	s_mov_b32 s36, 0xcccd
	v_mul_u32_u24_sdwa v1, v24, s36 dst_sel:DWORD dst_unused:UNUSED_PAD src0_sel:WORD_1 src1_sel:DWORD
	v_mul_u32_u24_sdwa v3, v2, s36 dst_sel:DWORD dst_unused:UNUSED_PAD src0_sel:WORD_0 src1_sel:DWORD
	v_lshrrev_b32_e32 v1, 19, v1
	v_lshrrev_b32_e32 v3, 19, v3
	v_mul_lo_u16_e32 v1, 10, v1
	v_mul_lo_u16_e32 v3, 10, v3
	v_sub_u16_sdwa v1, v24, v1 dst_sel:DWORD dst_unused:UNUSED_PAD src0_sel:WORD_1 src1_sel:DWORD
	v_sub_u16_e32 v2, v2, v3
	v_add_u16_e32 v1, v2, v1
	v_add_u16_e32 v2, -10, v1
	v_min_u16_e32 v2, v1, v2
	s_or_b64 exec, exec, s[34:35]
	s_and_saveexec_b64 s[34:35], s[94:95]
	s_cbranch_execnz .LBB630_219
.LBB630_356:
	s_or_b64 exec, exec, s[34:35]
	s_and_saveexec_b64 s[34:35], s[96:97]
	s_cbranch_execz .LBB630_220
.LBB630_357:
	s_mov_b32 s36, 0xcccd
	v_mul_u32_u24_sdwa v1, v25, s36 dst_sel:DWORD dst_unused:UNUSED_PAD src0_sel:WORD_1 src1_sel:DWORD
	v_mul_u32_u24_sdwa v3, v2, s36 dst_sel:DWORD dst_unused:UNUSED_PAD src0_sel:WORD_0 src1_sel:DWORD
	v_lshrrev_b32_e32 v1, 19, v1
	v_lshrrev_b32_e32 v3, 19, v3
	v_mul_lo_u16_e32 v1, 10, v1
	v_mul_lo_u16_e32 v3, 10, v3
	v_sub_u16_sdwa v1, v25, v1 dst_sel:DWORD dst_unused:UNUSED_PAD src0_sel:WORD_1 src1_sel:DWORD
	v_sub_u16_e32 v2, v2, v3
	v_add_u16_e32 v1, v2, v1
	v_add_u16_e32 v2, -10, v1
	v_min_u16_e32 v2, v1, v2
	s_or_b64 exec, exec, s[34:35]
	s_and_saveexec_b64 s[34:35], s[98:99]
	s_cbranch_execnz .LBB630_221
.LBB630_358:
	s_or_b64 exec, exec, s[34:35]
	s_and_saveexec_b64 s[34:35], s[4:5]
	s_cbranch_execz .LBB630_222
.LBB630_359:
	s_mov_b32 s4, 0xcccd
	v_mul_u32_u24_sdwa v1, v26, s4 dst_sel:DWORD dst_unused:UNUSED_PAD src0_sel:WORD_1 src1_sel:DWORD
	v_mul_u32_u24_sdwa v3, v2, s4 dst_sel:DWORD dst_unused:UNUSED_PAD src0_sel:WORD_0 src1_sel:DWORD
	v_lshrrev_b32_e32 v1, 19, v1
	v_lshrrev_b32_e32 v3, 19, v3
	v_mul_lo_u16_e32 v1, 10, v1
	v_mul_lo_u16_e32 v3, 10, v3
	v_sub_u16_sdwa v1, v26, v1 dst_sel:DWORD dst_unused:UNUSED_PAD src0_sel:WORD_1 src1_sel:DWORD
	v_sub_u16_e32 v2, v2, v3
	v_add_u16_e32 v1, v2, v1
	v_add_u16_e32 v2, -10, v1
	v_min_u16_e32 v2, v1, v2
	s_or_b64 exec, exec, s[34:35]
	s_and_saveexec_b64 s[4:5], s[6:7]
	s_cbranch_execnz .LBB630_223
.LBB630_360:
	s_or_b64 exec, exec, s[4:5]
	s_and_saveexec_b64 s[4:5], s[8:9]
	s_cbranch_execz .LBB630_224
.LBB630_361:
	s_mov_b32 s6, 0xcccd
	v_mul_u32_u24_sdwa v1, v27, s6 dst_sel:DWORD dst_unused:UNUSED_PAD src0_sel:WORD_1 src1_sel:DWORD
	v_mul_u32_u24_sdwa v3, v2, s6 dst_sel:DWORD dst_unused:UNUSED_PAD src0_sel:WORD_0 src1_sel:DWORD
	v_lshrrev_b32_e32 v1, 19, v1
	v_lshrrev_b32_e32 v3, 19, v3
	v_mul_lo_u16_e32 v1, 10, v1
	v_mul_lo_u16_e32 v3, 10, v3
	v_sub_u16_sdwa v1, v27, v1 dst_sel:DWORD dst_unused:UNUSED_PAD src0_sel:WORD_1 src1_sel:DWORD
	v_sub_u16_e32 v2, v2, v3
	v_add_u16_e32 v1, v2, v1
	v_add_u16_e32 v2, -10, v1
	v_min_u16_e32 v2, v1, v2
	s_or_b64 exec, exec, s[4:5]
	s_and_saveexec_b64 s[4:5], s[10:11]
	s_cbranch_execnz .LBB630_225
.LBB630_362:
	s_or_b64 exec, exec, s[4:5]
	s_and_saveexec_b64 s[4:5], s[12:13]
	s_cbranch_execz .LBB630_226
.LBB630_363:
	s_mov_b32 s6, 0xcccd
	v_mul_u32_u24_sdwa v1, v28, s6 dst_sel:DWORD dst_unused:UNUSED_PAD src0_sel:WORD_1 src1_sel:DWORD
	v_mul_u32_u24_sdwa v3, v2, s6 dst_sel:DWORD dst_unused:UNUSED_PAD src0_sel:WORD_0 src1_sel:DWORD
	v_lshrrev_b32_e32 v1, 19, v1
	v_lshrrev_b32_e32 v3, 19, v3
	v_mul_lo_u16_e32 v1, 10, v1
	v_mul_lo_u16_e32 v3, 10, v3
	v_sub_u16_sdwa v1, v28, v1 dst_sel:DWORD dst_unused:UNUSED_PAD src0_sel:WORD_1 src1_sel:DWORD
	v_sub_u16_e32 v2, v2, v3
	v_add_u16_e32 v1, v2, v1
	v_add_u16_e32 v2, -10, v1
	v_min_u16_e32 v2, v1, v2
	s_or_b64 exec, exec, s[4:5]
	s_and_saveexec_b64 s[4:5], s[14:15]
	s_cbranch_execnz .LBB630_227
.LBB630_364:
	s_or_b64 exec, exec, s[4:5]
	s_and_saveexec_b64 s[4:5], s[16:17]
	s_cbranch_execz .LBB630_228
.LBB630_365:
	s_mov_b32 s6, 0xcccd
	v_mul_u32_u24_sdwa v1, v29, s6 dst_sel:DWORD dst_unused:UNUSED_PAD src0_sel:WORD_1 src1_sel:DWORD
	v_mul_u32_u24_sdwa v3, v2, s6 dst_sel:DWORD dst_unused:UNUSED_PAD src0_sel:WORD_0 src1_sel:DWORD
	v_lshrrev_b32_e32 v1, 19, v1
	v_lshrrev_b32_e32 v3, 19, v3
	v_mul_lo_u16_e32 v1, 10, v1
	v_mul_lo_u16_e32 v3, 10, v3
	v_sub_u16_sdwa v1, v29, v1 dst_sel:DWORD dst_unused:UNUSED_PAD src0_sel:WORD_1 src1_sel:DWORD
	v_sub_u16_e32 v2, v2, v3
	v_add_u16_e32 v1, v2, v1
	v_add_u16_e32 v2, -10, v1
	v_min_u16_e32 v2, v1, v2
	s_or_b64 exec, exec, s[4:5]
	s_and_saveexec_b64 s[4:5], s[18:19]
	s_cbranch_execnz .LBB630_229
.LBB630_366:
	s_or_b64 exec, exec, s[4:5]
	s_and_saveexec_b64 s[4:5], s[20:21]
	s_cbranch_execz .LBB630_230
.LBB630_367:
	s_mov_b32 s6, 0xcccd
	v_mul_u32_u24_sdwa v1, v30, s6 dst_sel:DWORD dst_unused:UNUSED_PAD src0_sel:WORD_1 src1_sel:DWORD
	v_mul_u32_u24_sdwa v3, v2, s6 dst_sel:DWORD dst_unused:UNUSED_PAD src0_sel:WORD_0 src1_sel:DWORD
	v_lshrrev_b32_e32 v1, 19, v1
	v_lshrrev_b32_e32 v3, 19, v3
	v_mul_lo_u16_e32 v1, 10, v1
	v_mul_lo_u16_e32 v3, 10, v3
	v_sub_u16_sdwa v1, v30, v1 dst_sel:DWORD dst_unused:UNUSED_PAD src0_sel:WORD_1 src1_sel:DWORD
	v_sub_u16_e32 v2, v2, v3
	v_add_u16_e32 v1, v2, v1
	v_add_u16_e32 v2, -10, v1
	v_min_u16_e32 v2, v1, v2
	s_or_b64 exec, exec, s[4:5]
	s_and_saveexec_b64 s[4:5], s[22:23]
	s_cbranch_execnz .LBB630_231
.LBB630_368:
	s_or_b64 exec, exec, s[4:5]
	s_and_saveexec_b64 s[4:5], s[24:25]
	s_cbranch_execz .LBB630_232
.LBB630_369:
	s_mov_b32 s6, 0xcccd
	v_mul_u32_u24_sdwa v1, v31, s6 dst_sel:DWORD dst_unused:UNUSED_PAD src0_sel:WORD_1 src1_sel:DWORD
	v_mul_u32_u24_sdwa v3, v2, s6 dst_sel:DWORD dst_unused:UNUSED_PAD src0_sel:WORD_0 src1_sel:DWORD
	v_lshrrev_b32_e32 v1, 19, v1
	v_lshrrev_b32_e32 v3, 19, v3
	v_mul_lo_u16_e32 v1, 10, v1
	v_mul_lo_u16_e32 v3, 10, v3
	v_sub_u16_sdwa v1, v31, v1 dst_sel:DWORD dst_unused:UNUSED_PAD src0_sel:WORD_1 src1_sel:DWORD
	v_sub_u16_e32 v2, v2, v3
	v_add_u16_e32 v1, v2, v1
	v_add_u16_e32 v2, -10, v1
	v_min_u16_e32 v2, v1, v2
	s_or_b64 exec, exec, s[4:5]
	s_and_saveexec_b64 s[4:5], s[26:27]
	s_cbranch_execnz .LBB630_233
.LBB630_370:
	s_or_b64 exec, exec, s[4:5]
	s_and_saveexec_b64 s[4:5], s[28:29]
	s_cbranch_execz .LBB630_234
.LBB630_371:
	s_mov_b32 s6, 0xcccd
	v_mul_u32_u24_sdwa v1, v32, s6 dst_sel:DWORD dst_unused:UNUSED_PAD src0_sel:WORD_1 src1_sel:DWORD
	v_mul_u32_u24_sdwa v3, v2, s6 dst_sel:DWORD dst_unused:UNUSED_PAD src0_sel:WORD_0 src1_sel:DWORD
	v_lshrrev_b32_e32 v1, 19, v1
	v_lshrrev_b32_e32 v3, 19, v3
	v_mul_lo_u16_e32 v1, 10, v1
	v_mul_lo_u16_e32 v3, 10, v3
	v_sub_u16_sdwa v1, v32, v1 dst_sel:DWORD dst_unused:UNUSED_PAD src0_sel:WORD_1 src1_sel:DWORD
	v_sub_u16_e32 v2, v2, v3
	v_add_u16_e32 v1, v2, v1
	v_add_u16_e32 v2, -10, v1
	v_min_u16_e32 v2, v1, v2
	s_or_b64 exec, exec, s[4:5]
	s_and_saveexec_b64 s[4:5], s[30:31]
	s_cbranch_execnz .LBB630_235
.LBB630_372:
	s_or_b64 exec, exec, s[4:5]
	s_and_saveexec_b64 s[4:5], vcc
	s_cbranch_execz .LBB630_374
.LBB630_373:
	s_mov_b32 s6, 0xcccd
	v_mul_u32_u24_sdwa v1, v33, s6 dst_sel:DWORD dst_unused:UNUSED_PAD src0_sel:WORD_1 src1_sel:DWORD
	v_mul_u32_u24_sdwa v3, v2, s6 dst_sel:DWORD dst_unused:UNUSED_PAD src0_sel:WORD_0 src1_sel:DWORD
	v_lshrrev_b32_e32 v1, 19, v1
	v_lshrrev_b32_e32 v3, 19, v3
	v_mul_lo_u16_e32 v1, 10, v1
	v_mul_lo_u16_e32 v3, 10, v3
	v_sub_u16_sdwa v1, v33, v1 dst_sel:DWORD dst_unused:UNUSED_PAD src0_sel:WORD_1 src1_sel:DWORD
	v_sub_u16_e32 v2, v2, v3
	v_add_u16_e32 v1, v2, v1
	v_add_u16_e32 v2, -10, v1
	v_min_u16_e32 v2, v1, v2
.LBB630_374:
	s_or_b64 exec, exec, s[4:5]
	v_mbcnt_lo_u32_b32 v1, -1, 0
	v_mbcnt_hi_u32_b32 v1, -1, v1
	v_and_b32_e32 v3, 63, v1
	v_cmp_ne_u32_e32 vcc, 63, v3
	v_and_b32_e32 v5, 0xffff, v2
	s_min_u32 s6, s77, 0x80
	v_addc_co_u32_e32 v4, vcc, 0, v1, vcc
	v_lshlrev_b32_e32 v4, 2, v4
	ds_bpermute_b32 v6, v4, v5
	v_and_b32_e32 v4, 64, v0
	v_sub_u32_e64 v4, s6, v4 clamp
	v_add_u32_e32 v7, 1, v3
	v_cmp_lt_u32_e32 vcc, v7, v4
	s_and_saveexec_b64 s[4:5], vcc
	s_xor_b64 s[4:5], exec, s[4:5]
	s_cbranch_execz .LBB630_376
; %bb.375:
	s_mov_b32 s7, 0xcccd
	s_waitcnt lgkmcnt(0)
	v_mul_u32_u24_sdwa v5, v6, s7 dst_sel:DWORD dst_unused:UNUSED_PAD src0_sel:WORD_0 src1_sel:DWORD
	v_lshrrev_b32_e32 v5, 19, v5
	v_mul_lo_u16_e32 v5, 10, v5
	v_sub_u16_e32 v5, v6, v5
	v_mul_u32_u24_sdwa v6, v2, s7 dst_sel:DWORD dst_unused:UNUSED_PAD src0_sel:WORD_0 src1_sel:DWORD
	v_lshrrev_b32_e32 v6, 19, v6
	v_mul_lo_u16_e32 v6, 10, v6
	v_sub_u16_e32 v2, v2, v6
	v_add_u16_e32 v5, v5, v2
	v_add_u16_e32 v6, -10, v5
	v_min_u16_e32 v2, v5, v6
	v_min_u16_e32 v5, v5, v6
.LBB630_376:
	s_or_b64 exec, exec, s[4:5]
	v_cmp_gt_u32_e32 vcc, 62, v3
	v_add_u32_e32 v7, 2, v3
	s_waitcnt lgkmcnt(0)
	v_cndmask_b32_e64 v6, 0, 2, vcc
	v_add_lshl_u32 v6, v6, v1, 2
	ds_bpermute_b32 v6, v6, v5
	v_cmp_lt_u32_e32 vcc, v7, v4
	s_and_saveexec_b64 s[4:5], vcc
	s_cbranch_execz .LBB630_378
; %bb.377:
	s_mov_b32 s7, 0xcccd
	s_waitcnt lgkmcnt(0)
	v_mul_u32_u24_sdwa v5, v6, s7 dst_sel:DWORD dst_unused:UNUSED_PAD src0_sel:WORD_0 src1_sel:DWORD
	v_lshrrev_b32_e32 v5, 19, v5
	v_mul_lo_u16_e32 v5, 10, v5
	v_sub_u16_e32 v5, v6, v5
	v_mul_u32_u24_sdwa v6, v2, s7 dst_sel:DWORD dst_unused:UNUSED_PAD src0_sel:WORD_0 src1_sel:DWORD
	v_lshrrev_b32_e32 v6, 19, v6
	v_mul_lo_u16_e32 v6, 10, v6
	v_sub_u16_e32 v2, v2, v6
	v_add_u16_e32 v5, v5, v2
	v_add_u16_e32 v6, -10, v5
	v_min_u16_e32 v2, v5, v6
	v_min_u16_e32 v5, v5, v6
.LBB630_378:
	s_or_b64 exec, exec, s[4:5]
	v_cmp_gt_u32_e32 vcc, 60, v3
	v_add_u32_e32 v7, 4, v3
	s_waitcnt lgkmcnt(0)
	v_cndmask_b32_e64 v6, 0, 4, vcc
	v_add_lshl_u32 v6, v6, v1, 2
	ds_bpermute_b32 v6, v6, v5
	v_cmp_lt_u32_e32 vcc, v7, v4
	s_and_saveexec_b64 s[4:5], vcc
	;; [unrolled: 26-line block ×4, first 2 shown]
	s_cbranch_execz .LBB630_384
; %bb.383:
	s_mov_b32 s7, 0xcccd
	s_waitcnt lgkmcnt(0)
	v_mul_u32_u24_sdwa v5, v6, s7 dst_sel:DWORD dst_unused:UNUSED_PAD src0_sel:WORD_0 src1_sel:DWORD
	v_lshrrev_b32_e32 v5, 19, v5
	v_mul_lo_u16_e32 v5, 10, v5
	v_sub_u16_e32 v5, v6, v5
	v_mul_u32_u24_sdwa v6, v2, s7 dst_sel:DWORD dst_unused:UNUSED_PAD src0_sel:WORD_0 src1_sel:DWORD
	v_lshrrev_b32_e32 v6, 19, v6
	v_mul_lo_u16_e32 v6, 10, v6
	v_sub_u16_e32 v2, v2, v6
	v_add_u16_e32 v5, v5, v2
	v_add_u16_e32 v6, -10, v5
	v_min_u16_e32 v2, v5, v6
	v_min_u16_e32 v5, v5, v6
.LBB630_384:
	s_or_b64 exec, exec, s[4:5]
	s_waitcnt lgkmcnt(0)
	v_lshlrev_b32_e32 v6, 2, v1
	v_or_b32_e32 v7, 0x80, v6
	ds_bpermute_b32 v5, v7, v5
	v_add_u32_e32 v3, 32, v3
	v_cmp_lt_u32_e32 vcc, v3, v4
	s_and_saveexec_b64 s[4:5], vcc
	s_cbranch_execz .LBB630_386
; %bb.385:
	s_mov_b32 s7, 0xcccd
	s_waitcnt lgkmcnt(0)
	v_mul_u32_u24_sdwa v3, v5, s7 dst_sel:DWORD dst_unused:UNUSED_PAD src0_sel:WORD_0 src1_sel:DWORD
	v_mul_u32_u24_sdwa v4, v2, s7 dst_sel:DWORD dst_unused:UNUSED_PAD src0_sel:WORD_0 src1_sel:DWORD
	v_lshrrev_b32_e32 v3, 19, v3
	v_lshrrev_b32_e32 v4, 19, v4
	v_mul_lo_u16_e32 v3, 10, v3
	v_mul_lo_u16_e32 v4, 10, v4
	v_sub_u16_e32 v3, v5, v3
	v_sub_u16_e32 v2, v2, v4
	v_add_u16_e32 v2, v3, v2
	v_add_u16_e32 v3, -10, v2
	v_min_u16_e32 v2, v2, v3
.LBB630_386:
	s_or_b64 exec, exec, s[4:5]
	v_cmp_eq_u32_e32 vcc, 0, v1
	s_and_saveexec_b64 s[4:5], vcc
; %bb.387:
	v_lshrrev_b32_e32 v3, 5, v0
	v_and_b32_e32 v3, 2, v3
	ds_write_b16 v3, v2
; %bb.388:
	s_or_b64 exec, exec, s[4:5]
	v_cmp_gt_u32_e32 vcc, 2, v0
	s_waitcnt lgkmcnt(0)
	s_barrier
	s_and_saveexec_b64 s[4:5], vcc
	s_cbranch_execz .LBB630_392
; %bb.389:
	v_lshlrev_b32_e32 v2, 1, v1
	ds_read_u16 v2, v2
	v_or_b32_e32 v4, 4, v6
	s_add_i32 s6, s6, 63
	v_and_b32_e32 v1, 1, v1
	s_lshr_b32 s6, s6, 6
	s_waitcnt lgkmcnt(0)
	v_and_b32_e32 v3, 0xffff, v2
	ds_bpermute_b32 v4, v4, v3
	v_add_u32_e32 v1, 1, v1
	v_cmp_gt_u32_e32 vcc, s6, v1
	s_and_saveexec_b64 s[6:7], vcc
	s_cbranch_execz .LBB630_391
; %bb.390:
	s_mov_b32 s8, 0xcccd
	s_waitcnt lgkmcnt(0)
	v_mul_u32_u24_sdwa v1, v4, s8 dst_sel:DWORD dst_unused:UNUSED_PAD src0_sel:WORD_0 src1_sel:DWORD
	v_mul_u32_u24_e32 v3, 0xcccd, v3
	v_lshrrev_b32_e32 v1, 19, v1
	v_lshrrev_b32_e32 v3, 19, v3
	v_mul_lo_u16_e32 v1, 10, v1
	v_mul_lo_u16_e32 v3, 10, v3
	v_sub_u16_e32 v1, v4, v1
	v_sub_u16_e32 v2, v2, v3
	v_add_u16_e32 v1, v1, v2
	v_add_u16_e32 v2, -10, v1
	v_min_u16_e32 v2, v1, v2
.LBB630_391:
	s_or_b64 exec, exec, s[6:7]
.LBB630_392:
	s_or_b64 exec, exec, s[4:5]
.LBB630_393:
	v_cmp_eq_u32_e32 vcc, 0, v0
	s_mov_b64 s[66:67], 0
                                        ; implicit-def: $vgpr1
	s_and_saveexec_b64 s[4:5], vcc
	s_xor_b64 s[4:5], exec, s[4:5]
	s_cbranch_execz .LBB630_397
; %bb.394:
	s_cmp_eq_u64 s[70:71], 0
	v_mov_b32_e32 v1, s33
	s_cbranch_scc1 .LBB630_396
; %bb.395:
	s_mov_b32 s6, 0xcccd
	v_mul_u32_u24_sdwa v1, v2, s6 dst_sel:DWORD dst_unused:UNUSED_PAD src0_sel:WORD_0 src1_sel:DWORD
	s_and_b32 s6, 0xffff, s33
	s_mul_i32 s6, s6, 0xcccd
	v_lshrrev_b32_e32 v1, 19, v1
	s_lshr_b32 s6, s6, 19
	v_mul_lo_u16_e32 v1, 10, v1
	s_mul_i32 s6, s6, 10
	v_sub_u16_e32 v1, v2, v1
	s_sub_i32 s6, s33, s6
	v_add_u16_e32 v1, s6, v1
	v_add_u16_e32 v2, -10, v1
	v_min_u16_e32 v1, v1, v2
.LBB630_396:
	s_mov_b64 s[66:67], exec
.LBB630_397:
	s_or_b64 exec, exec, s[4:5]
	s_and_b64 vcc, exec, s[38:39]
	s_cbranch_vccnz .LBB630_14
.LBB630_398:
	s_branch .LBB630_561
.LBB630_399:
	s_or_b64 exec, exec, s[74:75]
	s_and_saveexec_b64 s[72:73], vcc
	s_cbranch_execz .LBB630_302
.LBB630_400:
	s_mov_b32 s74, 0xcccd
	v_mul_u32_u24_sdwa v1, v2, s74 dst_sel:DWORD dst_unused:UNUSED_PAD src0_sel:WORD_1 src1_sel:DWORD
	v_mul_u32_u24_sdwa v18, v2, s74 dst_sel:DWORD dst_unused:UNUSED_PAD src0_sel:WORD_0 src1_sel:DWORD
	v_lshrrev_b32_e32 v1, 19, v1
	v_lshrrev_b32_e32 v18, 19, v18
	v_mul_lo_u16_e32 v1, 10, v1
	v_mul_lo_u16_e32 v18, 10, v18
	v_sub_u16_sdwa v1, v2, v1 dst_sel:DWORD dst_unused:UNUSED_PAD src0_sel:WORD_1 src1_sel:DWORD
	v_sub_u16_e32 v2, v2, v18
	v_add_u16_e32 v1, v1, v2
	v_add_u16_e32 v2, -10, v1
	v_min_u16_e32 v2, v1, v2
	s_or_b64 exec, exec, s[72:73]
	s_and_saveexec_b64 s[72:73], s[4:5]
	s_cbranch_execnz .LBB630_303
.LBB630_401:
	s_or_b64 exec, exec, s[72:73]
	s_and_saveexec_b64 s[4:5], s[6:7]
	s_cbranch_execz .LBB630_304
.LBB630_402:
	s_mov_b32 s6, 0xcccd
	v_mul_u32_u24_sdwa v1, v3, s6 dst_sel:DWORD dst_unused:UNUSED_PAD src0_sel:WORD_1 src1_sel:DWORD
	v_lshrrev_b32_e32 v1, 19, v1
	v_mul_lo_u16_e32 v1, 10, v1
	v_sub_u16_sdwa v1, v3, v1 dst_sel:DWORD dst_unused:UNUSED_PAD src0_sel:WORD_1 src1_sel:DWORD
	v_mul_u32_u24_sdwa v3, v2, s6 dst_sel:DWORD dst_unused:UNUSED_PAD src0_sel:WORD_0 src1_sel:DWORD
	v_lshrrev_b32_e32 v3, 19, v3
	v_mul_lo_u16_e32 v3, 10, v3
	v_sub_u16_e32 v2, v2, v3
	v_add_u16_e32 v1, v2, v1
	v_add_u16_e32 v2, -10, v1
	v_min_u16_e32 v2, v1, v2
	s_or_b64 exec, exec, s[4:5]
	s_and_saveexec_b64 s[4:5], s[8:9]
	s_cbranch_execnz .LBB630_305
.LBB630_403:
	s_or_b64 exec, exec, s[4:5]
	s_and_saveexec_b64 s[4:5], s[10:11]
	s_cbranch_execz .LBB630_306
.LBB630_404:
	s_mov_b32 s6, 0xcccd
	v_mul_u32_u24_sdwa v1, v4, s6 dst_sel:DWORD dst_unused:UNUSED_PAD src0_sel:WORD_1 src1_sel:DWORD
	v_mul_u32_u24_sdwa v3, v2, s6 dst_sel:DWORD dst_unused:UNUSED_PAD src0_sel:WORD_0 src1_sel:DWORD
	v_lshrrev_b32_e32 v1, 19, v1
	v_lshrrev_b32_e32 v3, 19, v3
	v_mul_lo_u16_e32 v1, 10, v1
	v_mul_lo_u16_e32 v3, 10, v3
	v_sub_u16_sdwa v1, v4, v1 dst_sel:DWORD dst_unused:UNUSED_PAD src0_sel:WORD_1 src1_sel:DWORD
	v_sub_u16_e32 v2, v2, v3
	v_add_u16_e32 v1, v2, v1
	v_add_u16_e32 v2, -10, v1
	v_min_u16_e32 v2, v1, v2
	s_or_b64 exec, exec, s[4:5]
	s_and_saveexec_b64 s[4:5], s[12:13]
	s_cbranch_execnz .LBB630_307
.LBB630_405:
	s_or_b64 exec, exec, s[4:5]
	s_and_saveexec_b64 s[4:5], s[14:15]
	s_cbranch_execz .LBB630_308
.LBB630_406:
	s_mov_b32 s6, 0xcccd
	v_mul_u32_u24_sdwa v1, v5, s6 dst_sel:DWORD dst_unused:UNUSED_PAD src0_sel:WORD_1 src1_sel:DWORD
	v_mul_u32_u24_sdwa v3, v2, s6 dst_sel:DWORD dst_unused:UNUSED_PAD src0_sel:WORD_0 src1_sel:DWORD
	v_lshrrev_b32_e32 v1, 19, v1
	v_lshrrev_b32_e32 v3, 19, v3
	v_mul_lo_u16_e32 v1, 10, v1
	v_mul_lo_u16_e32 v3, 10, v3
	v_sub_u16_sdwa v1, v5, v1 dst_sel:DWORD dst_unused:UNUSED_PAD src0_sel:WORD_1 src1_sel:DWORD
	v_sub_u16_e32 v2, v2, v3
	v_add_u16_e32 v1, v2, v1
	v_add_u16_e32 v2, -10, v1
	v_min_u16_e32 v2, v1, v2
	s_or_b64 exec, exec, s[4:5]
	s_and_saveexec_b64 s[4:5], s[16:17]
	s_cbranch_execnz .LBB630_309
.LBB630_407:
	s_or_b64 exec, exec, s[4:5]
	s_and_saveexec_b64 s[4:5], s[18:19]
	s_cbranch_execz .LBB630_310
.LBB630_408:
	s_mov_b32 s6, 0xcccd
	v_mul_u32_u24_sdwa v1, v6, s6 dst_sel:DWORD dst_unused:UNUSED_PAD src0_sel:WORD_1 src1_sel:DWORD
	v_mul_u32_u24_sdwa v3, v2, s6 dst_sel:DWORD dst_unused:UNUSED_PAD src0_sel:WORD_0 src1_sel:DWORD
	v_lshrrev_b32_e32 v1, 19, v1
	v_lshrrev_b32_e32 v3, 19, v3
	v_mul_lo_u16_e32 v1, 10, v1
	v_mul_lo_u16_e32 v3, 10, v3
	v_sub_u16_sdwa v1, v6, v1 dst_sel:DWORD dst_unused:UNUSED_PAD src0_sel:WORD_1 src1_sel:DWORD
	v_sub_u16_e32 v2, v2, v3
	v_add_u16_e32 v1, v2, v1
	v_add_u16_e32 v2, -10, v1
	v_min_u16_e32 v2, v1, v2
	s_or_b64 exec, exec, s[4:5]
	s_and_saveexec_b64 s[4:5], s[20:21]
	s_cbranch_execnz .LBB630_311
.LBB630_409:
	s_or_b64 exec, exec, s[4:5]
	s_and_saveexec_b64 s[4:5], s[22:23]
	s_cbranch_execz .LBB630_312
.LBB630_410:
	s_mov_b32 s6, 0xcccd
	v_mul_u32_u24_sdwa v1, v7, s6 dst_sel:DWORD dst_unused:UNUSED_PAD src0_sel:WORD_1 src1_sel:DWORD
	v_mul_u32_u24_sdwa v3, v2, s6 dst_sel:DWORD dst_unused:UNUSED_PAD src0_sel:WORD_0 src1_sel:DWORD
	v_lshrrev_b32_e32 v1, 19, v1
	v_lshrrev_b32_e32 v3, 19, v3
	v_mul_lo_u16_e32 v1, 10, v1
	v_mul_lo_u16_e32 v3, 10, v3
	v_sub_u16_sdwa v1, v7, v1 dst_sel:DWORD dst_unused:UNUSED_PAD src0_sel:WORD_1 src1_sel:DWORD
	v_sub_u16_e32 v2, v2, v3
	v_add_u16_e32 v1, v2, v1
	v_add_u16_e32 v2, -10, v1
	v_min_u16_e32 v2, v1, v2
	s_or_b64 exec, exec, s[4:5]
	s_and_saveexec_b64 s[4:5], s[24:25]
	s_cbranch_execnz .LBB630_313
.LBB630_411:
	s_or_b64 exec, exec, s[4:5]
	s_and_saveexec_b64 s[4:5], s[26:27]
	s_cbranch_execz .LBB630_314
.LBB630_412:
	s_mov_b32 s6, 0xcccd
	v_mul_u32_u24_sdwa v1, v8, s6 dst_sel:DWORD dst_unused:UNUSED_PAD src0_sel:WORD_1 src1_sel:DWORD
	v_mul_u32_u24_sdwa v3, v2, s6 dst_sel:DWORD dst_unused:UNUSED_PAD src0_sel:WORD_0 src1_sel:DWORD
	v_lshrrev_b32_e32 v1, 19, v1
	v_lshrrev_b32_e32 v3, 19, v3
	v_mul_lo_u16_e32 v1, 10, v1
	v_mul_lo_u16_e32 v3, 10, v3
	v_sub_u16_sdwa v1, v8, v1 dst_sel:DWORD dst_unused:UNUSED_PAD src0_sel:WORD_1 src1_sel:DWORD
	v_sub_u16_e32 v2, v2, v3
	v_add_u16_e32 v1, v2, v1
	v_add_u16_e32 v2, -10, v1
	v_min_u16_e32 v2, v1, v2
	s_or_b64 exec, exec, s[4:5]
	s_and_saveexec_b64 s[4:5], s[28:29]
	s_cbranch_execnz .LBB630_315
.LBB630_413:
	s_or_b64 exec, exec, s[4:5]
	s_and_saveexec_b64 s[4:5], s[30:31]
	s_cbranch_execz .LBB630_316
.LBB630_414:
	s_mov_b32 s6, 0xcccd
	v_mul_u32_u24_sdwa v1, v9, s6 dst_sel:DWORD dst_unused:UNUSED_PAD src0_sel:WORD_1 src1_sel:DWORD
	v_mul_u32_u24_sdwa v3, v2, s6 dst_sel:DWORD dst_unused:UNUSED_PAD src0_sel:WORD_0 src1_sel:DWORD
	v_lshrrev_b32_e32 v1, 19, v1
	v_lshrrev_b32_e32 v3, 19, v3
	v_mul_lo_u16_e32 v1, 10, v1
	v_mul_lo_u16_e32 v3, 10, v3
	v_sub_u16_sdwa v1, v9, v1 dst_sel:DWORD dst_unused:UNUSED_PAD src0_sel:WORD_1 src1_sel:DWORD
	v_sub_u16_e32 v2, v2, v3
	v_add_u16_e32 v1, v2, v1
	v_add_u16_e32 v2, -10, v1
	v_min_u16_e32 v2, v1, v2
	s_or_b64 exec, exec, s[4:5]
	s_and_saveexec_b64 s[4:5], s[34:35]
	s_cbranch_execnz .LBB630_317
.LBB630_415:
	s_or_b64 exec, exec, s[4:5]
	s_and_saveexec_b64 s[4:5], s[36:37]
	s_cbranch_execz .LBB630_318
.LBB630_416:
	s_mov_b32 s6, 0xcccd
	v_mul_u32_u24_sdwa v1, v10, s6 dst_sel:DWORD dst_unused:UNUSED_PAD src0_sel:WORD_1 src1_sel:DWORD
	v_mul_u32_u24_sdwa v3, v2, s6 dst_sel:DWORD dst_unused:UNUSED_PAD src0_sel:WORD_0 src1_sel:DWORD
	v_lshrrev_b32_e32 v1, 19, v1
	v_lshrrev_b32_e32 v3, 19, v3
	v_mul_lo_u16_e32 v1, 10, v1
	v_mul_lo_u16_e32 v3, 10, v3
	v_sub_u16_sdwa v1, v10, v1 dst_sel:DWORD dst_unused:UNUSED_PAD src0_sel:WORD_1 src1_sel:DWORD
	v_sub_u16_e32 v2, v2, v3
	v_add_u16_e32 v1, v2, v1
	v_add_u16_e32 v2, -10, v1
	v_min_u16_e32 v2, v1, v2
	s_or_b64 exec, exec, s[4:5]
	s_and_saveexec_b64 s[4:5], s[38:39]
	s_cbranch_execnz .LBB630_319
.LBB630_417:
	s_or_b64 exec, exec, s[4:5]
	s_and_saveexec_b64 s[4:5], s[40:41]
	s_cbranch_execz .LBB630_320
.LBB630_418:
	s_mov_b32 s6, 0xcccd
	v_mul_u32_u24_sdwa v1, v11, s6 dst_sel:DWORD dst_unused:UNUSED_PAD src0_sel:WORD_1 src1_sel:DWORD
	v_mul_u32_u24_sdwa v3, v2, s6 dst_sel:DWORD dst_unused:UNUSED_PAD src0_sel:WORD_0 src1_sel:DWORD
	v_lshrrev_b32_e32 v1, 19, v1
	v_lshrrev_b32_e32 v3, 19, v3
	v_mul_lo_u16_e32 v1, 10, v1
	v_mul_lo_u16_e32 v3, 10, v3
	v_sub_u16_sdwa v1, v11, v1 dst_sel:DWORD dst_unused:UNUSED_PAD src0_sel:WORD_1 src1_sel:DWORD
	v_sub_u16_e32 v2, v2, v3
	v_add_u16_e32 v1, v2, v1
	v_add_u16_e32 v2, -10, v1
	v_min_u16_e32 v2, v1, v2
	s_or_b64 exec, exec, s[4:5]
	s_and_saveexec_b64 s[4:5], s[42:43]
	s_cbranch_execnz .LBB630_321
.LBB630_419:
	s_or_b64 exec, exec, s[4:5]
	s_and_saveexec_b64 s[4:5], s[44:45]
	s_cbranch_execz .LBB630_322
.LBB630_420:
	s_mov_b32 s6, 0xcccd
	v_mul_u32_u24_sdwa v1, v12, s6 dst_sel:DWORD dst_unused:UNUSED_PAD src0_sel:WORD_1 src1_sel:DWORD
	v_mul_u32_u24_sdwa v3, v2, s6 dst_sel:DWORD dst_unused:UNUSED_PAD src0_sel:WORD_0 src1_sel:DWORD
	v_lshrrev_b32_e32 v1, 19, v1
	v_lshrrev_b32_e32 v3, 19, v3
	v_mul_lo_u16_e32 v1, 10, v1
	v_mul_lo_u16_e32 v3, 10, v3
	v_sub_u16_sdwa v1, v12, v1 dst_sel:DWORD dst_unused:UNUSED_PAD src0_sel:WORD_1 src1_sel:DWORD
	v_sub_u16_e32 v2, v2, v3
	v_add_u16_e32 v1, v2, v1
	v_add_u16_e32 v2, -10, v1
	v_min_u16_e32 v2, v1, v2
	s_or_b64 exec, exec, s[4:5]
	s_and_saveexec_b64 s[4:5], s[46:47]
	s_cbranch_execnz .LBB630_323
.LBB630_421:
	s_or_b64 exec, exec, s[4:5]
	s_and_saveexec_b64 s[4:5], s[48:49]
	s_cbranch_execz .LBB630_324
.LBB630_422:
	s_mov_b32 s6, 0xcccd
	v_mul_u32_u24_sdwa v1, v13, s6 dst_sel:DWORD dst_unused:UNUSED_PAD src0_sel:WORD_1 src1_sel:DWORD
	v_mul_u32_u24_sdwa v3, v2, s6 dst_sel:DWORD dst_unused:UNUSED_PAD src0_sel:WORD_0 src1_sel:DWORD
	v_lshrrev_b32_e32 v1, 19, v1
	v_lshrrev_b32_e32 v3, 19, v3
	v_mul_lo_u16_e32 v1, 10, v1
	v_mul_lo_u16_e32 v3, 10, v3
	v_sub_u16_sdwa v1, v13, v1 dst_sel:DWORD dst_unused:UNUSED_PAD src0_sel:WORD_1 src1_sel:DWORD
	v_sub_u16_e32 v2, v2, v3
	v_add_u16_e32 v1, v2, v1
	v_add_u16_e32 v2, -10, v1
	v_min_u16_e32 v2, v1, v2
	s_or_b64 exec, exec, s[4:5]
	s_and_saveexec_b64 s[4:5], s[50:51]
	s_cbranch_execnz .LBB630_325
.LBB630_423:
	s_or_b64 exec, exec, s[4:5]
	s_and_saveexec_b64 s[4:5], s[52:53]
	s_cbranch_execz .LBB630_326
.LBB630_424:
	s_mov_b32 s6, 0xcccd
	v_mul_u32_u24_sdwa v1, v14, s6 dst_sel:DWORD dst_unused:UNUSED_PAD src0_sel:WORD_1 src1_sel:DWORD
	v_mul_u32_u24_sdwa v3, v2, s6 dst_sel:DWORD dst_unused:UNUSED_PAD src0_sel:WORD_0 src1_sel:DWORD
	v_lshrrev_b32_e32 v1, 19, v1
	v_lshrrev_b32_e32 v3, 19, v3
	v_mul_lo_u16_e32 v1, 10, v1
	v_mul_lo_u16_e32 v3, 10, v3
	v_sub_u16_sdwa v1, v14, v1 dst_sel:DWORD dst_unused:UNUSED_PAD src0_sel:WORD_1 src1_sel:DWORD
	v_sub_u16_e32 v2, v2, v3
	v_add_u16_e32 v1, v2, v1
	v_add_u16_e32 v2, -10, v1
	v_min_u16_e32 v2, v1, v2
	s_or_b64 exec, exec, s[4:5]
	s_and_saveexec_b64 s[4:5], s[54:55]
	s_cbranch_execnz .LBB630_327
.LBB630_425:
	s_or_b64 exec, exec, s[4:5]
	s_and_saveexec_b64 s[4:5], s[56:57]
	s_cbranch_execz .LBB630_328
.LBB630_426:
	s_mov_b32 s6, 0xcccd
	v_mul_u32_u24_sdwa v1, v15, s6 dst_sel:DWORD dst_unused:UNUSED_PAD src0_sel:WORD_1 src1_sel:DWORD
	v_mul_u32_u24_sdwa v3, v2, s6 dst_sel:DWORD dst_unused:UNUSED_PAD src0_sel:WORD_0 src1_sel:DWORD
	v_lshrrev_b32_e32 v1, 19, v1
	v_lshrrev_b32_e32 v3, 19, v3
	v_mul_lo_u16_e32 v1, 10, v1
	v_mul_lo_u16_e32 v3, 10, v3
	v_sub_u16_sdwa v1, v15, v1 dst_sel:DWORD dst_unused:UNUSED_PAD src0_sel:WORD_1 src1_sel:DWORD
	v_sub_u16_e32 v2, v2, v3
	v_add_u16_e32 v1, v2, v1
	v_add_u16_e32 v2, -10, v1
	v_min_u16_e32 v2, v1, v2
	s_or_b64 exec, exec, s[4:5]
	s_and_saveexec_b64 s[4:5], s[58:59]
	s_cbranch_execnz .LBB630_329
.LBB630_427:
	s_or_b64 exec, exec, s[4:5]
	s_and_saveexec_b64 s[4:5], s[60:61]
	s_cbranch_execz .LBB630_330
.LBB630_428:
	s_mov_b32 s6, 0xcccd
	v_mul_u32_u24_sdwa v1, v16, s6 dst_sel:DWORD dst_unused:UNUSED_PAD src0_sel:WORD_1 src1_sel:DWORD
	v_mul_u32_u24_sdwa v3, v2, s6 dst_sel:DWORD dst_unused:UNUSED_PAD src0_sel:WORD_0 src1_sel:DWORD
	v_lshrrev_b32_e32 v1, 19, v1
	v_lshrrev_b32_e32 v3, 19, v3
	v_mul_lo_u16_e32 v1, 10, v1
	v_mul_lo_u16_e32 v3, 10, v3
	v_sub_u16_sdwa v1, v16, v1 dst_sel:DWORD dst_unused:UNUSED_PAD src0_sel:WORD_1 src1_sel:DWORD
	v_sub_u16_e32 v2, v2, v3
	v_add_u16_e32 v1, v2, v1
	v_add_u16_e32 v2, -10, v1
	v_min_u16_e32 v2, v1, v2
	s_or_b64 exec, exec, s[4:5]
	s_and_saveexec_b64 s[4:5], s[62:63]
	s_cbranch_execnz .LBB630_331
.LBB630_429:
	s_or_b64 exec, exec, s[4:5]
	s_and_saveexec_b64 s[4:5], s[64:65]
	s_cbranch_execz .LBB630_431
.LBB630_430:
	s_mov_b32 s6, 0xcccd
	v_mul_u32_u24_sdwa v1, v17, s6 dst_sel:DWORD dst_unused:UNUSED_PAD src0_sel:WORD_1 src1_sel:DWORD
	v_mul_u32_u24_sdwa v3, v2, s6 dst_sel:DWORD dst_unused:UNUSED_PAD src0_sel:WORD_0 src1_sel:DWORD
	v_lshrrev_b32_e32 v1, 19, v1
	v_lshrrev_b32_e32 v3, 19, v3
	v_mul_lo_u16_e32 v1, 10, v1
	v_mul_lo_u16_e32 v3, 10, v3
	v_sub_u16_sdwa v1, v17, v1 dst_sel:DWORD dst_unused:UNUSED_PAD src0_sel:WORD_1 src1_sel:DWORD
	v_sub_u16_e32 v2, v2, v3
	v_add_u16_e32 v1, v2, v1
	v_add_u16_e32 v2, -10, v1
	v_min_u16_e32 v2, v1, v2
.LBB630_431:
	s_or_b64 exec, exec, s[4:5]
	v_mbcnt_lo_u32_b32 v1, -1, 0
	v_mbcnt_hi_u32_b32 v1, -1, v1
	v_and_b32_e32 v3, 63, v1
	v_cmp_ne_u32_e32 vcc, 63, v3
	v_and_b32_e32 v5, 0xffff, v2
	s_min_u32 s6, s77, 0x80
	v_addc_co_u32_e32 v4, vcc, 0, v1, vcc
	v_lshlrev_b32_e32 v4, 2, v4
	ds_bpermute_b32 v6, v4, v5
	v_and_b32_e32 v4, 64, v0
	v_sub_u32_e64 v4, s6, v4 clamp
	v_add_u32_e32 v7, 1, v3
	v_cmp_lt_u32_e32 vcc, v7, v4
	s_and_saveexec_b64 s[4:5], vcc
	s_xor_b64 s[4:5], exec, s[4:5]
	s_cbranch_execz .LBB630_433
; %bb.432:
	s_mov_b32 s7, 0xcccd
	s_waitcnt lgkmcnt(0)
	v_mul_u32_u24_sdwa v5, v6, s7 dst_sel:DWORD dst_unused:UNUSED_PAD src0_sel:WORD_0 src1_sel:DWORD
	v_lshrrev_b32_e32 v5, 19, v5
	v_mul_lo_u16_e32 v5, 10, v5
	v_sub_u16_e32 v5, v6, v5
	v_mul_u32_u24_sdwa v6, v2, s7 dst_sel:DWORD dst_unused:UNUSED_PAD src0_sel:WORD_0 src1_sel:DWORD
	v_lshrrev_b32_e32 v6, 19, v6
	v_mul_lo_u16_e32 v6, 10, v6
	v_sub_u16_e32 v2, v2, v6
	v_add_u16_e32 v5, v5, v2
	v_add_u16_e32 v6, -10, v5
	v_min_u16_e32 v2, v5, v6
	v_min_u16_e32 v5, v5, v6
.LBB630_433:
	s_or_b64 exec, exec, s[4:5]
	v_cmp_gt_u32_e32 vcc, 62, v3
	v_add_u32_e32 v7, 2, v3
	s_waitcnt lgkmcnt(0)
	v_cndmask_b32_e64 v6, 0, 2, vcc
	v_add_lshl_u32 v6, v6, v1, 2
	ds_bpermute_b32 v6, v6, v5
	v_cmp_lt_u32_e32 vcc, v7, v4
	s_and_saveexec_b64 s[4:5], vcc
	s_cbranch_execz .LBB630_435
; %bb.434:
	s_mov_b32 s7, 0xcccd
	s_waitcnt lgkmcnt(0)
	v_mul_u32_u24_sdwa v5, v6, s7 dst_sel:DWORD dst_unused:UNUSED_PAD src0_sel:WORD_0 src1_sel:DWORD
	v_lshrrev_b32_e32 v5, 19, v5
	v_mul_lo_u16_e32 v5, 10, v5
	v_sub_u16_e32 v5, v6, v5
	v_mul_u32_u24_sdwa v6, v2, s7 dst_sel:DWORD dst_unused:UNUSED_PAD src0_sel:WORD_0 src1_sel:DWORD
	v_lshrrev_b32_e32 v6, 19, v6
	v_mul_lo_u16_e32 v6, 10, v6
	v_sub_u16_e32 v2, v2, v6
	v_add_u16_e32 v5, v5, v2
	v_add_u16_e32 v6, -10, v5
	v_min_u16_e32 v2, v5, v6
	v_min_u16_e32 v5, v5, v6
.LBB630_435:
	s_or_b64 exec, exec, s[4:5]
	v_cmp_gt_u32_e32 vcc, 60, v3
	v_add_u32_e32 v7, 4, v3
	s_waitcnt lgkmcnt(0)
	v_cndmask_b32_e64 v6, 0, 4, vcc
	v_add_lshl_u32 v6, v6, v1, 2
	ds_bpermute_b32 v6, v6, v5
	v_cmp_lt_u32_e32 vcc, v7, v4
	s_and_saveexec_b64 s[4:5], vcc
	;; [unrolled: 26-line block ×4, first 2 shown]
	s_cbranch_execz .LBB630_441
; %bb.440:
	s_mov_b32 s7, 0xcccd
	s_waitcnt lgkmcnt(0)
	v_mul_u32_u24_sdwa v5, v6, s7 dst_sel:DWORD dst_unused:UNUSED_PAD src0_sel:WORD_0 src1_sel:DWORD
	v_lshrrev_b32_e32 v5, 19, v5
	v_mul_lo_u16_e32 v5, 10, v5
	v_sub_u16_e32 v5, v6, v5
	v_mul_u32_u24_sdwa v6, v2, s7 dst_sel:DWORD dst_unused:UNUSED_PAD src0_sel:WORD_0 src1_sel:DWORD
	v_lshrrev_b32_e32 v6, 19, v6
	v_mul_lo_u16_e32 v6, 10, v6
	v_sub_u16_e32 v2, v2, v6
	v_add_u16_e32 v5, v5, v2
	v_add_u16_e32 v6, -10, v5
	v_min_u16_e32 v2, v5, v6
	v_min_u16_e32 v5, v5, v6
.LBB630_441:
	s_or_b64 exec, exec, s[4:5]
	s_waitcnt lgkmcnt(0)
	v_lshlrev_b32_e32 v6, 2, v1
	v_or_b32_e32 v7, 0x80, v6
	ds_bpermute_b32 v5, v7, v5
	v_add_u32_e32 v3, 32, v3
	v_cmp_lt_u32_e32 vcc, v3, v4
	s_and_saveexec_b64 s[4:5], vcc
	s_cbranch_execz .LBB630_443
; %bb.442:
	s_mov_b32 s7, 0xcccd
	s_waitcnt lgkmcnt(0)
	v_mul_u32_u24_sdwa v3, v5, s7 dst_sel:DWORD dst_unused:UNUSED_PAD src0_sel:WORD_0 src1_sel:DWORD
	v_mul_u32_u24_sdwa v4, v2, s7 dst_sel:DWORD dst_unused:UNUSED_PAD src0_sel:WORD_0 src1_sel:DWORD
	v_lshrrev_b32_e32 v3, 19, v3
	v_lshrrev_b32_e32 v4, 19, v4
	v_mul_lo_u16_e32 v3, 10, v3
	v_mul_lo_u16_e32 v4, 10, v4
	v_sub_u16_e32 v3, v5, v3
	v_sub_u16_e32 v2, v2, v4
	v_add_u16_e32 v2, v3, v2
	v_add_u16_e32 v3, -10, v2
	v_min_u16_e32 v2, v2, v3
.LBB630_443:
	s_or_b64 exec, exec, s[4:5]
	v_cmp_eq_u32_e32 vcc, 0, v1
	s_and_saveexec_b64 s[4:5], vcc
; %bb.444:
	v_lshrrev_b32_e32 v3, 5, v0
	v_and_b32_e32 v3, 2, v3
	ds_write_b16 v3, v2
; %bb.445:
	s_or_b64 exec, exec, s[4:5]
	v_cmp_gt_u32_e32 vcc, 2, v0
	s_waitcnt lgkmcnt(0)
	s_barrier
	s_and_saveexec_b64 s[4:5], vcc
	s_cbranch_execz .LBB630_449
; %bb.446:
	v_lshlrev_b32_e32 v2, 1, v1
	ds_read_u16 v2, v2
	v_or_b32_e32 v4, 4, v6
	s_add_i32 s6, s6, 63
	v_and_b32_e32 v1, 1, v1
	s_lshr_b32 s6, s6, 6
	s_waitcnt lgkmcnt(0)
	v_and_b32_e32 v3, 0xffff, v2
	ds_bpermute_b32 v4, v4, v3
	v_add_u32_e32 v1, 1, v1
	v_cmp_gt_u32_e32 vcc, s6, v1
	s_and_saveexec_b64 s[6:7], vcc
	s_cbranch_execz .LBB630_448
; %bb.447:
	s_mov_b32 s8, 0xcccd
	s_waitcnt lgkmcnt(0)
	v_mul_u32_u24_sdwa v1, v4, s8 dst_sel:DWORD dst_unused:UNUSED_PAD src0_sel:WORD_0 src1_sel:DWORD
	v_mul_u32_u24_e32 v3, 0xcccd, v3
	v_lshrrev_b32_e32 v1, 19, v1
	v_lshrrev_b32_e32 v3, 19, v3
	v_mul_lo_u16_e32 v1, 10, v1
	v_mul_lo_u16_e32 v3, 10, v3
	v_sub_u16_e32 v1, v4, v1
	v_sub_u16_e32 v2, v2, v3
	v_add_u16_e32 v1, v1, v2
	v_add_u16_e32 v2, -10, v1
	v_min_u16_e32 v2, v1, v2
.LBB630_448:
	s_or_b64 exec, exec, s[6:7]
.LBB630_449:
	s_or_b64 exec, exec, s[4:5]
.LBB630_450:
	v_cmp_eq_u32_e32 vcc, 0, v0
                                        ; implicit-def: $vgpr1
	s_and_saveexec_b64 s[4:5], vcc
	s_xor_b64 s[4:5], exec, s[4:5]
	s_cbranch_execz .LBB630_454
; %bb.451:
	s_cmp_eq_u64 s[70:71], 0
	v_mov_b32_e32 v1, s33
	s_cbranch_scc1 .LBB630_453
; %bb.452:
	s_mov_b32 s6, 0xcccd
	v_mul_u32_u24_sdwa v1, v2, s6 dst_sel:DWORD dst_unused:UNUSED_PAD src0_sel:WORD_0 src1_sel:DWORD
	s_and_b32 s6, 0xffff, s33
	s_mul_i32 s6, s6, 0xcccd
	v_lshrrev_b32_e32 v1, 19, v1
	s_lshr_b32 s6, s6, 19
	v_mul_lo_u16_e32 v1, 10, v1
	s_mul_i32 s6, s6, 10
	v_sub_u16_e32 v1, v2, v1
	s_sub_i32 s6, s33, s6
	v_add_u16_e32 v1, s6, v1
	v_add_u16_e32 v2, -10, v1
	v_min_u16_e32 v1, v1, v2
.LBB630_453:
	s_or_b64 s[66:67], s[66:67], exec
.LBB630_454:
	s_or_b64 exec, exec, s[4:5]
	s_branch .LBB630_561
.LBB630_455:
	s_cmp_gt_i32 s76, 15
	s_cbranch_scc0 .LBB630_463
; %bb.456:
	s_cmp_eq_u32 s76, 16
	s_cbranch_scc0 .LBB630_464
; %bb.457:
	s_mov_b32 s3, 0
	s_lshl_b32 s4, s2, 11
	s_mov_b32 s5, s3
	s_lshr_b64 s[6:7], s[70:71], 11
	s_lshl_b64 s[8:9], s[4:5], 1
	s_add_u32 s34, s68, s8
	s_addc_u32 s35, s69, s9
	s_cmp_lg_u64 s[6:7], s[2:3]
	s_cbranch_scc0 .LBB630_465
; %bb.458:
	v_lshlrev_b32_e32 v1, 1, v0
	global_load_ushort v2, v1, s[34:35] offset:256
	global_load_ushort v3, v1, s[34:35]
	s_waitcnt lgkmcnt(0)
	global_load_ushort v4, v1, s[34:35] offset:512
	global_load_ushort v5, v1, s[34:35] offset:768
	;; [unrolled: 1-line block ×14, first 2 shown]
	s_mov_b32 s5, 0xcccd
	v_mbcnt_lo_u32_b32 v1, -1, 0
	v_mbcnt_hi_u32_b32 v1, -1, v1
	v_cmp_eq_u32_e32 vcc, 0, v1
	s_waitcnt vmcnt(15)
	v_mul_u32_u24_sdwa v18, v2, s5 dst_sel:DWORD dst_unused:UNUSED_PAD src0_sel:WORD_0 src1_sel:DWORD
	s_waitcnt vmcnt(14)
	v_mul_u32_u24_sdwa v19, v3, s5 dst_sel:DWORD dst_unused:UNUSED_PAD src0_sel:WORD_0 src1_sel:DWORD
	v_lshrrev_b32_e32 v18, 19, v18
	v_lshrrev_b32_e32 v19, 19, v19
	v_mul_lo_u16_e32 v18, 10, v18
	v_mul_lo_u16_e32 v19, 10, v19
	v_sub_u16_e32 v2, v2, v18
	v_sub_u16_e32 v3, v3, v19
	v_add_u16_e32 v2, v2, v3
	v_add_u16_e32 v3, -10, v2
	v_min_u16_e32 v2, v2, v3
	s_waitcnt vmcnt(13)
	v_mul_u32_u24_sdwa v20, v4, s5 dst_sel:DWORD dst_unused:UNUSED_PAD src0_sel:WORD_0 src1_sel:DWORD
	v_mul_u32_u24_e32 v3, 0xcccd, v2
	v_lshrrev_b32_e32 v20, 19, v20
	v_lshrrev_b32_e32 v3, 19, v3
	v_mul_lo_u16_e32 v20, 10, v20
	v_mul_lo_u16_e32 v3, 10, v3
	v_sub_u16_e32 v4, v4, v20
	v_sub_u16_e32 v2, v2, v3
	v_add_u16_e32 v2, v2, v4
	v_add_u16_e32 v3, -10, v2
	v_min_u16_e32 v2, v2, v3
	s_waitcnt vmcnt(12)
	v_mul_u32_u24_sdwa v21, v5, s5 dst_sel:DWORD dst_unused:UNUSED_PAD src0_sel:WORD_0 src1_sel:DWORD
	v_mul_u32_u24_e32 v3, 0xcccd, v2
	;; [unrolled: 12-line block ×14, first 2 shown]
	v_lshrrev_b32_e32 v33, 19, v33
	v_lshrrev_b32_e32 v3, 19, v3
	v_mul_lo_u16_e32 v33, 10, v33
	v_mul_lo_u16_e32 v3, 10, v3
	v_sub_u16_e32 v17, v17, v33
	v_sub_u16_e32 v2, v2, v3
	v_add_u16_e32 v2, v2, v17
	v_add_u16_e32 v3, -10, v2
	v_min_u16_e32 v2, v2, v3
	v_mul_u32_u24_e32 v4, 0xcccd, v2
	v_lshrrev_b32_e32 v4, 19, v4
	v_mov_b32_dpp v3, v2 quad_perm:[1,0,3,2] row_mask:0xf bank_mask:0xf bound_ctrl:1
	v_mul_lo_u16_e32 v4, 10, v4
	v_sub_u16_e32 v2, v2, v4
	v_mul_u32_u24_sdwa v4, v3, s5 dst_sel:DWORD dst_unused:UNUSED_PAD src0_sel:WORD_0 src1_sel:DWORD
	v_lshrrev_b32_e32 v4, 19, v4
	v_mul_lo_u16_e32 v4, 10, v4
	v_sub_u16_e32 v3, v3, v4
	v_add_u16_e32 v2, v2, v3
	v_add_u16_e32 v3, -10, v2
	v_min_u16_e32 v2, v2, v3
	s_nop 1
	v_mov_b32_dpp v3, v2 quad_perm:[2,3,0,1] row_mask:0xf bank_mask:0xf bound_ctrl:1
	v_mul_u32_u24_sdwa v4, v3, s5 dst_sel:DWORD dst_unused:UNUSED_PAD src0_sel:WORD_0 src1_sel:DWORD
	v_lshrrev_b32_e32 v4, 19, v4
	v_mul_lo_u16_e32 v4, 10, v4
	v_sub_u16_e32 v3, v3, v4
	v_add_u16_e32 v2, v2, v3
	v_add_u16_e32 v3, -10, v2
	v_min_u16_e32 v2, v2, v3
	v_mul_u32_u24_e32 v4, 0xcccd, v2
	v_lshrrev_b32_e32 v4, 19, v4
	v_mov_b32_dpp v3, v2 row_ror:4 row_mask:0xf bank_mask:0xf bound_ctrl:1
	v_mul_lo_u16_e32 v4, 10, v4
	v_sub_u16_e32 v2, v2, v4
	v_mul_u32_u24_sdwa v4, v3, s5 dst_sel:DWORD dst_unused:UNUSED_PAD src0_sel:WORD_0 src1_sel:DWORD
	v_lshrrev_b32_e32 v4, 19, v4
	v_mul_lo_u16_e32 v4, 10, v4
	v_sub_u16_e32 v3, v3, v4
	v_add_u16_e32 v2, v2, v3
	v_add_u16_e32 v3, -10, v2
	v_min_u16_e32 v2, v2, v3
	v_mul_u32_u24_e32 v4, 0xcccd, v2
	v_lshrrev_b32_e32 v4, 19, v4
	v_mov_b32_dpp v3, v2 row_ror:8 row_mask:0xf bank_mask:0xf bound_ctrl:1
	v_mul_lo_u16_e32 v4, 10, v4
	v_sub_u16_e32 v2, v2, v4
	v_mul_u32_u24_sdwa v4, v3, s5 dst_sel:DWORD dst_unused:UNUSED_PAD src0_sel:WORD_0 src1_sel:DWORD
	v_lshrrev_b32_e32 v4, 19, v4
	v_mul_lo_u16_e32 v4, 10, v4
	v_sub_u16_e32 v3, v3, v4
	v_add_u16_e32 v2, v2, v3
	v_add_u16_e32 v3, -10, v2
	v_min_u16_e32 v2, v2, v3
	v_mul_u32_u24_e32 v4, 0xcccd, v2
	v_lshrrev_b32_e32 v4, 19, v4
	v_mov_b32_dpp v3, v2 row_bcast:15 row_mask:0xf bank_mask:0xf bound_ctrl:1
	v_mul_lo_u16_e32 v4, 10, v4
	v_sub_u16_e32 v2, v2, v4
	v_mul_u32_u24_sdwa v4, v3, s5 dst_sel:DWORD dst_unused:UNUSED_PAD src0_sel:WORD_0 src1_sel:DWORD
	v_lshrrev_b32_e32 v4, 19, v4
	v_mul_lo_u16_e32 v4, 10, v4
	v_sub_u16_e32 v3, v3, v4
	v_add_u16_e32 v2, v2, v3
	v_add_u16_e32 v3, -10, v2
	v_min_u16_e32 v2, v2, v3
	v_mul_u32_u24_e32 v4, 0xcccd, v2
	v_lshrrev_b32_e32 v4, 19, v4
	v_mov_b32_dpp v3, v2 row_bcast:31 row_mask:0xf bank_mask:0xf bound_ctrl:1
	v_mul_lo_u16_e32 v4, 10, v4
	v_sub_u16_e32 v2, v2, v4
	v_mul_u32_u24_sdwa v4, v3, s5 dst_sel:DWORD dst_unused:UNUSED_PAD src0_sel:WORD_0 src1_sel:DWORD
	v_lshrrev_b32_e32 v4, 19, v4
	v_mul_lo_u16_e32 v4, 10, v4
	v_sub_u16_e32 v3, v3, v4
	v_add_u16_e32 v2, v2, v3
	v_add_u16_e32 v4, -10, v2
	v_lshlrev_b32_e32 v3, 2, v1
	v_or_b32_e32 v5, 0xfc, v3
	v_min_u16_e32 v2, v2, v4
	ds_bpermute_b32 v2, v5, v2
	s_and_saveexec_b64 s[6:7], vcc
	s_cbranch_execz .LBB630_460
; %bb.459:
	v_lshrrev_b32_e32 v4, 5, v0
	v_and_b32_e32 v4, 2, v4
	s_waitcnt lgkmcnt(0)
	ds_write_b16 v4, v2 offset:4
.LBB630_460:
	s_or_b64 exec, exec, s[6:7]
	v_cmp_gt_u32_e32 vcc, 64, v0
	s_waitcnt lgkmcnt(0)
	s_barrier
	s_and_saveexec_b64 s[6:7], vcc
	s_cbranch_execz .LBB630_462
; %bb.461:
	v_and_b32_e32 v1, 1, v1
	v_lshlrev_b32_e32 v1, 1, v1
	ds_read_u16 v1, v1 offset:4
	v_or_b32_e32 v2, 4, v3
	s_waitcnt lgkmcnt(0)
	v_and_b32_e32 v3, 0xffff, v1
	ds_bpermute_b32 v2, v2, v3
	v_mul_u32_u24_e32 v3, 0xcccd, v3
	v_lshrrev_b32_e32 v3, 19, v3
	v_mul_lo_u16_e32 v3, 10, v3
	v_sub_u16_e32 v1, v1, v3
	s_waitcnt lgkmcnt(0)
	v_mul_u32_u24_sdwa v4, v2, s5 dst_sel:DWORD dst_unused:UNUSED_PAD src0_sel:WORD_0 src1_sel:DWORD
	v_lshrrev_b32_e32 v4, 19, v4
	v_mul_lo_u16_e32 v4, 10, v4
	v_sub_u16_e32 v2, v2, v4
	v_add_u16_e32 v1, v2, v1
	v_add_u16_e32 v2, -10, v1
	v_min_u16_e32 v2, v1, v2
.LBB630_462:
	s_or_b64 exec, exec, s[6:7]
	s_mov_b64 s[6:7], 0
	s_branch .LBB630_466
.LBB630_463:
                                        ; implicit-def: $vgpr1
	s_cbranch_execz .LBB630_561
	s_branch .LBB630_553
.LBB630_464:
                                        ; implicit-def: $vgpr1
	s_branch .LBB630_561
.LBB630_465:
	s_mov_b64 s[6:7], -1
                                        ; implicit-def: $vgpr2
.LBB630_466:
	s_and_b64 vcc, exec, s[6:7]
	s_cbranch_vccz .LBB630_548
; %bb.467:
	s_sub_i32 s38, s70, s4
	v_mov_b32_e32 v2, 0
	v_cmp_gt_u32_e32 vcc, s38, v0
	v_mov_b32_e32 v3, v2
	s_waitcnt lgkmcnt(0)
	v_mov_b32_e32 v4, v2
	v_mov_b32_e32 v5, v2
	;; [unrolled: 1-line block ×6, first 2 shown]
	s_and_saveexec_b64 s[4:5], vcc
	s_cbranch_execz .LBB630_469
; %bb.468:
	v_lshlrev_b32_e32 v1, 1, v0
	global_load_ushort v1, v1, s[34:35]
	v_mov_b32_e32 v5, v2
	v_mov_b32_e32 v6, v2
	v_mov_b32_e32 v7, v2
	v_mov_b32_e32 v8, v2
	v_mov_b32_e32 v9, v2
	v_mov_b32_e32 v10, v2
	v_mov_b32_e32 v11, v2
	s_waitcnt vmcnt(0)
	v_and_b32_e32 v4, 0xffff, v1
	v_mov_b64_e32 v[2:3], v[4:5]
	v_mov_b64_e32 v[4:5], v[6:7]
	v_mov_b64_e32 v[6:7], v[8:9]
	v_mov_b64_e32 v[8:9], v[10:11]
.LBB630_469:
	s_or_b64 exec, exec, s[4:5]
	v_or_b32_e32 v1, 0x80, v0
	v_cmp_gt_u32_e32 vcc, s38, v1
	s_and_saveexec_b64 s[4:5], vcc
	s_cbranch_execz .LBB630_471
; %bb.470:
	v_lshlrev_b32_e32 v1, 1, v0
	global_load_ushort v1, v1, s[34:35] offset:256
	s_mov_b32 s6, 0x5040100
	s_waitcnt vmcnt(0)
	v_perm_b32 v2, v1, v2, s6
.LBB630_471:
	s_or_b64 exec, exec, s[4:5]
	v_or_b32_e32 v1, 0x100, v0
	v_cmp_gt_u32_e64 s[4:5], s38, v1
	s_and_saveexec_b64 s[6:7], s[4:5]
	s_cbranch_execz .LBB630_473
; %bb.472:
	v_lshlrev_b32_e32 v1, 1, v0
	global_load_ushort v1, v1, s[34:35] offset:512
	s_mov_b32 s8, 0xffff
	s_waitcnt vmcnt(0)
	v_bfi_b32 v3, s8, v1, v3
.LBB630_473:
	s_or_b64 exec, exec, s[6:7]
	v_or_b32_e32 v1, 0x180, v0
	v_cmp_gt_u32_e64 s[6:7], s38, v1
	s_and_saveexec_b64 s[8:9], s[6:7]
	s_cbranch_execz .LBB630_475
; %bb.474:
	v_lshlrev_b32_e32 v1, 1, v0
	global_load_ushort v1, v1, s[34:35] offset:768
	s_mov_b32 s10, 0x5040100
	s_waitcnt vmcnt(0)
	v_perm_b32 v3, v1, v3, s10
.LBB630_475:
	s_or_b64 exec, exec, s[8:9]
	v_or_b32_e32 v1, 0x200, v0
	v_cmp_gt_u32_e64 s[8:9], s38, v1
	s_and_saveexec_b64 s[10:11], s[8:9]
	s_cbranch_execz .LBB630_477
; %bb.476:
	v_lshlrev_b32_e32 v1, 1, v0
	global_load_ushort v1, v1, s[34:35] offset:1024
	s_mov_b32 s12, 0xffff
	s_waitcnt vmcnt(0)
	v_bfi_b32 v4, s12, v1, v4
.LBB630_477:
	s_or_b64 exec, exec, s[10:11]
	v_or_b32_e32 v1, 0x280, v0
	v_cmp_gt_u32_e64 s[10:11], s38, v1
	s_and_saveexec_b64 s[12:13], s[10:11]
	;; [unrolled: 24-line block ×7, first 2 shown]
	s_cbranch_execz .LBB630_513
; %bb.498:
	v_lshlrev_b32_e32 v1, 1, v0
	global_load_ushort v1, v1, s[34:35] offset:3840
	s_mov_b32 s34, 0x5040100
	s_waitcnt vmcnt(0)
	v_perm_b32 v9, v1, v9, s34
	s_or_b64 exec, exec, s[36:37]
	s_and_saveexec_b64 s[34:35], vcc
	s_cbranch_execnz .LBB630_514
.LBB630_499:
	s_or_b64 exec, exec, s[34:35]
	s_and_saveexec_b64 s[34:35], s[4:5]
	s_cbranch_execz .LBB630_515
.LBB630_500:
	s_mov_b32 s4, 0xcccd
	v_mul_u32_u24_sdwa v1, v3, s4 dst_sel:DWORD dst_unused:UNUSED_PAD src0_sel:WORD_0 src1_sel:DWORD
	v_mul_u32_u24_sdwa v10, v2, s4 dst_sel:DWORD dst_unused:UNUSED_PAD src0_sel:WORD_0 src1_sel:DWORD
	v_lshrrev_b32_e32 v1, 19, v1
	v_lshrrev_b32_e32 v10, 19, v10
	v_mul_lo_u16_e32 v1, 10, v1
	v_mul_lo_u16_e32 v10, 10, v10
	v_sub_u16_e32 v1, v3, v1
	v_sub_u16_e32 v2, v2, v10
	v_add_u16_e32 v1, v2, v1
	v_add_u16_e32 v2, -10, v1
	v_min_u16_e32 v2, v1, v2
	s_or_b64 exec, exec, s[34:35]
	s_and_saveexec_b64 s[4:5], s[6:7]
	s_cbranch_execnz .LBB630_516
.LBB630_501:
	s_or_b64 exec, exec, s[4:5]
	s_and_saveexec_b64 s[4:5], s[8:9]
	s_cbranch_execz .LBB630_517
.LBB630_502:
	s_mov_b32 s6, 0xcccd
	v_mul_u32_u24_sdwa v1, v4, s6 dst_sel:DWORD dst_unused:UNUSED_PAD src0_sel:WORD_0 src1_sel:DWORD
	v_mul_u32_u24_sdwa v3, v2, s6 dst_sel:DWORD dst_unused:UNUSED_PAD src0_sel:WORD_0 src1_sel:DWORD
	v_lshrrev_b32_e32 v1, 19, v1
	v_lshrrev_b32_e32 v3, 19, v3
	v_mul_lo_u16_e32 v1, 10, v1
	v_mul_lo_u16_e32 v3, 10, v3
	v_sub_u16_e32 v1, v4, v1
	v_sub_u16_e32 v2, v2, v3
	v_add_u16_e32 v1, v2, v1
	v_add_u16_e32 v2, -10, v1
	v_min_u16_e32 v2, v1, v2
	s_or_b64 exec, exec, s[4:5]
	s_and_saveexec_b64 s[4:5], s[10:11]
	s_cbranch_execnz .LBB630_518
.LBB630_503:
	s_or_b64 exec, exec, s[4:5]
	s_and_saveexec_b64 s[4:5], s[12:13]
	s_cbranch_execz .LBB630_519
.LBB630_504:
	s_mov_b32 s6, 0xcccd
	v_mul_u32_u24_sdwa v1, v5, s6 dst_sel:DWORD dst_unused:UNUSED_PAD src0_sel:WORD_0 src1_sel:DWORD
	v_mul_u32_u24_sdwa v3, v2, s6 dst_sel:DWORD dst_unused:UNUSED_PAD src0_sel:WORD_0 src1_sel:DWORD
	v_lshrrev_b32_e32 v1, 19, v1
	v_lshrrev_b32_e32 v3, 19, v3
	v_mul_lo_u16_e32 v1, 10, v1
	v_mul_lo_u16_e32 v3, 10, v3
	v_sub_u16_e32 v1, v5, v1
	v_sub_u16_e32 v2, v2, v3
	v_add_u16_e32 v1, v2, v1
	v_add_u16_e32 v2, -10, v1
	v_min_u16_e32 v2, v1, v2
	s_or_b64 exec, exec, s[4:5]
	s_and_saveexec_b64 s[4:5], s[14:15]
	s_cbranch_execnz .LBB630_520
.LBB630_505:
	s_or_b64 exec, exec, s[4:5]
	s_and_saveexec_b64 s[4:5], s[16:17]
	s_cbranch_execz .LBB630_521
.LBB630_506:
	s_mov_b32 s6, 0xcccd
	v_mul_u32_u24_sdwa v1, v6, s6 dst_sel:DWORD dst_unused:UNUSED_PAD src0_sel:WORD_0 src1_sel:DWORD
	v_mul_u32_u24_sdwa v3, v2, s6 dst_sel:DWORD dst_unused:UNUSED_PAD src0_sel:WORD_0 src1_sel:DWORD
	v_lshrrev_b32_e32 v1, 19, v1
	v_lshrrev_b32_e32 v3, 19, v3
	v_mul_lo_u16_e32 v1, 10, v1
	v_mul_lo_u16_e32 v3, 10, v3
	v_sub_u16_e32 v1, v6, v1
	v_sub_u16_e32 v2, v2, v3
	v_add_u16_e32 v1, v2, v1
	v_add_u16_e32 v2, -10, v1
	v_min_u16_e32 v2, v1, v2
	s_or_b64 exec, exec, s[4:5]
	s_and_saveexec_b64 s[4:5], s[18:19]
	s_cbranch_execnz .LBB630_522
.LBB630_507:
	s_or_b64 exec, exec, s[4:5]
	s_and_saveexec_b64 s[4:5], s[20:21]
	s_cbranch_execz .LBB630_523
.LBB630_508:
	s_mov_b32 s6, 0xcccd
	v_mul_u32_u24_sdwa v1, v7, s6 dst_sel:DWORD dst_unused:UNUSED_PAD src0_sel:WORD_0 src1_sel:DWORD
	v_mul_u32_u24_sdwa v3, v2, s6 dst_sel:DWORD dst_unused:UNUSED_PAD src0_sel:WORD_0 src1_sel:DWORD
	v_lshrrev_b32_e32 v1, 19, v1
	v_lshrrev_b32_e32 v3, 19, v3
	v_mul_lo_u16_e32 v1, 10, v1
	v_mul_lo_u16_e32 v3, 10, v3
	v_sub_u16_e32 v1, v7, v1
	v_sub_u16_e32 v2, v2, v3
	v_add_u16_e32 v1, v2, v1
	v_add_u16_e32 v2, -10, v1
	v_min_u16_e32 v2, v1, v2
	s_or_b64 exec, exec, s[4:5]
	s_and_saveexec_b64 s[4:5], s[22:23]
	s_cbranch_execnz .LBB630_524
.LBB630_509:
	s_or_b64 exec, exec, s[4:5]
	s_and_saveexec_b64 s[4:5], s[24:25]
	s_cbranch_execz .LBB630_525
.LBB630_510:
	s_mov_b32 s6, 0xcccd
	v_mul_u32_u24_sdwa v1, v8, s6 dst_sel:DWORD dst_unused:UNUSED_PAD src0_sel:WORD_0 src1_sel:DWORD
	v_mul_u32_u24_sdwa v3, v2, s6 dst_sel:DWORD dst_unused:UNUSED_PAD src0_sel:WORD_0 src1_sel:DWORD
	v_lshrrev_b32_e32 v1, 19, v1
	v_lshrrev_b32_e32 v3, 19, v3
	v_mul_lo_u16_e32 v1, 10, v1
	v_mul_lo_u16_e32 v3, 10, v3
	v_sub_u16_e32 v1, v8, v1
	v_sub_u16_e32 v2, v2, v3
	v_add_u16_e32 v1, v2, v1
	v_add_u16_e32 v2, -10, v1
	v_min_u16_e32 v2, v1, v2
	s_or_b64 exec, exec, s[4:5]
	s_and_saveexec_b64 s[4:5], s[26:27]
	s_cbranch_execnz .LBB630_526
.LBB630_511:
	s_or_b64 exec, exec, s[4:5]
	s_and_saveexec_b64 s[4:5], s[28:29]
	s_cbranch_execz .LBB630_527
.LBB630_512:
	s_mov_b32 s6, 0xcccd
	v_mul_u32_u24_sdwa v1, v9, s6 dst_sel:DWORD dst_unused:UNUSED_PAD src0_sel:WORD_0 src1_sel:DWORD
	v_mul_u32_u24_sdwa v3, v2, s6 dst_sel:DWORD dst_unused:UNUSED_PAD src0_sel:WORD_0 src1_sel:DWORD
	v_lshrrev_b32_e32 v1, 19, v1
	v_lshrrev_b32_e32 v3, 19, v3
	v_mul_lo_u16_e32 v1, 10, v1
	v_mul_lo_u16_e32 v3, 10, v3
	v_sub_u16_e32 v1, v9, v1
	v_sub_u16_e32 v2, v2, v3
	v_add_u16_e32 v1, v2, v1
	v_add_u16_e32 v2, -10, v1
	v_min_u16_e32 v2, v1, v2
	s_or_b64 exec, exec, s[4:5]
	s_and_saveexec_b64 s[4:5], s[30:31]
	s_cbranch_execnz .LBB630_528
	s_branch .LBB630_529
.LBB630_513:
	s_or_b64 exec, exec, s[36:37]
	s_and_saveexec_b64 s[34:35], vcc
	s_cbranch_execz .LBB630_499
.LBB630_514:
	s_mov_b32 s36, 0xcccd
	v_mul_u32_u24_sdwa v1, v2, s36 dst_sel:DWORD dst_unused:UNUSED_PAD src0_sel:WORD_1 src1_sel:DWORD
	v_mul_u32_u24_sdwa v10, v2, s36 dst_sel:DWORD dst_unused:UNUSED_PAD src0_sel:WORD_0 src1_sel:DWORD
	v_lshrrev_b32_e32 v1, 19, v1
	v_lshrrev_b32_e32 v10, 19, v10
	v_mul_lo_u16_e32 v1, 10, v1
	v_mul_lo_u16_e32 v10, 10, v10
	v_sub_u16_sdwa v1, v2, v1 dst_sel:DWORD dst_unused:UNUSED_PAD src0_sel:WORD_1 src1_sel:DWORD
	v_sub_u16_e32 v2, v2, v10
	v_add_u16_e32 v1, v1, v2
	v_add_u16_e32 v2, -10, v1
	v_min_u16_e32 v2, v1, v2
	s_or_b64 exec, exec, s[34:35]
	s_and_saveexec_b64 s[34:35], s[4:5]
	s_cbranch_execnz .LBB630_500
.LBB630_515:
	s_or_b64 exec, exec, s[34:35]
	s_and_saveexec_b64 s[4:5], s[6:7]
	s_cbranch_execz .LBB630_501
.LBB630_516:
	s_mov_b32 s6, 0xcccd
	v_mul_u32_u24_sdwa v1, v3, s6 dst_sel:DWORD dst_unused:UNUSED_PAD src0_sel:WORD_1 src1_sel:DWORD
	v_lshrrev_b32_e32 v1, 19, v1
	v_mul_lo_u16_e32 v1, 10, v1
	v_sub_u16_sdwa v1, v3, v1 dst_sel:DWORD dst_unused:UNUSED_PAD src0_sel:WORD_1 src1_sel:DWORD
	v_mul_u32_u24_sdwa v3, v2, s6 dst_sel:DWORD dst_unused:UNUSED_PAD src0_sel:WORD_0 src1_sel:DWORD
	v_lshrrev_b32_e32 v3, 19, v3
	v_mul_lo_u16_e32 v3, 10, v3
	v_sub_u16_e32 v2, v2, v3
	v_add_u16_e32 v1, v2, v1
	v_add_u16_e32 v2, -10, v1
	v_min_u16_e32 v2, v1, v2
	s_or_b64 exec, exec, s[4:5]
	s_and_saveexec_b64 s[4:5], s[8:9]
	s_cbranch_execnz .LBB630_502
.LBB630_517:
	s_or_b64 exec, exec, s[4:5]
	s_and_saveexec_b64 s[4:5], s[10:11]
	s_cbranch_execz .LBB630_503
.LBB630_518:
	s_mov_b32 s6, 0xcccd
	v_mul_u32_u24_sdwa v1, v4, s6 dst_sel:DWORD dst_unused:UNUSED_PAD src0_sel:WORD_1 src1_sel:DWORD
	v_mul_u32_u24_sdwa v3, v2, s6 dst_sel:DWORD dst_unused:UNUSED_PAD src0_sel:WORD_0 src1_sel:DWORD
	v_lshrrev_b32_e32 v1, 19, v1
	v_lshrrev_b32_e32 v3, 19, v3
	v_mul_lo_u16_e32 v1, 10, v1
	v_mul_lo_u16_e32 v3, 10, v3
	v_sub_u16_sdwa v1, v4, v1 dst_sel:DWORD dst_unused:UNUSED_PAD src0_sel:WORD_1 src1_sel:DWORD
	v_sub_u16_e32 v2, v2, v3
	v_add_u16_e32 v1, v2, v1
	v_add_u16_e32 v2, -10, v1
	v_min_u16_e32 v2, v1, v2
	s_or_b64 exec, exec, s[4:5]
	s_and_saveexec_b64 s[4:5], s[12:13]
	s_cbranch_execnz .LBB630_504
.LBB630_519:
	s_or_b64 exec, exec, s[4:5]
	s_and_saveexec_b64 s[4:5], s[14:15]
	s_cbranch_execz .LBB630_505
.LBB630_520:
	s_mov_b32 s6, 0xcccd
	v_mul_u32_u24_sdwa v1, v5, s6 dst_sel:DWORD dst_unused:UNUSED_PAD src0_sel:WORD_1 src1_sel:DWORD
	v_mul_u32_u24_sdwa v3, v2, s6 dst_sel:DWORD dst_unused:UNUSED_PAD src0_sel:WORD_0 src1_sel:DWORD
	v_lshrrev_b32_e32 v1, 19, v1
	v_lshrrev_b32_e32 v3, 19, v3
	v_mul_lo_u16_e32 v1, 10, v1
	v_mul_lo_u16_e32 v3, 10, v3
	v_sub_u16_sdwa v1, v5, v1 dst_sel:DWORD dst_unused:UNUSED_PAD src0_sel:WORD_1 src1_sel:DWORD
	v_sub_u16_e32 v2, v2, v3
	v_add_u16_e32 v1, v2, v1
	v_add_u16_e32 v2, -10, v1
	v_min_u16_e32 v2, v1, v2
	s_or_b64 exec, exec, s[4:5]
	s_and_saveexec_b64 s[4:5], s[16:17]
	s_cbranch_execnz .LBB630_506
.LBB630_521:
	s_or_b64 exec, exec, s[4:5]
	s_and_saveexec_b64 s[4:5], s[18:19]
	s_cbranch_execz .LBB630_507
.LBB630_522:
	s_mov_b32 s6, 0xcccd
	v_mul_u32_u24_sdwa v1, v6, s6 dst_sel:DWORD dst_unused:UNUSED_PAD src0_sel:WORD_1 src1_sel:DWORD
	v_mul_u32_u24_sdwa v3, v2, s6 dst_sel:DWORD dst_unused:UNUSED_PAD src0_sel:WORD_0 src1_sel:DWORD
	v_lshrrev_b32_e32 v1, 19, v1
	v_lshrrev_b32_e32 v3, 19, v3
	v_mul_lo_u16_e32 v1, 10, v1
	v_mul_lo_u16_e32 v3, 10, v3
	v_sub_u16_sdwa v1, v6, v1 dst_sel:DWORD dst_unused:UNUSED_PAD src0_sel:WORD_1 src1_sel:DWORD
	v_sub_u16_e32 v2, v2, v3
	v_add_u16_e32 v1, v2, v1
	v_add_u16_e32 v2, -10, v1
	v_min_u16_e32 v2, v1, v2
	s_or_b64 exec, exec, s[4:5]
	s_and_saveexec_b64 s[4:5], s[20:21]
	s_cbranch_execnz .LBB630_508
.LBB630_523:
	s_or_b64 exec, exec, s[4:5]
	s_and_saveexec_b64 s[4:5], s[22:23]
	s_cbranch_execz .LBB630_509
.LBB630_524:
	s_mov_b32 s6, 0xcccd
	v_mul_u32_u24_sdwa v1, v7, s6 dst_sel:DWORD dst_unused:UNUSED_PAD src0_sel:WORD_1 src1_sel:DWORD
	v_mul_u32_u24_sdwa v3, v2, s6 dst_sel:DWORD dst_unused:UNUSED_PAD src0_sel:WORD_0 src1_sel:DWORD
	v_lshrrev_b32_e32 v1, 19, v1
	v_lshrrev_b32_e32 v3, 19, v3
	v_mul_lo_u16_e32 v1, 10, v1
	v_mul_lo_u16_e32 v3, 10, v3
	v_sub_u16_sdwa v1, v7, v1 dst_sel:DWORD dst_unused:UNUSED_PAD src0_sel:WORD_1 src1_sel:DWORD
	v_sub_u16_e32 v2, v2, v3
	v_add_u16_e32 v1, v2, v1
	v_add_u16_e32 v2, -10, v1
	v_min_u16_e32 v2, v1, v2
	s_or_b64 exec, exec, s[4:5]
	s_and_saveexec_b64 s[4:5], s[24:25]
	s_cbranch_execnz .LBB630_510
.LBB630_525:
	s_or_b64 exec, exec, s[4:5]
	s_and_saveexec_b64 s[4:5], s[26:27]
	s_cbranch_execz .LBB630_511
.LBB630_526:
	s_mov_b32 s6, 0xcccd
	v_mul_u32_u24_sdwa v1, v8, s6 dst_sel:DWORD dst_unused:UNUSED_PAD src0_sel:WORD_1 src1_sel:DWORD
	v_mul_u32_u24_sdwa v3, v2, s6 dst_sel:DWORD dst_unused:UNUSED_PAD src0_sel:WORD_0 src1_sel:DWORD
	v_lshrrev_b32_e32 v1, 19, v1
	v_lshrrev_b32_e32 v3, 19, v3
	v_mul_lo_u16_e32 v1, 10, v1
	v_mul_lo_u16_e32 v3, 10, v3
	v_sub_u16_sdwa v1, v8, v1 dst_sel:DWORD dst_unused:UNUSED_PAD src0_sel:WORD_1 src1_sel:DWORD
	v_sub_u16_e32 v2, v2, v3
	v_add_u16_e32 v1, v2, v1
	v_add_u16_e32 v2, -10, v1
	v_min_u16_e32 v2, v1, v2
	s_or_b64 exec, exec, s[4:5]
	s_and_saveexec_b64 s[4:5], s[28:29]
	s_cbranch_execnz .LBB630_512
.LBB630_527:
	s_or_b64 exec, exec, s[4:5]
	s_and_saveexec_b64 s[4:5], s[30:31]
	s_cbranch_execz .LBB630_529
.LBB630_528:
	s_mov_b32 s6, 0xcccd
	v_mul_u32_u24_sdwa v1, v9, s6 dst_sel:DWORD dst_unused:UNUSED_PAD src0_sel:WORD_1 src1_sel:DWORD
	v_mul_u32_u24_sdwa v3, v2, s6 dst_sel:DWORD dst_unused:UNUSED_PAD src0_sel:WORD_0 src1_sel:DWORD
	v_lshrrev_b32_e32 v1, 19, v1
	v_lshrrev_b32_e32 v3, 19, v3
	v_mul_lo_u16_e32 v1, 10, v1
	v_mul_lo_u16_e32 v3, 10, v3
	v_sub_u16_sdwa v1, v9, v1 dst_sel:DWORD dst_unused:UNUSED_PAD src0_sel:WORD_1 src1_sel:DWORD
	v_sub_u16_e32 v2, v2, v3
	v_add_u16_e32 v1, v2, v1
	v_add_u16_e32 v2, -10, v1
	v_min_u16_e32 v2, v1, v2
.LBB630_529:
	s_or_b64 exec, exec, s[4:5]
	v_mbcnt_lo_u32_b32 v1, -1, 0
	v_mbcnt_hi_u32_b32 v1, -1, v1
	v_and_b32_e32 v3, 63, v1
	v_cmp_ne_u32_e32 vcc, 63, v3
	v_and_b32_e32 v5, 0xffff, v2
	s_min_u32 s6, s38, 0x80
	v_addc_co_u32_e32 v4, vcc, 0, v1, vcc
	v_lshlrev_b32_e32 v4, 2, v4
	ds_bpermute_b32 v6, v4, v5
	v_and_b32_e32 v4, 64, v0
	v_sub_u32_e64 v4, s6, v4 clamp
	v_add_u32_e32 v7, 1, v3
	v_cmp_lt_u32_e32 vcc, v7, v4
	s_and_saveexec_b64 s[4:5], vcc
	s_xor_b64 s[4:5], exec, s[4:5]
	s_cbranch_execz .LBB630_531
; %bb.530:
	s_mov_b32 s7, 0xcccd
	s_waitcnt lgkmcnt(0)
	v_mul_u32_u24_sdwa v5, v6, s7 dst_sel:DWORD dst_unused:UNUSED_PAD src0_sel:WORD_0 src1_sel:DWORD
	v_lshrrev_b32_e32 v5, 19, v5
	v_mul_lo_u16_e32 v5, 10, v5
	v_sub_u16_e32 v5, v6, v5
	v_mul_u32_u24_sdwa v6, v2, s7 dst_sel:DWORD dst_unused:UNUSED_PAD src0_sel:WORD_0 src1_sel:DWORD
	v_lshrrev_b32_e32 v6, 19, v6
	v_mul_lo_u16_e32 v6, 10, v6
	v_sub_u16_e32 v2, v2, v6
	v_add_u16_e32 v5, v5, v2
	v_add_u16_e32 v6, -10, v5
	v_min_u16_e32 v2, v5, v6
	v_min_u16_e32 v5, v5, v6
.LBB630_531:
	s_or_b64 exec, exec, s[4:5]
	v_cmp_gt_u32_e32 vcc, 62, v3
	v_add_u32_e32 v7, 2, v3
	s_waitcnt lgkmcnt(0)
	v_cndmask_b32_e64 v6, 0, 2, vcc
	v_add_lshl_u32 v6, v6, v1, 2
	ds_bpermute_b32 v6, v6, v5
	v_cmp_lt_u32_e32 vcc, v7, v4
	s_and_saveexec_b64 s[4:5], vcc
	s_cbranch_execz .LBB630_533
; %bb.532:
	s_mov_b32 s7, 0xcccd
	s_waitcnt lgkmcnt(0)
	v_mul_u32_u24_sdwa v5, v6, s7 dst_sel:DWORD dst_unused:UNUSED_PAD src0_sel:WORD_0 src1_sel:DWORD
	v_lshrrev_b32_e32 v5, 19, v5
	v_mul_lo_u16_e32 v5, 10, v5
	v_sub_u16_e32 v5, v6, v5
	v_mul_u32_u24_sdwa v6, v2, s7 dst_sel:DWORD dst_unused:UNUSED_PAD src0_sel:WORD_0 src1_sel:DWORD
	v_lshrrev_b32_e32 v6, 19, v6
	v_mul_lo_u16_e32 v6, 10, v6
	v_sub_u16_e32 v2, v2, v6
	v_add_u16_e32 v5, v5, v2
	v_add_u16_e32 v6, -10, v5
	v_min_u16_e32 v2, v5, v6
	v_min_u16_e32 v5, v5, v6
.LBB630_533:
	s_or_b64 exec, exec, s[4:5]
	v_cmp_gt_u32_e32 vcc, 60, v3
	v_add_u32_e32 v7, 4, v3
	s_waitcnt lgkmcnt(0)
	v_cndmask_b32_e64 v6, 0, 4, vcc
	v_add_lshl_u32 v6, v6, v1, 2
	ds_bpermute_b32 v6, v6, v5
	v_cmp_lt_u32_e32 vcc, v7, v4
	s_and_saveexec_b64 s[4:5], vcc
	s_cbranch_execz .LBB630_535
; %bb.534:
	s_mov_b32 s7, 0xcccd
	s_waitcnt lgkmcnt(0)
	v_mul_u32_u24_sdwa v5, v6, s7 dst_sel:DWORD dst_unused:UNUSED_PAD src0_sel:WORD_0 src1_sel:DWORD
	v_lshrrev_b32_e32 v5, 19, v5
	v_mul_lo_u16_e32 v5, 10, v5
	v_sub_u16_e32 v5, v6, v5
	v_mul_u32_u24_sdwa v6, v2, s7 dst_sel:DWORD dst_unused:UNUSED_PAD src0_sel:WORD_0 src1_sel:DWORD
	v_lshrrev_b32_e32 v6, 19, v6
	v_mul_lo_u16_e32 v6, 10, v6
	v_sub_u16_e32 v2, v2, v6
	v_add_u16_e32 v5, v5, v2
	v_add_u16_e32 v6, -10, v5
	v_min_u16_e32 v2, v5, v6
	v_min_u16_e32 v5, v5, v6
.LBB630_535:
	s_or_b64 exec, exec, s[4:5]
	v_cmp_gt_u32_e32 vcc, 56, v3
	v_add_u32_e32 v7, 8, v3
	s_waitcnt lgkmcnt(0)
	v_cndmask_b32_e64 v6, 0, 8, vcc
	v_add_lshl_u32 v6, v6, v1, 2
	ds_bpermute_b32 v6, v6, v5
	v_cmp_lt_u32_e32 vcc, v7, v4
	s_and_saveexec_b64 s[4:5], vcc
	s_cbranch_execz .LBB630_537
; %bb.536:
	s_mov_b32 s7, 0xcccd
	s_waitcnt lgkmcnt(0)
	v_mul_u32_u24_sdwa v5, v6, s7 dst_sel:DWORD dst_unused:UNUSED_PAD src0_sel:WORD_0 src1_sel:DWORD
	v_lshrrev_b32_e32 v5, 19, v5
	v_mul_lo_u16_e32 v5, 10, v5
	v_sub_u16_e32 v5, v6, v5
	v_mul_u32_u24_sdwa v6, v2, s7 dst_sel:DWORD dst_unused:UNUSED_PAD src0_sel:WORD_0 src1_sel:DWORD
	v_lshrrev_b32_e32 v6, 19, v6
	v_mul_lo_u16_e32 v6, 10, v6
	v_sub_u16_e32 v2, v2, v6
	v_add_u16_e32 v5, v5, v2
	v_add_u16_e32 v6, -10, v5
	v_min_u16_e32 v2, v5, v6
	v_min_u16_e32 v5, v5, v6
.LBB630_537:
	s_or_b64 exec, exec, s[4:5]
	v_cmp_gt_u32_e32 vcc, 48, v3
	v_add_u32_e32 v7, 16, v3
	s_waitcnt lgkmcnt(0)
	v_cndmask_b32_e64 v6, 0, 16, vcc
	v_add_lshl_u32 v6, v6, v1, 2
	ds_bpermute_b32 v6, v6, v5
	v_cmp_lt_u32_e32 vcc, v7, v4
	s_and_saveexec_b64 s[4:5], vcc
	s_cbranch_execz .LBB630_539
; %bb.538:
	s_mov_b32 s7, 0xcccd
	s_waitcnt lgkmcnt(0)
	v_mul_u32_u24_sdwa v5, v6, s7 dst_sel:DWORD dst_unused:UNUSED_PAD src0_sel:WORD_0 src1_sel:DWORD
	v_lshrrev_b32_e32 v5, 19, v5
	v_mul_lo_u16_e32 v5, 10, v5
	v_sub_u16_e32 v5, v6, v5
	v_mul_u32_u24_sdwa v6, v2, s7 dst_sel:DWORD dst_unused:UNUSED_PAD src0_sel:WORD_0 src1_sel:DWORD
	v_lshrrev_b32_e32 v6, 19, v6
	v_mul_lo_u16_e32 v6, 10, v6
	v_sub_u16_e32 v2, v2, v6
	v_add_u16_e32 v5, v5, v2
	v_add_u16_e32 v6, -10, v5
	v_min_u16_e32 v2, v5, v6
	v_min_u16_e32 v5, v5, v6
.LBB630_539:
	s_or_b64 exec, exec, s[4:5]
	s_waitcnt lgkmcnt(0)
	v_lshlrev_b32_e32 v6, 2, v1
	v_or_b32_e32 v7, 0x80, v6
	ds_bpermute_b32 v5, v7, v5
	v_add_u32_e32 v3, 32, v3
	v_cmp_lt_u32_e32 vcc, v3, v4
	s_and_saveexec_b64 s[4:5], vcc
	s_cbranch_execz .LBB630_541
; %bb.540:
	s_mov_b32 s7, 0xcccd
	s_waitcnt lgkmcnt(0)
	v_mul_u32_u24_sdwa v3, v5, s7 dst_sel:DWORD dst_unused:UNUSED_PAD src0_sel:WORD_0 src1_sel:DWORD
	v_mul_u32_u24_sdwa v4, v2, s7 dst_sel:DWORD dst_unused:UNUSED_PAD src0_sel:WORD_0 src1_sel:DWORD
	v_lshrrev_b32_e32 v3, 19, v3
	v_lshrrev_b32_e32 v4, 19, v4
	v_mul_lo_u16_e32 v3, 10, v3
	v_mul_lo_u16_e32 v4, 10, v4
	v_sub_u16_e32 v3, v5, v3
	v_sub_u16_e32 v2, v2, v4
	v_add_u16_e32 v2, v3, v2
	v_add_u16_e32 v3, -10, v2
	v_min_u16_e32 v2, v2, v3
.LBB630_541:
	s_or_b64 exec, exec, s[4:5]
	v_cmp_eq_u32_e32 vcc, 0, v1
	s_and_saveexec_b64 s[4:5], vcc
; %bb.542:
	v_lshrrev_b32_e32 v3, 5, v0
	v_and_b32_e32 v3, 2, v3
	ds_write_b16 v3, v2
; %bb.543:
	s_or_b64 exec, exec, s[4:5]
	v_cmp_gt_u32_e32 vcc, 2, v0
	s_waitcnt lgkmcnt(0)
	s_barrier
	s_and_saveexec_b64 s[4:5], vcc
	s_cbranch_execz .LBB630_547
; %bb.544:
	v_lshlrev_b32_e32 v2, 1, v1
	ds_read_u16 v2, v2
	v_or_b32_e32 v4, 4, v6
	s_add_i32 s6, s6, 63
	v_and_b32_e32 v1, 1, v1
	s_lshr_b32 s6, s6, 6
	s_waitcnt lgkmcnt(0)
	v_and_b32_e32 v3, 0xffff, v2
	ds_bpermute_b32 v4, v4, v3
	v_add_u32_e32 v1, 1, v1
	v_cmp_gt_u32_e32 vcc, s6, v1
	s_and_saveexec_b64 s[6:7], vcc
	s_cbranch_execz .LBB630_546
; %bb.545:
	s_mov_b32 s8, 0xcccd
	s_waitcnt lgkmcnt(0)
	v_mul_u32_u24_sdwa v1, v4, s8 dst_sel:DWORD dst_unused:UNUSED_PAD src0_sel:WORD_0 src1_sel:DWORD
	v_mul_u32_u24_e32 v3, 0xcccd, v3
	v_lshrrev_b32_e32 v1, 19, v1
	v_lshrrev_b32_e32 v3, 19, v3
	v_mul_lo_u16_e32 v1, 10, v1
	v_mul_lo_u16_e32 v3, 10, v3
	v_sub_u16_e32 v1, v4, v1
	v_sub_u16_e32 v2, v2, v3
	v_add_u16_e32 v1, v1, v2
	v_add_u16_e32 v2, -10, v1
	v_min_u16_e32 v2, v1, v2
.LBB630_546:
	s_or_b64 exec, exec, s[6:7]
.LBB630_547:
	s_or_b64 exec, exec, s[4:5]
.LBB630_548:
	v_cmp_eq_u32_e32 vcc, 0, v0
                                        ; implicit-def: $vgpr1
	s_and_saveexec_b64 s[4:5], vcc
	s_xor_b64 s[4:5], exec, s[4:5]
	s_cbranch_execz .LBB630_552
; %bb.549:
	s_cmp_eq_u64 s[70:71], 0
	v_mov_b32_e32 v1, s33
	s_cbranch_scc1 .LBB630_551
; %bb.550:
	s_mov_b32 s6, 0xcccd
	v_mul_u32_u24_sdwa v1, v2, s6 dst_sel:DWORD dst_unused:UNUSED_PAD src0_sel:WORD_0 src1_sel:DWORD
	s_and_b32 s6, 0xffff, s33
	s_mul_i32 s6, s6, 0xcccd
	v_lshrrev_b32_e32 v1, 19, v1
	s_lshr_b32 s6, s6, 19
	v_mul_lo_u16_e32 v1, 10, v1
	s_mul_i32 s6, s6, 10
	v_sub_u16_e32 v1, v2, v1
	s_sub_i32 s6, s33, s6
	v_add_u16_e32 v1, s6, v1
	v_add_u16_e32 v2, -10, v1
	v_min_u16_e32 v1, v1, v2
.LBB630_551:
	s_or_b64 s[66:67], s[66:67], exec
.LBB630_552:
	s_or_b64 exec, exec, s[4:5]
	s_branch .LBB630_561
.LBB630_553:
	s_cmp_eq_u32 s76, 8
	s_cbranch_scc0 .LBB630_560
; %bb.554:
	s_mov_b32 s3, 0
	s_lshl_b32 s4, s2, 10
	s_mov_b32 s5, s3
	s_lshr_b64 s[6:7], s[70:71], 10
	s_lshl_b64 s[8:9], s[4:5], 1
	s_add_u32 s16, s68, s8
	s_addc_u32 s17, s69, s9
	s_cmp_lg_u64 s[6:7], s[2:3]
	s_cbranch_scc0 .LBB630_582
; %bb.555:
	v_lshlrev_b32_e32 v1, 1, v0
	global_load_ushort v2, v1, s[16:17] offset:256
	s_waitcnt lgkmcnt(0)
	global_load_ushort v4, v1, s[16:17]
	global_load_ushort v5, v1, s[16:17] offset:512
	global_load_ushort v6, v1, s[16:17] offset:768
	global_load_ushort v7, v1, s[16:17] offset:1024
	global_load_ushort v8, v1, s[16:17] offset:1280
	global_load_ushort v9, v1, s[16:17] offset:1536
	global_load_ushort v10, v1, s[16:17] offset:1792
	s_mov_b32 s5, 0xcccd
	v_mbcnt_lo_u32_b32 v1, -1, 0
	v_mbcnt_hi_u32_b32 v1, -1, v1
	v_lshlrev_b32_e32 v3, 2, v1
	v_cmp_eq_u32_e32 vcc, 0, v1
	s_waitcnt vmcnt(7)
	v_mul_u32_u24_sdwa v11, v2, s5 dst_sel:DWORD dst_unused:UNUSED_PAD src0_sel:WORD_0 src1_sel:DWORD
	s_waitcnt vmcnt(6)
	v_mul_u32_u24_sdwa v12, v4, s5 dst_sel:DWORD dst_unused:UNUSED_PAD src0_sel:WORD_0 src1_sel:DWORD
	v_lshrrev_b32_e32 v11, 19, v11
	v_lshrrev_b32_e32 v12, 19, v12
	v_mul_lo_u16_e32 v11, 10, v11
	v_mul_lo_u16_e32 v12, 10, v12
	v_sub_u16_e32 v2, v2, v11
	v_sub_u16_e32 v4, v4, v12
	v_add_u16_e32 v2, v2, v4
	v_add_u16_e32 v4, -10, v2
	v_min_u16_e32 v2, v2, v4
	s_waitcnt vmcnt(5)
	v_mul_u32_u24_sdwa v13, v5, s5 dst_sel:DWORD dst_unused:UNUSED_PAD src0_sel:WORD_0 src1_sel:DWORD
	v_mul_u32_u24_e32 v4, 0xcccd, v2
	v_lshrrev_b32_e32 v13, 19, v13
	v_lshrrev_b32_e32 v4, 19, v4
	v_mul_lo_u16_e32 v13, 10, v13
	v_mul_lo_u16_e32 v4, 10, v4
	v_sub_u16_e32 v5, v5, v13
	v_sub_u16_e32 v2, v2, v4
	v_add_u16_e32 v2, v2, v5
	v_add_u16_e32 v4, -10, v2
	v_min_u16_e32 v2, v2, v4
	s_waitcnt vmcnt(4)
	v_mul_u32_u24_sdwa v14, v6, s5 dst_sel:DWORD dst_unused:UNUSED_PAD src0_sel:WORD_0 src1_sel:DWORD
	v_mul_u32_u24_e32 v4, 0xcccd, v2
	;; [unrolled: 12-line block ×6, first 2 shown]
	v_lshrrev_b32_e32 v18, 19, v18
	v_lshrrev_b32_e32 v4, 19, v4
	v_mul_lo_u16_e32 v18, 10, v18
	v_mul_lo_u16_e32 v4, 10, v4
	v_sub_u16_e32 v10, v10, v18
	v_sub_u16_e32 v2, v2, v4
	v_add_u16_e32 v2, v2, v10
	v_add_u16_e32 v4, -10, v2
	v_min_u16_e32 v2, v2, v4
	v_mul_u32_u24_e32 v5, 0xcccd, v2
	v_lshrrev_b32_e32 v5, 19, v5
	v_mov_b32_dpp v4, v2 quad_perm:[1,0,3,2] row_mask:0xf bank_mask:0xf bound_ctrl:1
	v_mul_u32_u24_sdwa v6, v4, s5 dst_sel:DWORD dst_unused:UNUSED_PAD src0_sel:WORD_0 src1_sel:DWORD
	v_mul_lo_u16_e32 v5, 10, v5
	v_lshrrev_b32_e32 v6, 19, v6
	v_sub_u16_e32 v2, v2, v5
	v_mul_lo_u16_e32 v5, 10, v6
	v_sub_u16_e32 v4, v4, v5
	v_add_u16_e32 v2, v2, v4
	v_add_u16_e32 v4, -10, v2
	v_min_u16_e32 v2, v2, v4
	s_nop 1
	v_mov_b32_dpp v4, v2 quad_perm:[2,3,0,1] row_mask:0xf bank_mask:0xf bound_ctrl:1
	v_mul_u32_u24_sdwa v5, v4, s5 dst_sel:DWORD dst_unused:UNUSED_PAD src0_sel:WORD_0 src1_sel:DWORD
	v_lshrrev_b32_e32 v5, 19, v5
	v_mul_lo_u16_e32 v5, 10, v5
	v_sub_u16_e32 v4, v4, v5
	v_add_u16_e32 v2, v2, v4
	v_add_u16_e32 v4, -10, v2
	v_min_u16_e32 v2, v2, v4
	v_mul_u32_u24_e32 v5, 0xcccd, v2
	v_lshrrev_b32_e32 v5, 19, v5
	v_mov_b32_dpp v4, v2 row_ror:4 row_mask:0xf bank_mask:0xf bound_ctrl:1
	v_mul_u32_u24_sdwa v6, v4, s5 dst_sel:DWORD dst_unused:UNUSED_PAD src0_sel:WORD_0 src1_sel:DWORD
	v_mul_lo_u16_e32 v5, 10, v5
	v_lshrrev_b32_e32 v6, 19, v6
	v_sub_u16_e32 v2, v2, v5
	v_mul_lo_u16_e32 v5, 10, v6
	v_sub_u16_e32 v4, v4, v5
	v_add_u16_e32 v2, v2, v4
	v_add_u16_e32 v4, -10, v2
	v_min_u16_e32 v2, v2, v4
	v_mul_u32_u24_e32 v5, 0xcccd, v2
	v_lshrrev_b32_e32 v5, 19, v5
	v_mov_b32_dpp v4, v2 row_ror:8 row_mask:0xf bank_mask:0xf bound_ctrl:1
	v_mul_u32_u24_sdwa v6, v4, s5 dst_sel:DWORD dst_unused:UNUSED_PAD src0_sel:WORD_0 src1_sel:DWORD
	v_mul_lo_u16_e32 v5, 10, v5
	v_lshrrev_b32_e32 v6, 19, v6
	v_sub_u16_e32 v2, v2, v5
	v_mul_lo_u16_e32 v5, 10, v6
	v_sub_u16_e32 v4, v4, v5
	v_add_u16_e32 v2, v2, v4
	v_add_u16_e32 v4, -10, v2
	v_min_u16_e32 v2, v2, v4
	v_mul_u32_u24_e32 v5, 0xcccd, v2
	v_lshrrev_b32_e32 v5, 19, v5
	v_mov_b32_dpp v4, v2 row_bcast:15 row_mask:0xf bank_mask:0xf bound_ctrl:1
	v_mul_u32_u24_sdwa v6, v4, s5 dst_sel:DWORD dst_unused:UNUSED_PAD src0_sel:WORD_0 src1_sel:DWORD
	v_mul_lo_u16_e32 v5, 10, v5
	v_lshrrev_b32_e32 v6, 19, v6
	v_sub_u16_e32 v2, v2, v5
	v_mul_lo_u16_e32 v5, 10, v6
	v_sub_u16_e32 v4, v4, v5
	v_add_u16_e32 v2, v2, v4
	v_add_u16_e32 v4, -10, v2
	v_min_u16_e32 v2, v2, v4
	v_mul_u32_u24_e32 v5, 0xcccd, v2
	v_lshrrev_b32_e32 v5, 19, v5
	v_mov_b32_dpp v4, v2 row_bcast:31 row_mask:0xf bank_mask:0xf bound_ctrl:1
	v_mul_u32_u24_sdwa v6, v4, s5 dst_sel:DWORD dst_unused:UNUSED_PAD src0_sel:WORD_0 src1_sel:DWORD
	v_mul_lo_u16_e32 v5, 10, v5
	v_lshrrev_b32_e32 v6, 19, v6
	v_sub_u16_e32 v2, v2, v5
	v_mul_lo_u16_e32 v5, 10, v6
	v_sub_u16_e32 v4, v4, v5
	v_add_u16_e32 v2, v2, v4
	v_add_u16_e32 v4, -10, v2
	v_or_b32_e32 v5, 0xfc, v3
	v_min_u16_e32 v2, v2, v4
	ds_bpermute_b32 v2, v5, v2
	s_and_saveexec_b64 s[6:7], vcc
	s_cbranch_execz .LBB630_557
; %bb.556:
	v_lshrrev_b32_e32 v4, 5, v0
	v_and_b32_e32 v4, 2, v4
	s_waitcnt lgkmcnt(0)
	ds_write_b16 v4, v2 offset:28
.LBB630_557:
	s_or_b64 exec, exec, s[6:7]
	v_cmp_gt_u32_e32 vcc, 64, v0
	s_waitcnt lgkmcnt(0)
	s_barrier
	s_and_saveexec_b64 s[6:7], vcc
	s_cbranch_execz .LBB630_559
; %bb.558:
	v_and_b32_e32 v1, 1, v1
	v_lshlrev_b32_e32 v1, 1, v1
	ds_read_u16 v1, v1 offset:28
	v_or_b32_e32 v2, 4, v3
	s_waitcnt lgkmcnt(0)
	v_and_b32_e32 v3, 0xffff, v1
	ds_bpermute_b32 v2, v2, v3
	v_mul_u32_u24_e32 v3, 0xcccd, v3
	v_lshrrev_b32_e32 v3, 19, v3
	v_mul_lo_u16_e32 v3, 10, v3
	v_sub_u16_e32 v1, v1, v3
	s_waitcnt lgkmcnt(0)
	v_mul_u32_u24_sdwa v4, v2, s5 dst_sel:DWORD dst_unused:UNUSED_PAD src0_sel:WORD_0 src1_sel:DWORD
	v_lshrrev_b32_e32 v4, 19, v4
	v_mul_lo_u16_e32 v4, 10, v4
	v_sub_u16_e32 v2, v2, v4
	v_add_u16_e32 v1, v2, v1
	v_add_u16_e32 v2, -10, v1
	v_min_u16_e32 v2, v1, v2
.LBB630_559:
	s_or_b64 exec, exec, s[6:7]
	s_mov_b64 s[6:7], 0
	s_branch .LBB630_583
.LBB630_560:
                                        ; implicit-def: $vgpr1
.LBB630_561:
	s_branch .LBB630_719
.LBB630_562:
	s_cmp_gt_i32 s76, 1
	s_cbranch_scc0 .LBB630_571
; %bb.563:
	s_cmp_gt_i32 s76, 3
	s_cbranch_scc0 .LBB630_572
; %bb.564:
	s_cmp_eq_u32 s76, 4
	s_cbranch_scc0 .LBB630_580
; %bb.565:
	s_mov_b32 s3, 0
	s_lshl_b32 s4, s2, 9
	s_mov_b32 s5, s3
	s_lshr_b64 s[6:7], s[70:71], 9
	s_lshl_b64 s[8:9], s[4:5], 1
	s_add_u32 s8, s68, s8
	s_addc_u32 s9, s69, s9
	s_cmp_lg_u64 s[6:7], s[2:3]
	s_cbranch_scc0 .LBB630_606
; %bb.566:
	v_lshlrev_b32_e32 v1, 1, v0
	global_load_ushort v2, v1, s[8:9] offset:256
	s_waitcnt lgkmcnt(0)
	global_load_ushort v4, v1, s[8:9]
	global_load_ushort v5, v1, s[8:9] offset:512
	global_load_ushort v6, v1, s[8:9] offset:768
	s_mov_b32 s5, 0xcccd
	v_mbcnt_lo_u32_b32 v1, -1, 0
	v_mbcnt_hi_u32_b32 v1, -1, v1
	v_lshlrev_b32_e32 v3, 2, v1
	v_cmp_eq_u32_e32 vcc, 0, v1
	s_waitcnt vmcnt(3)
	v_mul_u32_u24_sdwa v7, v2, s5 dst_sel:DWORD dst_unused:UNUSED_PAD src0_sel:WORD_0 src1_sel:DWORD
	s_waitcnt vmcnt(2)
	v_mul_u32_u24_sdwa v8, v4, s5 dst_sel:DWORD dst_unused:UNUSED_PAD src0_sel:WORD_0 src1_sel:DWORD
	v_lshrrev_b32_e32 v7, 19, v7
	v_lshrrev_b32_e32 v8, 19, v8
	v_mul_lo_u16_e32 v7, 10, v7
	v_mul_lo_u16_e32 v8, 10, v8
	v_sub_u16_e32 v2, v2, v7
	v_sub_u16_e32 v4, v4, v8
	v_add_u16_e32 v2, v2, v4
	v_add_u16_e32 v4, -10, v2
	v_min_u16_e32 v2, v2, v4
	s_waitcnt vmcnt(1)
	v_mul_u32_u24_sdwa v9, v5, s5 dst_sel:DWORD dst_unused:UNUSED_PAD src0_sel:WORD_0 src1_sel:DWORD
	v_mul_u32_u24_e32 v4, 0xcccd, v2
	v_lshrrev_b32_e32 v9, 19, v9
	v_lshrrev_b32_e32 v4, 19, v4
	v_mul_lo_u16_e32 v9, 10, v9
	v_mul_lo_u16_e32 v4, 10, v4
	v_sub_u16_e32 v5, v5, v9
	v_sub_u16_e32 v2, v2, v4
	v_add_u16_e32 v2, v2, v5
	v_add_u16_e32 v4, -10, v2
	v_min_u16_e32 v2, v2, v4
	s_waitcnt vmcnt(0)
	v_mul_u32_u24_sdwa v10, v6, s5 dst_sel:DWORD dst_unused:UNUSED_PAD src0_sel:WORD_0 src1_sel:DWORD
	v_mul_u32_u24_e32 v4, 0xcccd, v2
	v_lshrrev_b32_e32 v10, 19, v10
	v_lshrrev_b32_e32 v4, 19, v4
	v_mul_lo_u16_e32 v10, 10, v10
	v_mul_lo_u16_e32 v4, 10, v4
	v_sub_u16_e32 v6, v6, v10
	v_sub_u16_e32 v2, v2, v4
	v_add_u16_e32 v2, v2, v6
	v_add_u16_e32 v4, -10, v2
	v_min_u16_e32 v2, v2, v4
	v_mul_u32_u24_e32 v5, 0xcccd, v2
	v_lshrrev_b32_e32 v5, 19, v5
	v_mov_b32_dpp v4, v2 quad_perm:[1,0,3,2] row_mask:0xf bank_mask:0xf bound_ctrl:1
	v_mul_u32_u24_sdwa v6, v4, s5 dst_sel:DWORD dst_unused:UNUSED_PAD src0_sel:WORD_0 src1_sel:DWORD
	v_mul_lo_u16_e32 v5, 10, v5
	v_lshrrev_b32_e32 v6, 19, v6
	v_sub_u16_e32 v2, v2, v5
	v_mul_lo_u16_e32 v5, 10, v6
	v_sub_u16_e32 v4, v4, v5
	v_add_u16_e32 v2, v2, v4
	v_add_u16_e32 v4, -10, v2
	v_min_u16_e32 v2, v2, v4
	s_nop 1
	v_mov_b32_dpp v4, v2 quad_perm:[2,3,0,1] row_mask:0xf bank_mask:0xf bound_ctrl:1
	v_mul_u32_u24_sdwa v5, v4, s5 dst_sel:DWORD dst_unused:UNUSED_PAD src0_sel:WORD_0 src1_sel:DWORD
	v_lshrrev_b32_e32 v5, 19, v5
	v_mul_lo_u16_e32 v5, 10, v5
	v_sub_u16_e32 v4, v4, v5
	v_add_u16_e32 v2, v2, v4
	v_add_u16_e32 v4, -10, v2
	v_min_u16_e32 v2, v2, v4
	v_mul_u32_u24_e32 v5, 0xcccd, v2
	v_lshrrev_b32_e32 v5, 19, v5
	v_mov_b32_dpp v4, v2 row_ror:4 row_mask:0xf bank_mask:0xf bound_ctrl:1
	v_mul_u32_u24_sdwa v6, v4, s5 dst_sel:DWORD dst_unused:UNUSED_PAD src0_sel:WORD_0 src1_sel:DWORD
	v_mul_lo_u16_e32 v5, 10, v5
	v_lshrrev_b32_e32 v6, 19, v6
	v_sub_u16_e32 v2, v2, v5
	v_mul_lo_u16_e32 v5, 10, v6
	v_sub_u16_e32 v4, v4, v5
	v_add_u16_e32 v2, v2, v4
	v_add_u16_e32 v4, -10, v2
	v_min_u16_e32 v2, v2, v4
	v_mul_u32_u24_e32 v5, 0xcccd, v2
	v_lshrrev_b32_e32 v5, 19, v5
	v_mov_b32_dpp v4, v2 row_ror:8 row_mask:0xf bank_mask:0xf bound_ctrl:1
	v_mul_u32_u24_sdwa v6, v4, s5 dst_sel:DWORD dst_unused:UNUSED_PAD src0_sel:WORD_0 src1_sel:DWORD
	v_mul_lo_u16_e32 v5, 10, v5
	v_lshrrev_b32_e32 v6, 19, v6
	v_sub_u16_e32 v2, v2, v5
	v_mul_lo_u16_e32 v5, 10, v6
	v_sub_u16_e32 v4, v4, v5
	v_add_u16_e32 v2, v2, v4
	v_add_u16_e32 v4, -10, v2
	v_min_u16_e32 v2, v2, v4
	v_mul_u32_u24_e32 v5, 0xcccd, v2
	v_lshrrev_b32_e32 v5, 19, v5
	v_mov_b32_dpp v4, v2 row_bcast:15 row_mask:0xf bank_mask:0xf bound_ctrl:1
	v_mul_u32_u24_sdwa v6, v4, s5 dst_sel:DWORD dst_unused:UNUSED_PAD src0_sel:WORD_0 src1_sel:DWORD
	v_mul_lo_u16_e32 v5, 10, v5
	v_lshrrev_b32_e32 v6, 19, v6
	v_sub_u16_e32 v2, v2, v5
	v_mul_lo_u16_e32 v5, 10, v6
	v_sub_u16_e32 v4, v4, v5
	v_add_u16_e32 v2, v2, v4
	v_add_u16_e32 v4, -10, v2
	v_min_u16_e32 v2, v2, v4
	v_mul_u32_u24_e32 v5, 0xcccd, v2
	v_lshrrev_b32_e32 v5, 19, v5
	v_mov_b32_dpp v4, v2 row_bcast:31 row_mask:0xf bank_mask:0xf bound_ctrl:1
	v_mul_u32_u24_sdwa v6, v4, s5 dst_sel:DWORD dst_unused:UNUSED_PAD src0_sel:WORD_0 src1_sel:DWORD
	v_mul_lo_u16_e32 v5, 10, v5
	v_lshrrev_b32_e32 v6, 19, v6
	v_sub_u16_e32 v2, v2, v5
	v_mul_lo_u16_e32 v5, 10, v6
	v_sub_u16_e32 v4, v4, v5
	v_add_u16_e32 v2, v2, v4
	v_add_u16_e32 v4, -10, v2
	v_or_b32_e32 v5, 0xfc, v3
	v_min_u16_e32 v2, v2, v4
	ds_bpermute_b32 v2, v5, v2
	s_and_saveexec_b64 s[6:7], vcc
	s_cbranch_execz .LBB630_568
; %bb.567:
	v_lshrrev_b32_e32 v4, 5, v0
	v_and_b32_e32 v4, 2, v4
	s_waitcnt lgkmcnt(0)
	ds_write_b16 v4, v2 offset:20
.LBB630_568:
	s_or_b64 exec, exec, s[6:7]
	v_cmp_gt_u32_e32 vcc, 64, v0
	s_waitcnt lgkmcnt(0)
	s_barrier
	s_and_saveexec_b64 s[6:7], vcc
	s_cbranch_execz .LBB630_570
; %bb.569:
	v_and_b32_e32 v1, 1, v1
	v_lshlrev_b32_e32 v1, 1, v1
	ds_read_u16 v1, v1 offset:20
	v_or_b32_e32 v2, 4, v3
	s_waitcnt lgkmcnt(0)
	v_and_b32_e32 v3, 0xffff, v1
	ds_bpermute_b32 v2, v2, v3
	v_mul_u32_u24_e32 v3, 0xcccd, v3
	v_lshrrev_b32_e32 v3, 19, v3
	v_mul_lo_u16_e32 v3, 10, v3
	v_sub_u16_e32 v1, v1, v3
	s_waitcnt lgkmcnt(0)
	v_mul_u32_u24_sdwa v4, v2, s5 dst_sel:DWORD dst_unused:UNUSED_PAD src0_sel:WORD_0 src1_sel:DWORD
	v_lshrrev_b32_e32 v4, 19, v4
	v_mul_lo_u16_e32 v4, 10, v4
	v_sub_u16_e32 v2, v2, v4
	v_add_u16_e32 v1, v2, v1
	v_add_u16_e32 v2, -10, v1
	v_min_u16_e32 v2, v1, v2
.LBB630_570:
	s_or_b64 exec, exec, s[6:7]
	s_mov_b64 s[6:7], 0
	s_branch .LBB630_607
.LBB630_571:
                                        ; implicit-def: $vgpr1
	s_cbranch_execnz .LBB630_711
	s_branch .LBB630_719
.LBB630_572:
                                        ; implicit-def: $vgpr1
	s_cbranch_execz .LBB630_710
; %bb.573:
	s_cmp_eq_u32 s76, 2
	s_cbranch_scc0 .LBB630_581
; %bb.574:
	s_mov_b32 s3, 0
	s_lshl_b32 s6, s2, 8
	s_mov_b32 s7, s3
	s_lshr_b64 s[8:9], s[70:71], 8
	s_lshl_b64 s[4:5], s[6:7], 1
	s_add_u32 s4, s68, s4
	s_addc_u32 s5, s69, s5
	s_cmp_lg_u64 s[8:9], s[2:3]
	s_cbranch_scc0 .LBB630_618
; %bb.575:
	v_lshlrev_b32_e32 v1, 1, v0
	global_load_ushort v2, v1, s[4:5] offset:256
	s_waitcnt lgkmcnt(0)
	global_load_ushort v4, v1, s[4:5]
	s_mov_b32 s7, 0xcccd
	v_mbcnt_lo_u32_b32 v1, -1, 0
	v_mbcnt_hi_u32_b32 v1, -1, v1
	v_lshlrev_b32_e32 v3, 2, v1
	v_cmp_eq_u32_e32 vcc, 0, v1
	s_waitcnt vmcnt(1)
	v_mul_u32_u24_sdwa v5, v2, s7 dst_sel:DWORD dst_unused:UNUSED_PAD src0_sel:WORD_0 src1_sel:DWORD
	s_waitcnt vmcnt(0)
	v_mul_u32_u24_sdwa v6, v4, s7 dst_sel:DWORD dst_unused:UNUSED_PAD src0_sel:WORD_0 src1_sel:DWORD
	v_lshrrev_b32_e32 v5, 19, v5
	v_lshrrev_b32_e32 v6, 19, v6
	v_mul_lo_u16_e32 v5, 10, v5
	v_mul_lo_u16_e32 v6, 10, v6
	v_sub_u16_e32 v2, v2, v5
	v_sub_u16_e32 v4, v4, v6
	v_add_u16_e32 v2, v2, v4
	v_add_u16_e32 v4, -10, v2
	v_min_u16_e32 v2, v2, v4
	v_mul_u32_u24_e32 v5, 0xcccd, v2
	v_lshrrev_b32_e32 v5, 19, v5
	v_mov_b32_dpp v4, v2 quad_perm:[1,0,3,2] row_mask:0xf bank_mask:0xf bound_ctrl:1
	v_mul_u32_u24_sdwa v6, v4, s7 dst_sel:DWORD dst_unused:UNUSED_PAD src0_sel:WORD_0 src1_sel:DWORD
	v_mul_lo_u16_e32 v5, 10, v5
	v_lshrrev_b32_e32 v6, 19, v6
	v_sub_u16_e32 v2, v2, v5
	v_mul_lo_u16_e32 v5, 10, v6
	v_sub_u16_e32 v4, v4, v5
	v_add_u16_e32 v2, v4, v2
	v_add_u16_e32 v4, -10, v2
	v_min_u16_e32 v2, v2, v4
	s_nop 1
	v_mov_b32_dpp v4, v2 quad_perm:[2,3,0,1] row_mask:0xf bank_mask:0xf bound_ctrl:1
	v_mul_u32_u24_sdwa v5, v4, s7 dst_sel:DWORD dst_unused:UNUSED_PAD src0_sel:WORD_0 src1_sel:DWORD
	v_lshrrev_b32_e32 v5, 19, v5
	v_mul_lo_u16_e32 v5, 10, v5
	v_sub_u16_e32 v4, v4, v5
	v_add_u16_e32 v2, v2, v4
	v_add_u16_e32 v4, -10, v2
	v_min_u16_e32 v2, v2, v4
	v_mul_u32_u24_e32 v5, 0xcccd, v2
	v_lshrrev_b32_e32 v5, 19, v5
	v_mov_b32_dpp v4, v2 row_ror:4 row_mask:0xf bank_mask:0xf bound_ctrl:1
	v_mul_u32_u24_sdwa v6, v4, s7 dst_sel:DWORD dst_unused:UNUSED_PAD src0_sel:WORD_0 src1_sel:DWORD
	v_mul_lo_u16_e32 v5, 10, v5
	v_lshrrev_b32_e32 v6, 19, v6
	v_sub_u16_e32 v2, v2, v5
	v_mul_lo_u16_e32 v5, 10, v6
	v_sub_u16_e32 v4, v4, v5
	v_add_u16_e32 v2, v2, v4
	v_add_u16_e32 v4, -10, v2
	v_min_u16_e32 v2, v2, v4
	v_mul_u32_u24_e32 v5, 0xcccd, v2
	v_lshrrev_b32_e32 v5, 19, v5
	v_mov_b32_dpp v4, v2 row_ror:8 row_mask:0xf bank_mask:0xf bound_ctrl:1
	v_mul_u32_u24_sdwa v6, v4, s7 dst_sel:DWORD dst_unused:UNUSED_PAD src0_sel:WORD_0 src1_sel:DWORD
	v_mul_lo_u16_e32 v5, 10, v5
	v_lshrrev_b32_e32 v6, 19, v6
	v_sub_u16_e32 v2, v2, v5
	v_mul_lo_u16_e32 v5, 10, v6
	v_sub_u16_e32 v4, v4, v5
	v_add_u16_e32 v2, v2, v4
	v_add_u16_e32 v4, -10, v2
	v_min_u16_e32 v2, v2, v4
	v_mul_u32_u24_e32 v5, 0xcccd, v2
	v_lshrrev_b32_e32 v5, 19, v5
	v_mov_b32_dpp v4, v2 row_bcast:15 row_mask:0xf bank_mask:0xf bound_ctrl:1
	v_mul_u32_u24_sdwa v6, v4, s7 dst_sel:DWORD dst_unused:UNUSED_PAD src0_sel:WORD_0 src1_sel:DWORD
	v_mul_lo_u16_e32 v5, 10, v5
	v_lshrrev_b32_e32 v6, 19, v6
	v_sub_u16_e32 v2, v2, v5
	v_mul_lo_u16_e32 v5, 10, v6
	v_sub_u16_e32 v4, v4, v5
	v_add_u16_e32 v2, v2, v4
	v_add_u16_e32 v4, -10, v2
	v_min_u16_e32 v2, v2, v4
	v_mul_u32_u24_e32 v5, 0xcccd, v2
	v_lshrrev_b32_e32 v5, 19, v5
	v_mov_b32_dpp v4, v2 row_bcast:31 row_mask:0xf bank_mask:0xf bound_ctrl:1
	v_mul_u32_u24_sdwa v6, v4, s7 dst_sel:DWORD dst_unused:UNUSED_PAD src0_sel:WORD_0 src1_sel:DWORD
	v_mul_lo_u16_e32 v5, 10, v5
	v_lshrrev_b32_e32 v6, 19, v6
	v_sub_u16_e32 v2, v2, v5
	v_mul_lo_u16_e32 v5, 10, v6
	v_sub_u16_e32 v4, v4, v5
	v_add_u16_e32 v2, v2, v4
	v_add_u16_e32 v4, -10, v2
	v_or_b32_e32 v5, 0xfc, v3
	v_min_u16_e32 v2, v2, v4
	ds_bpermute_b32 v2, v5, v2
	s_and_saveexec_b64 s[8:9], vcc
	s_cbranch_execz .LBB630_577
; %bb.576:
	v_lshrrev_b32_e32 v4, 5, v0
	v_and_b32_e32 v4, 2, v4
	s_waitcnt lgkmcnt(0)
	ds_write_b16 v4, v2 offset:12
.LBB630_577:
	s_or_b64 exec, exec, s[8:9]
	v_cmp_gt_u32_e32 vcc, 64, v0
	s_waitcnt lgkmcnt(0)
	s_barrier
	s_and_saveexec_b64 s[8:9], vcc
	s_cbranch_execz .LBB630_579
; %bb.578:
	v_and_b32_e32 v1, 1, v1
	v_lshlrev_b32_e32 v1, 1, v1
	ds_read_u16 v1, v1 offset:12
	v_or_b32_e32 v2, 4, v3
	s_waitcnt lgkmcnt(0)
	v_and_b32_e32 v3, 0xffff, v1
	ds_bpermute_b32 v2, v2, v3
	v_mul_u32_u24_e32 v3, 0xcccd, v3
	v_lshrrev_b32_e32 v3, 19, v3
	v_mul_lo_u16_e32 v3, 10, v3
	v_sub_u16_e32 v1, v1, v3
	s_waitcnt lgkmcnt(0)
	v_mul_u32_u24_sdwa v4, v2, s7 dst_sel:DWORD dst_unused:UNUSED_PAD src0_sel:WORD_0 src1_sel:DWORD
	v_lshrrev_b32_e32 v4, 19, v4
	v_mul_lo_u16_e32 v4, 10, v4
	v_sub_u16_e32 v2, v2, v4
	v_add_u16_e32 v1, v2, v1
	v_add_u16_e32 v2, -10, v1
	v_min_u16_e32 v2, v1, v2
.LBB630_579:
	s_or_b64 exec, exec, s[8:9]
	s_mov_b64 s[8:9], 0
	s_branch .LBB630_619
.LBB630_580:
                                        ; implicit-def: $vgpr1
	s_branch .LBB630_710
.LBB630_581:
                                        ; implicit-def: $vgpr1
	s_branch .LBB630_719
.LBB630_582:
	s_mov_b64 s[6:7], -1
                                        ; implicit-def: $vgpr2
.LBB630_583:
	s_and_b64 vcc, exec, s[6:7]
	s_cbranch_vccz .LBB630_677
; %bb.584:
	s_sub_i32 s20, s70, s4
	v_mov_b32_e32 v2, 0
	v_cmp_gt_u32_e32 vcc, s20, v0
	v_mov_b32_e32 v3, v2
	s_waitcnt lgkmcnt(0)
	v_mov_b32_e32 v4, v2
	v_mov_b32_e32 v5, v2
	s_and_saveexec_b64 s[4:5], vcc
	s_cbranch_execz .LBB630_586
; %bb.585:
	v_lshlrev_b32_e32 v1, 1, v0
	global_load_ushort v1, v1, s[16:17]
	v_mov_b32_e32 v5, v2
	v_mov_b32_e32 v6, v2
	;; [unrolled: 1-line block ×3, first 2 shown]
	s_waitcnt vmcnt(0)
	v_and_b32_e32 v4, 0xffff, v1
	v_mov_b64_e32 v[2:3], v[4:5]
	v_mov_b64_e32 v[4:5], v[6:7]
.LBB630_586:
	s_or_b64 exec, exec, s[4:5]
	v_or_b32_e32 v1, 0x80, v0
	v_cmp_gt_u32_e64 s[14:15], s20, v1
	s_and_saveexec_b64 s[4:5], s[14:15]
	s_cbranch_execz .LBB630_588
; %bb.587:
	v_lshlrev_b32_e32 v1, 1, v0
	global_load_ushort v1, v1, s[16:17] offset:256
	s_mov_b32 s6, 0x5040100
	s_waitcnt vmcnt(0)
	v_perm_b32 v2, v1, v2, s6
.LBB630_588:
	s_or_b64 exec, exec, s[4:5]
	v_or_b32_e32 v1, 0x100, v0
	v_cmp_gt_u32_e64 s[12:13], s20, v1
	s_and_saveexec_b64 s[4:5], s[12:13]
	s_cbranch_execz .LBB630_590
; %bb.589:
	v_lshlrev_b32_e32 v1, 1, v0
	global_load_ushort v1, v1, s[16:17] offset:512
	s_mov_b32 s6, 0xffff
	s_waitcnt vmcnt(0)
	v_bfi_b32 v3, s6, v1, v3
.LBB630_590:
	s_or_b64 exec, exec, s[4:5]
	v_or_b32_e32 v1, 0x180, v0
	v_cmp_gt_u32_e64 s[10:11], s20, v1
	s_and_saveexec_b64 s[4:5], s[10:11]
	s_cbranch_execz .LBB630_592
; %bb.591:
	v_lshlrev_b32_e32 v1, 1, v0
	global_load_ushort v1, v1, s[16:17] offset:768
	s_mov_b32 s6, 0x5040100
	s_waitcnt vmcnt(0)
	v_perm_b32 v3, v1, v3, s6
.LBB630_592:
	s_or_b64 exec, exec, s[4:5]
	v_or_b32_e32 v1, 0x200, v0
	v_cmp_gt_u32_e64 s[8:9], s20, v1
	s_and_saveexec_b64 s[4:5], s[8:9]
	s_cbranch_execz .LBB630_594
; %bb.593:
	v_lshlrev_b32_e32 v1, 1, v0
	global_load_ushort v1, v1, s[16:17] offset:1024
	s_mov_b32 s6, 0xffff
	s_waitcnt vmcnt(0)
	v_bfi_b32 v4, s6, v1, v4
.LBB630_594:
	;; [unrolled: 24-line block ×3, first 2 shown]
	s_or_b64 exec, exec, s[18:19]
	v_or_b32_e32 v1, 0x380, v0
	v_cmp_gt_u32_e32 vcc, s20, v1
	s_and_saveexec_b64 s[18:19], vcc
	s_cbranch_execz .LBB630_650
; %bb.599:
	v_lshlrev_b32_e32 v1, 1, v0
	global_load_ushort v1, v1, s[16:17] offset:1792
	s_mov_b32 s16, 0x5040100
	s_waitcnt vmcnt(0)
	v_perm_b32 v5, v1, v5, s16
	s_or_b64 exec, exec, s[18:19]
	s_and_saveexec_b64 s[16:17], s[14:15]
	s_cbranch_execnz .LBB630_651
.LBB630_600:
	s_or_b64 exec, exec, s[16:17]
	s_and_saveexec_b64 s[14:15], s[12:13]
	s_cbranch_execz .LBB630_652
.LBB630_601:
	s_mov_b32 s12, 0xcccd
	v_mul_u32_u24_sdwa v1, v3, s12 dst_sel:DWORD dst_unused:UNUSED_PAD src0_sel:WORD_0 src1_sel:DWORD
	v_mul_u32_u24_sdwa v6, v2, s12 dst_sel:DWORD dst_unused:UNUSED_PAD src0_sel:WORD_0 src1_sel:DWORD
	v_lshrrev_b32_e32 v1, 19, v1
	v_lshrrev_b32_e32 v6, 19, v6
	v_mul_lo_u16_e32 v1, 10, v1
	v_mul_lo_u16_e32 v6, 10, v6
	v_sub_u16_e32 v1, v3, v1
	v_sub_u16_e32 v2, v2, v6
	v_add_u16_e32 v1, v2, v1
	v_add_u16_e32 v2, -10, v1
	v_min_u16_e32 v2, v1, v2
	s_or_b64 exec, exec, s[14:15]
	s_and_saveexec_b64 s[12:13], s[10:11]
	s_cbranch_execnz .LBB630_653
.LBB630_602:
	s_or_b64 exec, exec, s[12:13]
	s_and_saveexec_b64 s[10:11], s[8:9]
	s_cbranch_execz .LBB630_654
.LBB630_603:
	s_mov_b32 s8, 0xcccd
	v_mul_u32_u24_sdwa v1, v4, s8 dst_sel:DWORD dst_unused:UNUSED_PAD src0_sel:WORD_0 src1_sel:DWORD
	v_mul_u32_u24_sdwa v3, v2, s8 dst_sel:DWORD dst_unused:UNUSED_PAD src0_sel:WORD_0 src1_sel:DWORD
	v_lshrrev_b32_e32 v1, 19, v1
	v_lshrrev_b32_e32 v3, 19, v3
	v_mul_lo_u16_e32 v1, 10, v1
	v_mul_lo_u16_e32 v3, 10, v3
	v_sub_u16_e32 v1, v4, v1
	v_sub_u16_e32 v2, v2, v3
	v_add_u16_e32 v1, v2, v1
	v_add_u16_e32 v2, -10, v1
	v_min_u16_e32 v2, v1, v2
	s_or_b64 exec, exec, s[10:11]
	s_and_saveexec_b64 s[8:9], s[6:7]
	s_cbranch_execnz .LBB630_655
.LBB630_604:
	s_or_b64 exec, exec, s[8:9]
	s_and_saveexec_b64 s[6:7], s[4:5]
	s_cbranch_execz .LBB630_656
.LBB630_605:
	s_mov_b32 s4, 0xcccd
	v_mul_u32_u24_sdwa v1, v5, s4 dst_sel:DWORD dst_unused:UNUSED_PAD src0_sel:WORD_0 src1_sel:DWORD
	v_mul_u32_u24_sdwa v3, v2, s4 dst_sel:DWORD dst_unused:UNUSED_PAD src0_sel:WORD_0 src1_sel:DWORD
	v_lshrrev_b32_e32 v1, 19, v1
	v_lshrrev_b32_e32 v3, 19, v3
	v_mul_lo_u16_e32 v1, 10, v1
	v_mul_lo_u16_e32 v3, 10, v3
	v_sub_u16_e32 v1, v5, v1
	v_sub_u16_e32 v2, v2, v3
	v_add_u16_e32 v1, v2, v1
	v_add_u16_e32 v2, -10, v1
	v_min_u16_e32 v2, v1, v2
	s_or_b64 exec, exec, s[6:7]
	s_and_saveexec_b64 s[4:5], vcc
	s_cbranch_execnz .LBB630_657
	s_branch .LBB630_658
.LBB630_606:
	s_mov_b64 s[6:7], -1
                                        ; implicit-def: $vgpr2
.LBB630_607:
	s_and_b64 vcc, exec, s[6:7]
	s_cbranch_vccz .LBB630_705
; %bb.608:
	s_sub_i32 s12, s70, s4
	v_mov_b32_e32 v2, 0
	v_cmp_gt_u32_e32 vcc, s12, v0
	v_mov_b32_e32 v3, v2
	s_and_saveexec_b64 s[4:5], vcc
	s_cbranch_execz .LBB630_610
; %bb.609:
	v_lshlrev_b32_e32 v1, 1, v0
	global_load_ushort v1, v1, s[8:9]
	v_mov_b32_e32 v5, v2
	s_waitcnt vmcnt(0) lgkmcnt(0)
	v_and_b32_e32 v4, 0xffff, v1
	v_mov_b64_e32 v[2:3], v[4:5]
.LBB630_610:
	s_or_b64 exec, exec, s[4:5]
	v_or_b32_e32 v1, 0x80, v0
	v_cmp_gt_u32_e64 s[6:7], s12, v1
	s_and_saveexec_b64 s[4:5], s[6:7]
	s_cbranch_execz .LBB630_612
; %bb.611:
	v_lshlrev_b32_e32 v1, 1, v0
	global_load_ushort v1, v1, s[8:9] offset:256
	s_mov_b32 s10, 0x5040100
	s_waitcnt vmcnt(0)
	v_perm_b32 v2, v1, v2, s10
.LBB630_612:
	s_or_b64 exec, exec, s[4:5]
	v_or_b32_e32 v1, 0x100, v0
	v_cmp_gt_u32_e64 s[4:5], s12, v1
	s_and_saveexec_b64 s[10:11], s[4:5]
	s_cbranch_execz .LBB630_614
; %bb.613:
	v_lshlrev_b32_e32 v1, 1, v0
	global_load_ushort v1, v1, s[8:9] offset:512
	s_mov_b32 s13, 0xffff
	s_waitcnt vmcnt(0)
	v_bfi_b32 v3, s13, v1, v3
.LBB630_614:
	s_or_b64 exec, exec, s[10:11]
	v_or_b32_e32 v1, 0x180, v0
	v_cmp_gt_u32_e32 vcc, s12, v1
	s_and_saveexec_b64 s[10:11], vcc
	s_cbranch_execz .LBB630_682
; %bb.615:
	v_lshlrev_b32_e32 v1, 1, v0
	global_load_ushort v1, v1, s[8:9] offset:768
	s_mov_b32 s8, 0x5040100
	s_waitcnt vmcnt(0)
	v_perm_b32 v3, v1, v3, s8
	s_or_b64 exec, exec, s[10:11]
	s_and_saveexec_b64 s[8:9], s[6:7]
	s_cbranch_execnz .LBB630_683
.LBB630_616:
	s_or_b64 exec, exec, s[8:9]
	s_and_saveexec_b64 s[6:7], s[4:5]
	s_cbranch_execz .LBB630_684
.LBB630_617:
	s_mov_b32 s4, 0xcccd
	v_mul_u32_u24_sdwa v1, v3, s4 dst_sel:DWORD dst_unused:UNUSED_PAD src0_sel:WORD_0 src1_sel:DWORD
	s_waitcnt lgkmcnt(0)
	v_mul_u32_u24_sdwa v4, v2, s4 dst_sel:DWORD dst_unused:UNUSED_PAD src0_sel:WORD_0 src1_sel:DWORD
	v_lshrrev_b32_e32 v1, 19, v1
	v_lshrrev_b32_e32 v4, 19, v4
	v_mul_lo_u16_e32 v1, 10, v1
	v_mul_lo_u16_e32 v4, 10, v4
	v_sub_u16_e32 v1, v3, v1
	v_sub_u16_e32 v2, v2, v4
	v_add_u16_e32 v1, v2, v1
	v_add_u16_e32 v2, -10, v1
	v_min_u16_e32 v2, v1, v2
	s_or_b64 exec, exec, s[6:7]
	s_and_saveexec_b64 s[4:5], vcc
	s_cbranch_execnz .LBB630_685
	s_branch .LBB630_686
.LBB630_618:
	s_mov_b64 s[8:9], -1
                                        ; implicit-def: $vgpr2
.LBB630_619:
	s_and_b64 vcc, exec, s[8:9]
	s_cbranch_vccz .LBB630_645
; %bb.620:
	s_sub_i32 s8, s70, s6
	v_cmp_gt_u32_e32 vcc, s8, v0
	v_mov_b32_e32 v2, 0
	s_and_saveexec_b64 s[6:7], vcc
	s_cbranch_execz .LBB630_622
; %bb.621:
	v_lshlrev_b32_e32 v1, 1, v0
	global_load_ushort v1, v1, s[4:5]
	s_waitcnt vmcnt(0)
	v_and_b32_e32 v2, 0xffff, v1
.LBB630_622:
	s_or_b64 exec, exec, s[6:7]
	v_or_b32_e32 v1, 0x80, v0
	v_cmp_gt_u32_e32 vcc, s8, v1
	s_and_saveexec_b64 s[6:7], vcc
	s_cbranch_execz .LBB630_624
; %bb.623:
	v_lshlrev_b32_e32 v1, 1, v0
	global_load_ushort v1, v1, s[4:5] offset:256
	s_mov_b32 s4, 0x5040100
	s_waitcnt vmcnt(0)
	v_perm_b32 v2, v1, v2, s4
.LBB630_624:
	s_or_b64 exec, exec, s[6:7]
	s_and_saveexec_b64 s[4:5], vcc
	s_cbranch_execz .LBB630_626
; %bb.625:
	s_mov_b32 s6, 0xcccd
	v_mul_u32_u24_sdwa v1, v2, s6 dst_sel:DWORD dst_unused:UNUSED_PAD src0_sel:WORD_1 src1_sel:DWORD
	v_mul_u32_u24_sdwa v3, v2, s6 dst_sel:DWORD dst_unused:UNUSED_PAD src0_sel:WORD_0 src1_sel:DWORD
	v_lshrrev_b32_e32 v1, 19, v1
	v_lshrrev_b32_e32 v3, 19, v3
	v_mul_lo_u16_e32 v1, 10, v1
	v_mul_lo_u16_e32 v3, 10, v3
	v_sub_u16_sdwa v1, v2, v1 dst_sel:DWORD dst_unused:UNUSED_PAD src0_sel:WORD_1 src1_sel:DWORD
	v_sub_u16_e32 v2, v2, v3
	v_add_u16_e32 v1, v2, v1
	v_add_u16_e32 v2, -10, v1
	v_min_u16_e32 v2, v1, v2
.LBB630_626:
	s_or_b64 exec, exec, s[4:5]
	v_mbcnt_lo_u32_b32 v1, -1, 0
	v_mbcnt_hi_u32_b32 v1, -1, v1
	v_and_b32_e32 v3, 63, v1
	v_cmp_ne_u32_e32 vcc, 63, v3
	v_and_b32_e32 v5, 0xffff, v2
	s_min_u32 s6, s8, 0x80
	s_waitcnt lgkmcnt(0)
	v_addc_co_u32_e32 v4, vcc, 0, v1, vcc
	v_lshlrev_b32_e32 v4, 2, v4
	ds_bpermute_b32 v6, v4, v5
	v_and_b32_e32 v4, 64, v0
	v_sub_u32_e64 v4, s6, v4 clamp
	v_add_u32_e32 v7, 1, v3
	v_cmp_lt_u32_e32 vcc, v7, v4
	s_and_saveexec_b64 s[4:5], vcc
	s_xor_b64 s[4:5], exec, s[4:5]
	s_cbranch_execz .LBB630_628
; %bb.627:
	s_mov_b32 s7, 0xcccd
	s_waitcnt lgkmcnt(0)
	v_mul_u32_u24_sdwa v5, v6, s7 dst_sel:DWORD dst_unused:UNUSED_PAD src0_sel:WORD_0 src1_sel:DWORD
	v_lshrrev_b32_e32 v5, 19, v5
	v_mul_lo_u16_e32 v5, 10, v5
	v_sub_u16_e32 v5, v6, v5
	v_mul_u32_u24_sdwa v6, v2, s7 dst_sel:DWORD dst_unused:UNUSED_PAD src0_sel:WORD_0 src1_sel:DWORD
	v_lshrrev_b32_e32 v6, 19, v6
	v_mul_lo_u16_e32 v6, 10, v6
	v_sub_u16_e32 v2, v2, v6
	v_add_u16_e32 v5, v5, v2
	v_add_u16_e32 v6, -10, v5
	v_min_u16_e32 v2, v5, v6
	v_min_u16_e32 v5, v5, v6
.LBB630_628:
	s_or_b64 exec, exec, s[4:5]
	v_cmp_gt_u32_e32 vcc, 62, v3
	v_add_u32_e32 v7, 2, v3
	s_waitcnt lgkmcnt(0)
	v_cndmask_b32_e64 v6, 0, 2, vcc
	v_add_lshl_u32 v6, v6, v1, 2
	ds_bpermute_b32 v6, v6, v5
	v_cmp_lt_u32_e32 vcc, v7, v4
	s_and_saveexec_b64 s[4:5], vcc
	s_cbranch_execz .LBB630_630
; %bb.629:
	s_mov_b32 s7, 0xcccd
	s_waitcnt lgkmcnt(0)
	v_mul_u32_u24_sdwa v5, v6, s7 dst_sel:DWORD dst_unused:UNUSED_PAD src0_sel:WORD_0 src1_sel:DWORD
	v_lshrrev_b32_e32 v5, 19, v5
	v_mul_lo_u16_e32 v5, 10, v5
	v_sub_u16_e32 v5, v6, v5
	v_mul_u32_u24_sdwa v6, v2, s7 dst_sel:DWORD dst_unused:UNUSED_PAD src0_sel:WORD_0 src1_sel:DWORD
	v_lshrrev_b32_e32 v6, 19, v6
	v_mul_lo_u16_e32 v6, 10, v6
	v_sub_u16_e32 v2, v2, v6
	v_add_u16_e32 v5, v5, v2
	v_add_u16_e32 v6, -10, v5
	v_min_u16_e32 v2, v5, v6
	v_min_u16_e32 v5, v5, v6
.LBB630_630:
	s_or_b64 exec, exec, s[4:5]
	v_cmp_gt_u32_e32 vcc, 60, v3
	v_add_u32_e32 v7, 4, v3
	s_waitcnt lgkmcnt(0)
	v_cndmask_b32_e64 v6, 0, 4, vcc
	v_add_lshl_u32 v6, v6, v1, 2
	ds_bpermute_b32 v6, v6, v5
	v_cmp_lt_u32_e32 vcc, v7, v4
	s_and_saveexec_b64 s[4:5], vcc
	;; [unrolled: 26-line block ×4, first 2 shown]
	s_cbranch_execz .LBB630_636
; %bb.635:
	s_mov_b32 s7, 0xcccd
	s_waitcnt lgkmcnt(0)
	v_mul_u32_u24_sdwa v5, v6, s7 dst_sel:DWORD dst_unused:UNUSED_PAD src0_sel:WORD_0 src1_sel:DWORD
	v_lshrrev_b32_e32 v5, 19, v5
	v_mul_lo_u16_e32 v5, 10, v5
	v_sub_u16_e32 v5, v6, v5
	v_mul_u32_u24_sdwa v6, v2, s7 dst_sel:DWORD dst_unused:UNUSED_PAD src0_sel:WORD_0 src1_sel:DWORD
	v_lshrrev_b32_e32 v6, 19, v6
	v_mul_lo_u16_e32 v6, 10, v6
	v_sub_u16_e32 v2, v2, v6
	v_add_u16_e32 v5, v5, v2
	v_add_u16_e32 v6, -10, v5
	v_min_u16_e32 v2, v5, v6
	v_min_u16_e32 v5, v5, v6
.LBB630_636:
	s_or_b64 exec, exec, s[4:5]
	s_waitcnt lgkmcnt(0)
	v_lshlrev_b32_e32 v6, 2, v1
	v_or_b32_e32 v7, 0x80, v6
	ds_bpermute_b32 v5, v7, v5
	v_add_u32_e32 v3, 32, v3
	v_cmp_lt_u32_e32 vcc, v3, v4
	s_and_saveexec_b64 s[4:5], vcc
	s_cbranch_execz .LBB630_638
; %bb.637:
	s_mov_b32 s7, 0xcccd
	s_waitcnt lgkmcnt(0)
	v_mul_u32_u24_sdwa v3, v5, s7 dst_sel:DWORD dst_unused:UNUSED_PAD src0_sel:WORD_0 src1_sel:DWORD
	v_mul_u32_u24_sdwa v4, v2, s7 dst_sel:DWORD dst_unused:UNUSED_PAD src0_sel:WORD_0 src1_sel:DWORD
	v_lshrrev_b32_e32 v3, 19, v3
	v_lshrrev_b32_e32 v4, 19, v4
	v_mul_lo_u16_e32 v3, 10, v3
	v_mul_lo_u16_e32 v4, 10, v4
	v_sub_u16_e32 v3, v5, v3
	v_sub_u16_e32 v2, v2, v4
	v_add_u16_e32 v2, v3, v2
	v_add_u16_e32 v3, -10, v2
	v_min_u16_e32 v2, v2, v3
.LBB630_638:
	s_or_b64 exec, exec, s[4:5]
	v_cmp_eq_u32_e32 vcc, 0, v1
	s_and_saveexec_b64 s[4:5], vcc
; %bb.639:
	v_lshrrev_b32_e32 v3, 5, v0
	v_and_b32_e32 v3, 2, v3
	ds_write_b16 v3, v2
; %bb.640:
	s_or_b64 exec, exec, s[4:5]
	v_cmp_gt_u32_e32 vcc, 2, v0
	s_waitcnt lgkmcnt(0)
	s_barrier
	s_and_saveexec_b64 s[4:5], vcc
	s_cbranch_execz .LBB630_644
; %bb.641:
	v_lshlrev_b32_e32 v2, 1, v1
	ds_read_u16 v2, v2
	v_or_b32_e32 v4, 4, v6
	s_add_i32 s6, s6, 63
	v_and_b32_e32 v1, 1, v1
	s_lshr_b32 s6, s6, 6
	s_waitcnt lgkmcnt(0)
	v_and_b32_e32 v3, 0xffff, v2
	ds_bpermute_b32 v4, v4, v3
	v_add_u32_e32 v1, 1, v1
	v_cmp_gt_u32_e32 vcc, s6, v1
	s_and_saveexec_b64 s[6:7], vcc
	s_cbranch_execz .LBB630_643
; %bb.642:
	s_mov_b32 s8, 0xcccd
	s_waitcnt lgkmcnt(0)
	v_mul_u32_u24_sdwa v1, v4, s8 dst_sel:DWORD dst_unused:UNUSED_PAD src0_sel:WORD_0 src1_sel:DWORD
	v_mul_u32_u24_e32 v3, 0xcccd, v3
	v_lshrrev_b32_e32 v1, 19, v1
	v_lshrrev_b32_e32 v3, 19, v3
	v_mul_lo_u16_e32 v1, 10, v1
	v_mul_lo_u16_e32 v3, 10, v3
	v_sub_u16_e32 v1, v4, v1
	v_sub_u16_e32 v2, v2, v3
	v_add_u16_e32 v1, v1, v2
	v_add_u16_e32 v2, -10, v1
	v_min_u16_e32 v2, v1, v2
.LBB630_643:
	s_or_b64 exec, exec, s[6:7]
.LBB630_644:
	s_or_b64 exec, exec, s[4:5]
.LBB630_645:
	v_cmp_eq_u32_e32 vcc, 0, v0
                                        ; implicit-def: $vgpr1
	s_and_saveexec_b64 s[4:5], vcc
	s_xor_b64 s[4:5], exec, s[4:5]
	s_cbranch_execz .LBB630_649
; %bb.646:
	s_cmp_eq_u64 s[70:71], 0
	v_mov_b32_e32 v1, s33
	s_cbranch_scc1 .LBB630_648
; %bb.647:
	s_mov_b32 s6, 0xcccd
	v_mul_u32_u24_sdwa v1, v2, s6 dst_sel:DWORD dst_unused:UNUSED_PAD src0_sel:WORD_0 src1_sel:DWORD
	s_and_b32 s6, 0xffff, s33
	s_mul_i32 s6, s6, 0xcccd
	v_lshrrev_b32_e32 v1, 19, v1
	s_lshr_b32 s6, s6, 19
	v_mul_lo_u16_e32 v1, 10, v1
	s_mul_i32 s6, s6, 10
	v_sub_u16_e32 v1, v2, v1
	s_sub_i32 s6, s33, s6
	v_add_u16_e32 v1, s6, v1
	v_add_u16_e32 v2, -10, v1
	v_min_u16_e32 v1, v1, v2
.LBB630_648:
	s_or_b64 s[66:67], s[66:67], exec
.LBB630_649:
	s_or_b64 exec, exec, s[4:5]
	s_branch .LBB630_719
.LBB630_650:
	s_or_b64 exec, exec, s[18:19]
	s_and_saveexec_b64 s[16:17], s[14:15]
	s_cbranch_execz .LBB630_600
.LBB630_651:
	s_mov_b32 s14, 0xcccd
	v_mul_u32_u24_sdwa v1, v2, s14 dst_sel:DWORD dst_unused:UNUSED_PAD src0_sel:WORD_1 src1_sel:DWORD
	v_mul_u32_u24_sdwa v6, v2, s14 dst_sel:DWORD dst_unused:UNUSED_PAD src0_sel:WORD_0 src1_sel:DWORD
	v_lshrrev_b32_e32 v1, 19, v1
	v_lshrrev_b32_e32 v6, 19, v6
	v_mul_lo_u16_e32 v1, 10, v1
	v_mul_lo_u16_e32 v6, 10, v6
	v_sub_u16_sdwa v1, v2, v1 dst_sel:DWORD dst_unused:UNUSED_PAD src0_sel:WORD_1 src1_sel:DWORD
	v_sub_u16_e32 v2, v2, v6
	v_add_u16_e32 v1, v1, v2
	v_add_u16_e32 v2, -10, v1
	v_min_u16_e32 v2, v1, v2
	s_or_b64 exec, exec, s[16:17]
	s_and_saveexec_b64 s[14:15], s[12:13]
	s_cbranch_execnz .LBB630_601
.LBB630_652:
	s_or_b64 exec, exec, s[14:15]
	s_and_saveexec_b64 s[12:13], s[10:11]
	s_cbranch_execz .LBB630_602
.LBB630_653:
	s_mov_b32 s10, 0xcccd
	v_mul_u32_u24_sdwa v1, v3, s10 dst_sel:DWORD dst_unused:UNUSED_PAD src0_sel:WORD_1 src1_sel:DWORD
	v_lshrrev_b32_e32 v1, 19, v1
	v_mul_lo_u16_e32 v1, 10, v1
	v_sub_u16_sdwa v1, v3, v1 dst_sel:DWORD dst_unused:UNUSED_PAD src0_sel:WORD_1 src1_sel:DWORD
	v_mul_u32_u24_sdwa v3, v2, s10 dst_sel:DWORD dst_unused:UNUSED_PAD src0_sel:WORD_0 src1_sel:DWORD
	v_lshrrev_b32_e32 v3, 19, v3
	v_mul_lo_u16_e32 v3, 10, v3
	v_sub_u16_e32 v2, v2, v3
	v_add_u16_e32 v1, v2, v1
	v_add_u16_e32 v2, -10, v1
	v_min_u16_e32 v2, v1, v2
	s_or_b64 exec, exec, s[12:13]
	s_and_saveexec_b64 s[10:11], s[8:9]
	s_cbranch_execnz .LBB630_603
.LBB630_654:
	s_or_b64 exec, exec, s[10:11]
	s_and_saveexec_b64 s[8:9], s[6:7]
	s_cbranch_execz .LBB630_604
.LBB630_655:
	s_mov_b32 s6, 0xcccd
	v_mul_u32_u24_sdwa v1, v4, s6 dst_sel:DWORD dst_unused:UNUSED_PAD src0_sel:WORD_1 src1_sel:DWORD
	v_mul_u32_u24_sdwa v3, v2, s6 dst_sel:DWORD dst_unused:UNUSED_PAD src0_sel:WORD_0 src1_sel:DWORD
	v_lshrrev_b32_e32 v1, 19, v1
	v_lshrrev_b32_e32 v3, 19, v3
	v_mul_lo_u16_e32 v1, 10, v1
	v_mul_lo_u16_e32 v3, 10, v3
	v_sub_u16_sdwa v1, v4, v1 dst_sel:DWORD dst_unused:UNUSED_PAD src0_sel:WORD_1 src1_sel:DWORD
	v_sub_u16_e32 v2, v2, v3
	v_add_u16_e32 v1, v2, v1
	v_add_u16_e32 v2, -10, v1
	v_min_u16_e32 v2, v1, v2
	s_or_b64 exec, exec, s[8:9]
	s_and_saveexec_b64 s[6:7], s[4:5]
	s_cbranch_execnz .LBB630_605
.LBB630_656:
	s_or_b64 exec, exec, s[6:7]
	s_and_saveexec_b64 s[4:5], vcc
	s_cbranch_execz .LBB630_658
.LBB630_657:
	s_mov_b32 s6, 0xcccd
	v_mul_u32_u24_sdwa v1, v5, s6 dst_sel:DWORD dst_unused:UNUSED_PAD src0_sel:WORD_1 src1_sel:DWORD
	v_mul_u32_u24_sdwa v3, v2, s6 dst_sel:DWORD dst_unused:UNUSED_PAD src0_sel:WORD_0 src1_sel:DWORD
	v_lshrrev_b32_e32 v1, 19, v1
	v_lshrrev_b32_e32 v3, 19, v3
	v_mul_lo_u16_e32 v1, 10, v1
	v_mul_lo_u16_e32 v3, 10, v3
	v_sub_u16_sdwa v1, v5, v1 dst_sel:DWORD dst_unused:UNUSED_PAD src0_sel:WORD_1 src1_sel:DWORD
	v_sub_u16_e32 v2, v2, v3
	v_add_u16_e32 v1, v2, v1
	v_add_u16_e32 v2, -10, v1
	v_min_u16_e32 v2, v1, v2
.LBB630_658:
	s_or_b64 exec, exec, s[4:5]
	v_mbcnt_lo_u32_b32 v1, -1, 0
	v_mbcnt_hi_u32_b32 v1, -1, v1
	v_and_b32_e32 v3, 63, v1
	v_cmp_ne_u32_e32 vcc, 63, v3
	v_and_b32_e32 v5, 0xffff, v2
	s_min_u32 s6, s20, 0x80
	v_addc_co_u32_e32 v4, vcc, 0, v1, vcc
	v_lshlrev_b32_e32 v4, 2, v4
	ds_bpermute_b32 v6, v4, v5
	v_and_b32_e32 v4, 64, v0
	v_sub_u32_e64 v4, s6, v4 clamp
	v_add_u32_e32 v7, 1, v3
	v_cmp_lt_u32_e32 vcc, v7, v4
	s_and_saveexec_b64 s[4:5], vcc
	s_xor_b64 s[4:5], exec, s[4:5]
	s_cbranch_execz .LBB630_660
; %bb.659:
	s_mov_b32 s7, 0xcccd
	s_waitcnt lgkmcnt(0)
	v_mul_u32_u24_sdwa v5, v6, s7 dst_sel:DWORD dst_unused:UNUSED_PAD src0_sel:WORD_0 src1_sel:DWORD
	v_lshrrev_b32_e32 v5, 19, v5
	v_mul_lo_u16_e32 v5, 10, v5
	v_sub_u16_e32 v5, v6, v5
	v_mul_u32_u24_sdwa v6, v2, s7 dst_sel:DWORD dst_unused:UNUSED_PAD src0_sel:WORD_0 src1_sel:DWORD
	v_lshrrev_b32_e32 v6, 19, v6
	v_mul_lo_u16_e32 v6, 10, v6
	v_sub_u16_e32 v2, v2, v6
	v_add_u16_e32 v5, v5, v2
	v_add_u16_e32 v6, -10, v5
	v_min_u16_e32 v2, v5, v6
	v_min_u16_e32 v5, v5, v6
.LBB630_660:
	s_or_b64 exec, exec, s[4:5]
	v_cmp_gt_u32_e32 vcc, 62, v3
	v_add_u32_e32 v7, 2, v3
	s_waitcnt lgkmcnt(0)
	v_cndmask_b32_e64 v6, 0, 2, vcc
	v_add_lshl_u32 v6, v6, v1, 2
	ds_bpermute_b32 v6, v6, v5
	v_cmp_lt_u32_e32 vcc, v7, v4
	s_and_saveexec_b64 s[4:5], vcc
	s_cbranch_execz .LBB630_662
; %bb.661:
	s_mov_b32 s7, 0xcccd
	s_waitcnt lgkmcnt(0)
	v_mul_u32_u24_sdwa v5, v6, s7 dst_sel:DWORD dst_unused:UNUSED_PAD src0_sel:WORD_0 src1_sel:DWORD
	v_lshrrev_b32_e32 v5, 19, v5
	v_mul_lo_u16_e32 v5, 10, v5
	v_sub_u16_e32 v5, v6, v5
	v_mul_u32_u24_sdwa v6, v2, s7 dst_sel:DWORD dst_unused:UNUSED_PAD src0_sel:WORD_0 src1_sel:DWORD
	v_lshrrev_b32_e32 v6, 19, v6
	v_mul_lo_u16_e32 v6, 10, v6
	v_sub_u16_e32 v2, v2, v6
	v_add_u16_e32 v5, v5, v2
	v_add_u16_e32 v6, -10, v5
	v_min_u16_e32 v2, v5, v6
	v_min_u16_e32 v5, v5, v6
.LBB630_662:
	s_or_b64 exec, exec, s[4:5]
	v_cmp_gt_u32_e32 vcc, 60, v3
	v_add_u32_e32 v7, 4, v3
	s_waitcnt lgkmcnt(0)
	v_cndmask_b32_e64 v6, 0, 4, vcc
	v_add_lshl_u32 v6, v6, v1, 2
	ds_bpermute_b32 v6, v6, v5
	v_cmp_lt_u32_e32 vcc, v7, v4
	s_and_saveexec_b64 s[4:5], vcc
	s_cbranch_execz .LBB630_664
; %bb.663:
	s_mov_b32 s7, 0xcccd
	s_waitcnt lgkmcnt(0)
	v_mul_u32_u24_sdwa v5, v6, s7 dst_sel:DWORD dst_unused:UNUSED_PAD src0_sel:WORD_0 src1_sel:DWORD
	v_lshrrev_b32_e32 v5, 19, v5
	v_mul_lo_u16_e32 v5, 10, v5
	v_sub_u16_e32 v5, v6, v5
	v_mul_u32_u24_sdwa v6, v2, s7 dst_sel:DWORD dst_unused:UNUSED_PAD src0_sel:WORD_0 src1_sel:DWORD
	v_lshrrev_b32_e32 v6, 19, v6
	v_mul_lo_u16_e32 v6, 10, v6
	v_sub_u16_e32 v2, v2, v6
	v_add_u16_e32 v5, v5, v2
	v_add_u16_e32 v6, -10, v5
	v_min_u16_e32 v2, v5, v6
	v_min_u16_e32 v5, v5, v6
.LBB630_664:
	s_or_b64 exec, exec, s[4:5]
	v_cmp_gt_u32_e32 vcc, 56, v3
	v_add_u32_e32 v7, 8, v3
	s_waitcnt lgkmcnt(0)
	v_cndmask_b32_e64 v6, 0, 8, vcc
	v_add_lshl_u32 v6, v6, v1, 2
	ds_bpermute_b32 v6, v6, v5
	v_cmp_lt_u32_e32 vcc, v7, v4
	s_and_saveexec_b64 s[4:5], vcc
	s_cbranch_execz .LBB630_666
; %bb.665:
	s_mov_b32 s7, 0xcccd
	s_waitcnt lgkmcnt(0)
	v_mul_u32_u24_sdwa v5, v6, s7 dst_sel:DWORD dst_unused:UNUSED_PAD src0_sel:WORD_0 src1_sel:DWORD
	v_lshrrev_b32_e32 v5, 19, v5
	v_mul_lo_u16_e32 v5, 10, v5
	v_sub_u16_e32 v5, v6, v5
	v_mul_u32_u24_sdwa v6, v2, s7 dst_sel:DWORD dst_unused:UNUSED_PAD src0_sel:WORD_0 src1_sel:DWORD
	v_lshrrev_b32_e32 v6, 19, v6
	v_mul_lo_u16_e32 v6, 10, v6
	v_sub_u16_e32 v2, v2, v6
	v_add_u16_e32 v5, v5, v2
	v_add_u16_e32 v6, -10, v5
	v_min_u16_e32 v2, v5, v6
	v_min_u16_e32 v5, v5, v6
.LBB630_666:
	s_or_b64 exec, exec, s[4:5]
	v_cmp_gt_u32_e32 vcc, 48, v3
	v_add_u32_e32 v7, 16, v3
	s_waitcnt lgkmcnt(0)
	v_cndmask_b32_e64 v6, 0, 16, vcc
	v_add_lshl_u32 v6, v6, v1, 2
	ds_bpermute_b32 v6, v6, v5
	v_cmp_lt_u32_e32 vcc, v7, v4
	s_and_saveexec_b64 s[4:5], vcc
	s_cbranch_execz .LBB630_668
; %bb.667:
	s_mov_b32 s7, 0xcccd
	s_waitcnt lgkmcnt(0)
	v_mul_u32_u24_sdwa v5, v6, s7 dst_sel:DWORD dst_unused:UNUSED_PAD src0_sel:WORD_0 src1_sel:DWORD
	v_lshrrev_b32_e32 v5, 19, v5
	v_mul_lo_u16_e32 v5, 10, v5
	v_sub_u16_e32 v5, v6, v5
	v_mul_u32_u24_sdwa v6, v2, s7 dst_sel:DWORD dst_unused:UNUSED_PAD src0_sel:WORD_0 src1_sel:DWORD
	v_lshrrev_b32_e32 v6, 19, v6
	v_mul_lo_u16_e32 v6, 10, v6
	v_sub_u16_e32 v2, v2, v6
	v_add_u16_e32 v5, v5, v2
	v_add_u16_e32 v6, -10, v5
	v_min_u16_e32 v2, v5, v6
	v_min_u16_e32 v5, v5, v6
.LBB630_668:
	s_or_b64 exec, exec, s[4:5]
	s_waitcnt lgkmcnt(0)
	v_lshlrev_b32_e32 v6, 2, v1
	v_or_b32_e32 v7, 0x80, v6
	ds_bpermute_b32 v5, v7, v5
	v_add_u32_e32 v3, 32, v3
	v_cmp_lt_u32_e32 vcc, v3, v4
	s_and_saveexec_b64 s[4:5], vcc
	s_cbranch_execz .LBB630_670
; %bb.669:
	s_mov_b32 s7, 0xcccd
	s_waitcnt lgkmcnt(0)
	v_mul_u32_u24_sdwa v3, v5, s7 dst_sel:DWORD dst_unused:UNUSED_PAD src0_sel:WORD_0 src1_sel:DWORD
	v_mul_u32_u24_sdwa v4, v2, s7 dst_sel:DWORD dst_unused:UNUSED_PAD src0_sel:WORD_0 src1_sel:DWORD
	v_lshrrev_b32_e32 v3, 19, v3
	v_lshrrev_b32_e32 v4, 19, v4
	v_mul_lo_u16_e32 v3, 10, v3
	v_mul_lo_u16_e32 v4, 10, v4
	v_sub_u16_e32 v3, v5, v3
	v_sub_u16_e32 v2, v2, v4
	v_add_u16_e32 v2, v3, v2
	v_add_u16_e32 v3, -10, v2
	v_min_u16_e32 v2, v2, v3
.LBB630_670:
	s_or_b64 exec, exec, s[4:5]
	v_cmp_eq_u32_e32 vcc, 0, v1
	s_and_saveexec_b64 s[4:5], vcc
; %bb.671:
	v_lshrrev_b32_e32 v3, 5, v0
	v_and_b32_e32 v3, 2, v3
	ds_write_b16 v3, v2
; %bb.672:
	s_or_b64 exec, exec, s[4:5]
	v_cmp_gt_u32_e32 vcc, 2, v0
	s_waitcnt lgkmcnt(0)
	s_barrier
	s_and_saveexec_b64 s[4:5], vcc
	s_cbranch_execz .LBB630_676
; %bb.673:
	v_lshlrev_b32_e32 v2, 1, v1
	ds_read_u16 v2, v2
	v_or_b32_e32 v4, 4, v6
	s_add_i32 s6, s6, 63
	v_and_b32_e32 v1, 1, v1
	s_lshr_b32 s6, s6, 6
	s_waitcnt lgkmcnt(0)
	v_and_b32_e32 v3, 0xffff, v2
	ds_bpermute_b32 v4, v4, v3
	v_add_u32_e32 v1, 1, v1
	v_cmp_gt_u32_e32 vcc, s6, v1
	s_and_saveexec_b64 s[6:7], vcc
	s_cbranch_execz .LBB630_675
; %bb.674:
	s_mov_b32 s8, 0xcccd
	s_waitcnt lgkmcnt(0)
	v_mul_u32_u24_sdwa v1, v4, s8 dst_sel:DWORD dst_unused:UNUSED_PAD src0_sel:WORD_0 src1_sel:DWORD
	v_mul_u32_u24_e32 v3, 0xcccd, v3
	v_lshrrev_b32_e32 v1, 19, v1
	v_lshrrev_b32_e32 v3, 19, v3
	v_mul_lo_u16_e32 v1, 10, v1
	v_mul_lo_u16_e32 v3, 10, v3
	v_sub_u16_e32 v1, v4, v1
	v_sub_u16_e32 v2, v2, v3
	v_add_u16_e32 v1, v1, v2
	v_add_u16_e32 v2, -10, v1
	v_min_u16_e32 v2, v1, v2
.LBB630_675:
	s_or_b64 exec, exec, s[6:7]
.LBB630_676:
	s_or_b64 exec, exec, s[4:5]
.LBB630_677:
	v_cmp_eq_u32_e32 vcc, 0, v0
                                        ; implicit-def: $vgpr1
	s_and_saveexec_b64 s[4:5], vcc
	s_xor_b64 s[4:5], exec, s[4:5]
	s_cbranch_execz .LBB630_681
; %bb.678:
	s_cmp_eq_u64 s[70:71], 0
	v_mov_b32_e32 v1, s33
	s_cbranch_scc1 .LBB630_680
; %bb.679:
	s_mov_b32 s6, 0xcccd
	v_mul_u32_u24_sdwa v1, v2, s6 dst_sel:DWORD dst_unused:UNUSED_PAD src0_sel:WORD_0 src1_sel:DWORD
	s_and_b32 s6, 0xffff, s33
	s_mul_i32 s6, s6, 0xcccd
	v_lshrrev_b32_e32 v1, 19, v1
	s_lshr_b32 s6, s6, 19
	v_mul_lo_u16_e32 v1, 10, v1
	s_mul_i32 s6, s6, 10
	v_sub_u16_e32 v1, v2, v1
	s_sub_i32 s6, s33, s6
	v_add_u16_e32 v1, s6, v1
	v_add_u16_e32 v2, -10, v1
	v_min_u16_e32 v1, v1, v2
.LBB630_680:
	s_or_b64 s[66:67], s[66:67], exec
.LBB630_681:
	s_or_b64 exec, exec, s[4:5]
	s_branch .LBB630_719
.LBB630_682:
	s_or_b64 exec, exec, s[10:11]
	s_and_saveexec_b64 s[8:9], s[6:7]
	s_cbranch_execz .LBB630_616
.LBB630_683:
	s_mov_b32 s6, 0xcccd
	v_mul_u32_u24_sdwa v1, v2, s6 dst_sel:DWORD dst_unused:UNUSED_PAD src0_sel:WORD_1 src1_sel:DWORD
	s_waitcnt lgkmcnt(0)
	v_mul_u32_u24_sdwa v4, v2, s6 dst_sel:DWORD dst_unused:UNUSED_PAD src0_sel:WORD_0 src1_sel:DWORD
	v_lshrrev_b32_e32 v1, 19, v1
	v_lshrrev_b32_e32 v4, 19, v4
	v_mul_lo_u16_e32 v1, 10, v1
	v_mul_lo_u16_e32 v4, 10, v4
	v_sub_u16_sdwa v1, v2, v1 dst_sel:DWORD dst_unused:UNUSED_PAD src0_sel:WORD_1 src1_sel:DWORD
	v_sub_u16_e32 v2, v2, v4
	v_add_u16_e32 v1, v1, v2
	v_add_u16_e32 v2, -10, v1
	v_min_u16_e32 v2, v1, v2
	s_or_b64 exec, exec, s[8:9]
	s_and_saveexec_b64 s[6:7], s[4:5]
	s_cbranch_execnz .LBB630_617
.LBB630_684:
	s_or_b64 exec, exec, s[6:7]
	s_and_saveexec_b64 s[4:5], vcc
	s_cbranch_execz .LBB630_686
.LBB630_685:
	s_mov_b32 s6, 0xcccd
	v_mul_u32_u24_sdwa v1, v3, s6 dst_sel:DWORD dst_unused:UNUSED_PAD src0_sel:WORD_1 src1_sel:DWORD
	v_lshrrev_b32_e32 v1, 19, v1
	v_mul_lo_u16_e32 v1, 10, v1
	v_sub_u16_sdwa v1, v3, v1 dst_sel:DWORD dst_unused:UNUSED_PAD src0_sel:WORD_1 src1_sel:DWORD
	v_mul_u32_u24_sdwa v3, v2, s6 dst_sel:DWORD dst_unused:UNUSED_PAD src0_sel:WORD_0 src1_sel:DWORD
	v_lshrrev_b32_e32 v3, 19, v3
	v_mul_lo_u16_e32 v3, 10, v3
	v_sub_u16_e32 v2, v2, v3
	v_add_u16_e32 v1, v2, v1
	v_add_u16_e32 v2, -10, v1
	v_min_u16_e32 v2, v1, v2
.LBB630_686:
	s_or_b64 exec, exec, s[4:5]
	v_mbcnt_lo_u32_b32 v1, -1, 0
	v_mbcnt_hi_u32_b32 v1, -1, v1
	v_and_b32_e32 v3, 63, v1
	v_cmp_ne_u32_e32 vcc, 63, v3
	v_and_b32_e32 v5, 0xffff, v2
	s_min_u32 s6, s12, 0x80
	s_waitcnt lgkmcnt(0)
	v_addc_co_u32_e32 v4, vcc, 0, v1, vcc
	v_lshlrev_b32_e32 v4, 2, v4
	ds_bpermute_b32 v6, v4, v5
	v_and_b32_e32 v4, 64, v0
	v_sub_u32_e64 v4, s6, v4 clamp
	v_add_u32_e32 v7, 1, v3
	v_cmp_lt_u32_e32 vcc, v7, v4
	s_and_saveexec_b64 s[4:5], vcc
	s_xor_b64 s[4:5], exec, s[4:5]
	s_cbranch_execz .LBB630_688
; %bb.687:
	s_mov_b32 s7, 0xcccd
	s_waitcnt lgkmcnt(0)
	v_mul_u32_u24_sdwa v5, v6, s7 dst_sel:DWORD dst_unused:UNUSED_PAD src0_sel:WORD_0 src1_sel:DWORD
	v_lshrrev_b32_e32 v5, 19, v5
	v_mul_lo_u16_e32 v5, 10, v5
	v_sub_u16_e32 v5, v6, v5
	v_mul_u32_u24_sdwa v6, v2, s7 dst_sel:DWORD dst_unused:UNUSED_PAD src0_sel:WORD_0 src1_sel:DWORD
	v_lshrrev_b32_e32 v6, 19, v6
	v_mul_lo_u16_e32 v6, 10, v6
	v_sub_u16_e32 v2, v2, v6
	v_add_u16_e32 v5, v5, v2
	v_add_u16_e32 v6, -10, v5
	v_min_u16_e32 v2, v5, v6
	v_min_u16_e32 v5, v5, v6
.LBB630_688:
	s_or_b64 exec, exec, s[4:5]
	v_cmp_gt_u32_e32 vcc, 62, v3
	v_add_u32_e32 v7, 2, v3
	s_waitcnt lgkmcnt(0)
	v_cndmask_b32_e64 v6, 0, 2, vcc
	v_add_lshl_u32 v6, v6, v1, 2
	ds_bpermute_b32 v6, v6, v5
	v_cmp_lt_u32_e32 vcc, v7, v4
	s_and_saveexec_b64 s[4:5], vcc
	s_cbranch_execz .LBB630_690
; %bb.689:
	s_mov_b32 s7, 0xcccd
	s_waitcnt lgkmcnt(0)
	v_mul_u32_u24_sdwa v5, v6, s7 dst_sel:DWORD dst_unused:UNUSED_PAD src0_sel:WORD_0 src1_sel:DWORD
	v_lshrrev_b32_e32 v5, 19, v5
	v_mul_lo_u16_e32 v5, 10, v5
	v_sub_u16_e32 v5, v6, v5
	v_mul_u32_u24_sdwa v6, v2, s7 dst_sel:DWORD dst_unused:UNUSED_PAD src0_sel:WORD_0 src1_sel:DWORD
	v_lshrrev_b32_e32 v6, 19, v6
	v_mul_lo_u16_e32 v6, 10, v6
	v_sub_u16_e32 v2, v2, v6
	v_add_u16_e32 v5, v5, v2
	v_add_u16_e32 v6, -10, v5
	v_min_u16_e32 v2, v5, v6
	v_min_u16_e32 v5, v5, v6
.LBB630_690:
	s_or_b64 exec, exec, s[4:5]
	v_cmp_gt_u32_e32 vcc, 60, v3
	v_add_u32_e32 v7, 4, v3
	s_waitcnt lgkmcnt(0)
	v_cndmask_b32_e64 v6, 0, 4, vcc
	v_add_lshl_u32 v6, v6, v1, 2
	ds_bpermute_b32 v6, v6, v5
	v_cmp_lt_u32_e32 vcc, v7, v4
	s_and_saveexec_b64 s[4:5], vcc
	;; [unrolled: 26-line block ×4, first 2 shown]
	s_cbranch_execz .LBB630_696
; %bb.695:
	s_mov_b32 s7, 0xcccd
	s_waitcnt lgkmcnt(0)
	v_mul_u32_u24_sdwa v5, v6, s7 dst_sel:DWORD dst_unused:UNUSED_PAD src0_sel:WORD_0 src1_sel:DWORD
	v_lshrrev_b32_e32 v5, 19, v5
	v_mul_lo_u16_e32 v5, 10, v5
	v_sub_u16_e32 v5, v6, v5
	v_mul_u32_u24_sdwa v6, v2, s7 dst_sel:DWORD dst_unused:UNUSED_PAD src0_sel:WORD_0 src1_sel:DWORD
	v_lshrrev_b32_e32 v6, 19, v6
	v_mul_lo_u16_e32 v6, 10, v6
	v_sub_u16_e32 v2, v2, v6
	v_add_u16_e32 v5, v5, v2
	v_add_u16_e32 v6, -10, v5
	v_min_u16_e32 v2, v5, v6
	v_min_u16_e32 v5, v5, v6
.LBB630_696:
	s_or_b64 exec, exec, s[4:5]
	s_waitcnt lgkmcnt(0)
	v_lshlrev_b32_e32 v6, 2, v1
	v_or_b32_e32 v7, 0x80, v6
	ds_bpermute_b32 v5, v7, v5
	v_add_u32_e32 v3, 32, v3
	v_cmp_lt_u32_e32 vcc, v3, v4
	s_and_saveexec_b64 s[4:5], vcc
	s_cbranch_execz .LBB630_698
; %bb.697:
	s_mov_b32 s7, 0xcccd
	s_waitcnt lgkmcnt(0)
	v_mul_u32_u24_sdwa v3, v5, s7 dst_sel:DWORD dst_unused:UNUSED_PAD src0_sel:WORD_0 src1_sel:DWORD
	v_mul_u32_u24_sdwa v4, v2, s7 dst_sel:DWORD dst_unused:UNUSED_PAD src0_sel:WORD_0 src1_sel:DWORD
	v_lshrrev_b32_e32 v3, 19, v3
	v_lshrrev_b32_e32 v4, 19, v4
	v_mul_lo_u16_e32 v3, 10, v3
	v_mul_lo_u16_e32 v4, 10, v4
	v_sub_u16_e32 v3, v5, v3
	v_sub_u16_e32 v2, v2, v4
	v_add_u16_e32 v2, v3, v2
	v_add_u16_e32 v3, -10, v2
	v_min_u16_e32 v2, v2, v3
.LBB630_698:
	s_or_b64 exec, exec, s[4:5]
	v_cmp_eq_u32_e32 vcc, 0, v1
	s_and_saveexec_b64 s[4:5], vcc
; %bb.699:
	v_lshrrev_b32_e32 v3, 5, v0
	v_and_b32_e32 v3, 2, v3
	ds_write_b16 v3, v2
; %bb.700:
	s_or_b64 exec, exec, s[4:5]
	v_cmp_gt_u32_e32 vcc, 2, v0
	s_waitcnt lgkmcnt(0)
	s_barrier
	s_and_saveexec_b64 s[4:5], vcc
	s_cbranch_execz .LBB630_704
; %bb.701:
	v_lshlrev_b32_e32 v2, 1, v1
	ds_read_u16 v2, v2
	v_or_b32_e32 v4, 4, v6
	s_add_i32 s6, s6, 63
	v_and_b32_e32 v1, 1, v1
	s_lshr_b32 s6, s6, 6
	s_waitcnt lgkmcnt(0)
	v_and_b32_e32 v3, 0xffff, v2
	ds_bpermute_b32 v4, v4, v3
	v_add_u32_e32 v1, 1, v1
	v_cmp_gt_u32_e32 vcc, s6, v1
	s_and_saveexec_b64 s[6:7], vcc
	s_cbranch_execz .LBB630_703
; %bb.702:
	s_mov_b32 s8, 0xcccd
	s_waitcnt lgkmcnt(0)
	v_mul_u32_u24_sdwa v1, v4, s8 dst_sel:DWORD dst_unused:UNUSED_PAD src0_sel:WORD_0 src1_sel:DWORD
	v_mul_u32_u24_e32 v3, 0xcccd, v3
	v_lshrrev_b32_e32 v1, 19, v1
	v_lshrrev_b32_e32 v3, 19, v3
	v_mul_lo_u16_e32 v1, 10, v1
	v_mul_lo_u16_e32 v3, 10, v3
	v_sub_u16_e32 v1, v4, v1
	v_sub_u16_e32 v2, v2, v3
	v_add_u16_e32 v1, v1, v2
	v_add_u16_e32 v2, -10, v1
	v_min_u16_e32 v2, v1, v2
.LBB630_703:
	s_or_b64 exec, exec, s[6:7]
.LBB630_704:
	s_or_b64 exec, exec, s[4:5]
.LBB630_705:
	v_cmp_eq_u32_e32 vcc, 0, v0
                                        ; implicit-def: $vgpr1
	s_and_saveexec_b64 s[4:5], vcc
	s_xor_b64 s[4:5], exec, s[4:5]
	s_cbranch_execz .LBB630_709
; %bb.706:
	s_cmp_eq_u64 s[70:71], 0
	v_mov_b32_e32 v1, s33
	s_cbranch_scc1 .LBB630_708
; %bb.707:
	s_mov_b32 s6, 0xcccd
	v_mul_u32_u24_sdwa v1, v2, s6 dst_sel:DWORD dst_unused:UNUSED_PAD src0_sel:WORD_0 src1_sel:DWORD
	s_and_b32 s6, 0xffff, s33
	s_mul_i32 s6, s6, 0xcccd
	v_lshrrev_b32_e32 v1, 19, v1
	s_lshr_b32 s6, s6, 19
	v_mul_lo_u16_e32 v1, 10, v1
	s_mul_i32 s6, s6, 10
	v_sub_u16_e32 v1, v2, v1
	s_sub_i32 s6, s33, s6
	v_add_u16_e32 v1, s6, v1
	v_add_u16_e32 v2, -10, v1
	v_min_u16_e32 v1, v1, v2
.LBB630_708:
	s_or_b64 s[66:67], s[66:67], exec
.LBB630_709:
	s_or_b64 exec, exec, s[4:5]
.LBB630_710:
	s_branch .LBB630_719
.LBB630_711:
	s_cmp_eq_u32 s76, 1
	s_cbranch_scc0 .LBB630_718
; %bb.712:
	s_mov_b32 s5, 0
	s_lshl_b32 s4, s2, 7
	s_mov_b32 s3, s5
	s_lshr_b64 s[6:7], s[70:71], 7
	s_cmp_lg_u64 s[6:7], s[2:3]
	v_mbcnt_lo_u32_b32 v1, -1, 0
	s_cbranch_scc0 .LBB630_722
; %bb.713:
	s_lshl_b64 s[6:7], s[4:5], 1
	s_add_u32 s6, s68, s6
	s_addc_u32 s7, s69, s7
	v_lshlrev_b32_e32 v2, 1, v0
	global_load_ushort v2, v2, s[6:7]
	s_mov_b32 s6, 0xcccd
	v_mbcnt_hi_u32_b32 v3, -1, v1
	s_waitcnt lgkmcnt(0)
	v_lshlrev_b32_e32 v4, 2, v3
	v_cmp_eq_u32_e32 vcc, 0, v3
	s_waitcnt vmcnt(0)
	v_and_b32_e32 v5, 0xffff, v2
	s_nop 1
	v_mov_b32_dpp v6, v5 quad_perm:[1,0,3,2] row_mask:0xf bank_mask:0xf bound_ctrl:1
	v_mul_u32_u24_e32 v5, 0xcccd, v5
	v_lshrrev_b32_e32 v5, 19, v5
	v_mul_u32_u24_sdwa v7, v6, s6 dst_sel:DWORD dst_unused:UNUSED_PAD src0_sel:WORD_0 src1_sel:DWORD
	v_mul_lo_u16_e32 v5, 10, v5
	v_lshrrev_b32_e32 v7, 19, v7
	v_sub_u16_e32 v2, v2, v5
	v_mul_lo_u16_e32 v5, 10, v7
	v_sub_u16_e32 v5, v6, v5
	v_add_u16_e32 v2, v5, v2
	v_add_u16_e32 v5, -10, v2
	v_min_u16_e32 v2, v2, v5
	s_nop 1
	v_mov_b32_dpp v5, v2 quad_perm:[2,3,0,1] row_mask:0xf bank_mask:0xf bound_ctrl:1
	v_mul_u32_u24_sdwa v6, v5, s6 dst_sel:DWORD dst_unused:UNUSED_PAD src0_sel:WORD_0 src1_sel:DWORD
	v_lshrrev_b32_e32 v6, 19, v6
	v_mul_lo_u16_e32 v6, 10, v6
	v_sub_u16_e32 v5, v5, v6
	v_add_u16_e32 v2, v2, v5
	v_add_u16_e32 v5, -10, v2
	v_min_u16_e32 v2, v2, v5
	v_mul_u32_u24_e32 v6, 0xcccd, v2
	v_lshrrev_b32_e32 v6, 19, v6
	v_mov_b32_dpp v5, v2 row_ror:4 row_mask:0xf bank_mask:0xf bound_ctrl:1
	v_mul_u32_u24_sdwa v7, v5, s6 dst_sel:DWORD dst_unused:UNUSED_PAD src0_sel:WORD_0 src1_sel:DWORD
	v_mul_lo_u16_e32 v6, 10, v6
	v_lshrrev_b32_e32 v7, 19, v7
	v_sub_u16_e32 v2, v2, v6
	v_mul_lo_u16_e32 v6, 10, v7
	v_sub_u16_e32 v5, v5, v6
	v_add_u16_e32 v2, v2, v5
	v_add_u16_e32 v5, -10, v2
	v_min_u16_e32 v2, v2, v5
	v_mul_u32_u24_e32 v6, 0xcccd, v2
	v_lshrrev_b32_e32 v6, 19, v6
	v_mov_b32_dpp v5, v2 row_ror:8 row_mask:0xf bank_mask:0xf bound_ctrl:1
	v_mul_u32_u24_sdwa v7, v5, s6 dst_sel:DWORD dst_unused:UNUSED_PAD src0_sel:WORD_0 src1_sel:DWORD
	v_mul_lo_u16_e32 v6, 10, v6
	v_lshrrev_b32_e32 v7, 19, v7
	v_sub_u16_e32 v2, v2, v6
	v_mul_lo_u16_e32 v6, 10, v7
	v_sub_u16_e32 v5, v5, v6
	v_add_u16_e32 v2, v2, v5
	v_add_u16_e32 v5, -10, v2
	v_min_u16_e32 v2, v2, v5
	v_mul_u32_u24_e32 v6, 0xcccd, v2
	v_lshrrev_b32_e32 v6, 19, v6
	v_mov_b32_dpp v5, v2 row_bcast:15 row_mask:0xf bank_mask:0xf bound_ctrl:1
	v_mul_u32_u24_sdwa v7, v5, s6 dst_sel:DWORD dst_unused:UNUSED_PAD src0_sel:WORD_0 src1_sel:DWORD
	v_mul_lo_u16_e32 v6, 10, v6
	v_lshrrev_b32_e32 v7, 19, v7
	v_sub_u16_e32 v2, v2, v6
	v_mul_lo_u16_e32 v6, 10, v7
	v_sub_u16_e32 v5, v5, v6
	v_add_u16_e32 v2, v2, v5
	v_add_u16_e32 v5, -10, v2
	v_min_u16_e32 v2, v2, v5
	v_mul_u32_u24_e32 v6, 0xcccd, v2
	v_lshrrev_b32_e32 v6, 19, v6
	v_mov_b32_dpp v5, v2 row_bcast:31 row_mask:0xf bank_mask:0xf bound_ctrl:1
	v_mul_u32_u24_sdwa v7, v5, s6 dst_sel:DWORD dst_unused:UNUSED_PAD src0_sel:WORD_0 src1_sel:DWORD
	v_mul_lo_u16_e32 v6, 10, v6
	v_lshrrev_b32_e32 v7, 19, v7
	v_sub_u16_e32 v2, v2, v6
	v_mul_lo_u16_e32 v6, 10, v7
	v_sub_u16_e32 v5, v5, v6
	v_add_u16_e32 v2, v2, v5
	v_add_u16_e32 v5, -10, v2
	v_or_b32_e32 v6, 0xfc, v4
	v_min_u16_e32 v2, v2, v5
	ds_bpermute_b32 v2, v6, v2
	s_and_saveexec_b64 s[6:7], vcc
	s_cbranch_execz .LBB630_715
; %bb.714:
	v_lshrrev_b32_e32 v5, 5, v0
	v_and_b32_e32 v5, 2, v5
	s_waitcnt lgkmcnt(0)
	ds_write_b16 v5, v2 offset:8
.LBB630_715:
	s_or_b64 exec, exec, s[6:7]
	v_cmp_gt_u32_e32 vcc, 64, v0
	s_waitcnt lgkmcnt(0)
	s_barrier
	s_and_saveexec_b64 s[6:7], vcc
	s_cbranch_execz .LBB630_717
; %bb.716:
	v_and_b32_e32 v2, 1, v3
	v_lshlrev_b32_e32 v2, 1, v2
	ds_read_u16 v2, v2 offset:8
	v_or_b32_e32 v3, 4, v4
	s_mov_b32 s8, 0xcccd
	s_waitcnt lgkmcnt(0)
	v_and_b32_e32 v4, 0xffff, v2
	ds_bpermute_b32 v3, v3, v4
	v_mul_u32_u24_e32 v4, 0xcccd, v4
	v_lshrrev_b32_e32 v4, 19, v4
	v_mul_lo_u16_e32 v4, 10, v4
	v_sub_u16_e32 v2, v2, v4
	s_waitcnt lgkmcnt(0)
	v_mul_u32_u24_sdwa v5, v3, s8 dst_sel:DWORD dst_unused:UNUSED_PAD src0_sel:WORD_0 src1_sel:DWORD
	v_lshrrev_b32_e32 v5, 19, v5
	v_mul_lo_u16_e32 v5, 10, v5
	v_sub_u16_e32 v3, v3, v5
	v_add_u16_e32 v2, v3, v2
	v_add_u16_e32 v3, -10, v2
	v_min_u16_e32 v2, v2, v3
.LBB630_717:
	s_or_b64 exec, exec, s[6:7]
	s_branch .LBB630_744
.LBB630_718:
                                        ; implicit-def: $vgpr1
                                        ; implicit-def: $sgpr2_sgpr3
.LBB630_719:
	s_and_saveexec_b64 s[4:5], s[66:67]
	s_cbranch_execz .LBB630_721
.LBB630_720:
	s_load_dwordx2 s[0:1], s[0:1], 0x18
	s_lshl_b64 s[2:3], s[2:3], 1
	v_mov_b32_e32 v0, 0
	s_waitcnt lgkmcnt(0)
	s_add_u32 s0, s0, s2
	s_addc_u32 s1, s1, s3
	global_store_short v0, v1, s[0:1]
.LBB630_721:
	s_endpgm
.LBB630_722:
                                        ; implicit-def: $vgpr2
	s_cbranch_execz .LBB630_744
; %bb.723:
	s_sub_i32 s8, s70, s4
	v_cmp_gt_u32_e32 vcc, s8, v0
                                        ; implicit-def: $vgpr2
	s_and_saveexec_b64 s[6:7], vcc
	s_cbranch_execz .LBB630_725
; %bb.724:
	s_lshl_b64 s[4:5], s[4:5], 1
	s_add_u32 s4, s68, s4
	s_addc_u32 s5, s69, s5
	v_lshlrev_b32_e32 v2, 1, v0
	global_load_ushort v2, v2, s[4:5]
.LBB630_725:
	s_or_b64 exec, exec, s[6:7]
	v_mbcnt_hi_u32_b32 v1, -1, v1
	v_and_b32_e32 v3, 63, v1
	v_cmp_ne_u32_e32 vcc, 63, v3
	s_waitcnt vmcnt(0)
	v_and_b32_e32 v5, 0xffff, v2
	s_min_u32 s6, s8, 0x80
	s_waitcnt lgkmcnt(0)
	v_addc_co_u32_e32 v4, vcc, 0, v1, vcc
	v_lshlrev_b32_e32 v4, 2, v4
	ds_bpermute_b32 v6, v4, v5
	v_and_b32_e32 v4, 64, v0
	v_sub_u32_e64 v4, s6, v4 clamp
	v_add_u32_e32 v7, 1, v3
	v_cmp_lt_u32_e32 vcc, v7, v4
	s_and_saveexec_b64 s[4:5], vcc
	s_cbranch_execz .LBB630_727
; %bb.726:
	s_mov_b32 s7, 0xcccd
	s_waitcnt lgkmcnt(0)
	v_mul_u32_u24_sdwa v5, v6, s7 dst_sel:DWORD dst_unused:UNUSED_PAD src0_sel:WORD_0 src1_sel:DWORD
	v_lshrrev_b32_e32 v5, 19, v5
	v_mul_lo_u16_e32 v5, 10, v5
	v_sub_u16_e32 v5, v6, v5
	v_mul_u32_u24_sdwa v6, v2, s7 dst_sel:DWORD dst_unused:UNUSED_PAD src0_sel:WORD_0 src1_sel:DWORD
	v_lshrrev_b32_e32 v6, 19, v6
	v_mul_lo_u16_e32 v6, 10, v6
	v_sub_u16_e32 v2, v2, v6
	v_add_u16_e32 v5, v5, v2
	v_add_u16_e32 v6, -10, v5
	v_min_u16_e32 v2, v5, v6
	v_min_u16_e32 v5, v5, v6
.LBB630_727:
	s_or_b64 exec, exec, s[4:5]
	v_cmp_gt_u32_e32 vcc, 62, v3
	v_add_u32_e32 v7, 2, v3
	s_waitcnt lgkmcnt(0)
	v_cndmask_b32_e64 v6, 0, 2, vcc
	v_add_lshl_u32 v6, v6, v1, 2
	ds_bpermute_b32 v6, v6, v5
	v_cmp_lt_u32_e32 vcc, v7, v4
	s_and_saveexec_b64 s[4:5], vcc
	s_cbranch_execz .LBB630_729
; %bb.728:
	s_mov_b32 s7, 0xcccd
	s_waitcnt lgkmcnt(0)
	v_mul_u32_u24_sdwa v5, v6, s7 dst_sel:DWORD dst_unused:UNUSED_PAD src0_sel:WORD_0 src1_sel:DWORD
	v_lshrrev_b32_e32 v5, 19, v5
	v_mul_lo_u16_e32 v5, 10, v5
	v_sub_u16_e32 v5, v6, v5
	v_mul_u32_u24_sdwa v6, v2, s7 dst_sel:DWORD dst_unused:UNUSED_PAD src0_sel:WORD_0 src1_sel:DWORD
	v_lshrrev_b32_e32 v6, 19, v6
	v_mul_lo_u16_e32 v6, 10, v6
	v_sub_u16_e32 v2, v2, v6
	v_add_u16_e32 v5, v5, v2
	v_add_u16_e32 v6, -10, v5
	v_min_u16_e32 v2, v5, v6
	v_min_u16_e32 v5, v5, v6
.LBB630_729:
	s_or_b64 exec, exec, s[4:5]
	v_cmp_gt_u32_e32 vcc, 60, v3
	v_add_u32_e32 v7, 4, v3
	s_waitcnt lgkmcnt(0)
	v_cndmask_b32_e64 v6, 0, 4, vcc
	v_add_lshl_u32 v6, v6, v1, 2
	ds_bpermute_b32 v6, v6, v5
	;; [unrolled: 26-line block ×4, first 2 shown]
	v_cmp_lt_u32_e32 vcc, v7, v4
	s_and_saveexec_b64 s[4:5], vcc
	s_cbranch_execz .LBB630_735
; %bb.734:
	s_mov_b32 s7, 0xcccd
	s_waitcnt lgkmcnt(0)
	v_mul_u32_u24_sdwa v5, v6, s7 dst_sel:DWORD dst_unused:UNUSED_PAD src0_sel:WORD_0 src1_sel:DWORD
	v_lshrrev_b32_e32 v5, 19, v5
	v_mul_lo_u16_e32 v5, 10, v5
	v_sub_u16_e32 v5, v6, v5
	v_mul_u32_u24_sdwa v6, v2, s7 dst_sel:DWORD dst_unused:UNUSED_PAD src0_sel:WORD_0 src1_sel:DWORD
	v_lshrrev_b32_e32 v6, 19, v6
	v_mul_lo_u16_e32 v6, 10, v6
	v_sub_u16_e32 v2, v2, v6
	v_add_u16_e32 v5, v5, v2
	v_add_u16_e32 v6, -10, v5
	v_min_u16_e32 v2, v5, v6
	v_min_u16_e32 v5, v5, v6
.LBB630_735:
	s_or_b64 exec, exec, s[4:5]
	s_waitcnt lgkmcnt(0)
	v_lshlrev_b32_e32 v6, 2, v1
	v_or_b32_e32 v7, 0x80, v6
	ds_bpermute_b32 v5, v7, v5
	v_add_u32_e32 v3, 32, v3
	v_cmp_lt_u32_e32 vcc, v3, v4
	s_and_saveexec_b64 s[4:5], vcc
	s_cbranch_execz .LBB630_737
; %bb.736:
	s_mov_b32 s7, 0xcccd
	s_waitcnt lgkmcnt(0)
	v_mul_u32_u24_sdwa v3, v5, s7 dst_sel:DWORD dst_unused:UNUSED_PAD src0_sel:WORD_0 src1_sel:DWORD
	v_mul_u32_u24_sdwa v4, v2, s7 dst_sel:DWORD dst_unused:UNUSED_PAD src0_sel:WORD_0 src1_sel:DWORD
	v_lshrrev_b32_e32 v3, 19, v3
	v_lshrrev_b32_e32 v4, 19, v4
	v_mul_lo_u16_e32 v3, 10, v3
	v_mul_lo_u16_e32 v4, 10, v4
	v_sub_u16_e32 v3, v5, v3
	v_sub_u16_e32 v2, v2, v4
	v_add_u16_e32 v2, v3, v2
	v_add_u16_e32 v3, -10, v2
	v_min_u16_e32 v2, v2, v3
.LBB630_737:
	s_or_b64 exec, exec, s[4:5]
	v_cmp_eq_u32_e32 vcc, 0, v1
	s_and_saveexec_b64 s[4:5], vcc
; %bb.738:
	v_lshrrev_b32_e32 v3, 5, v0
	v_and_b32_e32 v3, 2, v3
	ds_write_b16 v3, v2
; %bb.739:
	s_or_b64 exec, exec, s[4:5]
	v_cmp_gt_u32_e32 vcc, 2, v0
	s_waitcnt lgkmcnt(0)
	s_barrier
	s_and_saveexec_b64 s[4:5], vcc
	s_cbranch_execz .LBB630_743
; %bb.740:
	v_lshlrev_b32_e32 v2, 1, v1
	ds_read_u16 v2, v2
	v_or_b32_e32 v4, 4, v6
	s_add_i32 s6, s6, 63
	v_and_b32_e32 v1, 1, v1
	s_lshr_b32 s6, s6, 6
	s_waitcnt lgkmcnt(0)
	v_and_b32_e32 v3, 0xffff, v2
	ds_bpermute_b32 v4, v4, v3
	v_add_u32_e32 v1, 1, v1
	v_cmp_gt_u32_e32 vcc, s6, v1
	s_and_saveexec_b64 s[6:7], vcc
	s_cbranch_execz .LBB630_742
; %bb.741:
	s_mov_b32 s8, 0xcccd
	s_waitcnt lgkmcnt(0)
	v_mul_u32_u24_sdwa v1, v4, s8 dst_sel:DWORD dst_unused:UNUSED_PAD src0_sel:WORD_0 src1_sel:DWORD
	v_mul_u32_u24_e32 v3, 0xcccd, v3
	v_lshrrev_b32_e32 v1, 19, v1
	v_lshrrev_b32_e32 v3, 19, v3
	v_mul_lo_u16_e32 v1, 10, v1
	v_mul_lo_u16_e32 v3, 10, v3
	v_sub_u16_e32 v1, v4, v1
	v_sub_u16_e32 v2, v2, v3
	v_add_u16_e32 v1, v1, v2
	v_add_u16_e32 v2, -10, v1
	v_min_u16_e32 v2, v1, v2
.LBB630_742:
	s_or_b64 exec, exec, s[6:7]
.LBB630_743:
	s_or_b64 exec, exec, s[4:5]
.LBB630_744:
	v_cmp_eq_u32_e32 vcc, 0, v0
                                        ; implicit-def: $vgpr1
	s_and_saveexec_b64 s[4:5], vcc
	s_cbranch_execz .LBB630_748
; %bb.745:
	s_cmp_eq_u64 s[70:71], 0
	v_mov_b32_e32 v1, s33
	s_cbranch_scc1 .LBB630_747
; %bb.746:
	s_mov_b32 s6, 0xcccd
	v_mul_u32_u24_sdwa v0, v2, s6 dst_sel:DWORD dst_unused:UNUSED_PAD src0_sel:WORD_0 src1_sel:DWORD
	s_and_b32 s6, 0xffff, s33
	s_mul_i32 s6, s6, 0xcccd
	v_lshrrev_b32_e32 v0, 19, v0
	s_lshr_b32 s6, s6, 19
	v_mul_lo_u16_e32 v0, 10, v0
	s_mul_i32 s6, s6, 10
	v_sub_u16_e32 v0, v2, v0
	s_sub_i32 s6, s33, s6
	v_add_u16_e32 v0, s6, v0
	v_add_u16_e32 v1, -10, v0
	v_min_u16_e32 v1, v0, v1
.LBB630_747:
	s_or_b64 s[66:67], s[66:67], exec
.LBB630_748:
	s_or_b64 exec, exec, s[4:5]
	s_and_saveexec_b64 s[4:5], s[66:67]
	s_cbranch_execnz .LBB630_720
	s_branch .LBB630_721
	.section	.rodata,"a",@progbits
	.p2align	6, 0x0
	.amdhsa_kernel _ZN7rocprim17ROCPRIM_400000_NS6detail17trampoline_kernelINS0_14default_configENS1_22reduce_config_selectorItEEZNS1_11reduce_implILb1ES3_PtS7_t11plus_mod_10ItEEE10hipError_tPvRmT1_T2_T3_mT4_P12ihipStream_tbEUlT_E1_NS1_11comp_targetILNS1_3genE0ELNS1_11target_archE4294967295ELNS1_3gpuE0ELNS1_3repE0EEENS1_30default_config_static_selectorELNS0_4arch9wavefront6targetE1EEEvSD_
		.amdhsa_group_segment_fixed_size 32
		.amdhsa_private_segment_fixed_size 0
		.amdhsa_kernarg_size 40
		.amdhsa_user_sgpr_count 2
		.amdhsa_user_sgpr_dispatch_ptr 0
		.amdhsa_user_sgpr_queue_ptr 0
		.amdhsa_user_sgpr_kernarg_segment_ptr 1
		.amdhsa_user_sgpr_dispatch_id 0
		.amdhsa_user_sgpr_kernarg_preload_length 0
		.amdhsa_user_sgpr_kernarg_preload_offset 0
		.amdhsa_user_sgpr_private_segment_size 0
		.amdhsa_uses_dynamic_stack 0
		.amdhsa_enable_private_segment 0
		.amdhsa_system_sgpr_workgroup_id_x 1
		.amdhsa_system_sgpr_workgroup_id_y 0
		.amdhsa_system_sgpr_workgroup_id_z 0
		.amdhsa_system_sgpr_workgroup_info 0
		.amdhsa_system_vgpr_workitem_id 0
		.amdhsa_next_free_vgpr 68
		.amdhsa_next_free_sgpr 100
		.amdhsa_accum_offset 68
		.amdhsa_reserve_vcc 1
		.amdhsa_float_round_mode_32 0
		.amdhsa_float_round_mode_16_64 0
		.amdhsa_float_denorm_mode_32 3
		.amdhsa_float_denorm_mode_16_64 3
		.amdhsa_dx10_clamp 1
		.amdhsa_ieee_mode 1
		.amdhsa_fp16_overflow 0
		.amdhsa_tg_split 0
		.amdhsa_exception_fp_ieee_invalid_op 0
		.amdhsa_exception_fp_denorm_src 0
		.amdhsa_exception_fp_ieee_div_zero 0
		.amdhsa_exception_fp_ieee_overflow 0
		.amdhsa_exception_fp_ieee_underflow 0
		.amdhsa_exception_fp_ieee_inexact 0
		.amdhsa_exception_int_div_zero 0
	.end_amdhsa_kernel
	.section	.text._ZN7rocprim17ROCPRIM_400000_NS6detail17trampoline_kernelINS0_14default_configENS1_22reduce_config_selectorItEEZNS1_11reduce_implILb1ES3_PtS7_t11plus_mod_10ItEEE10hipError_tPvRmT1_T2_T3_mT4_P12ihipStream_tbEUlT_E1_NS1_11comp_targetILNS1_3genE0ELNS1_11target_archE4294967295ELNS1_3gpuE0ELNS1_3repE0EEENS1_30default_config_static_selectorELNS0_4arch9wavefront6targetE1EEEvSD_,"axG",@progbits,_ZN7rocprim17ROCPRIM_400000_NS6detail17trampoline_kernelINS0_14default_configENS1_22reduce_config_selectorItEEZNS1_11reduce_implILb1ES3_PtS7_t11plus_mod_10ItEEE10hipError_tPvRmT1_T2_T3_mT4_P12ihipStream_tbEUlT_E1_NS1_11comp_targetILNS1_3genE0ELNS1_11target_archE4294967295ELNS1_3gpuE0ELNS1_3repE0EEENS1_30default_config_static_selectorELNS0_4arch9wavefront6targetE1EEEvSD_,comdat
.Lfunc_end630:
	.size	_ZN7rocprim17ROCPRIM_400000_NS6detail17trampoline_kernelINS0_14default_configENS1_22reduce_config_selectorItEEZNS1_11reduce_implILb1ES3_PtS7_t11plus_mod_10ItEEE10hipError_tPvRmT1_T2_T3_mT4_P12ihipStream_tbEUlT_E1_NS1_11comp_targetILNS1_3genE0ELNS1_11target_archE4294967295ELNS1_3gpuE0ELNS1_3repE0EEENS1_30default_config_static_selectorELNS0_4arch9wavefront6targetE1EEEvSD_, .Lfunc_end630-_ZN7rocprim17ROCPRIM_400000_NS6detail17trampoline_kernelINS0_14default_configENS1_22reduce_config_selectorItEEZNS1_11reduce_implILb1ES3_PtS7_t11plus_mod_10ItEEE10hipError_tPvRmT1_T2_T3_mT4_P12ihipStream_tbEUlT_E1_NS1_11comp_targetILNS1_3genE0ELNS1_11target_archE4294967295ELNS1_3gpuE0ELNS1_3repE0EEENS1_30default_config_static_selectorELNS0_4arch9wavefront6targetE1EEEvSD_
                                        ; -- End function
	.set _ZN7rocprim17ROCPRIM_400000_NS6detail17trampoline_kernelINS0_14default_configENS1_22reduce_config_selectorItEEZNS1_11reduce_implILb1ES3_PtS7_t11plus_mod_10ItEEE10hipError_tPvRmT1_T2_T3_mT4_P12ihipStream_tbEUlT_E1_NS1_11comp_targetILNS1_3genE0ELNS1_11target_archE4294967295ELNS1_3gpuE0ELNS1_3repE0EEENS1_30default_config_static_selectorELNS0_4arch9wavefront6targetE1EEEvSD_.num_vgpr, 68
	.set _ZN7rocprim17ROCPRIM_400000_NS6detail17trampoline_kernelINS0_14default_configENS1_22reduce_config_selectorItEEZNS1_11reduce_implILb1ES3_PtS7_t11plus_mod_10ItEEE10hipError_tPvRmT1_T2_T3_mT4_P12ihipStream_tbEUlT_E1_NS1_11comp_targetILNS1_3genE0ELNS1_11target_archE4294967295ELNS1_3gpuE0ELNS1_3repE0EEENS1_30default_config_static_selectorELNS0_4arch9wavefront6targetE1EEEvSD_.num_agpr, 0
	.set _ZN7rocprim17ROCPRIM_400000_NS6detail17trampoline_kernelINS0_14default_configENS1_22reduce_config_selectorItEEZNS1_11reduce_implILb1ES3_PtS7_t11plus_mod_10ItEEE10hipError_tPvRmT1_T2_T3_mT4_P12ihipStream_tbEUlT_E1_NS1_11comp_targetILNS1_3genE0ELNS1_11target_archE4294967295ELNS1_3gpuE0ELNS1_3repE0EEENS1_30default_config_static_selectorELNS0_4arch9wavefront6targetE1EEEvSD_.numbered_sgpr, 100
	.set _ZN7rocprim17ROCPRIM_400000_NS6detail17trampoline_kernelINS0_14default_configENS1_22reduce_config_selectorItEEZNS1_11reduce_implILb1ES3_PtS7_t11plus_mod_10ItEEE10hipError_tPvRmT1_T2_T3_mT4_P12ihipStream_tbEUlT_E1_NS1_11comp_targetILNS1_3genE0ELNS1_11target_archE4294967295ELNS1_3gpuE0ELNS1_3repE0EEENS1_30default_config_static_selectorELNS0_4arch9wavefront6targetE1EEEvSD_.num_named_barrier, 0
	.set _ZN7rocprim17ROCPRIM_400000_NS6detail17trampoline_kernelINS0_14default_configENS1_22reduce_config_selectorItEEZNS1_11reduce_implILb1ES3_PtS7_t11plus_mod_10ItEEE10hipError_tPvRmT1_T2_T3_mT4_P12ihipStream_tbEUlT_E1_NS1_11comp_targetILNS1_3genE0ELNS1_11target_archE4294967295ELNS1_3gpuE0ELNS1_3repE0EEENS1_30default_config_static_selectorELNS0_4arch9wavefront6targetE1EEEvSD_.private_seg_size, 0
	.set _ZN7rocprim17ROCPRIM_400000_NS6detail17trampoline_kernelINS0_14default_configENS1_22reduce_config_selectorItEEZNS1_11reduce_implILb1ES3_PtS7_t11plus_mod_10ItEEE10hipError_tPvRmT1_T2_T3_mT4_P12ihipStream_tbEUlT_E1_NS1_11comp_targetILNS1_3genE0ELNS1_11target_archE4294967295ELNS1_3gpuE0ELNS1_3repE0EEENS1_30default_config_static_selectorELNS0_4arch9wavefront6targetE1EEEvSD_.uses_vcc, 1
	.set _ZN7rocprim17ROCPRIM_400000_NS6detail17trampoline_kernelINS0_14default_configENS1_22reduce_config_selectorItEEZNS1_11reduce_implILb1ES3_PtS7_t11plus_mod_10ItEEE10hipError_tPvRmT1_T2_T3_mT4_P12ihipStream_tbEUlT_E1_NS1_11comp_targetILNS1_3genE0ELNS1_11target_archE4294967295ELNS1_3gpuE0ELNS1_3repE0EEENS1_30default_config_static_selectorELNS0_4arch9wavefront6targetE1EEEvSD_.uses_flat_scratch, 0
	.set _ZN7rocprim17ROCPRIM_400000_NS6detail17trampoline_kernelINS0_14default_configENS1_22reduce_config_selectorItEEZNS1_11reduce_implILb1ES3_PtS7_t11plus_mod_10ItEEE10hipError_tPvRmT1_T2_T3_mT4_P12ihipStream_tbEUlT_E1_NS1_11comp_targetILNS1_3genE0ELNS1_11target_archE4294967295ELNS1_3gpuE0ELNS1_3repE0EEENS1_30default_config_static_selectorELNS0_4arch9wavefront6targetE1EEEvSD_.has_dyn_sized_stack, 0
	.set _ZN7rocprim17ROCPRIM_400000_NS6detail17trampoline_kernelINS0_14default_configENS1_22reduce_config_selectorItEEZNS1_11reduce_implILb1ES3_PtS7_t11plus_mod_10ItEEE10hipError_tPvRmT1_T2_T3_mT4_P12ihipStream_tbEUlT_E1_NS1_11comp_targetILNS1_3genE0ELNS1_11target_archE4294967295ELNS1_3gpuE0ELNS1_3repE0EEENS1_30default_config_static_selectorELNS0_4arch9wavefront6targetE1EEEvSD_.has_recursion, 0
	.set _ZN7rocprim17ROCPRIM_400000_NS6detail17trampoline_kernelINS0_14default_configENS1_22reduce_config_selectorItEEZNS1_11reduce_implILb1ES3_PtS7_t11plus_mod_10ItEEE10hipError_tPvRmT1_T2_T3_mT4_P12ihipStream_tbEUlT_E1_NS1_11comp_targetILNS1_3genE0ELNS1_11target_archE4294967295ELNS1_3gpuE0ELNS1_3repE0EEENS1_30default_config_static_selectorELNS0_4arch9wavefront6targetE1EEEvSD_.has_indirect_call, 0
	.section	.AMDGPU.csdata,"",@progbits
; Kernel info:
; codeLenInByte = 38952
; TotalNumSgprs: 106
; NumVgprs: 68
; NumAgprs: 0
; TotalNumVgprs: 68
; ScratchSize: 0
; MemoryBound: 0
; FloatMode: 240
; IeeeMode: 1
; LDSByteSize: 32 bytes/workgroup (compile time only)
; SGPRBlocks: 13
; VGPRBlocks: 8
; NumSGPRsForWavesPerEU: 106
; NumVGPRsForWavesPerEU: 68
; AccumOffset: 68
; Occupancy: 7
; WaveLimiterHint : 1
; COMPUTE_PGM_RSRC2:SCRATCH_EN: 0
; COMPUTE_PGM_RSRC2:USER_SGPR: 2
; COMPUTE_PGM_RSRC2:TRAP_HANDLER: 0
; COMPUTE_PGM_RSRC2:TGID_X_EN: 1
; COMPUTE_PGM_RSRC2:TGID_Y_EN: 0
; COMPUTE_PGM_RSRC2:TGID_Z_EN: 0
; COMPUTE_PGM_RSRC2:TIDIG_COMP_CNT: 0
; COMPUTE_PGM_RSRC3_GFX90A:ACCUM_OFFSET: 16
; COMPUTE_PGM_RSRC3_GFX90A:TG_SPLIT: 0
	.section	.text._ZN7rocprim17ROCPRIM_400000_NS6detail17trampoline_kernelINS0_14default_configENS1_22reduce_config_selectorItEEZNS1_11reduce_implILb1ES3_PtS7_t11plus_mod_10ItEEE10hipError_tPvRmT1_T2_T3_mT4_P12ihipStream_tbEUlT_E1_NS1_11comp_targetILNS1_3genE5ELNS1_11target_archE942ELNS1_3gpuE9ELNS1_3repE0EEENS1_30default_config_static_selectorELNS0_4arch9wavefront6targetE1EEEvSD_,"axG",@progbits,_ZN7rocprim17ROCPRIM_400000_NS6detail17trampoline_kernelINS0_14default_configENS1_22reduce_config_selectorItEEZNS1_11reduce_implILb1ES3_PtS7_t11plus_mod_10ItEEE10hipError_tPvRmT1_T2_T3_mT4_P12ihipStream_tbEUlT_E1_NS1_11comp_targetILNS1_3genE5ELNS1_11target_archE942ELNS1_3gpuE9ELNS1_3repE0EEENS1_30default_config_static_selectorELNS0_4arch9wavefront6targetE1EEEvSD_,comdat
	.protected	_ZN7rocprim17ROCPRIM_400000_NS6detail17trampoline_kernelINS0_14default_configENS1_22reduce_config_selectorItEEZNS1_11reduce_implILb1ES3_PtS7_t11plus_mod_10ItEEE10hipError_tPvRmT1_T2_T3_mT4_P12ihipStream_tbEUlT_E1_NS1_11comp_targetILNS1_3genE5ELNS1_11target_archE942ELNS1_3gpuE9ELNS1_3repE0EEENS1_30default_config_static_selectorELNS0_4arch9wavefront6targetE1EEEvSD_ ; -- Begin function _ZN7rocprim17ROCPRIM_400000_NS6detail17trampoline_kernelINS0_14default_configENS1_22reduce_config_selectorItEEZNS1_11reduce_implILb1ES3_PtS7_t11plus_mod_10ItEEE10hipError_tPvRmT1_T2_T3_mT4_P12ihipStream_tbEUlT_E1_NS1_11comp_targetILNS1_3genE5ELNS1_11target_archE942ELNS1_3gpuE9ELNS1_3repE0EEENS1_30default_config_static_selectorELNS0_4arch9wavefront6targetE1EEEvSD_
	.globl	_ZN7rocprim17ROCPRIM_400000_NS6detail17trampoline_kernelINS0_14default_configENS1_22reduce_config_selectorItEEZNS1_11reduce_implILb1ES3_PtS7_t11plus_mod_10ItEEE10hipError_tPvRmT1_T2_T3_mT4_P12ihipStream_tbEUlT_E1_NS1_11comp_targetILNS1_3genE5ELNS1_11target_archE942ELNS1_3gpuE9ELNS1_3repE0EEENS1_30default_config_static_selectorELNS0_4arch9wavefront6targetE1EEEvSD_
	.p2align	8
	.type	_ZN7rocprim17ROCPRIM_400000_NS6detail17trampoline_kernelINS0_14default_configENS1_22reduce_config_selectorItEEZNS1_11reduce_implILb1ES3_PtS7_t11plus_mod_10ItEEE10hipError_tPvRmT1_T2_T3_mT4_P12ihipStream_tbEUlT_E1_NS1_11comp_targetILNS1_3genE5ELNS1_11target_archE942ELNS1_3gpuE9ELNS1_3repE0EEENS1_30default_config_static_selectorELNS0_4arch9wavefront6targetE1EEEvSD_,@function
_ZN7rocprim17ROCPRIM_400000_NS6detail17trampoline_kernelINS0_14default_configENS1_22reduce_config_selectorItEEZNS1_11reduce_implILb1ES3_PtS7_t11plus_mod_10ItEEE10hipError_tPvRmT1_T2_T3_mT4_P12ihipStream_tbEUlT_E1_NS1_11comp_targetILNS1_3genE5ELNS1_11target_archE942ELNS1_3gpuE9ELNS1_3repE0EEENS1_30default_config_static_selectorELNS0_4arch9wavefront6targetE1EEEvSD_: ; @_ZN7rocprim17ROCPRIM_400000_NS6detail17trampoline_kernelINS0_14default_configENS1_22reduce_config_selectorItEEZNS1_11reduce_implILb1ES3_PtS7_t11plus_mod_10ItEEE10hipError_tPvRmT1_T2_T3_mT4_P12ihipStream_tbEUlT_E1_NS1_11comp_targetILNS1_3genE5ELNS1_11target_archE942ELNS1_3gpuE9ELNS1_3repE0EEENS1_30default_config_static_selectorELNS0_4arch9wavefront6targetE1EEEvSD_
; %bb.0:
	.section	.rodata,"a",@progbits
	.p2align	6, 0x0
	.amdhsa_kernel _ZN7rocprim17ROCPRIM_400000_NS6detail17trampoline_kernelINS0_14default_configENS1_22reduce_config_selectorItEEZNS1_11reduce_implILb1ES3_PtS7_t11plus_mod_10ItEEE10hipError_tPvRmT1_T2_T3_mT4_P12ihipStream_tbEUlT_E1_NS1_11comp_targetILNS1_3genE5ELNS1_11target_archE942ELNS1_3gpuE9ELNS1_3repE0EEENS1_30default_config_static_selectorELNS0_4arch9wavefront6targetE1EEEvSD_
		.amdhsa_group_segment_fixed_size 0
		.amdhsa_private_segment_fixed_size 0
		.amdhsa_kernarg_size 40
		.amdhsa_user_sgpr_count 2
		.amdhsa_user_sgpr_dispatch_ptr 0
		.amdhsa_user_sgpr_queue_ptr 0
		.amdhsa_user_sgpr_kernarg_segment_ptr 1
		.amdhsa_user_sgpr_dispatch_id 0
		.amdhsa_user_sgpr_kernarg_preload_length 0
		.amdhsa_user_sgpr_kernarg_preload_offset 0
		.amdhsa_user_sgpr_private_segment_size 0
		.amdhsa_uses_dynamic_stack 0
		.amdhsa_enable_private_segment 0
		.amdhsa_system_sgpr_workgroup_id_x 1
		.amdhsa_system_sgpr_workgroup_id_y 0
		.amdhsa_system_sgpr_workgroup_id_z 0
		.amdhsa_system_sgpr_workgroup_info 0
		.amdhsa_system_vgpr_workitem_id 0
		.amdhsa_next_free_vgpr 1
		.amdhsa_next_free_sgpr 0
		.amdhsa_accum_offset 4
		.amdhsa_reserve_vcc 0
		.amdhsa_float_round_mode_32 0
		.amdhsa_float_round_mode_16_64 0
		.amdhsa_float_denorm_mode_32 3
		.amdhsa_float_denorm_mode_16_64 3
		.amdhsa_dx10_clamp 1
		.amdhsa_ieee_mode 1
		.amdhsa_fp16_overflow 0
		.amdhsa_tg_split 0
		.amdhsa_exception_fp_ieee_invalid_op 0
		.amdhsa_exception_fp_denorm_src 0
		.amdhsa_exception_fp_ieee_div_zero 0
		.amdhsa_exception_fp_ieee_overflow 0
		.amdhsa_exception_fp_ieee_underflow 0
		.amdhsa_exception_fp_ieee_inexact 0
		.amdhsa_exception_int_div_zero 0
	.end_amdhsa_kernel
	.section	.text._ZN7rocprim17ROCPRIM_400000_NS6detail17trampoline_kernelINS0_14default_configENS1_22reduce_config_selectorItEEZNS1_11reduce_implILb1ES3_PtS7_t11plus_mod_10ItEEE10hipError_tPvRmT1_T2_T3_mT4_P12ihipStream_tbEUlT_E1_NS1_11comp_targetILNS1_3genE5ELNS1_11target_archE942ELNS1_3gpuE9ELNS1_3repE0EEENS1_30default_config_static_selectorELNS0_4arch9wavefront6targetE1EEEvSD_,"axG",@progbits,_ZN7rocprim17ROCPRIM_400000_NS6detail17trampoline_kernelINS0_14default_configENS1_22reduce_config_selectorItEEZNS1_11reduce_implILb1ES3_PtS7_t11plus_mod_10ItEEE10hipError_tPvRmT1_T2_T3_mT4_P12ihipStream_tbEUlT_E1_NS1_11comp_targetILNS1_3genE5ELNS1_11target_archE942ELNS1_3gpuE9ELNS1_3repE0EEENS1_30default_config_static_selectorELNS0_4arch9wavefront6targetE1EEEvSD_,comdat
.Lfunc_end631:
	.size	_ZN7rocprim17ROCPRIM_400000_NS6detail17trampoline_kernelINS0_14default_configENS1_22reduce_config_selectorItEEZNS1_11reduce_implILb1ES3_PtS7_t11plus_mod_10ItEEE10hipError_tPvRmT1_T2_T3_mT4_P12ihipStream_tbEUlT_E1_NS1_11comp_targetILNS1_3genE5ELNS1_11target_archE942ELNS1_3gpuE9ELNS1_3repE0EEENS1_30default_config_static_selectorELNS0_4arch9wavefront6targetE1EEEvSD_, .Lfunc_end631-_ZN7rocprim17ROCPRIM_400000_NS6detail17trampoline_kernelINS0_14default_configENS1_22reduce_config_selectorItEEZNS1_11reduce_implILb1ES3_PtS7_t11plus_mod_10ItEEE10hipError_tPvRmT1_T2_T3_mT4_P12ihipStream_tbEUlT_E1_NS1_11comp_targetILNS1_3genE5ELNS1_11target_archE942ELNS1_3gpuE9ELNS1_3repE0EEENS1_30default_config_static_selectorELNS0_4arch9wavefront6targetE1EEEvSD_
                                        ; -- End function
	.set _ZN7rocprim17ROCPRIM_400000_NS6detail17trampoline_kernelINS0_14default_configENS1_22reduce_config_selectorItEEZNS1_11reduce_implILb1ES3_PtS7_t11plus_mod_10ItEEE10hipError_tPvRmT1_T2_T3_mT4_P12ihipStream_tbEUlT_E1_NS1_11comp_targetILNS1_3genE5ELNS1_11target_archE942ELNS1_3gpuE9ELNS1_3repE0EEENS1_30default_config_static_selectorELNS0_4arch9wavefront6targetE1EEEvSD_.num_vgpr, 0
	.set _ZN7rocprim17ROCPRIM_400000_NS6detail17trampoline_kernelINS0_14default_configENS1_22reduce_config_selectorItEEZNS1_11reduce_implILb1ES3_PtS7_t11plus_mod_10ItEEE10hipError_tPvRmT1_T2_T3_mT4_P12ihipStream_tbEUlT_E1_NS1_11comp_targetILNS1_3genE5ELNS1_11target_archE942ELNS1_3gpuE9ELNS1_3repE0EEENS1_30default_config_static_selectorELNS0_4arch9wavefront6targetE1EEEvSD_.num_agpr, 0
	.set _ZN7rocprim17ROCPRIM_400000_NS6detail17trampoline_kernelINS0_14default_configENS1_22reduce_config_selectorItEEZNS1_11reduce_implILb1ES3_PtS7_t11plus_mod_10ItEEE10hipError_tPvRmT1_T2_T3_mT4_P12ihipStream_tbEUlT_E1_NS1_11comp_targetILNS1_3genE5ELNS1_11target_archE942ELNS1_3gpuE9ELNS1_3repE0EEENS1_30default_config_static_selectorELNS0_4arch9wavefront6targetE1EEEvSD_.numbered_sgpr, 0
	.set _ZN7rocprim17ROCPRIM_400000_NS6detail17trampoline_kernelINS0_14default_configENS1_22reduce_config_selectorItEEZNS1_11reduce_implILb1ES3_PtS7_t11plus_mod_10ItEEE10hipError_tPvRmT1_T2_T3_mT4_P12ihipStream_tbEUlT_E1_NS1_11comp_targetILNS1_3genE5ELNS1_11target_archE942ELNS1_3gpuE9ELNS1_3repE0EEENS1_30default_config_static_selectorELNS0_4arch9wavefront6targetE1EEEvSD_.num_named_barrier, 0
	.set _ZN7rocprim17ROCPRIM_400000_NS6detail17trampoline_kernelINS0_14default_configENS1_22reduce_config_selectorItEEZNS1_11reduce_implILb1ES3_PtS7_t11plus_mod_10ItEEE10hipError_tPvRmT1_T2_T3_mT4_P12ihipStream_tbEUlT_E1_NS1_11comp_targetILNS1_3genE5ELNS1_11target_archE942ELNS1_3gpuE9ELNS1_3repE0EEENS1_30default_config_static_selectorELNS0_4arch9wavefront6targetE1EEEvSD_.private_seg_size, 0
	.set _ZN7rocprim17ROCPRIM_400000_NS6detail17trampoline_kernelINS0_14default_configENS1_22reduce_config_selectorItEEZNS1_11reduce_implILb1ES3_PtS7_t11plus_mod_10ItEEE10hipError_tPvRmT1_T2_T3_mT4_P12ihipStream_tbEUlT_E1_NS1_11comp_targetILNS1_3genE5ELNS1_11target_archE942ELNS1_3gpuE9ELNS1_3repE0EEENS1_30default_config_static_selectorELNS0_4arch9wavefront6targetE1EEEvSD_.uses_vcc, 0
	.set _ZN7rocprim17ROCPRIM_400000_NS6detail17trampoline_kernelINS0_14default_configENS1_22reduce_config_selectorItEEZNS1_11reduce_implILb1ES3_PtS7_t11plus_mod_10ItEEE10hipError_tPvRmT1_T2_T3_mT4_P12ihipStream_tbEUlT_E1_NS1_11comp_targetILNS1_3genE5ELNS1_11target_archE942ELNS1_3gpuE9ELNS1_3repE0EEENS1_30default_config_static_selectorELNS0_4arch9wavefront6targetE1EEEvSD_.uses_flat_scratch, 0
	.set _ZN7rocprim17ROCPRIM_400000_NS6detail17trampoline_kernelINS0_14default_configENS1_22reduce_config_selectorItEEZNS1_11reduce_implILb1ES3_PtS7_t11plus_mod_10ItEEE10hipError_tPvRmT1_T2_T3_mT4_P12ihipStream_tbEUlT_E1_NS1_11comp_targetILNS1_3genE5ELNS1_11target_archE942ELNS1_3gpuE9ELNS1_3repE0EEENS1_30default_config_static_selectorELNS0_4arch9wavefront6targetE1EEEvSD_.has_dyn_sized_stack, 0
	.set _ZN7rocprim17ROCPRIM_400000_NS6detail17trampoline_kernelINS0_14default_configENS1_22reduce_config_selectorItEEZNS1_11reduce_implILb1ES3_PtS7_t11plus_mod_10ItEEE10hipError_tPvRmT1_T2_T3_mT4_P12ihipStream_tbEUlT_E1_NS1_11comp_targetILNS1_3genE5ELNS1_11target_archE942ELNS1_3gpuE9ELNS1_3repE0EEENS1_30default_config_static_selectorELNS0_4arch9wavefront6targetE1EEEvSD_.has_recursion, 0
	.set _ZN7rocprim17ROCPRIM_400000_NS6detail17trampoline_kernelINS0_14default_configENS1_22reduce_config_selectorItEEZNS1_11reduce_implILb1ES3_PtS7_t11plus_mod_10ItEEE10hipError_tPvRmT1_T2_T3_mT4_P12ihipStream_tbEUlT_E1_NS1_11comp_targetILNS1_3genE5ELNS1_11target_archE942ELNS1_3gpuE9ELNS1_3repE0EEENS1_30default_config_static_selectorELNS0_4arch9wavefront6targetE1EEEvSD_.has_indirect_call, 0
	.section	.AMDGPU.csdata,"",@progbits
; Kernel info:
; codeLenInByte = 0
; TotalNumSgprs: 6
; NumVgprs: 0
; NumAgprs: 0
; TotalNumVgprs: 0
; ScratchSize: 0
; MemoryBound: 0
; FloatMode: 240
; IeeeMode: 1
; LDSByteSize: 0 bytes/workgroup (compile time only)
; SGPRBlocks: 0
; VGPRBlocks: 0
; NumSGPRsForWavesPerEU: 6
; NumVGPRsForWavesPerEU: 1
; AccumOffset: 4
; Occupancy: 8
; WaveLimiterHint : 0
; COMPUTE_PGM_RSRC2:SCRATCH_EN: 0
; COMPUTE_PGM_RSRC2:USER_SGPR: 2
; COMPUTE_PGM_RSRC2:TRAP_HANDLER: 0
; COMPUTE_PGM_RSRC2:TGID_X_EN: 1
; COMPUTE_PGM_RSRC2:TGID_Y_EN: 0
; COMPUTE_PGM_RSRC2:TGID_Z_EN: 0
; COMPUTE_PGM_RSRC2:TIDIG_COMP_CNT: 0
; COMPUTE_PGM_RSRC3_GFX90A:ACCUM_OFFSET: 0
; COMPUTE_PGM_RSRC3_GFX90A:TG_SPLIT: 0
	.section	.text._ZN7rocprim17ROCPRIM_400000_NS6detail17trampoline_kernelINS0_14default_configENS1_22reduce_config_selectorItEEZNS1_11reduce_implILb1ES3_PtS7_t11plus_mod_10ItEEE10hipError_tPvRmT1_T2_T3_mT4_P12ihipStream_tbEUlT_E1_NS1_11comp_targetILNS1_3genE4ELNS1_11target_archE910ELNS1_3gpuE8ELNS1_3repE0EEENS1_30default_config_static_selectorELNS0_4arch9wavefront6targetE1EEEvSD_,"axG",@progbits,_ZN7rocprim17ROCPRIM_400000_NS6detail17trampoline_kernelINS0_14default_configENS1_22reduce_config_selectorItEEZNS1_11reduce_implILb1ES3_PtS7_t11plus_mod_10ItEEE10hipError_tPvRmT1_T2_T3_mT4_P12ihipStream_tbEUlT_E1_NS1_11comp_targetILNS1_3genE4ELNS1_11target_archE910ELNS1_3gpuE8ELNS1_3repE0EEENS1_30default_config_static_selectorELNS0_4arch9wavefront6targetE1EEEvSD_,comdat
	.protected	_ZN7rocprim17ROCPRIM_400000_NS6detail17trampoline_kernelINS0_14default_configENS1_22reduce_config_selectorItEEZNS1_11reduce_implILb1ES3_PtS7_t11plus_mod_10ItEEE10hipError_tPvRmT1_T2_T3_mT4_P12ihipStream_tbEUlT_E1_NS1_11comp_targetILNS1_3genE4ELNS1_11target_archE910ELNS1_3gpuE8ELNS1_3repE0EEENS1_30default_config_static_selectorELNS0_4arch9wavefront6targetE1EEEvSD_ ; -- Begin function _ZN7rocprim17ROCPRIM_400000_NS6detail17trampoline_kernelINS0_14default_configENS1_22reduce_config_selectorItEEZNS1_11reduce_implILb1ES3_PtS7_t11plus_mod_10ItEEE10hipError_tPvRmT1_T2_T3_mT4_P12ihipStream_tbEUlT_E1_NS1_11comp_targetILNS1_3genE4ELNS1_11target_archE910ELNS1_3gpuE8ELNS1_3repE0EEENS1_30default_config_static_selectorELNS0_4arch9wavefront6targetE1EEEvSD_
	.globl	_ZN7rocprim17ROCPRIM_400000_NS6detail17trampoline_kernelINS0_14default_configENS1_22reduce_config_selectorItEEZNS1_11reduce_implILb1ES3_PtS7_t11plus_mod_10ItEEE10hipError_tPvRmT1_T2_T3_mT4_P12ihipStream_tbEUlT_E1_NS1_11comp_targetILNS1_3genE4ELNS1_11target_archE910ELNS1_3gpuE8ELNS1_3repE0EEENS1_30default_config_static_selectorELNS0_4arch9wavefront6targetE1EEEvSD_
	.p2align	8
	.type	_ZN7rocprim17ROCPRIM_400000_NS6detail17trampoline_kernelINS0_14default_configENS1_22reduce_config_selectorItEEZNS1_11reduce_implILb1ES3_PtS7_t11plus_mod_10ItEEE10hipError_tPvRmT1_T2_T3_mT4_P12ihipStream_tbEUlT_E1_NS1_11comp_targetILNS1_3genE4ELNS1_11target_archE910ELNS1_3gpuE8ELNS1_3repE0EEENS1_30default_config_static_selectorELNS0_4arch9wavefront6targetE1EEEvSD_,@function
_ZN7rocprim17ROCPRIM_400000_NS6detail17trampoline_kernelINS0_14default_configENS1_22reduce_config_selectorItEEZNS1_11reduce_implILb1ES3_PtS7_t11plus_mod_10ItEEE10hipError_tPvRmT1_T2_T3_mT4_P12ihipStream_tbEUlT_E1_NS1_11comp_targetILNS1_3genE4ELNS1_11target_archE910ELNS1_3gpuE8ELNS1_3repE0EEENS1_30default_config_static_selectorELNS0_4arch9wavefront6targetE1EEEvSD_: ; @_ZN7rocprim17ROCPRIM_400000_NS6detail17trampoline_kernelINS0_14default_configENS1_22reduce_config_selectorItEEZNS1_11reduce_implILb1ES3_PtS7_t11plus_mod_10ItEEE10hipError_tPvRmT1_T2_T3_mT4_P12ihipStream_tbEUlT_E1_NS1_11comp_targetILNS1_3genE4ELNS1_11target_archE910ELNS1_3gpuE8ELNS1_3repE0EEENS1_30default_config_static_selectorELNS0_4arch9wavefront6targetE1EEEvSD_
; %bb.0:
	.section	.rodata,"a",@progbits
	.p2align	6, 0x0
	.amdhsa_kernel _ZN7rocprim17ROCPRIM_400000_NS6detail17trampoline_kernelINS0_14default_configENS1_22reduce_config_selectorItEEZNS1_11reduce_implILb1ES3_PtS7_t11plus_mod_10ItEEE10hipError_tPvRmT1_T2_T3_mT4_P12ihipStream_tbEUlT_E1_NS1_11comp_targetILNS1_3genE4ELNS1_11target_archE910ELNS1_3gpuE8ELNS1_3repE0EEENS1_30default_config_static_selectorELNS0_4arch9wavefront6targetE1EEEvSD_
		.amdhsa_group_segment_fixed_size 0
		.amdhsa_private_segment_fixed_size 0
		.amdhsa_kernarg_size 40
		.amdhsa_user_sgpr_count 2
		.amdhsa_user_sgpr_dispatch_ptr 0
		.amdhsa_user_sgpr_queue_ptr 0
		.amdhsa_user_sgpr_kernarg_segment_ptr 1
		.amdhsa_user_sgpr_dispatch_id 0
		.amdhsa_user_sgpr_kernarg_preload_length 0
		.amdhsa_user_sgpr_kernarg_preload_offset 0
		.amdhsa_user_sgpr_private_segment_size 0
		.amdhsa_uses_dynamic_stack 0
		.amdhsa_enable_private_segment 0
		.amdhsa_system_sgpr_workgroup_id_x 1
		.amdhsa_system_sgpr_workgroup_id_y 0
		.amdhsa_system_sgpr_workgroup_id_z 0
		.amdhsa_system_sgpr_workgroup_info 0
		.amdhsa_system_vgpr_workitem_id 0
		.amdhsa_next_free_vgpr 1
		.amdhsa_next_free_sgpr 0
		.amdhsa_accum_offset 4
		.amdhsa_reserve_vcc 0
		.amdhsa_float_round_mode_32 0
		.amdhsa_float_round_mode_16_64 0
		.amdhsa_float_denorm_mode_32 3
		.amdhsa_float_denorm_mode_16_64 3
		.amdhsa_dx10_clamp 1
		.amdhsa_ieee_mode 1
		.amdhsa_fp16_overflow 0
		.amdhsa_tg_split 0
		.amdhsa_exception_fp_ieee_invalid_op 0
		.amdhsa_exception_fp_denorm_src 0
		.amdhsa_exception_fp_ieee_div_zero 0
		.amdhsa_exception_fp_ieee_overflow 0
		.amdhsa_exception_fp_ieee_underflow 0
		.amdhsa_exception_fp_ieee_inexact 0
		.amdhsa_exception_int_div_zero 0
	.end_amdhsa_kernel
	.section	.text._ZN7rocprim17ROCPRIM_400000_NS6detail17trampoline_kernelINS0_14default_configENS1_22reduce_config_selectorItEEZNS1_11reduce_implILb1ES3_PtS7_t11plus_mod_10ItEEE10hipError_tPvRmT1_T2_T3_mT4_P12ihipStream_tbEUlT_E1_NS1_11comp_targetILNS1_3genE4ELNS1_11target_archE910ELNS1_3gpuE8ELNS1_3repE0EEENS1_30default_config_static_selectorELNS0_4arch9wavefront6targetE1EEEvSD_,"axG",@progbits,_ZN7rocprim17ROCPRIM_400000_NS6detail17trampoline_kernelINS0_14default_configENS1_22reduce_config_selectorItEEZNS1_11reduce_implILb1ES3_PtS7_t11plus_mod_10ItEEE10hipError_tPvRmT1_T2_T3_mT4_P12ihipStream_tbEUlT_E1_NS1_11comp_targetILNS1_3genE4ELNS1_11target_archE910ELNS1_3gpuE8ELNS1_3repE0EEENS1_30default_config_static_selectorELNS0_4arch9wavefront6targetE1EEEvSD_,comdat
.Lfunc_end632:
	.size	_ZN7rocprim17ROCPRIM_400000_NS6detail17trampoline_kernelINS0_14default_configENS1_22reduce_config_selectorItEEZNS1_11reduce_implILb1ES3_PtS7_t11plus_mod_10ItEEE10hipError_tPvRmT1_T2_T3_mT4_P12ihipStream_tbEUlT_E1_NS1_11comp_targetILNS1_3genE4ELNS1_11target_archE910ELNS1_3gpuE8ELNS1_3repE0EEENS1_30default_config_static_selectorELNS0_4arch9wavefront6targetE1EEEvSD_, .Lfunc_end632-_ZN7rocprim17ROCPRIM_400000_NS6detail17trampoline_kernelINS0_14default_configENS1_22reduce_config_selectorItEEZNS1_11reduce_implILb1ES3_PtS7_t11plus_mod_10ItEEE10hipError_tPvRmT1_T2_T3_mT4_P12ihipStream_tbEUlT_E1_NS1_11comp_targetILNS1_3genE4ELNS1_11target_archE910ELNS1_3gpuE8ELNS1_3repE0EEENS1_30default_config_static_selectorELNS0_4arch9wavefront6targetE1EEEvSD_
                                        ; -- End function
	.set _ZN7rocprim17ROCPRIM_400000_NS6detail17trampoline_kernelINS0_14default_configENS1_22reduce_config_selectorItEEZNS1_11reduce_implILb1ES3_PtS7_t11plus_mod_10ItEEE10hipError_tPvRmT1_T2_T3_mT4_P12ihipStream_tbEUlT_E1_NS1_11comp_targetILNS1_3genE4ELNS1_11target_archE910ELNS1_3gpuE8ELNS1_3repE0EEENS1_30default_config_static_selectorELNS0_4arch9wavefront6targetE1EEEvSD_.num_vgpr, 0
	.set _ZN7rocprim17ROCPRIM_400000_NS6detail17trampoline_kernelINS0_14default_configENS1_22reduce_config_selectorItEEZNS1_11reduce_implILb1ES3_PtS7_t11plus_mod_10ItEEE10hipError_tPvRmT1_T2_T3_mT4_P12ihipStream_tbEUlT_E1_NS1_11comp_targetILNS1_3genE4ELNS1_11target_archE910ELNS1_3gpuE8ELNS1_3repE0EEENS1_30default_config_static_selectorELNS0_4arch9wavefront6targetE1EEEvSD_.num_agpr, 0
	.set _ZN7rocprim17ROCPRIM_400000_NS6detail17trampoline_kernelINS0_14default_configENS1_22reduce_config_selectorItEEZNS1_11reduce_implILb1ES3_PtS7_t11plus_mod_10ItEEE10hipError_tPvRmT1_T2_T3_mT4_P12ihipStream_tbEUlT_E1_NS1_11comp_targetILNS1_3genE4ELNS1_11target_archE910ELNS1_3gpuE8ELNS1_3repE0EEENS1_30default_config_static_selectorELNS0_4arch9wavefront6targetE1EEEvSD_.numbered_sgpr, 0
	.set _ZN7rocprim17ROCPRIM_400000_NS6detail17trampoline_kernelINS0_14default_configENS1_22reduce_config_selectorItEEZNS1_11reduce_implILb1ES3_PtS7_t11plus_mod_10ItEEE10hipError_tPvRmT1_T2_T3_mT4_P12ihipStream_tbEUlT_E1_NS1_11comp_targetILNS1_3genE4ELNS1_11target_archE910ELNS1_3gpuE8ELNS1_3repE0EEENS1_30default_config_static_selectorELNS0_4arch9wavefront6targetE1EEEvSD_.num_named_barrier, 0
	.set _ZN7rocprim17ROCPRIM_400000_NS6detail17trampoline_kernelINS0_14default_configENS1_22reduce_config_selectorItEEZNS1_11reduce_implILb1ES3_PtS7_t11plus_mod_10ItEEE10hipError_tPvRmT1_T2_T3_mT4_P12ihipStream_tbEUlT_E1_NS1_11comp_targetILNS1_3genE4ELNS1_11target_archE910ELNS1_3gpuE8ELNS1_3repE0EEENS1_30default_config_static_selectorELNS0_4arch9wavefront6targetE1EEEvSD_.private_seg_size, 0
	.set _ZN7rocprim17ROCPRIM_400000_NS6detail17trampoline_kernelINS0_14default_configENS1_22reduce_config_selectorItEEZNS1_11reduce_implILb1ES3_PtS7_t11plus_mod_10ItEEE10hipError_tPvRmT1_T2_T3_mT4_P12ihipStream_tbEUlT_E1_NS1_11comp_targetILNS1_3genE4ELNS1_11target_archE910ELNS1_3gpuE8ELNS1_3repE0EEENS1_30default_config_static_selectorELNS0_4arch9wavefront6targetE1EEEvSD_.uses_vcc, 0
	.set _ZN7rocprim17ROCPRIM_400000_NS6detail17trampoline_kernelINS0_14default_configENS1_22reduce_config_selectorItEEZNS1_11reduce_implILb1ES3_PtS7_t11plus_mod_10ItEEE10hipError_tPvRmT1_T2_T3_mT4_P12ihipStream_tbEUlT_E1_NS1_11comp_targetILNS1_3genE4ELNS1_11target_archE910ELNS1_3gpuE8ELNS1_3repE0EEENS1_30default_config_static_selectorELNS0_4arch9wavefront6targetE1EEEvSD_.uses_flat_scratch, 0
	.set _ZN7rocprim17ROCPRIM_400000_NS6detail17trampoline_kernelINS0_14default_configENS1_22reduce_config_selectorItEEZNS1_11reduce_implILb1ES3_PtS7_t11plus_mod_10ItEEE10hipError_tPvRmT1_T2_T3_mT4_P12ihipStream_tbEUlT_E1_NS1_11comp_targetILNS1_3genE4ELNS1_11target_archE910ELNS1_3gpuE8ELNS1_3repE0EEENS1_30default_config_static_selectorELNS0_4arch9wavefront6targetE1EEEvSD_.has_dyn_sized_stack, 0
	.set _ZN7rocprim17ROCPRIM_400000_NS6detail17trampoline_kernelINS0_14default_configENS1_22reduce_config_selectorItEEZNS1_11reduce_implILb1ES3_PtS7_t11plus_mod_10ItEEE10hipError_tPvRmT1_T2_T3_mT4_P12ihipStream_tbEUlT_E1_NS1_11comp_targetILNS1_3genE4ELNS1_11target_archE910ELNS1_3gpuE8ELNS1_3repE0EEENS1_30default_config_static_selectorELNS0_4arch9wavefront6targetE1EEEvSD_.has_recursion, 0
	.set _ZN7rocprim17ROCPRIM_400000_NS6detail17trampoline_kernelINS0_14default_configENS1_22reduce_config_selectorItEEZNS1_11reduce_implILb1ES3_PtS7_t11plus_mod_10ItEEE10hipError_tPvRmT1_T2_T3_mT4_P12ihipStream_tbEUlT_E1_NS1_11comp_targetILNS1_3genE4ELNS1_11target_archE910ELNS1_3gpuE8ELNS1_3repE0EEENS1_30default_config_static_selectorELNS0_4arch9wavefront6targetE1EEEvSD_.has_indirect_call, 0
	.section	.AMDGPU.csdata,"",@progbits
; Kernel info:
; codeLenInByte = 0
; TotalNumSgprs: 6
; NumVgprs: 0
; NumAgprs: 0
; TotalNumVgprs: 0
; ScratchSize: 0
; MemoryBound: 0
; FloatMode: 240
; IeeeMode: 1
; LDSByteSize: 0 bytes/workgroup (compile time only)
; SGPRBlocks: 0
; VGPRBlocks: 0
; NumSGPRsForWavesPerEU: 6
; NumVGPRsForWavesPerEU: 1
; AccumOffset: 4
; Occupancy: 8
; WaveLimiterHint : 0
; COMPUTE_PGM_RSRC2:SCRATCH_EN: 0
; COMPUTE_PGM_RSRC2:USER_SGPR: 2
; COMPUTE_PGM_RSRC2:TRAP_HANDLER: 0
; COMPUTE_PGM_RSRC2:TGID_X_EN: 1
; COMPUTE_PGM_RSRC2:TGID_Y_EN: 0
; COMPUTE_PGM_RSRC2:TGID_Z_EN: 0
; COMPUTE_PGM_RSRC2:TIDIG_COMP_CNT: 0
; COMPUTE_PGM_RSRC3_GFX90A:ACCUM_OFFSET: 0
; COMPUTE_PGM_RSRC3_GFX90A:TG_SPLIT: 0
	.section	.text._ZN7rocprim17ROCPRIM_400000_NS6detail17trampoline_kernelINS0_14default_configENS1_22reduce_config_selectorItEEZNS1_11reduce_implILb1ES3_PtS7_t11plus_mod_10ItEEE10hipError_tPvRmT1_T2_T3_mT4_P12ihipStream_tbEUlT_E1_NS1_11comp_targetILNS1_3genE3ELNS1_11target_archE908ELNS1_3gpuE7ELNS1_3repE0EEENS1_30default_config_static_selectorELNS0_4arch9wavefront6targetE1EEEvSD_,"axG",@progbits,_ZN7rocprim17ROCPRIM_400000_NS6detail17trampoline_kernelINS0_14default_configENS1_22reduce_config_selectorItEEZNS1_11reduce_implILb1ES3_PtS7_t11plus_mod_10ItEEE10hipError_tPvRmT1_T2_T3_mT4_P12ihipStream_tbEUlT_E1_NS1_11comp_targetILNS1_3genE3ELNS1_11target_archE908ELNS1_3gpuE7ELNS1_3repE0EEENS1_30default_config_static_selectorELNS0_4arch9wavefront6targetE1EEEvSD_,comdat
	.protected	_ZN7rocprim17ROCPRIM_400000_NS6detail17trampoline_kernelINS0_14default_configENS1_22reduce_config_selectorItEEZNS1_11reduce_implILb1ES3_PtS7_t11plus_mod_10ItEEE10hipError_tPvRmT1_T2_T3_mT4_P12ihipStream_tbEUlT_E1_NS1_11comp_targetILNS1_3genE3ELNS1_11target_archE908ELNS1_3gpuE7ELNS1_3repE0EEENS1_30default_config_static_selectorELNS0_4arch9wavefront6targetE1EEEvSD_ ; -- Begin function _ZN7rocprim17ROCPRIM_400000_NS6detail17trampoline_kernelINS0_14default_configENS1_22reduce_config_selectorItEEZNS1_11reduce_implILb1ES3_PtS7_t11plus_mod_10ItEEE10hipError_tPvRmT1_T2_T3_mT4_P12ihipStream_tbEUlT_E1_NS1_11comp_targetILNS1_3genE3ELNS1_11target_archE908ELNS1_3gpuE7ELNS1_3repE0EEENS1_30default_config_static_selectorELNS0_4arch9wavefront6targetE1EEEvSD_
	.globl	_ZN7rocprim17ROCPRIM_400000_NS6detail17trampoline_kernelINS0_14default_configENS1_22reduce_config_selectorItEEZNS1_11reduce_implILb1ES3_PtS7_t11plus_mod_10ItEEE10hipError_tPvRmT1_T2_T3_mT4_P12ihipStream_tbEUlT_E1_NS1_11comp_targetILNS1_3genE3ELNS1_11target_archE908ELNS1_3gpuE7ELNS1_3repE0EEENS1_30default_config_static_selectorELNS0_4arch9wavefront6targetE1EEEvSD_
	.p2align	8
	.type	_ZN7rocprim17ROCPRIM_400000_NS6detail17trampoline_kernelINS0_14default_configENS1_22reduce_config_selectorItEEZNS1_11reduce_implILb1ES3_PtS7_t11plus_mod_10ItEEE10hipError_tPvRmT1_T2_T3_mT4_P12ihipStream_tbEUlT_E1_NS1_11comp_targetILNS1_3genE3ELNS1_11target_archE908ELNS1_3gpuE7ELNS1_3repE0EEENS1_30default_config_static_selectorELNS0_4arch9wavefront6targetE1EEEvSD_,@function
_ZN7rocprim17ROCPRIM_400000_NS6detail17trampoline_kernelINS0_14default_configENS1_22reduce_config_selectorItEEZNS1_11reduce_implILb1ES3_PtS7_t11plus_mod_10ItEEE10hipError_tPvRmT1_T2_T3_mT4_P12ihipStream_tbEUlT_E1_NS1_11comp_targetILNS1_3genE3ELNS1_11target_archE908ELNS1_3gpuE7ELNS1_3repE0EEENS1_30default_config_static_selectorELNS0_4arch9wavefront6targetE1EEEvSD_: ; @_ZN7rocprim17ROCPRIM_400000_NS6detail17trampoline_kernelINS0_14default_configENS1_22reduce_config_selectorItEEZNS1_11reduce_implILb1ES3_PtS7_t11plus_mod_10ItEEE10hipError_tPvRmT1_T2_T3_mT4_P12ihipStream_tbEUlT_E1_NS1_11comp_targetILNS1_3genE3ELNS1_11target_archE908ELNS1_3gpuE7ELNS1_3repE0EEENS1_30default_config_static_selectorELNS0_4arch9wavefront6targetE1EEEvSD_
; %bb.0:
	.section	.rodata,"a",@progbits
	.p2align	6, 0x0
	.amdhsa_kernel _ZN7rocprim17ROCPRIM_400000_NS6detail17trampoline_kernelINS0_14default_configENS1_22reduce_config_selectorItEEZNS1_11reduce_implILb1ES3_PtS7_t11plus_mod_10ItEEE10hipError_tPvRmT1_T2_T3_mT4_P12ihipStream_tbEUlT_E1_NS1_11comp_targetILNS1_3genE3ELNS1_11target_archE908ELNS1_3gpuE7ELNS1_3repE0EEENS1_30default_config_static_selectorELNS0_4arch9wavefront6targetE1EEEvSD_
		.amdhsa_group_segment_fixed_size 0
		.amdhsa_private_segment_fixed_size 0
		.amdhsa_kernarg_size 40
		.amdhsa_user_sgpr_count 2
		.amdhsa_user_sgpr_dispatch_ptr 0
		.amdhsa_user_sgpr_queue_ptr 0
		.amdhsa_user_sgpr_kernarg_segment_ptr 1
		.amdhsa_user_sgpr_dispatch_id 0
		.amdhsa_user_sgpr_kernarg_preload_length 0
		.amdhsa_user_sgpr_kernarg_preload_offset 0
		.amdhsa_user_sgpr_private_segment_size 0
		.amdhsa_uses_dynamic_stack 0
		.amdhsa_enable_private_segment 0
		.amdhsa_system_sgpr_workgroup_id_x 1
		.amdhsa_system_sgpr_workgroup_id_y 0
		.amdhsa_system_sgpr_workgroup_id_z 0
		.amdhsa_system_sgpr_workgroup_info 0
		.amdhsa_system_vgpr_workitem_id 0
		.amdhsa_next_free_vgpr 1
		.amdhsa_next_free_sgpr 0
		.amdhsa_accum_offset 4
		.amdhsa_reserve_vcc 0
		.amdhsa_float_round_mode_32 0
		.amdhsa_float_round_mode_16_64 0
		.amdhsa_float_denorm_mode_32 3
		.amdhsa_float_denorm_mode_16_64 3
		.amdhsa_dx10_clamp 1
		.amdhsa_ieee_mode 1
		.amdhsa_fp16_overflow 0
		.amdhsa_tg_split 0
		.amdhsa_exception_fp_ieee_invalid_op 0
		.amdhsa_exception_fp_denorm_src 0
		.amdhsa_exception_fp_ieee_div_zero 0
		.amdhsa_exception_fp_ieee_overflow 0
		.amdhsa_exception_fp_ieee_underflow 0
		.amdhsa_exception_fp_ieee_inexact 0
		.amdhsa_exception_int_div_zero 0
	.end_amdhsa_kernel
	.section	.text._ZN7rocprim17ROCPRIM_400000_NS6detail17trampoline_kernelINS0_14default_configENS1_22reduce_config_selectorItEEZNS1_11reduce_implILb1ES3_PtS7_t11plus_mod_10ItEEE10hipError_tPvRmT1_T2_T3_mT4_P12ihipStream_tbEUlT_E1_NS1_11comp_targetILNS1_3genE3ELNS1_11target_archE908ELNS1_3gpuE7ELNS1_3repE0EEENS1_30default_config_static_selectorELNS0_4arch9wavefront6targetE1EEEvSD_,"axG",@progbits,_ZN7rocprim17ROCPRIM_400000_NS6detail17trampoline_kernelINS0_14default_configENS1_22reduce_config_selectorItEEZNS1_11reduce_implILb1ES3_PtS7_t11plus_mod_10ItEEE10hipError_tPvRmT1_T2_T3_mT4_P12ihipStream_tbEUlT_E1_NS1_11comp_targetILNS1_3genE3ELNS1_11target_archE908ELNS1_3gpuE7ELNS1_3repE0EEENS1_30default_config_static_selectorELNS0_4arch9wavefront6targetE1EEEvSD_,comdat
.Lfunc_end633:
	.size	_ZN7rocprim17ROCPRIM_400000_NS6detail17trampoline_kernelINS0_14default_configENS1_22reduce_config_selectorItEEZNS1_11reduce_implILb1ES3_PtS7_t11plus_mod_10ItEEE10hipError_tPvRmT1_T2_T3_mT4_P12ihipStream_tbEUlT_E1_NS1_11comp_targetILNS1_3genE3ELNS1_11target_archE908ELNS1_3gpuE7ELNS1_3repE0EEENS1_30default_config_static_selectorELNS0_4arch9wavefront6targetE1EEEvSD_, .Lfunc_end633-_ZN7rocprim17ROCPRIM_400000_NS6detail17trampoline_kernelINS0_14default_configENS1_22reduce_config_selectorItEEZNS1_11reduce_implILb1ES3_PtS7_t11plus_mod_10ItEEE10hipError_tPvRmT1_T2_T3_mT4_P12ihipStream_tbEUlT_E1_NS1_11comp_targetILNS1_3genE3ELNS1_11target_archE908ELNS1_3gpuE7ELNS1_3repE0EEENS1_30default_config_static_selectorELNS0_4arch9wavefront6targetE1EEEvSD_
                                        ; -- End function
	.set _ZN7rocprim17ROCPRIM_400000_NS6detail17trampoline_kernelINS0_14default_configENS1_22reduce_config_selectorItEEZNS1_11reduce_implILb1ES3_PtS7_t11plus_mod_10ItEEE10hipError_tPvRmT1_T2_T3_mT4_P12ihipStream_tbEUlT_E1_NS1_11comp_targetILNS1_3genE3ELNS1_11target_archE908ELNS1_3gpuE7ELNS1_3repE0EEENS1_30default_config_static_selectorELNS0_4arch9wavefront6targetE1EEEvSD_.num_vgpr, 0
	.set _ZN7rocprim17ROCPRIM_400000_NS6detail17trampoline_kernelINS0_14default_configENS1_22reduce_config_selectorItEEZNS1_11reduce_implILb1ES3_PtS7_t11plus_mod_10ItEEE10hipError_tPvRmT1_T2_T3_mT4_P12ihipStream_tbEUlT_E1_NS1_11comp_targetILNS1_3genE3ELNS1_11target_archE908ELNS1_3gpuE7ELNS1_3repE0EEENS1_30default_config_static_selectorELNS0_4arch9wavefront6targetE1EEEvSD_.num_agpr, 0
	.set _ZN7rocprim17ROCPRIM_400000_NS6detail17trampoline_kernelINS0_14default_configENS1_22reduce_config_selectorItEEZNS1_11reduce_implILb1ES3_PtS7_t11plus_mod_10ItEEE10hipError_tPvRmT1_T2_T3_mT4_P12ihipStream_tbEUlT_E1_NS1_11comp_targetILNS1_3genE3ELNS1_11target_archE908ELNS1_3gpuE7ELNS1_3repE0EEENS1_30default_config_static_selectorELNS0_4arch9wavefront6targetE1EEEvSD_.numbered_sgpr, 0
	.set _ZN7rocprim17ROCPRIM_400000_NS6detail17trampoline_kernelINS0_14default_configENS1_22reduce_config_selectorItEEZNS1_11reduce_implILb1ES3_PtS7_t11plus_mod_10ItEEE10hipError_tPvRmT1_T2_T3_mT4_P12ihipStream_tbEUlT_E1_NS1_11comp_targetILNS1_3genE3ELNS1_11target_archE908ELNS1_3gpuE7ELNS1_3repE0EEENS1_30default_config_static_selectorELNS0_4arch9wavefront6targetE1EEEvSD_.num_named_barrier, 0
	.set _ZN7rocprim17ROCPRIM_400000_NS6detail17trampoline_kernelINS0_14default_configENS1_22reduce_config_selectorItEEZNS1_11reduce_implILb1ES3_PtS7_t11plus_mod_10ItEEE10hipError_tPvRmT1_T2_T3_mT4_P12ihipStream_tbEUlT_E1_NS1_11comp_targetILNS1_3genE3ELNS1_11target_archE908ELNS1_3gpuE7ELNS1_3repE0EEENS1_30default_config_static_selectorELNS0_4arch9wavefront6targetE1EEEvSD_.private_seg_size, 0
	.set _ZN7rocprim17ROCPRIM_400000_NS6detail17trampoline_kernelINS0_14default_configENS1_22reduce_config_selectorItEEZNS1_11reduce_implILb1ES3_PtS7_t11plus_mod_10ItEEE10hipError_tPvRmT1_T2_T3_mT4_P12ihipStream_tbEUlT_E1_NS1_11comp_targetILNS1_3genE3ELNS1_11target_archE908ELNS1_3gpuE7ELNS1_3repE0EEENS1_30default_config_static_selectorELNS0_4arch9wavefront6targetE1EEEvSD_.uses_vcc, 0
	.set _ZN7rocprim17ROCPRIM_400000_NS6detail17trampoline_kernelINS0_14default_configENS1_22reduce_config_selectorItEEZNS1_11reduce_implILb1ES3_PtS7_t11plus_mod_10ItEEE10hipError_tPvRmT1_T2_T3_mT4_P12ihipStream_tbEUlT_E1_NS1_11comp_targetILNS1_3genE3ELNS1_11target_archE908ELNS1_3gpuE7ELNS1_3repE0EEENS1_30default_config_static_selectorELNS0_4arch9wavefront6targetE1EEEvSD_.uses_flat_scratch, 0
	.set _ZN7rocprim17ROCPRIM_400000_NS6detail17trampoline_kernelINS0_14default_configENS1_22reduce_config_selectorItEEZNS1_11reduce_implILb1ES3_PtS7_t11plus_mod_10ItEEE10hipError_tPvRmT1_T2_T3_mT4_P12ihipStream_tbEUlT_E1_NS1_11comp_targetILNS1_3genE3ELNS1_11target_archE908ELNS1_3gpuE7ELNS1_3repE0EEENS1_30default_config_static_selectorELNS0_4arch9wavefront6targetE1EEEvSD_.has_dyn_sized_stack, 0
	.set _ZN7rocprim17ROCPRIM_400000_NS6detail17trampoline_kernelINS0_14default_configENS1_22reduce_config_selectorItEEZNS1_11reduce_implILb1ES3_PtS7_t11plus_mod_10ItEEE10hipError_tPvRmT1_T2_T3_mT4_P12ihipStream_tbEUlT_E1_NS1_11comp_targetILNS1_3genE3ELNS1_11target_archE908ELNS1_3gpuE7ELNS1_3repE0EEENS1_30default_config_static_selectorELNS0_4arch9wavefront6targetE1EEEvSD_.has_recursion, 0
	.set _ZN7rocprim17ROCPRIM_400000_NS6detail17trampoline_kernelINS0_14default_configENS1_22reduce_config_selectorItEEZNS1_11reduce_implILb1ES3_PtS7_t11plus_mod_10ItEEE10hipError_tPvRmT1_T2_T3_mT4_P12ihipStream_tbEUlT_E1_NS1_11comp_targetILNS1_3genE3ELNS1_11target_archE908ELNS1_3gpuE7ELNS1_3repE0EEENS1_30default_config_static_selectorELNS0_4arch9wavefront6targetE1EEEvSD_.has_indirect_call, 0
	.section	.AMDGPU.csdata,"",@progbits
; Kernel info:
; codeLenInByte = 0
; TotalNumSgprs: 6
; NumVgprs: 0
; NumAgprs: 0
; TotalNumVgprs: 0
; ScratchSize: 0
; MemoryBound: 0
; FloatMode: 240
; IeeeMode: 1
; LDSByteSize: 0 bytes/workgroup (compile time only)
; SGPRBlocks: 0
; VGPRBlocks: 0
; NumSGPRsForWavesPerEU: 6
; NumVGPRsForWavesPerEU: 1
; AccumOffset: 4
; Occupancy: 8
; WaveLimiterHint : 0
; COMPUTE_PGM_RSRC2:SCRATCH_EN: 0
; COMPUTE_PGM_RSRC2:USER_SGPR: 2
; COMPUTE_PGM_RSRC2:TRAP_HANDLER: 0
; COMPUTE_PGM_RSRC2:TGID_X_EN: 1
; COMPUTE_PGM_RSRC2:TGID_Y_EN: 0
; COMPUTE_PGM_RSRC2:TGID_Z_EN: 0
; COMPUTE_PGM_RSRC2:TIDIG_COMP_CNT: 0
; COMPUTE_PGM_RSRC3_GFX90A:ACCUM_OFFSET: 0
; COMPUTE_PGM_RSRC3_GFX90A:TG_SPLIT: 0
	.section	.text._ZN7rocprim17ROCPRIM_400000_NS6detail17trampoline_kernelINS0_14default_configENS1_22reduce_config_selectorItEEZNS1_11reduce_implILb1ES3_PtS7_t11plus_mod_10ItEEE10hipError_tPvRmT1_T2_T3_mT4_P12ihipStream_tbEUlT_E1_NS1_11comp_targetILNS1_3genE2ELNS1_11target_archE906ELNS1_3gpuE6ELNS1_3repE0EEENS1_30default_config_static_selectorELNS0_4arch9wavefront6targetE1EEEvSD_,"axG",@progbits,_ZN7rocprim17ROCPRIM_400000_NS6detail17trampoline_kernelINS0_14default_configENS1_22reduce_config_selectorItEEZNS1_11reduce_implILb1ES3_PtS7_t11plus_mod_10ItEEE10hipError_tPvRmT1_T2_T3_mT4_P12ihipStream_tbEUlT_E1_NS1_11comp_targetILNS1_3genE2ELNS1_11target_archE906ELNS1_3gpuE6ELNS1_3repE0EEENS1_30default_config_static_selectorELNS0_4arch9wavefront6targetE1EEEvSD_,comdat
	.protected	_ZN7rocprim17ROCPRIM_400000_NS6detail17trampoline_kernelINS0_14default_configENS1_22reduce_config_selectorItEEZNS1_11reduce_implILb1ES3_PtS7_t11plus_mod_10ItEEE10hipError_tPvRmT1_T2_T3_mT4_P12ihipStream_tbEUlT_E1_NS1_11comp_targetILNS1_3genE2ELNS1_11target_archE906ELNS1_3gpuE6ELNS1_3repE0EEENS1_30default_config_static_selectorELNS0_4arch9wavefront6targetE1EEEvSD_ ; -- Begin function _ZN7rocprim17ROCPRIM_400000_NS6detail17trampoline_kernelINS0_14default_configENS1_22reduce_config_selectorItEEZNS1_11reduce_implILb1ES3_PtS7_t11plus_mod_10ItEEE10hipError_tPvRmT1_T2_T3_mT4_P12ihipStream_tbEUlT_E1_NS1_11comp_targetILNS1_3genE2ELNS1_11target_archE906ELNS1_3gpuE6ELNS1_3repE0EEENS1_30default_config_static_selectorELNS0_4arch9wavefront6targetE1EEEvSD_
	.globl	_ZN7rocprim17ROCPRIM_400000_NS6detail17trampoline_kernelINS0_14default_configENS1_22reduce_config_selectorItEEZNS1_11reduce_implILb1ES3_PtS7_t11plus_mod_10ItEEE10hipError_tPvRmT1_T2_T3_mT4_P12ihipStream_tbEUlT_E1_NS1_11comp_targetILNS1_3genE2ELNS1_11target_archE906ELNS1_3gpuE6ELNS1_3repE0EEENS1_30default_config_static_selectorELNS0_4arch9wavefront6targetE1EEEvSD_
	.p2align	8
	.type	_ZN7rocprim17ROCPRIM_400000_NS6detail17trampoline_kernelINS0_14default_configENS1_22reduce_config_selectorItEEZNS1_11reduce_implILb1ES3_PtS7_t11plus_mod_10ItEEE10hipError_tPvRmT1_T2_T3_mT4_P12ihipStream_tbEUlT_E1_NS1_11comp_targetILNS1_3genE2ELNS1_11target_archE906ELNS1_3gpuE6ELNS1_3repE0EEENS1_30default_config_static_selectorELNS0_4arch9wavefront6targetE1EEEvSD_,@function
_ZN7rocprim17ROCPRIM_400000_NS6detail17trampoline_kernelINS0_14default_configENS1_22reduce_config_selectorItEEZNS1_11reduce_implILb1ES3_PtS7_t11plus_mod_10ItEEE10hipError_tPvRmT1_T2_T3_mT4_P12ihipStream_tbEUlT_E1_NS1_11comp_targetILNS1_3genE2ELNS1_11target_archE906ELNS1_3gpuE6ELNS1_3repE0EEENS1_30default_config_static_selectorELNS0_4arch9wavefront6targetE1EEEvSD_: ; @_ZN7rocprim17ROCPRIM_400000_NS6detail17trampoline_kernelINS0_14default_configENS1_22reduce_config_selectorItEEZNS1_11reduce_implILb1ES3_PtS7_t11plus_mod_10ItEEE10hipError_tPvRmT1_T2_T3_mT4_P12ihipStream_tbEUlT_E1_NS1_11comp_targetILNS1_3genE2ELNS1_11target_archE906ELNS1_3gpuE6ELNS1_3repE0EEENS1_30default_config_static_selectorELNS0_4arch9wavefront6targetE1EEEvSD_
; %bb.0:
	.section	.rodata,"a",@progbits
	.p2align	6, 0x0
	.amdhsa_kernel _ZN7rocprim17ROCPRIM_400000_NS6detail17trampoline_kernelINS0_14default_configENS1_22reduce_config_selectorItEEZNS1_11reduce_implILb1ES3_PtS7_t11plus_mod_10ItEEE10hipError_tPvRmT1_T2_T3_mT4_P12ihipStream_tbEUlT_E1_NS1_11comp_targetILNS1_3genE2ELNS1_11target_archE906ELNS1_3gpuE6ELNS1_3repE0EEENS1_30default_config_static_selectorELNS0_4arch9wavefront6targetE1EEEvSD_
		.amdhsa_group_segment_fixed_size 0
		.amdhsa_private_segment_fixed_size 0
		.amdhsa_kernarg_size 40
		.amdhsa_user_sgpr_count 2
		.amdhsa_user_sgpr_dispatch_ptr 0
		.amdhsa_user_sgpr_queue_ptr 0
		.amdhsa_user_sgpr_kernarg_segment_ptr 1
		.amdhsa_user_sgpr_dispatch_id 0
		.amdhsa_user_sgpr_kernarg_preload_length 0
		.amdhsa_user_sgpr_kernarg_preload_offset 0
		.amdhsa_user_sgpr_private_segment_size 0
		.amdhsa_uses_dynamic_stack 0
		.amdhsa_enable_private_segment 0
		.amdhsa_system_sgpr_workgroup_id_x 1
		.amdhsa_system_sgpr_workgroup_id_y 0
		.amdhsa_system_sgpr_workgroup_id_z 0
		.amdhsa_system_sgpr_workgroup_info 0
		.amdhsa_system_vgpr_workitem_id 0
		.amdhsa_next_free_vgpr 1
		.amdhsa_next_free_sgpr 0
		.amdhsa_accum_offset 4
		.amdhsa_reserve_vcc 0
		.amdhsa_float_round_mode_32 0
		.amdhsa_float_round_mode_16_64 0
		.amdhsa_float_denorm_mode_32 3
		.amdhsa_float_denorm_mode_16_64 3
		.amdhsa_dx10_clamp 1
		.amdhsa_ieee_mode 1
		.amdhsa_fp16_overflow 0
		.amdhsa_tg_split 0
		.amdhsa_exception_fp_ieee_invalid_op 0
		.amdhsa_exception_fp_denorm_src 0
		.amdhsa_exception_fp_ieee_div_zero 0
		.amdhsa_exception_fp_ieee_overflow 0
		.amdhsa_exception_fp_ieee_underflow 0
		.amdhsa_exception_fp_ieee_inexact 0
		.amdhsa_exception_int_div_zero 0
	.end_amdhsa_kernel
	.section	.text._ZN7rocprim17ROCPRIM_400000_NS6detail17trampoline_kernelINS0_14default_configENS1_22reduce_config_selectorItEEZNS1_11reduce_implILb1ES3_PtS7_t11plus_mod_10ItEEE10hipError_tPvRmT1_T2_T3_mT4_P12ihipStream_tbEUlT_E1_NS1_11comp_targetILNS1_3genE2ELNS1_11target_archE906ELNS1_3gpuE6ELNS1_3repE0EEENS1_30default_config_static_selectorELNS0_4arch9wavefront6targetE1EEEvSD_,"axG",@progbits,_ZN7rocprim17ROCPRIM_400000_NS6detail17trampoline_kernelINS0_14default_configENS1_22reduce_config_selectorItEEZNS1_11reduce_implILb1ES3_PtS7_t11plus_mod_10ItEEE10hipError_tPvRmT1_T2_T3_mT4_P12ihipStream_tbEUlT_E1_NS1_11comp_targetILNS1_3genE2ELNS1_11target_archE906ELNS1_3gpuE6ELNS1_3repE0EEENS1_30default_config_static_selectorELNS0_4arch9wavefront6targetE1EEEvSD_,comdat
.Lfunc_end634:
	.size	_ZN7rocprim17ROCPRIM_400000_NS6detail17trampoline_kernelINS0_14default_configENS1_22reduce_config_selectorItEEZNS1_11reduce_implILb1ES3_PtS7_t11plus_mod_10ItEEE10hipError_tPvRmT1_T2_T3_mT4_P12ihipStream_tbEUlT_E1_NS1_11comp_targetILNS1_3genE2ELNS1_11target_archE906ELNS1_3gpuE6ELNS1_3repE0EEENS1_30default_config_static_selectorELNS0_4arch9wavefront6targetE1EEEvSD_, .Lfunc_end634-_ZN7rocprim17ROCPRIM_400000_NS6detail17trampoline_kernelINS0_14default_configENS1_22reduce_config_selectorItEEZNS1_11reduce_implILb1ES3_PtS7_t11plus_mod_10ItEEE10hipError_tPvRmT1_T2_T3_mT4_P12ihipStream_tbEUlT_E1_NS1_11comp_targetILNS1_3genE2ELNS1_11target_archE906ELNS1_3gpuE6ELNS1_3repE0EEENS1_30default_config_static_selectorELNS0_4arch9wavefront6targetE1EEEvSD_
                                        ; -- End function
	.set _ZN7rocprim17ROCPRIM_400000_NS6detail17trampoline_kernelINS0_14default_configENS1_22reduce_config_selectorItEEZNS1_11reduce_implILb1ES3_PtS7_t11plus_mod_10ItEEE10hipError_tPvRmT1_T2_T3_mT4_P12ihipStream_tbEUlT_E1_NS1_11comp_targetILNS1_3genE2ELNS1_11target_archE906ELNS1_3gpuE6ELNS1_3repE0EEENS1_30default_config_static_selectorELNS0_4arch9wavefront6targetE1EEEvSD_.num_vgpr, 0
	.set _ZN7rocprim17ROCPRIM_400000_NS6detail17trampoline_kernelINS0_14default_configENS1_22reduce_config_selectorItEEZNS1_11reduce_implILb1ES3_PtS7_t11plus_mod_10ItEEE10hipError_tPvRmT1_T2_T3_mT4_P12ihipStream_tbEUlT_E1_NS1_11comp_targetILNS1_3genE2ELNS1_11target_archE906ELNS1_3gpuE6ELNS1_3repE0EEENS1_30default_config_static_selectorELNS0_4arch9wavefront6targetE1EEEvSD_.num_agpr, 0
	.set _ZN7rocprim17ROCPRIM_400000_NS6detail17trampoline_kernelINS0_14default_configENS1_22reduce_config_selectorItEEZNS1_11reduce_implILb1ES3_PtS7_t11plus_mod_10ItEEE10hipError_tPvRmT1_T2_T3_mT4_P12ihipStream_tbEUlT_E1_NS1_11comp_targetILNS1_3genE2ELNS1_11target_archE906ELNS1_3gpuE6ELNS1_3repE0EEENS1_30default_config_static_selectorELNS0_4arch9wavefront6targetE1EEEvSD_.numbered_sgpr, 0
	.set _ZN7rocprim17ROCPRIM_400000_NS6detail17trampoline_kernelINS0_14default_configENS1_22reduce_config_selectorItEEZNS1_11reduce_implILb1ES3_PtS7_t11plus_mod_10ItEEE10hipError_tPvRmT1_T2_T3_mT4_P12ihipStream_tbEUlT_E1_NS1_11comp_targetILNS1_3genE2ELNS1_11target_archE906ELNS1_3gpuE6ELNS1_3repE0EEENS1_30default_config_static_selectorELNS0_4arch9wavefront6targetE1EEEvSD_.num_named_barrier, 0
	.set _ZN7rocprim17ROCPRIM_400000_NS6detail17trampoline_kernelINS0_14default_configENS1_22reduce_config_selectorItEEZNS1_11reduce_implILb1ES3_PtS7_t11plus_mod_10ItEEE10hipError_tPvRmT1_T2_T3_mT4_P12ihipStream_tbEUlT_E1_NS1_11comp_targetILNS1_3genE2ELNS1_11target_archE906ELNS1_3gpuE6ELNS1_3repE0EEENS1_30default_config_static_selectorELNS0_4arch9wavefront6targetE1EEEvSD_.private_seg_size, 0
	.set _ZN7rocprim17ROCPRIM_400000_NS6detail17trampoline_kernelINS0_14default_configENS1_22reduce_config_selectorItEEZNS1_11reduce_implILb1ES3_PtS7_t11plus_mod_10ItEEE10hipError_tPvRmT1_T2_T3_mT4_P12ihipStream_tbEUlT_E1_NS1_11comp_targetILNS1_3genE2ELNS1_11target_archE906ELNS1_3gpuE6ELNS1_3repE0EEENS1_30default_config_static_selectorELNS0_4arch9wavefront6targetE1EEEvSD_.uses_vcc, 0
	.set _ZN7rocprim17ROCPRIM_400000_NS6detail17trampoline_kernelINS0_14default_configENS1_22reduce_config_selectorItEEZNS1_11reduce_implILb1ES3_PtS7_t11plus_mod_10ItEEE10hipError_tPvRmT1_T2_T3_mT4_P12ihipStream_tbEUlT_E1_NS1_11comp_targetILNS1_3genE2ELNS1_11target_archE906ELNS1_3gpuE6ELNS1_3repE0EEENS1_30default_config_static_selectorELNS0_4arch9wavefront6targetE1EEEvSD_.uses_flat_scratch, 0
	.set _ZN7rocprim17ROCPRIM_400000_NS6detail17trampoline_kernelINS0_14default_configENS1_22reduce_config_selectorItEEZNS1_11reduce_implILb1ES3_PtS7_t11plus_mod_10ItEEE10hipError_tPvRmT1_T2_T3_mT4_P12ihipStream_tbEUlT_E1_NS1_11comp_targetILNS1_3genE2ELNS1_11target_archE906ELNS1_3gpuE6ELNS1_3repE0EEENS1_30default_config_static_selectorELNS0_4arch9wavefront6targetE1EEEvSD_.has_dyn_sized_stack, 0
	.set _ZN7rocprim17ROCPRIM_400000_NS6detail17trampoline_kernelINS0_14default_configENS1_22reduce_config_selectorItEEZNS1_11reduce_implILb1ES3_PtS7_t11plus_mod_10ItEEE10hipError_tPvRmT1_T2_T3_mT4_P12ihipStream_tbEUlT_E1_NS1_11comp_targetILNS1_3genE2ELNS1_11target_archE906ELNS1_3gpuE6ELNS1_3repE0EEENS1_30default_config_static_selectorELNS0_4arch9wavefront6targetE1EEEvSD_.has_recursion, 0
	.set _ZN7rocprim17ROCPRIM_400000_NS6detail17trampoline_kernelINS0_14default_configENS1_22reduce_config_selectorItEEZNS1_11reduce_implILb1ES3_PtS7_t11plus_mod_10ItEEE10hipError_tPvRmT1_T2_T3_mT4_P12ihipStream_tbEUlT_E1_NS1_11comp_targetILNS1_3genE2ELNS1_11target_archE906ELNS1_3gpuE6ELNS1_3repE0EEENS1_30default_config_static_selectorELNS0_4arch9wavefront6targetE1EEEvSD_.has_indirect_call, 0
	.section	.AMDGPU.csdata,"",@progbits
; Kernel info:
; codeLenInByte = 0
; TotalNumSgprs: 6
; NumVgprs: 0
; NumAgprs: 0
; TotalNumVgprs: 0
; ScratchSize: 0
; MemoryBound: 0
; FloatMode: 240
; IeeeMode: 1
; LDSByteSize: 0 bytes/workgroup (compile time only)
; SGPRBlocks: 0
; VGPRBlocks: 0
; NumSGPRsForWavesPerEU: 6
; NumVGPRsForWavesPerEU: 1
; AccumOffset: 4
; Occupancy: 8
; WaveLimiterHint : 0
; COMPUTE_PGM_RSRC2:SCRATCH_EN: 0
; COMPUTE_PGM_RSRC2:USER_SGPR: 2
; COMPUTE_PGM_RSRC2:TRAP_HANDLER: 0
; COMPUTE_PGM_RSRC2:TGID_X_EN: 1
; COMPUTE_PGM_RSRC2:TGID_Y_EN: 0
; COMPUTE_PGM_RSRC2:TGID_Z_EN: 0
; COMPUTE_PGM_RSRC2:TIDIG_COMP_CNT: 0
; COMPUTE_PGM_RSRC3_GFX90A:ACCUM_OFFSET: 0
; COMPUTE_PGM_RSRC3_GFX90A:TG_SPLIT: 0
	.section	.text._ZN7rocprim17ROCPRIM_400000_NS6detail17trampoline_kernelINS0_14default_configENS1_22reduce_config_selectorItEEZNS1_11reduce_implILb1ES3_PtS7_t11plus_mod_10ItEEE10hipError_tPvRmT1_T2_T3_mT4_P12ihipStream_tbEUlT_E1_NS1_11comp_targetILNS1_3genE10ELNS1_11target_archE1201ELNS1_3gpuE5ELNS1_3repE0EEENS1_30default_config_static_selectorELNS0_4arch9wavefront6targetE1EEEvSD_,"axG",@progbits,_ZN7rocprim17ROCPRIM_400000_NS6detail17trampoline_kernelINS0_14default_configENS1_22reduce_config_selectorItEEZNS1_11reduce_implILb1ES3_PtS7_t11plus_mod_10ItEEE10hipError_tPvRmT1_T2_T3_mT4_P12ihipStream_tbEUlT_E1_NS1_11comp_targetILNS1_3genE10ELNS1_11target_archE1201ELNS1_3gpuE5ELNS1_3repE0EEENS1_30default_config_static_selectorELNS0_4arch9wavefront6targetE1EEEvSD_,comdat
	.protected	_ZN7rocprim17ROCPRIM_400000_NS6detail17trampoline_kernelINS0_14default_configENS1_22reduce_config_selectorItEEZNS1_11reduce_implILb1ES3_PtS7_t11plus_mod_10ItEEE10hipError_tPvRmT1_T2_T3_mT4_P12ihipStream_tbEUlT_E1_NS1_11comp_targetILNS1_3genE10ELNS1_11target_archE1201ELNS1_3gpuE5ELNS1_3repE0EEENS1_30default_config_static_selectorELNS0_4arch9wavefront6targetE1EEEvSD_ ; -- Begin function _ZN7rocprim17ROCPRIM_400000_NS6detail17trampoline_kernelINS0_14default_configENS1_22reduce_config_selectorItEEZNS1_11reduce_implILb1ES3_PtS7_t11plus_mod_10ItEEE10hipError_tPvRmT1_T2_T3_mT4_P12ihipStream_tbEUlT_E1_NS1_11comp_targetILNS1_3genE10ELNS1_11target_archE1201ELNS1_3gpuE5ELNS1_3repE0EEENS1_30default_config_static_selectorELNS0_4arch9wavefront6targetE1EEEvSD_
	.globl	_ZN7rocprim17ROCPRIM_400000_NS6detail17trampoline_kernelINS0_14default_configENS1_22reduce_config_selectorItEEZNS1_11reduce_implILb1ES3_PtS7_t11plus_mod_10ItEEE10hipError_tPvRmT1_T2_T3_mT4_P12ihipStream_tbEUlT_E1_NS1_11comp_targetILNS1_3genE10ELNS1_11target_archE1201ELNS1_3gpuE5ELNS1_3repE0EEENS1_30default_config_static_selectorELNS0_4arch9wavefront6targetE1EEEvSD_
	.p2align	8
	.type	_ZN7rocprim17ROCPRIM_400000_NS6detail17trampoline_kernelINS0_14default_configENS1_22reduce_config_selectorItEEZNS1_11reduce_implILb1ES3_PtS7_t11plus_mod_10ItEEE10hipError_tPvRmT1_T2_T3_mT4_P12ihipStream_tbEUlT_E1_NS1_11comp_targetILNS1_3genE10ELNS1_11target_archE1201ELNS1_3gpuE5ELNS1_3repE0EEENS1_30default_config_static_selectorELNS0_4arch9wavefront6targetE1EEEvSD_,@function
_ZN7rocprim17ROCPRIM_400000_NS6detail17trampoline_kernelINS0_14default_configENS1_22reduce_config_selectorItEEZNS1_11reduce_implILb1ES3_PtS7_t11plus_mod_10ItEEE10hipError_tPvRmT1_T2_T3_mT4_P12ihipStream_tbEUlT_E1_NS1_11comp_targetILNS1_3genE10ELNS1_11target_archE1201ELNS1_3gpuE5ELNS1_3repE0EEENS1_30default_config_static_selectorELNS0_4arch9wavefront6targetE1EEEvSD_: ; @_ZN7rocprim17ROCPRIM_400000_NS6detail17trampoline_kernelINS0_14default_configENS1_22reduce_config_selectorItEEZNS1_11reduce_implILb1ES3_PtS7_t11plus_mod_10ItEEE10hipError_tPvRmT1_T2_T3_mT4_P12ihipStream_tbEUlT_E1_NS1_11comp_targetILNS1_3genE10ELNS1_11target_archE1201ELNS1_3gpuE5ELNS1_3repE0EEENS1_30default_config_static_selectorELNS0_4arch9wavefront6targetE1EEEvSD_
; %bb.0:
	.section	.rodata,"a",@progbits
	.p2align	6, 0x0
	.amdhsa_kernel _ZN7rocprim17ROCPRIM_400000_NS6detail17trampoline_kernelINS0_14default_configENS1_22reduce_config_selectorItEEZNS1_11reduce_implILb1ES3_PtS7_t11plus_mod_10ItEEE10hipError_tPvRmT1_T2_T3_mT4_P12ihipStream_tbEUlT_E1_NS1_11comp_targetILNS1_3genE10ELNS1_11target_archE1201ELNS1_3gpuE5ELNS1_3repE0EEENS1_30default_config_static_selectorELNS0_4arch9wavefront6targetE1EEEvSD_
		.amdhsa_group_segment_fixed_size 0
		.amdhsa_private_segment_fixed_size 0
		.amdhsa_kernarg_size 40
		.amdhsa_user_sgpr_count 2
		.amdhsa_user_sgpr_dispatch_ptr 0
		.amdhsa_user_sgpr_queue_ptr 0
		.amdhsa_user_sgpr_kernarg_segment_ptr 1
		.amdhsa_user_sgpr_dispatch_id 0
		.amdhsa_user_sgpr_kernarg_preload_length 0
		.amdhsa_user_sgpr_kernarg_preload_offset 0
		.amdhsa_user_sgpr_private_segment_size 0
		.amdhsa_uses_dynamic_stack 0
		.amdhsa_enable_private_segment 0
		.amdhsa_system_sgpr_workgroup_id_x 1
		.amdhsa_system_sgpr_workgroup_id_y 0
		.amdhsa_system_sgpr_workgroup_id_z 0
		.amdhsa_system_sgpr_workgroup_info 0
		.amdhsa_system_vgpr_workitem_id 0
		.amdhsa_next_free_vgpr 1
		.amdhsa_next_free_sgpr 0
		.amdhsa_accum_offset 4
		.amdhsa_reserve_vcc 0
		.amdhsa_float_round_mode_32 0
		.amdhsa_float_round_mode_16_64 0
		.amdhsa_float_denorm_mode_32 3
		.amdhsa_float_denorm_mode_16_64 3
		.amdhsa_dx10_clamp 1
		.amdhsa_ieee_mode 1
		.amdhsa_fp16_overflow 0
		.amdhsa_tg_split 0
		.amdhsa_exception_fp_ieee_invalid_op 0
		.amdhsa_exception_fp_denorm_src 0
		.amdhsa_exception_fp_ieee_div_zero 0
		.amdhsa_exception_fp_ieee_overflow 0
		.amdhsa_exception_fp_ieee_underflow 0
		.amdhsa_exception_fp_ieee_inexact 0
		.amdhsa_exception_int_div_zero 0
	.end_amdhsa_kernel
	.section	.text._ZN7rocprim17ROCPRIM_400000_NS6detail17trampoline_kernelINS0_14default_configENS1_22reduce_config_selectorItEEZNS1_11reduce_implILb1ES3_PtS7_t11plus_mod_10ItEEE10hipError_tPvRmT1_T2_T3_mT4_P12ihipStream_tbEUlT_E1_NS1_11comp_targetILNS1_3genE10ELNS1_11target_archE1201ELNS1_3gpuE5ELNS1_3repE0EEENS1_30default_config_static_selectorELNS0_4arch9wavefront6targetE1EEEvSD_,"axG",@progbits,_ZN7rocprim17ROCPRIM_400000_NS6detail17trampoline_kernelINS0_14default_configENS1_22reduce_config_selectorItEEZNS1_11reduce_implILb1ES3_PtS7_t11plus_mod_10ItEEE10hipError_tPvRmT1_T2_T3_mT4_P12ihipStream_tbEUlT_E1_NS1_11comp_targetILNS1_3genE10ELNS1_11target_archE1201ELNS1_3gpuE5ELNS1_3repE0EEENS1_30default_config_static_selectorELNS0_4arch9wavefront6targetE1EEEvSD_,comdat
.Lfunc_end635:
	.size	_ZN7rocprim17ROCPRIM_400000_NS6detail17trampoline_kernelINS0_14default_configENS1_22reduce_config_selectorItEEZNS1_11reduce_implILb1ES3_PtS7_t11plus_mod_10ItEEE10hipError_tPvRmT1_T2_T3_mT4_P12ihipStream_tbEUlT_E1_NS1_11comp_targetILNS1_3genE10ELNS1_11target_archE1201ELNS1_3gpuE5ELNS1_3repE0EEENS1_30default_config_static_selectorELNS0_4arch9wavefront6targetE1EEEvSD_, .Lfunc_end635-_ZN7rocprim17ROCPRIM_400000_NS6detail17trampoline_kernelINS0_14default_configENS1_22reduce_config_selectorItEEZNS1_11reduce_implILb1ES3_PtS7_t11plus_mod_10ItEEE10hipError_tPvRmT1_T2_T3_mT4_P12ihipStream_tbEUlT_E1_NS1_11comp_targetILNS1_3genE10ELNS1_11target_archE1201ELNS1_3gpuE5ELNS1_3repE0EEENS1_30default_config_static_selectorELNS0_4arch9wavefront6targetE1EEEvSD_
                                        ; -- End function
	.set _ZN7rocprim17ROCPRIM_400000_NS6detail17trampoline_kernelINS0_14default_configENS1_22reduce_config_selectorItEEZNS1_11reduce_implILb1ES3_PtS7_t11plus_mod_10ItEEE10hipError_tPvRmT1_T2_T3_mT4_P12ihipStream_tbEUlT_E1_NS1_11comp_targetILNS1_3genE10ELNS1_11target_archE1201ELNS1_3gpuE5ELNS1_3repE0EEENS1_30default_config_static_selectorELNS0_4arch9wavefront6targetE1EEEvSD_.num_vgpr, 0
	.set _ZN7rocprim17ROCPRIM_400000_NS6detail17trampoline_kernelINS0_14default_configENS1_22reduce_config_selectorItEEZNS1_11reduce_implILb1ES3_PtS7_t11plus_mod_10ItEEE10hipError_tPvRmT1_T2_T3_mT4_P12ihipStream_tbEUlT_E1_NS1_11comp_targetILNS1_3genE10ELNS1_11target_archE1201ELNS1_3gpuE5ELNS1_3repE0EEENS1_30default_config_static_selectorELNS0_4arch9wavefront6targetE1EEEvSD_.num_agpr, 0
	.set _ZN7rocprim17ROCPRIM_400000_NS6detail17trampoline_kernelINS0_14default_configENS1_22reduce_config_selectorItEEZNS1_11reduce_implILb1ES3_PtS7_t11plus_mod_10ItEEE10hipError_tPvRmT1_T2_T3_mT4_P12ihipStream_tbEUlT_E1_NS1_11comp_targetILNS1_3genE10ELNS1_11target_archE1201ELNS1_3gpuE5ELNS1_3repE0EEENS1_30default_config_static_selectorELNS0_4arch9wavefront6targetE1EEEvSD_.numbered_sgpr, 0
	.set _ZN7rocprim17ROCPRIM_400000_NS6detail17trampoline_kernelINS0_14default_configENS1_22reduce_config_selectorItEEZNS1_11reduce_implILb1ES3_PtS7_t11plus_mod_10ItEEE10hipError_tPvRmT1_T2_T3_mT4_P12ihipStream_tbEUlT_E1_NS1_11comp_targetILNS1_3genE10ELNS1_11target_archE1201ELNS1_3gpuE5ELNS1_3repE0EEENS1_30default_config_static_selectorELNS0_4arch9wavefront6targetE1EEEvSD_.num_named_barrier, 0
	.set _ZN7rocprim17ROCPRIM_400000_NS6detail17trampoline_kernelINS0_14default_configENS1_22reduce_config_selectorItEEZNS1_11reduce_implILb1ES3_PtS7_t11plus_mod_10ItEEE10hipError_tPvRmT1_T2_T3_mT4_P12ihipStream_tbEUlT_E1_NS1_11comp_targetILNS1_3genE10ELNS1_11target_archE1201ELNS1_3gpuE5ELNS1_3repE0EEENS1_30default_config_static_selectorELNS0_4arch9wavefront6targetE1EEEvSD_.private_seg_size, 0
	.set _ZN7rocprim17ROCPRIM_400000_NS6detail17trampoline_kernelINS0_14default_configENS1_22reduce_config_selectorItEEZNS1_11reduce_implILb1ES3_PtS7_t11plus_mod_10ItEEE10hipError_tPvRmT1_T2_T3_mT4_P12ihipStream_tbEUlT_E1_NS1_11comp_targetILNS1_3genE10ELNS1_11target_archE1201ELNS1_3gpuE5ELNS1_3repE0EEENS1_30default_config_static_selectorELNS0_4arch9wavefront6targetE1EEEvSD_.uses_vcc, 0
	.set _ZN7rocprim17ROCPRIM_400000_NS6detail17trampoline_kernelINS0_14default_configENS1_22reduce_config_selectorItEEZNS1_11reduce_implILb1ES3_PtS7_t11plus_mod_10ItEEE10hipError_tPvRmT1_T2_T3_mT4_P12ihipStream_tbEUlT_E1_NS1_11comp_targetILNS1_3genE10ELNS1_11target_archE1201ELNS1_3gpuE5ELNS1_3repE0EEENS1_30default_config_static_selectorELNS0_4arch9wavefront6targetE1EEEvSD_.uses_flat_scratch, 0
	.set _ZN7rocprim17ROCPRIM_400000_NS6detail17trampoline_kernelINS0_14default_configENS1_22reduce_config_selectorItEEZNS1_11reduce_implILb1ES3_PtS7_t11plus_mod_10ItEEE10hipError_tPvRmT1_T2_T3_mT4_P12ihipStream_tbEUlT_E1_NS1_11comp_targetILNS1_3genE10ELNS1_11target_archE1201ELNS1_3gpuE5ELNS1_3repE0EEENS1_30default_config_static_selectorELNS0_4arch9wavefront6targetE1EEEvSD_.has_dyn_sized_stack, 0
	.set _ZN7rocprim17ROCPRIM_400000_NS6detail17trampoline_kernelINS0_14default_configENS1_22reduce_config_selectorItEEZNS1_11reduce_implILb1ES3_PtS7_t11plus_mod_10ItEEE10hipError_tPvRmT1_T2_T3_mT4_P12ihipStream_tbEUlT_E1_NS1_11comp_targetILNS1_3genE10ELNS1_11target_archE1201ELNS1_3gpuE5ELNS1_3repE0EEENS1_30default_config_static_selectorELNS0_4arch9wavefront6targetE1EEEvSD_.has_recursion, 0
	.set _ZN7rocprim17ROCPRIM_400000_NS6detail17trampoline_kernelINS0_14default_configENS1_22reduce_config_selectorItEEZNS1_11reduce_implILb1ES3_PtS7_t11plus_mod_10ItEEE10hipError_tPvRmT1_T2_T3_mT4_P12ihipStream_tbEUlT_E1_NS1_11comp_targetILNS1_3genE10ELNS1_11target_archE1201ELNS1_3gpuE5ELNS1_3repE0EEENS1_30default_config_static_selectorELNS0_4arch9wavefront6targetE1EEEvSD_.has_indirect_call, 0
	.section	.AMDGPU.csdata,"",@progbits
; Kernel info:
; codeLenInByte = 0
; TotalNumSgprs: 6
; NumVgprs: 0
; NumAgprs: 0
; TotalNumVgprs: 0
; ScratchSize: 0
; MemoryBound: 0
; FloatMode: 240
; IeeeMode: 1
; LDSByteSize: 0 bytes/workgroup (compile time only)
; SGPRBlocks: 0
; VGPRBlocks: 0
; NumSGPRsForWavesPerEU: 6
; NumVGPRsForWavesPerEU: 1
; AccumOffset: 4
; Occupancy: 8
; WaveLimiterHint : 0
; COMPUTE_PGM_RSRC2:SCRATCH_EN: 0
; COMPUTE_PGM_RSRC2:USER_SGPR: 2
; COMPUTE_PGM_RSRC2:TRAP_HANDLER: 0
; COMPUTE_PGM_RSRC2:TGID_X_EN: 1
; COMPUTE_PGM_RSRC2:TGID_Y_EN: 0
; COMPUTE_PGM_RSRC2:TGID_Z_EN: 0
; COMPUTE_PGM_RSRC2:TIDIG_COMP_CNT: 0
; COMPUTE_PGM_RSRC3_GFX90A:ACCUM_OFFSET: 0
; COMPUTE_PGM_RSRC3_GFX90A:TG_SPLIT: 0
	.section	.text._ZN7rocprim17ROCPRIM_400000_NS6detail17trampoline_kernelINS0_14default_configENS1_22reduce_config_selectorItEEZNS1_11reduce_implILb1ES3_PtS7_t11plus_mod_10ItEEE10hipError_tPvRmT1_T2_T3_mT4_P12ihipStream_tbEUlT_E1_NS1_11comp_targetILNS1_3genE10ELNS1_11target_archE1200ELNS1_3gpuE4ELNS1_3repE0EEENS1_30default_config_static_selectorELNS0_4arch9wavefront6targetE1EEEvSD_,"axG",@progbits,_ZN7rocprim17ROCPRIM_400000_NS6detail17trampoline_kernelINS0_14default_configENS1_22reduce_config_selectorItEEZNS1_11reduce_implILb1ES3_PtS7_t11plus_mod_10ItEEE10hipError_tPvRmT1_T2_T3_mT4_P12ihipStream_tbEUlT_E1_NS1_11comp_targetILNS1_3genE10ELNS1_11target_archE1200ELNS1_3gpuE4ELNS1_3repE0EEENS1_30default_config_static_selectorELNS0_4arch9wavefront6targetE1EEEvSD_,comdat
	.protected	_ZN7rocprim17ROCPRIM_400000_NS6detail17trampoline_kernelINS0_14default_configENS1_22reduce_config_selectorItEEZNS1_11reduce_implILb1ES3_PtS7_t11plus_mod_10ItEEE10hipError_tPvRmT1_T2_T3_mT4_P12ihipStream_tbEUlT_E1_NS1_11comp_targetILNS1_3genE10ELNS1_11target_archE1200ELNS1_3gpuE4ELNS1_3repE0EEENS1_30default_config_static_selectorELNS0_4arch9wavefront6targetE1EEEvSD_ ; -- Begin function _ZN7rocprim17ROCPRIM_400000_NS6detail17trampoline_kernelINS0_14default_configENS1_22reduce_config_selectorItEEZNS1_11reduce_implILb1ES3_PtS7_t11plus_mod_10ItEEE10hipError_tPvRmT1_T2_T3_mT4_P12ihipStream_tbEUlT_E1_NS1_11comp_targetILNS1_3genE10ELNS1_11target_archE1200ELNS1_3gpuE4ELNS1_3repE0EEENS1_30default_config_static_selectorELNS0_4arch9wavefront6targetE1EEEvSD_
	.globl	_ZN7rocprim17ROCPRIM_400000_NS6detail17trampoline_kernelINS0_14default_configENS1_22reduce_config_selectorItEEZNS1_11reduce_implILb1ES3_PtS7_t11plus_mod_10ItEEE10hipError_tPvRmT1_T2_T3_mT4_P12ihipStream_tbEUlT_E1_NS1_11comp_targetILNS1_3genE10ELNS1_11target_archE1200ELNS1_3gpuE4ELNS1_3repE0EEENS1_30default_config_static_selectorELNS0_4arch9wavefront6targetE1EEEvSD_
	.p2align	8
	.type	_ZN7rocprim17ROCPRIM_400000_NS6detail17trampoline_kernelINS0_14default_configENS1_22reduce_config_selectorItEEZNS1_11reduce_implILb1ES3_PtS7_t11plus_mod_10ItEEE10hipError_tPvRmT1_T2_T3_mT4_P12ihipStream_tbEUlT_E1_NS1_11comp_targetILNS1_3genE10ELNS1_11target_archE1200ELNS1_3gpuE4ELNS1_3repE0EEENS1_30default_config_static_selectorELNS0_4arch9wavefront6targetE1EEEvSD_,@function
_ZN7rocprim17ROCPRIM_400000_NS6detail17trampoline_kernelINS0_14default_configENS1_22reduce_config_selectorItEEZNS1_11reduce_implILb1ES3_PtS7_t11plus_mod_10ItEEE10hipError_tPvRmT1_T2_T3_mT4_P12ihipStream_tbEUlT_E1_NS1_11comp_targetILNS1_3genE10ELNS1_11target_archE1200ELNS1_3gpuE4ELNS1_3repE0EEENS1_30default_config_static_selectorELNS0_4arch9wavefront6targetE1EEEvSD_: ; @_ZN7rocprim17ROCPRIM_400000_NS6detail17trampoline_kernelINS0_14default_configENS1_22reduce_config_selectorItEEZNS1_11reduce_implILb1ES3_PtS7_t11plus_mod_10ItEEE10hipError_tPvRmT1_T2_T3_mT4_P12ihipStream_tbEUlT_E1_NS1_11comp_targetILNS1_3genE10ELNS1_11target_archE1200ELNS1_3gpuE4ELNS1_3repE0EEENS1_30default_config_static_selectorELNS0_4arch9wavefront6targetE1EEEvSD_
; %bb.0:
	.section	.rodata,"a",@progbits
	.p2align	6, 0x0
	.amdhsa_kernel _ZN7rocprim17ROCPRIM_400000_NS6detail17trampoline_kernelINS0_14default_configENS1_22reduce_config_selectorItEEZNS1_11reduce_implILb1ES3_PtS7_t11plus_mod_10ItEEE10hipError_tPvRmT1_T2_T3_mT4_P12ihipStream_tbEUlT_E1_NS1_11comp_targetILNS1_3genE10ELNS1_11target_archE1200ELNS1_3gpuE4ELNS1_3repE0EEENS1_30default_config_static_selectorELNS0_4arch9wavefront6targetE1EEEvSD_
		.amdhsa_group_segment_fixed_size 0
		.amdhsa_private_segment_fixed_size 0
		.amdhsa_kernarg_size 40
		.amdhsa_user_sgpr_count 2
		.amdhsa_user_sgpr_dispatch_ptr 0
		.amdhsa_user_sgpr_queue_ptr 0
		.amdhsa_user_sgpr_kernarg_segment_ptr 1
		.amdhsa_user_sgpr_dispatch_id 0
		.amdhsa_user_sgpr_kernarg_preload_length 0
		.amdhsa_user_sgpr_kernarg_preload_offset 0
		.amdhsa_user_sgpr_private_segment_size 0
		.amdhsa_uses_dynamic_stack 0
		.amdhsa_enable_private_segment 0
		.amdhsa_system_sgpr_workgroup_id_x 1
		.amdhsa_system_sgpr_workgroup_id_y 0
		.amdhsa_system_sgpr_workgroup_id_z 0
		.amdhsa_system_sgpr_workgroup_info 0
		.amdhsa_system_vgpr_workitem_id 0
		.amdhsa_next_free_vgpr 1
		.amdhsa_next_free_sgpr 0
		.amdhsa_accum_offset 4
		.amdhsa_reserve_vcc 0
		.amdhsa_float_round_mode_32 0
		.amdhsa_float_round_mode_16_64 0
		.amdhsa_float_denorm_mode_32 3
		.amdhsa_float_denorm_mode_16_64 3
		.amdhsa_dx10_clamp 1
		.amdhsa_ieee_mode 1
		.amdhsa_fp16_overflow 0
		.amdhsa_tg_split 0
		.amdhsa_exception_fp_ieee_invalid_op 0
		.amdhsa_exception_fp_denorm_src 0
		.amdhsa_exception_fp_ieee_div_zero 0
		.amdhsa_exception_fp_ieee_overflow 0
		.amdhsa_exception_fp_ieee_underflow 0
		.amdhsa_exception_fp_ieee_inexact 0
		.amdhsa_exception_int_div_zero 0
	.end_amdhsa_kernel
	.section	.text._ZN7rocprim17ROCPRIM_400000_NS6detail17trampoline_kernelINS0_14default_configENS1_22reduce_config_selectorItEEZNS1_11reduce_implILb1ES3_PtS7_t11plus_mod_10ItEEE10hipError_tPvRmT1_T2_T3_mT4_P12ihipStream_tbEUlT_E1_NS1_11comp_targetILNS1_3genE10ELNS1_11target_archE1200ELNS1_3gpuE4ELNS1_3repE0EEENS1_30default_config_static_selectorELNS0_4arch9wavefront6targetE1EEEvSD_,"axG",@progbits,_ZN7rocprim17ROCPRIM_400000_NS6detail17trampoline_kernelINS0_14default_configENS1_22reduce_config_selectorItEEZNS1_11reduce_implILb1ES3_PtS7_t11plus_mod_10ItEEE10hipError_tPvRmT1_T2_T3_mT4_P12ihipStream_tbEUlT_E1_NS1_11comp_targetILNS1_3genE10ELNS1_11target_archE1200ELNS1_3gpuE4ELNS1_3repE0EEENS1_30default_config_static_selectorELNS0_4arch9wavefront6targetE1EEEvSD_,comdat
.Lfunc_end636:
	.size	_ZN7rocprim17ROCPRIM_400000_NS6detail17trampoline_kernelINS0_14default_configENS1_22reduce_config_selectorItEEZNS1_11reduce_implILb1ES3_PtS7_t11plus_mod_10ItEEE10hipError_tPvRmT1_T2_T3_mT4_P12ihipStream_tbEUlT_E1_NS1_11comp_targetILNS1_3genE10ELNS1_11target_archE1200ELNS1_3gpuE4ELNS1_3repE0EEENS1_30default_config_static_selectorELNS0_4arch9wavefront6targetE1EEEvSD_, .Lfunc_end636-_ZN7rocprim17ROCPRIM_400000_NS6detail17trampoline_kernelINS0_14default_configENS1_22reduce_config_selectorItEEZNS1_11reduce_implILb1ES3_PtS7_t11plus_mod_10ItEEE10hipError_tPvRmT1_T2_T3_mT4_P12ihipStream_tbEUlT_E1_NS1_11comp_targetILNS1_3genE10ELNS1_11target_archE1200ELNS1_3gpuE4ELNS1_3repE0EEENS1_30default_config_static_selectorELNS0_4arch9wavefront6targetE1EEEvSD_
                                        ; -- End function
	.set _ZN7rocprim17ROCPRIM_400000_NS6detail17trampoline_kernelINS0_14default_configENS1_22reduce_config_selectorItEEZNS1_11reduce_implILb1ES3_PtS7_t11plus_mod_10ItEEE10hipError_tPvRmT1_T2_T3_mT4_P12ihipStream_tbEUlT_E1_NS1_11comp_targetILNS1_3genE10ELNS1_11target_archE1200ELNS1_3gpuE4ELNS1_3repE0EEENS1_30default_config_static_selectorELNS0_4arch9wavefront6targetE1EEEvSD_.num_vgpr, 0
	.set _ZN7rocprim17ROCPRIM_400000_NS6detail17trampoline_kernelINS0_14default_configENS1_22reduce_config_selectorItEEZNS1_11reduce_implILb1ES3_PtS7_t11plus_mod_10ItEEE10hipError_tPvRmT1_T2_T3_mT4_P12ihipStream_tbEUlT_E1_NS1_11comp_targetILNS1_3genE10ELNS1_11target_archE1200ELNS1_3gpuE4ELNS1_3repE0EEENS1_30default_config_static_selectorELNS0_4arch9wavefront6targetE1EEEvSD_.num_agpr, 0
	.set _ZN7rocprim17ROCPRIM_400000_NS6detail17trampoline_kernelINS0_14default_configENS1_22reduce_config_selectorItEEZNS1_11reduce_implILb1ES3_PtS7_t11plus_mod_10ItEEE10hipError_tPvRmT1_T2_T3_mT4_P12ihipStream_tbEUlT_E1_NS1_11comp_targetILNS1_3genE10ELNS1_11target_archE1200ELNS1_3gpuE4ELNS1_3repE0EEENS1_30default_config_static_selectorELNS0_4arch9wavefront6targetE1EEEvSD_.numbered_sgpr, 0
	.set _ZN7rocprim17ROCPRIM_400000_NS6detail17trampoline_kernelINS0_14default_configENS1_22reduce_config_selectorItEEZNS1_11reduce_implILb1ES3_PtS7_t11plus_mod_10ItEEE10hipError_tPvRmT1_T2_T3_mT4_P12ihipStream_tbEUlT_E1_NS1_11comp_targetILNS1_3genE10ELNS1_11target_archE1200ELNS1_3gpuE4ELNS1_3repE0EEENS1_30default_config_static_selectorELNS0_4arch9wavefront6targetE1EEEvSD_.num_named_barrier, 0
	.set _ZN7rocprim17ROCPRIM_400000_NS6detail17trampoline_kernelINS0_14default_configENS1_22reduce_config_selectorItEEZNS1_11reduce_implILb1ES3_PtS7_t11plus_mod_10ItEEE10hipError_tPvRmT1_T2_T3_mT4_P12ihipStream_tbEUlT_E1_NS1_11comp_targetILNS1_3genE10ELNS1_11target_archE1200ELNS1_3gpuE4ELNS1_3repE0EEENS1_30default_config_static_selectorELNS0_4arch9wavefront6targetE1EEEvSD_.private_seg_size, 0
	.set _ZN7rocprim17ROCPRIM_400000_NS6detail17trampoline_kernelINS0_14default_configENS1_22reduce_config_selectorItEEZNS1_11reduce_implILb1ES3_PtS7_t11plus_mod_10ItEEE10hipError_tPvRmT1_T2_T3_mT4_P12ihipStream_tbEUlT_E1_NS1_11comp_targetILNS1_3genE10ELNS1_11target_archE1200ELNS1_3gpuE4ELNS1_3repE0EEENS1_30default_config_static_selectorELNS0_4arch9wavefront6targetE1EEEvSD_.uses_vcc, 0
	.set _ZN7rocprim17ROCPRIM_400000_NS6detail17trampoline_kernelINS0_14default_configENS1_22reduce_config_selectorItEEZNS1_11reduce_implILb1ES3_PtS7_t11plus_mod_10ItEEE10hipError_tPvRmT1_T2_T3_mT4_P12ihipStream_tbEUlT_E1_NS1_11comp_targetILNS1_3genE10ELNS1_11target_archE1200ELNS1_3gpuE4ELNS1_3repE0EEENS1_30default_config_static_selectorELNS0_4arch9wavefront6targetE1EEEvSD_.uses_flat_scratch, 0
	.set _ZN7rocprim17ROCPRIM_400000_NS6detail17trampoline_kernelINS0_14default_configENS1_22reduce_config_selectorItEEZNS1_11reduce_implILb1ES3_PtS7_t11plus_mod_10ItEEE10hipError_tPvRmT1_T2_T3_mT4_P12ihipStream_tbEUlT_E1_NS1_11comp_targetILNS1_3genE10ELNS1_11target_archE1200ELNS1_3gpuE4ELNS1_3repE0EEENS1_30default_config_static_selectorELNS0_4arch9wavefront6targetE1EEEvSD_.has_dyn_sized_stack, 0
	.set _ZN7rocprim17ROCPRIM_400000_NS6detail17trampoline_kernelINS0_14default_configENS1_22reduce_config_selectorItEEZNS1_11reduce_implILb1ES3_PtS7_t11plus_mod_10ItEEE10hipError_tPvRmT1_T2_T3_mT4_P12ihipStream_tbEUlT_E1_NS1_11comp_targetILNS1_3genE10ELNS1_11target_archE1200ELNS1_3gpuE4ELNS1_3repE0EEENS1_30default_config_static_selectorELNS0_4arch9wavefront6targetE1EEEvSD_.has_recursion, 0
	.set _ZN7rocprim17ROCPRIM_400000_NS6detail17trampoline_kernelINS0_14default_configENS1_22reduce_config_selectorItEEZNS1_11reduce_implILb1ES3_PtS7_t11plus_mod_10ItEEE10hipError_tPvRmT1_T2_T3_mT4_P12ihipStream_tbEUlT_E1_NS1_11comp_targetILNS1_3genE10ELNS1_11target_archE1200ELNS1_3gpuE4ELNS1_3repE0EEENS1_30default_config_static_selectorELNS0_4arch9wavefront6targetE1EEEvSD_.has_indirect_call, 0
	.section	.AMDGPU.csdata,"",@progbits
; Kernel info:
; codeLenInByte = 0
; TotalNumSgprs: 6
; NumVgprs: 0
; NumAgprs: 0
; TotalNumVgprs: 0
; ScratchSize: 0
; MemoryBound: 0
; FloatMode: 240
; IeeeMode: 1
; LDSByteSize: 0 bytes/workgroup (compile time only)
; SGPRBlocks: 0
; VGPRBlocks: 0
; NumSGPRsForWavesPerEU: 6
; NumVGPRsForWavesPerEU: 1
; AccumOffset: 4
; Occupancy: 8
; WaveLimiterHint : 0
; COMPUTE_PGM_RSRC2:SCRATCH_EN: 0
; COMPUTE_PGM_RSRC2:USER_SGPR: 2
; COMPUTE_PGM_RSRC2:TRAP_HANDLER: 0
; COMPUTE_PGM_RSRC2:TGID_X_EN: 1
; COMPUTE_PGM_RSRC2:TGID_Y_EN: 0
; COMPUTE_PGM_RSRC2:TGID_Z_EN: 0
; COMPUTE_PGM_RSRC2:TIDIG_COMP_CNT: 0
; COMPUTE_PGM_RSRC3_GFX90A:ACCUM_OFFSET: 0
; COMPUTE_PGM_RSRC3_GFX90A:TG_SPLIT: 0
	.section	.text._ZN7rocprim17ROCPRIM_400000_NS6detail17trampoline_kernelINS0_14default_configENS1_22reduce_config_selectorItEEZNS1_11reduce_implILb1ES3_PtS7_t11plus_mod_10ItEEE10hipError_tPvRmT1_T2_T3_mT4_P12ihipStream_tbEUlT_E1_NS1_11comp_targetILNS1_3genE9ELNS1_11target_archE1100ELNS1_3gpuE3ELNS1_3repE0EEENS1_30default_config_static_selectorELNS0_4arch9wavefront6targetE1EEEvSD_,"axG",@progbits,_ZN7rocprim17ROCPRIM_400000_NS6detail17trampoline_kernelINS0_14default_configENS1_22reduce_config_selectorItEEZNS1_11reduce_implILb1ES3_PtS7_t11plus_mod_10ItEEE10hipError_tPvRmT1_T2_T3_mT4_P12ihipStream_tbEUlT_E1_NS1_11comp_targetILNS1_3genE9ELNS1_11target_archE1100ELNS1_3gpuE3ELNS1_3repE0EEENS1_30default_config_static_selectorELNS0_4arch9wavefront6targetE1EEEvSD_,comdat
	.protected	_ZN7rocprim17ROCPRIM_400000_NS6detail17trampoline_kernelINS0_14default_configENS1_22reduce_config_selectorItEEZNS1_11reduce_implILb1ES3_PtS7_t11plus_mod_10ItEEE10hipError_tPvRmT1_T2_T3_mT4_P12ihipStream_tbEUlT_E1_NS1_11comp_targetILNS1_3genE9ELNS1_11target_archE1100ELNS1_3gpuE3ELNS1_3repE0EEENS1_30default_config_static_selectorELNS0_4arch9wavefront6targetE1EEEvSD_ ; -- Begin function _ZN7rocprim17ROCPRIM_400000_NS6detail17trampoline_kernelINS0_14default_configENS1_22reduce_config_selectorItEEZNS1_11reduce_implILb1ES3_PtS7_t11plus_mod_10ItEEE10hipError_tPvRmT1_T2_T3_mT4_P12ihipStream_tbEUlT_E1_NS1_11comp_targetILNS1_3genE9ELNS1_11target_archE1100ELNS1_3gpuE3ELNS1_3repE0EEENS1_30default_config_static_selectorELNS0_4arch9wavefront6targetE1EEEvSD_
	.globl	_ZN7rocprim17ROCPRIM_400000_NS6detail17trampoline_kernelINS0_14default_configENS1_22reduce_config_selectorItEEZNS1_11reduce_implILb1ES3_PtS7_t11plus_mod_10ItEEE10hipError_tPvRmT1_T2_T3_mT4_P12ihipStream_tbEUlT_E1_NS1_11comp_targetILNS1_3genE9ELNS1_11target_archE1100ELNS1_3gpuE3ELNS1_3repE0EEENS1_30default_config_static_selectorELNS0_4arch9wavefront6targetE1EEEvSD_
	.p2align	8
	.type	_ZN7rocprim17ROCPRIM_400000_NS6detail17trampoline_kernelINS0_14default_configENS1_22reduce_config_selectorItEEZNS1_11reduce_implILb1ES3_PtS7_t11plus_mod_10ItEEE10hipError_tPvRmT1_T2_T3_mT4_P12ihipStream_tbEUlT_E1_NS1_11comp_targetILNS1_3genE9ELNS1_11target_archE1100ELNS1_3gpuE3ELNS1_3repE0EEENS1_30default_config_static_selectorELNS0_4arch9wavefront6targetE1EEEvSD_,@function
_ZN7rocprim17ROCPRIM_400000_NS6detail17trampoline_kernelINS0_14default_configENS1_22reduce_config_selectorItEEZNS1_11reduce_implILb1ES3_PtS7_t11plus_mod_10ItEEE10hipError_tPvRmT1_T2_T3_mT4_P12ihipStream_tbEUlT_E1_NS1_11comp_targetILNS1_3genE9ELNS1_11target_archE1100ELNS1_3gpuE3ELNS1_3repE0EEENS1_30default_config_static_selectorELNS0_4arch9wavefront6targetE1EEEvSD_: ; @_ZN7rocprim17ROCPRIM_400000_NS6detail17trampoline_kernelINS0_14default_configENS1_22reduce_config_selectorItEEZNS1_11reduce_implILb1ES3_PtS7_t11plus_mod_10ItEEE10hipError_tPvRmT1_T2_T3_mT4_P12ihipStream_tbEUlT_E1_NS1_11comp_targetILNS1_3genE9ELNS1_11target_archE1100ELNS1_3gpuE3ELNS1_3repE0EEENS1_30default_config_static_selectorELNS0_4arch9wavefront6targetE1EEEvSD_
; %bb.0:
	.section	.rodata,"a",@progbits
	.p2align	6, 0x0
	.amdhsa_kernel _ZN7rocprim17ROCPRIM_400000_NS6detail17trampoline_kernelINS0_14default_configENS1_22reduce_config_selectorItEEZNS1_11reduce_implILb1ES3_PtS7_t11plus_mod_10ItEEE10hipError_tPvRmT1_T2_T3_mT4_P12ihipStream_tbEUlT_E1_NS1_11comp_targetILNS1_3genE9ELNS1_11target_archE1100ELNS1_3gpuE3ELNS1_3repE0EEENS1_30default_config_static_selectorELNS0_4arch9wavefront6targetE1EEEvSD_
		.amdhsa_group_segment_fixed_size 0
		.amdhsa_private_segment_fixed_size 0
		.amdhsa_kernarg_size 40
		.amdhsa_user_sgpr_count 2
		.amdhsa_user_sgpr_dispatch_ptr 0
		.amdhsa_user_sgpr_queue_ptr 0
		.amdhsa_user_sgpr_kernarg_segment_ptr 1
		.amdhsa_user_sgpr_dispatch_id 0
		.amdhsa_user_sgpr_kernarg_preload_length 0
		.amdhsa_user_sgpr_kernarg_preload_offset 0
		.amdhsa_user_sgpr_private_segment_size 0
		.amdhsa_uses_dynamic_stack 0
		.amdhsa_enable_private_segment 0
		.amdhsa_system_sgpr_workgroup_id_x 1
		.amdhsa_system_sgpr_workgroup_id_y 0
		.amdhsa_system_sgpr_workgroup_id_z 0
		.amdhsa_system_sgpr_workgroup_info 0
		.amdhsa_system_vgpr_workitem_id 0
		.amdhsa_next_free_vgpr 1
		.amdhsa_next_free_sgpr 0
		.amdhsa_accum_offset 4
		.amdhsa_reserve_vcc 0
		.amdhsa_float_round_mode_32 0
		.amdhsa_float_round_mode_16_64 0
		.amdhsa_float_denorm_mode_32 3
		.amdhsa_float_denorm_mode_16_64 3
		.amdhsa_dx10_clamp 1
		.amdhsa_ieee_mode 1
		.amdhsa_fp16_overflow 0
		.amdhsa_tg_split 0
		.amdhsa_exception_fp_ieee_invalid_op 0
		.amdhsa_exception_fp_denorm_src 0
		.amdhsa_exception_fp_ieee_div_zero 0
		.amdhsa_exception_fp_ieee_overflow 0
		.amdhsa_exception_fp_ieee_underflow 0
		.amdhsa_exception_fp_ieee_inexact 0
		.amdhsa_exception_int_div_zero 0
	.end_amdhsa_kernel
	.section	.text._ZN7rocprim17ROCPRIM_400000_NS6detail17trampoline_kernelINS0_14default_configENS1_22reduce_config_selectorItEEZNS1_11reduce_implILb1ES3_PtS7_t11plus_mod_10ItEEE10hipError_tPvRmT1_T2_T3_mT4_P12ihipStream_tbEUlT_E1_NS1_11comp_targetILNS1_3genE9ELNS1_11target_archE1100ELNS1_3gpuE3ELNS1_3repE0EEENS1_30default_config_static_selectorELNS0_4arch9wavefront6targetE1EEEvSD_,"axG",@progbits,_ZN7rocprim17ROCPRIM_400000_NS6detail17trampoline_kernelINS0_14default_configENS1_22reduce_config_selectorItEEZNS1_11reduce_implILb1ES3_PtS7_t11plus_mod_10ItEEE10hipError_tPvRmT1_T2_T3_mT4_P12ihipStream_tbEUlT_E1_NS1_11comp_targetILNS1_3genE9ELNS1_11target_archE1100ELNS1_3gpuE3ELNS1_3repE0EEENS1_30default_config_static_selectorELNS0_4arch9wavefront6targetE1EEEvSD_,comdat
.Lfunc_end637:
	.size	_ZN7rocprim17ROCPRIM_400000_NS6detail17trampoline_kernelINS0_14default_configENS1_22reduce_config_selectorItEEZNS1_11reduce_implILb1ES3_PtS7_t11plus_mod_10ItEEE10hipError_tPvRmT1_T2_T3_mT4_P12ihipStream_tbEUlT_E1_NS1_11comp_targetILNS1_3genE9ELNS1_11target_archE1100ELNS1_3gpuE3ELNS1_3repE0EEENS1_30default_config_static_selectorELNS0_4arch9wavefront6targetE1EEEvSD_, .Lfunc_end637-_ZN7rocprim17ROCPRIM_400000_NS6detail17trampoline_kernelINS0_14default_configENS1_22reduce_config_selectorItEEZNS1_11reduce_implILb1ES3_PtS7_t11plus_mod_10ItEEE10hipError_tPvRmT1_T2_T3_mT4_P12ihipStream_tbEUlT_E1_NS1_11comp_targetILNS1_3genE9ELNS1_11target_archE1100ELNS1_3gpuE3ELNS1_3repE0EEENS1_30default_config_static_selectorELNS0_4arch9wavefront6targetE1EEEvSD_
                                        ; -- End function
	.set _ZN7rocprim17ROCPRIM_400000_NS6detail17trampoline_kernelINS0_14default_configENS1_22reduce_config_selectorItEEZNS1_11reduce_implILb1ES3_PtS7_t11plus_mod_10ItEEE10hipError_tPvRmT1_T2_T3_mT4_P12ihipStream_tbEUlT_E1_NS1_11comp_targetILNS1_3genE9ELNS1_11target_archE1100ELNS1_3gpuE3ELNS1_3repE0EEENS1_30default_config_static_selectorELNS0_4arch9wavefront6targetE1EEEvSD_.num_vgpr, 0
	.set _ZN7rocprim17ROCPRIM_400000_NS6detail17trampoline_kernelINS0_14default_configENS1_22reduce_config_selectorItEEZNS1_11reduce_implILb1ES3_PtS7_t11plus_mod_10ItEEE10hipError_tPvRmT1_T2_T3_mT4_P12ihipStream_tbEUlT_E1_NS1_11comp_targetILNS1_3genE9ELNS1_11target_archE1100ELNS1_3gpuE3ELNS1_3repE0EEENS1_30default_config_static_selectorELNS0_4arch9wavefront6targetE1EEEvSD_.num_agpr, 0
	.set _ZN7rocprim17ROCPRIM_400000_NS6detail17trampoline_kernelINS0_14default_configENS1_22reduce_config_selectorItEEZNS1_11reduce_implILb1ES3_PtS7_t11plus_mod_10ItEEE10hipError_tPvRmT1_T2_T3_mT4_P12ihipStream_tbEUlT_E1_NS1_11comp_targetILNS1_3genE9ELNS1_11target_archE1100ELNS1_3gpuE3ELNS1_3repE0EEENS1_30default_config_static_selectorELNS0_4arch9wavefront6targetE1EEEvSD_.numbered_sgpr, 0
	.set _ZN7rocprim17ROCPRIM_400000_NS6detail17trampoline_kernelINS0_14default_configENS1_22reduce_config_selectorItEEZNS1_11reduce_implILb1ES3_PtS7_t11plus_mod_10ItEEE10hipError_tPvRmT1_T2_T3_mT4_P12ihipStream_tbEUlT_E1_NS1_11comp_targetILNS1_3genE9ELNS1_11target_archE1100ELNS1_3gpuE3ELNS1_3repE0EEENS1_30default_config_static_selectorELNS0_4arch9wavefront6targetE1EEEvSD_.num_named_barrier, 0
	.set _ZN7rocprim17ROCPRIM_400000_NS6detail17trampoline_kernelINS0_14default_configENS1_22reduce_config_selectorItEEZNS1_11reduce_implILb1ES3_PtS7_t11plus_mod_10ItEEE10hipError_tPvRmT1_T2_T3_mT4_P12ihipStream_tbEUlT_E1_NS1_11comp_targetILNS1_3genE9ELNS1_11target_archE1100ELNS1_3gpuE3ELNS1_3repE0EEENS1_30default_config_static_selectorELNS0_4arch9wavefront6targetE1EEEvSD_.private_seg_size, 0
	.set _ZN7rocprim17ROCPRIM_400000_NS6detail17trampoline_kernelINS0_14default_configENS1_22reduce_config_selectorItEEZNS1_11reduce_implILb1ES3_PtS7_t11plus_mod_10ItEEE10hipError_tPvRmT1_T2_T3_mT4_P12ihipStream_tbEUlT_E1_NS1_11comp_targetILNS1_3genE9ELNS1_11target_archE1100ELNS1_3gpuE3ELNS1_3repE0EEENS1_30default_config_static_selectorELNS0_4arch9wavefront6targetE1EEEvSD_.uses_vcc, 0
	.set _ZN7rocprim17ROCPRIM_400000_NS6detail17trampoline_kernelINS0_14default_configENS1_22reduce_config_selectorItEEZNS1_11reduce_implILb1ES3_PtS7_t11plus_mod_10ItEEE10hipError_tPvRmT1_T2_T3_mT4_P12ihipStream_tbEUlT_E1_NS1_11comp_targetILNS1_3genE9ELNS1_11target_archE1100ELNS1_3gpuE3ELNS1_3repE0EEENS1_30default_config_static_selectorELNS0_4arch9wavefront6targetE1EEEvSD_.uses_flat_scratch, 0
	.set _ZN7rocprim17ROCPRIM_400000_NS6detail17trampoline_kernelINS0_14default_configENS1_22reduce_config_selectorItEEZNS1_11reduce_implILb1ES3_PtS7_t11plus_mod_10ItEEE10hipError_tPvRmT1_T2_T3_mT4_P12ihipStream_tbEUlT_E1_NS1_11comp_targetILNS1_3genE9ELNS1_11target_archE1100ELNS1_3gpuE3ELNS1_3repE0EEENS1_30default_config_static_selectorELNS0_4arch9wavefront6targetE1EEEvSD_.has_dyn_sized_stack, 0
	.set _ZN7rocprim17ROCPRIM_400000_NS6detail17trampoline_kernelINS0_14default_configENS1_22reduce_config_selectorItEEZNS1_11reduce_implILb1ES3_PtS7_t11plus_mod_10ItEEE10hipError_tPvRmT1_T2_T3_mT4_P12ihipStream_tbEUlT_E1_NS1_11comp_targetILNS1_3genE9ELNS1_11target_archE1100ELNS1_3gpuE3ELNS1_3repE0EEENS1_30default_config_static_selectorELNS0_4arch9wavefront6targetE1EEEvSD_.has_recursion, 0
	.set _ZN7rocprim17ROCPRIM_400000_NS6detail17trampoline_kernelINS0_14default_configENS1_22reduce_config_selectorItEEZNS1_11reduce_implILb1ES3_PtS7_t11plus_mod_10ItEEE10hipError_tPvRmT1_T2_T3_mT4_P12ihipStream_tbEUlT_E1_NS1_11comp_targetILNS1_3genE9ELNS1_11target_archE1100ELNS1_3gpuE3ELNS1_3repE0EEENS1_30default_config_static_selectorELNS0_4arch9wavefront6targetE1EEEvSD_.has_indirect_call, 0
	.section	.AMDGPU.csdata,"",@progbits
; Kernel info:
; codeLenInByte = 0
; TotalNumSgprs: 6
; NumVgprs: 0
; NumAgprs: 0
; TotalNumVgprs: 0
; ScratchSize: 0
; MemoryBound: 0
; FloatMode: 240
; IeeeMode: 1
; LDSByteSize: 0 bytes/workgroup (compile time only)
; SGPRBlocks: 0
; VGPRBlocks: 0
; NumSGPRsForWavesPerEU: 6
; NumVGPRsForWavesPerEU: 1
; AccumOffset: 4
; Occupancy: 8
; WaveLimiterHint : 0
; COMPUTE_PGM_RSRC2:SCRATCH_EN: 0
; COMPUTE_PGM_RSRC2:USER_SGPR: 2
; COMPUTE_PGM_RSRC2:TRAP_HANDLER: 0
; COMPUTE_PGM_RSRC2:TGID_X_EN: 1
; COMPUTE_PGM_RSRC2:TGID_Y_EN: 0
; COMPUTE_PGM_RSRC2:TGID_Z_EN: 0
; COMPUTE_PGM_RSRC2:TIDIG_COMP_CNT: 0
; COMPUTE_PGM_RSRC3_GFX90A:ACCUM_OFFSET: 0
; COMPUTE_PGM_RSRC3_GFX90A:TG_SPLIT: 0
	.section	.text._ZN7rocprim17ROCPRIM_400000_NS6detail17trampoline_kernelINS0_14default_configENS1_22reduce_config_selectorItEEZNS1_11reduce_implILb1ES3_PtS7_t11plus_mod_10ItEEE10hipError_tPvRmT1_T2_T3_mT4_P12ihipStream_tbEUlT_E1_NS1_11comp_targetILNS1_3genE8ELNS1_11target_archE1030ELNS1_3gpuE2ELNS1_3repE0EEENS1_30default_config_static_selectorELNS0_4arch9wavefront6targetE1EEEvSD_,"axG",@progbits,_ZN7rocprim17ROCPRIM_400000_NS6detail17trampoline_kernelINS0_14default_configENS1_22reduce_config_selectorItEEZNS1_11reduce_implILb1ES3_PtS7_t11plus_mod_10ItEEE10hipError_tPvRmT1_T2_T3_mT4_P12ihipStream_tbEUlT_E1_NS1_11comp_targetILNS1_3genE8ELNS1_11target_archE1030ELNS1_3gpuE2ELNS1_3repE0EEENS1_30default_config_static_selectorELNS0_4arch9wavefront6targetE1EEEvSD_,comdat
	.protected	_ZN7rocprim17ROCPRIM_400000_NS6detail17trampoline_kernelINS0_14default_configENS1_22reduce_config_selectorItEEZNS1_11reduce_implILb1ES3_PtS7_t11plus_mod_10ItEEE10hipError_tPvRmT1_T2_T3_mT4_P12ihipStream_tbEUlT_E1_NS1_11comp_targetILNS1_3genE8ELNS1_11target_archE1030ELNS1_3gpuE2ELNS1_3repE0EEENS1_30default_config_static_selectorELNS0_4arch9wavefront6targetE1EEEvSD_ ; -- Begin function _ZN7rocprim17ROCPRIM_400000_NS6detail17trampoline_kernelINS0_14default_configENS1_22reduce_config_selectorItEEZNS1_11reduce_implILb1ES3_PtS7_t11plus_mod_10ItEEE10hipError_tPvRmT1_T2_T3_mT4_P12ihipStream_tbEUlT_E1_NS1_11comp_targetILNS1_3genE8ELNS1_11target_archE1030ELNS1_3gpuE2ELNS1_3repE0EEENS1_30default_config_static_selectorELNS0_4arch9wavefront6targetE1EEEvSD_
	.globl	_ZN7rocprim17ROCPRIM_400000_NS6detail17trampoline_kernelINS0_14default_configENS1_22reduce_config_selectorItEEZNS1_11reduce_implILb1ES3_PtS7_t11plus_mod_10ItEEE10hipError_tPvRmT1_T2_T3_mT4_P12ihipStream_tbEUlT_E1_NS1_11comp_targetILNS1_3genE8ELNS1_11target_archE1030ELNS1_3gpuE2ELNS1_3repE0EEENS1_30default_config_static_selectorELNS0_4arch9wavefront6targetE1EEEvSD_
	.p2align	8
	.type	_ZN7rocprim17ROCPRIM_400000_NS6detail17trampoline_kernelINS0_14default_configENS1_22reduce_config_selectorItEEZNS1_11reduce_implILb1ES3_PtS7_t11plus_mod_10ItEEE10hipError_tPvRmT1_T2_T3_mT4_P12ihipStream_tbEUlT_E1_NS1_11comp_targetILNS1_3genE8ELNS1_11target_archE1030ELNS1_3gpuE2ELNS1_3repE0EEENS1_30default_config_static_selectorELNS0_4arch9wavefront6targetE1EEEvSD_,@function
_ZN7rocprim17ROCPRIM_400000_NS6detail17trampoline_kernelINS0_14default_configENS1_22reduce_config_selectorItEEZNS1_11reduce_implILb1ES3_PtS7_t11plus_mod_10ItEEE10hipError_tPvRmT1_T2_T3_mT4_P12ihipStream_tbEUlT_E1_NS1_11comp_targetILNS1_3genE8ELNS1_11target_archE1030ELNS1_3gpuE2ELNS1_3repE0EEENS1_30default_config_static_selectorELNS0_4arch9wavefront6targetE1EEEvSD_: ; @_ZN7rocprim17ROCPRIM_400000_NS6detail17trampoline_kernelINS0_14default_configENS1_22reduce_config_selectorItEEZNS1_11reduce_implILb1ES3_PtS7_t11plus_mod_10ItEEE10hipError_tPvRmT1_T2_T3_mT4_P12ihipStream_tbEUlT_E1_NS1_11comp_targetILNS1_3genE8ELNS1_11target_archE1030ELNS1_3gpuE2ELNS1_3repE0EEENS1_30default_config_static_selectorELNS0_4arch9wavefront6targetE1EEEvSD_
; %bb.0:
	.section	.rodata,"a",@progbits
	.p2align	6, 0x0
	.amdhsa_kernel _ZN7rocprim17ROCPRIM_400000_NS6detail17trampoline_kernelINS0_14default_configENS1_22reduce_config_selectorItEEZNS1_11reduce_implILb1ES3_PtS7_t11plus_mod_10ItEEE10hipError_tPvRmT1_T2_T3_mT4_P12ihipStream_tbEUlT_E1_NS1_11comp_targetILNS1_3genE8ELNS1_11target_archE1030ELNS1_3gpuE2ELNS1_3repE0EEENS1_30default_config_static_selectorELNS0_4arch9wavefront6targetE1EEEvSD_
		.amdhsa_group_segment_fixed_size 0
		.amdhsa_private_segment_fixed_size 0
		.amdhsa_kernarg_size 40
		.amdhsa_user_sgpr_count 2
		.amdhsa_user_sgpr_dispatch_ptr 0
		.amdhsa_user_sgpr_queue_ptr 0
		.amdhsa_user_sgpr_kernarg_segment_ptr 1
		.amdhsa_user_sgpr_dispatch_id 0
		.amdhsa_user_sgpr_kernarg_preload_length 0
		.amdhsa_user_sgpr_kernarg_preload_offset 0
		.amdhsa_user_sgpr_private_segment_size 0
		.amdhsa_uses_dynamic_stack 0
		.amdhsa_enable_private_segment 0
		.amdhsa_system_sgpr_workgroup_id_x 1
		.amdhsa_system_sgpr_workgroup_id_y 0
		.amdhsa_system_sgpr_workgroup_id_z 0
		.amdhsa_system_sgpr_workgroup_info 0
		.amdhsa_system_vgpr_workitem_id 0
		.amdhsa_next_free_vgpr 1
		.amdhsa_next_free_sgpr 0
		.amdhsa_accum_offset 4
		.amdhsa_reserve_vcc 0
		.amdhsa_float_round_mode_32 0
		.amdhsa_float_round_mode_16_64 0
		.amdhsa_float_denorm_mode_32 3
		.amdhsa_float_denorm_mode_16_64 3
		.amdhsa_dx10_clamp 1
		.amdhsa_ieee_mode 1
		.amdhsa_fp16_overflow 0
		.amdhsa_tg_split 0
		.amdhsa_exception_fp_ieee_invalid_op 0
		.amdhsa_exception_fp_denorm_src 0
		.amdhsa_exception_fp_ieee_div_zero 0
		.amdhsa_exception_fp_ieee_overflow 0
		.amdhsa_exception_fp_ieee_underflow 0
		.amdhsa_exception_fp_ieee_inexact 0
		.amdhsa_exception_int_div_zero 0
	.end_amdhsa_kernel
	.section	.text._ZN7rocprim17ROCPRIM_400000_NS6detail17trampoline_kernelINS0_14default_configENS1_22reduce_config_selectorItEEZNS1_11reduce_implILb1ES3_PtS7_t11plus_mod_10ItEEE10hipError_tPvRmT1_T2_T3_mT4_P12ihipStream_tbEUlT_E1_NS1_11comp_targetILNS1_3genE8ELNS1_11target_archE1030ELNS1_3gpuE2ELNS1_3repE0EEENS1_30default_config_static_selectorELNS0_4arch9wavefront6targetE1EEEvSD_,"axG",@progbits,_ZN7rocprim17ROCPRIM_400000_NS6detail17trampoline_kernelINS0_14default_configENS1_22reduce_config_selectorItEEZNS1_11reduce_implILb1ES3_PtS7_t11plus_mod_10ItEEE10hipError_tPvRmT1_T2_T3_mT4_P12ihipStream_tbEUlT_E1_NS1_11comp_targetILNS1_3genE8ELNS1_11target_archE1030ELNS1_3gpuE2ELNS1_3repE0EEENS1_30default_config_static_selectorELNS0_4arch9wavefront6targetE1EEEvSD_,comdat
.Lfunc_end638:
	.size	_ZN7rocprim17ROCPRIM_400000_NS6detail17trampoline_kernelINS0_14default_configENS1_22reduce_config_selectorItEEZNS1_11reduce_implILb1ES3_PtS7_t11plus_mod_10ItEEE10hipError_tPvRmT1_T2_T3_mT4_P12ihipStream_tbEUlT_E1_NS1_11comp_targetILNS1_3genE8ELNS1_11target_archE1030ELNS1_3gpuE2ELNS1_3repE0EEENS1_30default_config_static_selectorELNS0_4arch9wavefront6targetE1EEEvSD_, .Lfunc_end638-_ZN7rocprim17ROCPRIM_400000_NS6detail17trampoline_kernelINS0_14default_configENS1_22reduce_config_selectorItEEZNS1_11reduce_implILb1ES3_PtS7_t11plus_mod_10ItEEE10hipError_tPvRmT1_T2_T3_mT4_P12ihipStream_tbEUlT_E1_NS1_11comp_targetILNS1_3genE8ELNS1_11target_archE1030ELNS1_3gpuE2ELNS1_3repE0EEENS1_30default_config_static_selectorELNS0_4arch9wavefront6targetE1EEEvSD_
                                        ; -- End function
	.set _ZN7rocprim17ROCPRIM_400000_NS6detail17trampoline_kernelINS0_14default_configENS1_22reduce_config_selectorItEEZNS1_11reduce_implILb1ES3_PtS7_t11plus_mod_10ItEEE10hipError_tPvRmT1_T2_T3_mT4_P12ihipStream_tbEUlT_E1_NS1_11comp_targetILNS1_3genE8ELNS1_11target_archE1030ELNS1_3gpuE2ELNS1_3repE0EEENS1_30default_config_static_selectorELNS0_4arch9wavefront6targetE1EEEvSD_.num_vgpr, 0
	.set _ZN7rocprim17ROCPRIM_400000_NS6detail17trampoline_kernelINS0_14default_configENS1_22reduce_config_selectorItEEZNS1_11reduce_implILb1ES3_PtS7_t11plus_mod_10ItEEE10hipError_tPvRmT1_T2_T3_mT4_P12ihipStream_tbEUlT_E1_NS1_11comp_targetILNS1_3genE8ELNS1_11target_archE1030ELNS1_3gpuE2ELNS1_3repE0EEENS1_30default_config_static_selectorELNS0_4arch9wavefront6targetE1EEEvSD_.num_agpr, 0
	.set _ZN7rocprim17ROCPRIM_400000_NS6detail17trampoline_kernelINS0_14default_configENS1_22reduce_config_selectorItEEZNS1_11reduce_implILb1ES3_PtS7_t11plus_mod_10ItEEE10hipError_tPvRmT1_T2_T3_mT4_P12ihipStream_tbEUlT_E1_NS1_11comp_targetILNS1_3genE8ELNS1_11target_archE1030ELNS1_3gpuE2ELNS1_3repE0EEENS1_30default_config_static_selectorELNS0_4arch9wavefront6targetE1EEEvSD_.numbered_sgpr, 0
	.set _ZN7rocprim17ROCPRIM_400000_NS6detail17trampoline_kernelINS0_14default_configENS1_22reduce_config_selectorItEEZNS1_11reduce_implILb1ES3_PtS7_t11plus_mod_10ItEEE10hipError_tPvRmT1_T2_T3_mT4_P12ihipStream_tbEUlT_E1_NS1_11comp_targetILNS1_3genE8ELNS1_11target_archE1030ELNS1_3gpuE2ELNS1_3repE0EEENS1_30default_config_static_selectorELNS0_4arch9wavefront6targetE1EEEvSD_.num_named_barrier, 0
	.set _ZN7rocprim17ROCPRIM_400000_NS6detail17trampoline_kernelINS0_14default_configENS1_22reduce_config_selectorItEEZNS1_11reduce_implILb1ES3_PtS7_t11plus_mod_10ItEEE10hipError_tPvRmT1_T2_T3_mT4_P12ihipStream_tbEUlT_E1_NS1_11comp_targetILNS1_3genE8ELNS1_11target_archE1030ELNS1_3gpuE2ELNS1_3repE0EEENS1_30default_config_static_selectorELNS0_4arch9wavefront6targetE1EEEvSD_.private_seg_size, 0
	.set _ZN7rocprim17ROCPRIM_400000_NS6detail17trampoline_kernelINS0_14default_configENS1_22reduce_config_selectorItEEZNS1_11reduce_implILb1ES3_PtS7_t11plus_mod_10ItEEE10hipError_tPvRmT1_T2_T3_mT4_P12ihipStream_tbEUlT_E1_NS1_11comp_targetILNS1_3genE8ELNS1_11target_archE1030ELNS1_3gpuE2ELNS1_3repE0EEENS1_30default_config_static_selectorELNS0_4arch9wavefront6targetE1EEEvSD_.uses_vcc, 0
	.set _ZN7rocprim17ROCPRIM_400000_NS6detail17trampoline_kernelINS0_14default_configENS1_22reduce_config_selectorItEEZNS1_11reduce_implILb1ES3_PtS7_t11plus_mod_10ItEEE10hipError_tPvRmT1_T2_T3_mT4_P12ihipStream_tbEUlT_E1_NS1_11comp_targetILNS1_3genE8ELNS1_11target_archE1030ELNS1_3gpuE2ELNS1_3repE0EEENS1_30default_config_static_selectorELNS0_4arch9wavefront6targetE1EEEvSD_.uses_flat_scratch, 0
	.set _ZN7rocprim17ROCPRIM_400000_NS6detail17trampoline_kernelINS0_14default_configENS1_22reduce_config_selectorItEEZNS1_11reduce_implILb1ES3_PtS7_t11plus_mod_10ItEEE10hipError_tPvRmT1_T2_T3_mT4_P12ihipStream_tbEUlT_E1_NS1_11comp_targetILNS1_3genE8ELNS1_11target_archE1030ELNS1_3gpuE2ELNS1_3repE0EEENS1_30default_config_static_selectorELNS0_4arch9wavefront6targetE1EEEvSD_.has_dyn_sized_stack, 0
	.set _ZN7rocprim17ROCPRIM_400000_NS6detail17trampoline_kernelINS0_14default_configENS1_22reduce_config_selectorItEEZNS1_11reduce_implILb1ES3_PtS7_t11plus_mod_10ItEEE10hipError_tPvRmT1_T2_T3_mT4_P12ihipStream_tbEUlT_E1_NS1_11comp_targetILNS1_3genE8ELNS1_11target_archE1030ELNS1_3gpuE2ELNS1_3repE0EEENS1_30default_config_static_selectorELNS0_4arch9wavefront6targetE1EEEvSD_.has_recursion, 0
	.set _ZN7rocprim17ROCPRIM_400000_NS6detail17trampoline_kernelINS0_14default_configENS1_22reduce_config_selectorItEEZNS1_11reduce_implILb1ES3_PtS7_t11plus_mod_10ItEEE10hipError_tPvRmT1_T2_T3_mT4_P12ihipStream_tbEUlT_E1_NS1_11comp_targetILNS1_3genE8ELNS1_11target_archE1030ELNS1_3gpuE2ELNS1_3repE0EEENS1_30default_config_static_selectorELNS0_4arch9wavefront6targetE1EEEvSD_.has_indirect_call, 0
	.section	.AMDGPU.csdata,"",@progbits
; Kernel info:
; codeLenInByte = 0
; TotalNumSgprs: 6
; NumVgprs: 0
; NumAgprs: 0
; TotalNumVgprs: 0
; ScratchSize: 0
; MemoryBound: 0
; FloatMode: 240
; IeeeMode: 1
; LDSByteSize: 0 bytes/workgroup (compile time only)
; SGPRBlocks: 0
; VGPRBlocks: 0
; NumSGPRsForWavesPerEU: 6
; NumVGPRsForWavesPerEU: 1
; AccumOffset: 4
; Occupancy: 8
; WaveLimiterHint : 0
; COMPUTE_PGM_RSRC2:SCRATCH_EN: 0
; COMPUTE_PGM_RSRC2:USER_SGPR: 2
; COMPUTE_PGM_RSRC2:TRAP_HANDLER: 0
; COMPUTE_PGM_RSRC2:TGID_X_EN: 1
; COMPUTE_PGM_RSRC2:TGID_Y_EN: 0
; COMPUTE_PGM_RSRC2:TGID_Z_EN: 0
; COMPUTE_PGM_RSRC2:TIDIG_COMP_CNT: 0
; COMPUTE_PGM_RSRC3_GFX90A:ACCUM_OFFSET: 0
; COMPUTE_PGM_RSRC3_GFX90A:TG_SPLIT: 0
	.section	.text._ZN7rocprim17ROCPRIM_400000_NS6detail17trampoline_kernelINS0_14default_configENS1_22reduce_config_selectorItEEZNS1_11reduce_implILb1ES3_N6thrust23THRUST_200600_302600_NS6detail15normal_iteratorINS8_10device_ptrItEEEEPtt11plus_mod_10ItEEE10hipError_tPvRmT1_T2_T3_mT4_P12ihipStream_tbEUlT_E0_NS1_11comp_targetILNS1_3genE0ELNS1_11target_archE4294967295ELNS1_3gpuE0ELNS1_3repE0EEENS1_30default_config_static_selectorELNS0_4arch9wavefront6targetE1EEEvSK_,"axG",@progbits,_ZN7rocprim17ROCPRIM_400000_NS6detail17trampoline_kernelINS0_14default_configENS1_22reduce_config_selectorItEEZNS1_11reduce_implILb1ES3_N6thrust23THRUST_200600_302600_NS6detail15normal_iteratorINS8_10device_ptrItEEEEPtt11plus_mod_10ItEEE10hipError_tPvRmT1_T2_T3_mT4_P12ihipStream_tbEUlT_E0_NS1_11comp_targetILNS1_3genE0ELNS1_11target_archE4294967295ELNS1_3gpuE0ELNS1_3repE0EEENS1_30default_config_static_selectorELNS0_4arch9wavefront6targetE1EEEvSK_,comdat
	.protected	_ZN7rocprim17ROCPRIM_400000_NS6detail17trampoline_kernelINS0_14default_configENS1_22reduce_config_selectorItEEZNS1_11reduce_implILb1ES3_N6thrust23THRUST_200600_302600_NS6detail15normal_iteratorINS8_10device_ptrItEEEEPtt11plus_mod_10ItEEE10hipError_tPvRmT1_T2_T3_mT4_P12ihipStream_tbEUlT_E0_NS1_11comp_targetILNS1_3genE0ELNS1_11target_archE4294967295ELNS1_3gpuE0ELNS1_3repE0EEENS1_30default_config_static_selectorELNS0_4arch9wavefront6targetE1EEEvSK_ ; -- Begin function _ZN7rocprim17ROCPRIM_400000_NS6detail17trampoline_kernelINS0_14default_configENS1_22reduce_config_selectorItEEZNS1_11reduce_implILb1ES3_N6thrust23THRUST_200600_302600_NS6detail15normal_iteratorINS8_10device_ptrItEEEEPtt11plus_mod_10ItEEE10hipError_tPvRmT1_T2_T3_mT4_P12ihipStream_tbEUlT_E0_NS1_11comp_targetILNS1_3genE0ELNS1_11target_archE4294967295ELNS1_3gpuE0ELNS1_3repE0EEENS1_30default_config_static_selectorELNS0_4arch9wavefront6targetE1EEEvSK_
	.globl	_ZN7rocprim17ROCPRIM_400000_NS6detail17trampoline_kernelINS0_14default_configENS1_22reduce_config_selectorItEEZNS1_11reduce_implILb1ES3_N6thrust23THRUST_200600_302600_NS6detail15normal_iteratorINS8_10device_ptrItEEEEPtt11plus_mod_10ItEEE10hipError_tPvRmT1_T2_T3_mT4_P12ihipStream_tbEUlT_E0_NS1_11comp_targetILNS1_3genE0ELNS1_11target_archE4294967295ELNS1_3gpuE0ELNS1_3repE0EEENS1_30default_config_static_selectorELNS0_4arch9wavefront6targetE1EEEvSK_
	.p2align	8
	.type	_ZN7rocprim17ROCPRIM_400000_NS6detail17trampoline_kernelINS0_14default_configENS1_22reduce_config_selectorItEEZNS1_11reduce_implILb1ES3_N6thrust23THRUST_200600_302600_NS6detail15normal_iteratorINS8_10device_ptrItEEEEPtt11plus_mod_10ItEEE10hipError_tPvRmT1_T2_T3_mT4_P12ihipStream_tbEUlT_E0_NS1_11comp_targetILNS1_3genE0ELNS1_11target_archE4294967295ELNS1_3gpuE0ELNS1_3repE0EEENS1_30default_config_static_selectorELNS0_4arch9wavefront6targetE1EEEvSK_,@function
_ZN7rocprim17ROCPRIM_400000_NS6detail17trampoline_kernelINS0_14default_configENS1_22reduce_config_selectorItEEZNS1_11reduce_implILb1ES3_N6thrust23THRUST_200600_302600_NS6detail15normal_iteratorINS8_10device_ptrItEEEEPtt11plus_mod_10ItEEE10hipError_tPvRmT1_T2_T3_mT4_P12ihipStream_tbEUlT_E0_NS1_11comp_targetILNS1_3genE0ELNS1_11target_archE4294967295ELNS1_3gpuE0ELNS1_3repE0EEENS1_30default_config_static_selectorELNS0_4arch9wavefront6targetE1EEEvSK_: ; @_ZN7rocprim17ROCPRIM_400000_NS6detail17trampoline_kernelINS0_14default_configENS1_22reduce_config_selectorItEEZNS1_11reduce_implILb1ES3_N6thrust23THRUST_200600_302600_NS6detail15normal_iteratorINS8_10device_ptrItEEEEPtt11plus_mod_10ItEEE10hipError_tPvRmT1_T2_T3_mT4_P12ihipStream_tbEUlT_E0_NS1_11comp_targetILNS1_3genE0ELNS1_11target_archE4294967295ELNS1_3gpuE0ELNS1_3repE0EEENS1_30default_config_static_selectorELNS0_4arch9wavefront6targetE1EEEvSK_
; %bb.0:
	s_load_dwordx8 s[12:19], s[0:1], 0x0
	s_load_dwordx4 s[20:23], s[0:1], 0x20
	v_lshlrev_b32_e32 v6, 1, v0
	v_mbcnt_lo_u32_b32 v1, -1, 0
	s_waitcnt lgkmcnt(0)
	s_lshl_b64 s[4:5], s[14:15], 1
	s_add_u32 s10, s12, s4
	s_addc_u32 s11, s13, s5
	s_lshl_b32 s4, s2, 10
	s_mov_b32 s5, 0
	s_lshr_b64 s[6:7], s[16:17], 10
	s_lshl_b64 s[8:9], s[4:5], 1
	s_add_u32 s14, s10, s8
	s_mov_b32 s3, s5
	s_addc_u32 s15, s11, s9
	s_cmp_lg_u64 s[6:7], s[2:3]
	s_cbranch_scc0 .LBB639_6
; %bb.1:
	v_mov_b32_e32 v7, 0
	v_lshl_add_u64 v[2:3], s[14:15], 0, v[6:7]
	flat_load_ushort v5, v[2:3] offset:256
	flat_load_ushort v7, v[2:3]
	flat_load_ushort v8, v[2:3] offset:512
	flat_load_ushort v9, v[2:3] offset:768
	;; [unrolled: 1-line block ×6, first 2 shown]
	s_mov_b32 s5, 0xcccd
	v_mbcnt_hi_u32_b32 v3, -1, v1
	v_lshlrev_b32_e32 v4, 2, v3
	v_cmp_eq_u32_e32 vcc, 0, v3
	s_waitcnt vmcnt(0) lgkmcnt(0)
	v_mul_u32_u24_sdwa v2, v5, s5 dst_sel:DWORD dst_unused:UNUSED_PAD src0_sel:WORD_0 src1_sel:DWORD
	v_mul_u32_u24_sdwa v14, v7, s5 dst_sel:DWORD dst_unused:UNUSED_PAD src0_sel:WORD_0 src1_sel:DWORD
	v_lshrrev_b32_e32 v2, 19, v2
	v_lshrrev_b32_e32 v14, 19, v14
	v_mul_lo_u16_e32 v2, 10, v2
	v_mul_lo_u16_e32 v14, 10, v14
	v_sub_u16_e32 v2, v5, v2
	v_sub_u16_e32 v5, v7, v14
	v_add_u16_e32 v2, v2, v5
	v_add_u16_e32 v5, -10, v2
	v_min_u16_e32 v2, v2, v5
	v_mul_u32_u24_sdwa v15, v8, s5 dst_sel:DWORD dst_unused:UNUSED_PAD src0_sel:WORD_0 src1_sel:DWORD
	v_mul_u32_u24_e32 v5, 0xcccd, v2
	v_lshrrev_b32_e32 v15, 19, v15
	v_lshrrev_b32_e32 v5, 19, v5
	v_mul_lo_u16_e32 v15, 10, v15
	v_mul_lo_u16_e32 v5, 10, v5
	v_sub_u16_e32 v7, v8, v15
	v_sub_u16_e32 v2, v2, v5
	v_add_u16_e32 v2, v2, v7
	v_add_u16_e32 v5, -10, v2
	v_min_u16_e32 v2, v2, v5
	v_mul_u32_u24_sdwa v16, v9, s5 dst_sel:DWORD dst_unused:UNUSED_PAD src0_sel:WORD_0 src1_sel:DWORD
	v_mul_u32_u24_e32 v5, 0xcccd, v2
	;; [unrolled: 11-line block ×6, first 2 shown]
	v_lshrrev_b32_e32 v20, 19, v20
	v_lshrrev_b32_e32 v5, 19, v5
	v_mul_lo_u16_e32 v20, 10, v20
	v_mul_lo_u16_e32 v5, 10, v5
	v_sub_u16_e32 v12, v13, v20
	v_sub_u16_e32 v2, v2, v5
	v_add_u16_e32 v2, v2, v12
	v_add_u16_e32 v5, -10, v2
	v_min_u16_e32 v2, v2, v5
	v_mul_u32_u24_e32 v7, 0xcccd, v2
	v_lshrrev_b32_e32 v7, 19, v7
	v_mov_b32_dpp v5, v2 quad_perm:[1,0,3,2] row_mask:0xf bank_mask:0xf bound_ctrl:1
	v_mul_u32_u24_sdwa v8, v5, s5 dst_sel:DWORD dst_unused:UNUSED_PAD src0_sel:WORD_0 src1_sel:DWORD
	v_mul_lo_u16_e32 v7, 10, v7
	v_lshrrev_b32_e32 v8, 19, v8
	v_sub_u16_e32 v2, v2, v7
	v_mul_lo_u16_e32 v7, 10, v8
	v_sub_u16_e32 v5, v5, v7
	v_add_u16_e32 v2, v2, v5
	v_add_u16_e32 v5, -10, v2
	v_min_u16_e32 v2, v2, v5
	s_nop 1
	v_mov_b32_dpp v5, v2 quad_perm:[2,3,0,1] row_mask:0xf bank_mask:0xf bound_ctrl:1
	v_mul_u32_u24_sdwa v7, v5, s5 dst_sel:DWORD dst_unused:UNUSED_PAD src0_sel:WORD_0 src1_sel:DWORD
	v_lshrrev_b32_e32 v7, 19, v7
	v_mul_lo_u16_e32 v7, 10, v7
	v_sub_u16_e32 v5, v5, v7
	v_add_u16_e32 v2, v2, v5
	v_add_u16_e32 v5, -10, v2
	v_min_u16_e32 v2, v2, v5
	v_mul_u32_u24_e32 v7, 0xcccd, v2
	v_lshrrev_b32_e32 v7, 19, v7
	v_mov_b32_dpp v5, v2 row_ror:4 row_mask:0xf bank_mask:0xf bound_ctrl:1
	v_mul_u32_u24_sdwa v8, v5, s5 dst_sel:DWORD dst_unused:UNUSED_PAD src0_sel:WORD_0 src1_sel:DWORD
	v_mul_lo_u16_e32 v7, 10, v7
	v_lshrrev_b32_e32 v8, 19, v8
	v_sub_u16_e32 v2, v2, v7
	v_mul_lo_u16_e32 v7, 10, v8
	v_sub_u16_e32 v5, v5, v7
	v_add_u16_e32 v2, v2, v5
	v_add_u16_e32 v5, -10, v2
	v_min_u16_e32 v2, v2, v5
	v_mul_u32_u24_e32 v7, 0xcccd, v2
	v_lshrrev_b32_e32 v7, 19, v7
	v_mov_b32_dpp v5, v2 row_ror:8 row_mask:0xf bank_mask:0xf bound_ctrl:1
	v_mul_u32_u24_sdwa v8, v5, s5 dst_sel:DWORD dst_unused:UNUSED_PAD src0_sel:WORD_0 src1_sel:DWORD
	v_mul_lo_u16_e32 v7, 10, v7
	v_lshrrev_b32_e32 v8, 19, v8
	v_sub_u16_e32 v2, v2, v7
	v_mul_lo_u16_e32 v7, 10, v8
	v_sub_u16_e32 v5, v5, v7
	v_add_u16_e32 v2, v2, v5
	v_add_u16_e32 v5, -10, v2
	v_min_u16_e32 v2, v2, v5
	v_mul_u32_u24_e32 v7, 0xcccd, v2
	v_lshrrev_b32_e32 v7, 19, v7
	v_mov_b32_dpp v5, v2 row_bcast:15 row_mask:0xf bank_mask:0xf bound_ctrl:1
	v_mul_u32_u24_sdwa v8, v5, s5 dst_sel:DWORD dst_unused:UNUSED_PAD src0_sel:WORD_0 src1_sel:DWORD
	v_mul_lo_u16_e32 v7, 10, v7
	v_lshrrev_b32_e32 v8, 19, v8
	v_sub_u16_e32 v2, v2, v7
	v_mul_lo_u16_e32 v7, 10, v8
	v_sub_u16_e32 v5, v5, v7
	v_add_u16_e32 v2, v2, v5
	v_add_u16_e32 v5, -10, v2
	v_min_u16_e32 v2, v2, v5
	v_mul_u32_u24_e32 v7, 0xcccd, v2
	v_lshrrev_b32_e32 v7, 19, v7
	v_mov_b32_dpp v5, v2 row_bcast:31 row_mask:0xf bank_mask:0xf bound_ctrl:1
	v_mul_u32_u24_sdwa v8, v5, s5 dst_sel:DWORD dst_unused:UNUSED_PAD src0_sel:WORD_0 src1_sel:DWORD
	v_mul_lo_u16_e32 v7, 10, v7
	v_lshrrev_b32_e32 v8, 19, v8
	v_sub_u16_e32 v2, v2, v7
	v_mul_lo_u16_e32 v7, 10, v8
	v_sub_u16_e32 v5, v5, v7
	v_add_u16_e32 v2, v2, v5
	v_add_u16_e32 v5, -10, v2
	v_or_b32_e32 v7, 0xfc, v4
	v_min_u16_e32 v2, v2, v5
	ds_bpermute_b32 v2, v7, v2
	s_and_saveexec_b64 s[6:7], vcc
	s_cbranch_execz .LBB639_3
; %bb.2:
	v_lshrrev_b32_e32 v5, 5, v0
	v_and_b32_e32 v5, 2, v5
	s_waitcnt lgkmcnt(0)
	ds_write_b16 v5, v2 offset:4
.LBB639_3:
	s_or_b64 exec, exec, s[6:7]
	v_cmp_gt_u32_e32 vcc, 64, v0
	s_waitcnt lgkmcnt(0)
	s_barrier
	s_and_saveexec_b64 s[6:7], vcc
	s_cbranch_execz .LBB639_5
; %bb.4:
	v_and_b32_e32 v2, 1, v3
	v_lshlrev_b32_e32 v2, 1, v2
	ds_read_u16 v2, v2 offset:4
	v_or_b32_e32 v3, 4, v4
	s_waitcnt lgkmcnt(0)
	v_and_b32_e32 v4, 0xffff, v2
	ds_bpermute_b32 v3, v3, v4
	v_mul_u32_u24_e32 v4, 0xcccd, v4
	v_lshrrev_b32_e32 v4, 19, v4
	v_mul_lo_u16_e32 v4, 10, v4
	v_sub_u16_e32 v2, v2, v4
	s_waitcnt lgkmcnt(0)
	v_mul_u32_u24_sdwa v5, v3, s5 dst_sel:DWORD dst_unused:UNUSED_PAD src0_sel:WORD_0 src1_sel:DWORD
	v_lshrrev_b32_e32 v5, 19, v5
	v_mul_lo_u16_e32 v5, 10, v5
	v_sub_u16_e32 v3, v3, v5
	v_add_u16_e32 v2, v3, v2
	v_add_u16_e32 v3, -10, v2
	v_min_u16_e32 v2, v2, v3
.LBB639_5:
	s_or_b64 exec, exec, s[6:7]
	s_load_dword s26, s[0:1], 0x30
	s_branch .LBB639_49
.LBB639_6:
                                        ; implicit-def: $vgpr2
	s_load_dword s26, s[0:1], 0x30
	s_cbranch_execz .LBB639_49
; %bb.7:
	s_sub_i32 s27, s16, s4
	v_mov_b32_e32 v2, 0
	v_cmp_gt_u32_e32 vcc, s27, v0
	v_mov_b32_e32 v3, v2
	v_mov_b32_e32 v4, v2
	;; [unrolled: 1-line block ×3, first 2 shown]
	s_and_saveexec_b64 s[0:1], vcc
	s_cbranch_execz .LBB639_9
; %bb.8:
	v_mov_b32_e32 v7, v2
	v_lshl_add_u64 v[4:5], s[14:15], 0, v[6:7]
	flat_load_ushort v3, v[4:5]
	v_mov_b32_e32 v9, v2
	v_mov_b32_e32 v10, v2
	;; [unrolled: 1-line block ×3, first 2 shown]
	s_waitcnt vmcnt(0) lgkmcnt(0)
	v_and_b32_e32 v8, 0xffff, v3
	v_mov_b64_e32 v[2:3], v[8:9]
	v_mov_b64_e32 v[4:5], v[10:11]
.LBB639_9:
	s_or_b64 exec, exec, s[0:1]
	v_or_b32_e32 v7, 0x80, v0
	v_cmp_gt_u32_e32 vcc, s27, v7
	s_and_saveexec_b64 s[0:1], vcc
	s_cbranch_execz .LBB639_11
; %bb.10:
	v_mov_b32_e32 v7, 0
	v_lshl_add_u64 v[8:9], s[14:15], 0, v[6:7]
	flat_load_ushort v7, v[8:9] offset:256
	s_mov_b32 s4, 0x5040100
	s_waitcnt vmcnt(0) lgkmcnt(0)
	v_perm_b32 v2, v7, v2, s4
.LBB639_11:
	s_or_b64 exec, exec, s[0:1]
	v_or_b32_e32 v7, 0x100, v0
	v_cmp_gt_u32_e64 s[0:1], s27, v7
	s_and_saveexec_b64 s[4:5], s[0:1]
	s_cbranch_execz .LBB639_13
; %bb.12:
	v_mov_b32_e32 v7, 0
	v_lshl_add_u64 v[8:9], s[14:15], 0, v[6:7]
	flat_load_ushort v7, v[8:9] offset:512
	s_mov_b32 s6, 0xffff
	s_waitcnt vmcnt(0) lgkmcnt(0)
	v_bfi_b32 v3, s6, v7, v3
.LBB639_13:
	s_or_b64 exec, exec, s[4:5]
	v_or_b32_e32 v7, 0x180, v0
	v_cmp_gt_u32_e64 s[4:5], s27, v7
	s_and_saveexec_b64 s[6:7], s[4:5]
	s_cbranch_execz .LBB639_15
; %bb.14:
	v_mov_b32_e32 v7, 0
	v_lshl_add_u64 v[8:9], s[14:15], 0, v[6:7]
	flat_load_ushort v7, v[8:9] offset:768
	s_mov_b32 s8, 0x5040100
	s_waitcnt vmcnt(0) lgkmcnt(0)
	v_perm_b32 v3, v7, v3, s8
.LBB639_15:
	s_or_b64 exec, exec, s[6:7]
	v_or_b32_e32 v7, 0x200, v0
	v_cmp_gt_u32_e64 s[6:7], s27, v7
	s_and_saveexec_b64 s[8:9], s[6:7]
	s_cbranch_execz .LBB639_17
; %bb.16:
	v_mov_b32_e32 v7, 0
	v_lshl_add_u64 v[8:9], s[14:15], 0, v[6:7]
	flat_load_ushort v7, v[8:9] offset:1024
	s_mov_b32 s10, 0xffff
	s_waitcnt vmcnt(0) lgkmcnt(0)
	v_bfi_b32 v4, s10, v7, v4
.LBB639_17:
	s_or_b64 exec, exec, s[8:9]
	v_or_b32_e32 v7, 0x280, v0
	v_cmp_gt_u32_e64 s[8:9], s27, v7
	s_and_saveexec_b64 s[10:11], s[8:9]
	;; [unrolled: 26-line block ×3, first 2 shown]
	s_cbranch_execnz .LBB639_52
; %bb.22:
	s_or_b64 exec, exec, s[24:25]
	s_and_saveexec_b64 s[14:15], vcc
	s_cbranch_execnz .LBB639_53
.LBB639_23:
	s_or_b64 exec, exec, s[14:15]
	s_and_saveexec_b64 s[14:15], s[0:1]
	s_cbranch_execnz .LBB639_54
.LBB639_24:
	s_or_b64 exec, exec, s[14:15]
	s_and_saveexec_b64 s[0:1], s[4:5]
	s_cbranch_execnz .LBB639_55
.LBB639_25:
	s_or_b64 exec, exec, s[0:1]
	s_and_saveexec_b64 s[0:1], s[6:7]
	s_cbranch_execnz .LBB639_56
.LBB639_26:
	s_or_b64 exec, exec, s[0:1]
	s_and_saveexec_b64 s[0:1], s[8:9]
	s_cbranch_execnz .LBB639_57
.LBB639_27:
	s_or_b64 exec, exec, s[0:1]
	s_and_saveexec_b64 s[0:1], s[10:11]
	s_cbranch_execnz .LBB639_58
.LBB639_28:
	s_or_b64 exec, exec, s[0:1]
	s_and_saveexec_b64 s[0:1], s[12:13]
	s_cbranch_execz .LBB639_30
.LBB639_29:
	s_mov_b32 s4, 0xcccd
	v_mul_u32_u24_sdwa v3, v5, s4 dst_sel:DWORD dst_unused:UNUSED_PAD src0_sel:WORD_1 src1_sel:DWORD
	v_mul_u32_u24_sdwa v4, v2, s4 dst_sel:DWORD dst_unused:UNUSED_PAD src0_sel:WORD_0 src1_sel:DWORD
	v_lshrrev_b32_e32 v3, 19, v3
	v_lshrrev_b32_e32 v4, 19, v4
	v_mul_lo_u16_e32 v3, 10, v3
	v_mul_lo_u16_e32 v4, 10, v4
	v_sub_u16_sdwa v3, v5, v3 dst_sel:DWORD dst_unused:UNUSED_PAD src0_sel:WORD_1 src1_sel:DWORD
	v_sub_u16_e32 v2, v2, v4
	v_add_u16_e32 v2, v2, v3
	v_add_u16_e32 v3, -10, v2
	v_min_u16_e32 v2, v2, v3
.LBB639_30:
	s_or_b64 exec, exec, s[0:1]
	v_mbcnt_hi_u32_b32 v1, -1, v1
	v_and_b32_e32 v3, 63, v1
	v_cmp_ne_u32_e32 vcc, 63, v3
	v_and_b32_e32 v5, 0xffff, v2
	s_min_u32 s4, s27, 0x80
	v_addc_co_u32_e32 v4, vcc, 0, v1, vcc
	v_lshlrev_b32_e32 v4, 2, v4
	ds_bpermute_b32 v6, v4, v5
	v_and_b32_e32 v4, 64, v0
	v_sub_u32_e64 v4, s4, v4 clamp
	v_add_u32_e32 v7, 1, v3
	v_cmp_lt_u32_e32 vcc, v7, v4
	s_and_saveexec_b64 s[0:1], vcc
	s_xor_b64 s[0:1], exec, s[0:1]
	s_cbranch_execz .LBB639_32
; %bb.31:
	s_mov_b32 s5, 0xcccd
	s_waitcnt lgkmcnt(0)
	v_mul_u32_u24_sdwa v5, v6, s5 dst_sel:DWORD dst_unused:UNUSED_PAD src0_sel:WORD_0 src1_sel:DWORD
	v_lshrrev_b32_e32 v5, 19, v5
	v_mul_lo_u16_e32 v5, 10, v5
	v_sub_u16_e32 v5, v6, v5
	v_mul_u32_u24_sdwa v6, v2, s5 dst_sel:DWORD dst_unused:UNUSED_PAD src0_sel:WORD_0 src1_sel:DWORD
	v_lshrrev_b32_e32 v6, 19, v6
	v_mul_lo_u16_e32 v6, 10, v6
	v_sub_u16_e32 v2, v2, v6
	v_add_u16_e32 v5, v5, v2
	v_add_u16_e32 v6, -10, v5
	v_min_u16_e32 v2, v5, v6
	v_min_u16_e32 v5, v5, v6
.LBB639_32:
	s_or_b64 exec, exec, s[0:1]
	v_cmp_gt_u32_e32 vcc, 62, v3
	v_add_u32_e32 v7, 2, v3
	s_waitcnt lgkmcnt(0)
	v_cndmask_b32_e64 v6, 0, 2, vcc
	v_add_lshl_u32 v6, v6, v1, 2
	ds_bpermute_b32 v6, v6, v5
	v_cmp_lt_u32_e32 vcc, v7, v4
	s_and_saveexec_b64 s[0:1], vcc
	s_cbranch_execz .LBB639_34
; %bb.33:
	s_mov_b32 s5, 0xcccd
	s_waitcnt lgkmcnt(0)
	v_mul_u32_u24_sdwa v5, v6, s5 dst_sel:DWORD dst_unused:UNUSED_PAD src0_sel:WORD_0 src1_sel:DWORD
	v_lshrrev_b32_e32 v5, 19, v5
	v_mul_lo_u16_e32 v5, 10, v5
	v_sub_u16_e32 v5, v6, v5
	v_mul_u32_u24_sdwa v6, v2, s5 dst_sel:DWORD dst_unused:UNUSED_PAD src0_sel:WORD_0 src1_sel:DWORD
	v_lshrrev_b32_e32 v6, 19, v6
	v_mul_lo_u16_e32 v6, 10, v6
	v_sub_u16_e32 v2, v2, v6
	v_add_u16_e32 v5, v5, v2
	v_add_u16_e32 v6, -10, v5
	v_min_u16_e32 v2, v5, v6
	v_min_u16_e32 v5, v5, v6
.LBB639_34:
	s_or_b64 exec, exec, s[0:1]
	v_cmp_gt_u32_e32 vcc, 60, v3
	v_add_u32_e32 v7, 4, v3
	s_waitcnt lgkmcnt(0)
	v_cndmask_b32_e64 v6, 0, 4, vcc
	v_add_lshl_u32 v6, v6, v1, 2
	ds_bpermute_b32 v6, v6, v5
	v_cmp_lt_u32_e32 vcc, v7, v4
	s_and_saveexec_b64 s[0:1], vcc
	;; [unrolled: 26-line block ×4, first 2 shown]
	s_cbranch_execz .LBB639_40
; %bb.39:
	s_mov_b32 s5, 0xcccd
	s_waitcnt lgkmcnt(0)
	v_mul_u32_u24_sdwa v5, v6, s5 dst_sel:DWORD dst_unused:UNUSED_PAD src0_sel:WORD_0 src1_sel:DWORD
	v_lshrrev_b32_e32 v5, 19, v5
	v_mul_lo_u16_e32 v5, 10, v5
	v_sub_u16_e32 v5, v6, v5
	v_mul_u32_u24_sdwa v6, v2, s5 dst_sel:DWORD dst_unused:UNUSED_PAD src0_sel:WORD_0 src1_sel:DWORD
	v_lshrrev_b32_e32 v6, 19, v6
	v_mul_lo_u16_e32 v6, 10, v6
	v_sub_u16_e32 v2, v2, v6
	v_add_u16_e32 v5, v5, v2
	v_add_u16_e32 v6, -10, v5
	v_min_u16_e32 v2, v5, v6
	v_min_u16_e32 v5, v5, v6
.LBB639_40:
	s_or_b64 exec, exec, s[0:1]
	s_waitcnt lgkmcnt(0)
	v_lshlrev_b32_e32 v6, 2, v1
	v_or_b32_e32 v7, 0x80, v6
	ds_bpermute_b32 v5, v7, v5
	v_add_u32_e32 v3, 32, v3
	v_cmp_lt_u32_e32 vcc, v3, v4
	s_and_saveexec_b64 s[0:1], vcc
	s_cbranch_execz .LBB639_42
; %bb.41:
	s_mov_b32 s5, 0xcccd
	s_waitcnt lgkmcnt(0)
	v_mul_u32_u24_sdwa v3, v5, s5 dst_sel:DWORD dst_unused:UNUSED_PAD src0_sel:WORD_0 src1_sel:DWORD
	v_mul_u32_u24_sdwa v4, v2, s5 dst_sel:DWORD dst_unused:UNUSED_PAD src0_sel:WORD_0 src1_sel:DWORD
	v_lshrrev_b32_e32 v3, 19, v3
	v_lshrrev_b32_e32 v4, 19, v4
	v_mul_lo_u16_e32 v3, 10, v3
	v_mul_lo_u16_e32 v4, 10, v4
	v_sub_u16_e32 v3, v5, v3
	v_sub_u16_e32 v2, v2, v4
	v_add_u16_e32 v2, v3, v2
	v_add_u16_e32 v3, -10, v2
	v_min_u16_e32 v2, v2, v3
.LBB639_42:
	s_or_b64 exec, exec, s[0:1]
	v_cmp_eq_u32_e32 vcc, 0, v1
	s_and_saveexec_b64 s[0:1], vcc
; %bb.43:
	v_lshrrev_b32_e32 v3, 5, v0
	v_and_b32_e32 v3, 2, v3
	ds_write_b16 v3, v2
; %bb.44:
	s_or_b64 exec, exec, s[0:1]
	v_cmp_gt_u32_e32 vcc, 2, v0
	s_waitcnt lgkmcnt(0)
	s_barrier
	s_and_saveexec_b64 s[0:1], vcc
	s_cbranch_execz .LBB639_48
; %bb.45:
	v_lshlrev_b32_e32 v2, 1, v1
	ds_read_u16 v2, v2
	v_or_b32_e32 v4, 4, v6
	s_add_i32 s4, s4, 63
	v_and_b32_e32 v1, 1, v1
	s_lshr_b32 s4, s4, 6
	s_waitcnt lgkmcnt(0)
	v_and_b32_e32 v3, 0xffff, v2
	ds_bpermute_b32 v4, v4, v3
	v_add_u32_e32 v1, 1, v1
	v_cmp_gt_u32_e32 vcc, s4, v1
	s_and_saveexec_b64 s[4:5], vcc
	s_cbranch_execz .LBB639_47
; %bb.46:
	s_mov_b32 s6, 0xcccd
	s_waitcnt lgkmcnt(0)
	v_mul_u32_u24_sdwa v1, v4, s6 dst_sel:DWORD dst_unused:UNUSED_PAD src0_sel:WORD_0 src1_sel:DWORD
	v_mul_u32_u24_e32 v3, 0xcccd, v3
	v_lshrrev_b32_e32 v1, 19, v1
	v_lshrrev_b32_e32 v3, 19, v3
	v_mul_lo_u16_e32 v1, 10, v1
	v_mul_lo_u16_e32 v3, 10, v3
	v_sub_u16_e32 v1, v4, v1
	v_sub_u16_e32 v2, v2, v3
	v_add_u16_e32 v1, v1, v2
	v_add_u16_e32 v2, -10, v1
	v_min_u16_e32 v2, v1, v2
.LBB639_47:
	s_or_b64 exec, exec, s[4:5]
.LBB639_48:
	s_or_b64 exec, exec, s[0:1]
.LBB639_49:
	v_cmp_eq_u32_e32 vcc, 0, v0
	s_and_saveexec_b64 s[0:1], vcc
	s_cbranch_execnz .LBB639_51
; %bb.50:
	s_endpgm
.LBB639_51:
	s_mul_i32 s0, s22, s21
	s_mul_hi_u32 s1, s22, s20
	s_add_i32 s0, s1, s0
	s_mul_i32 s1, s23, s20
	s_add_i32 s1, s0, s1
	s_mul_i32 s0, s22, s20
	s_lshl_b64 s[0:1], s[0:1], 1
	s_add_u32 s4, s18, s0
	s_addc_u32 s5, s19, s1
	s_cmp_eq_u64 s[16:17], 0
	s_cselect_b64 vcc, -1, 0
	s_lshl_b64 s[0:1], s[2:3], 1
	s_waitcnt lgkmcnt(0)
	v_mov_b32_e32 v0, s26
	s_add_u32 s0, s4, s0
	v_cndmask_b32_e32 v0, v2, v0, vcc
	s_addc_u32 s1, s5, s1
	v_mov_b32_e32 v1, 0
	global_store_short v1, v0, s[0:1]
	s_endpgm
.LBB639_52:
	v_mov_b32_e32 v7, 0
	v_lshl_add_u64 v[6:7], s[14:15], 0, v[6:7]
	flat_load_ushort v6, v[6:7] offset:1792
	s_mov_b32 s14, 0x5040100
	s_waitcnt vmcnt(0) lgkmcnt(0)
	v_perm_b32 v5, v6, v5, s14
	s_or_b64 exec, exec, s[24:25]
	s_and_saveexec_b64 s[14:15], vcc
	s_cbranch_execz .LBB639_23
.LBB639_53:
	s_mov_b32 s24, 0xcccd
	v_mul_u32_u24_sdwa v6, v2, s24 dst_sel:DWORD dst_unused:UNUSED_PAD src0_sel:WORD_1 src1_sel:DWORD
	v_mul_u32_u24_sdwa v7, v2, s24 dst_sel:DWORD dst_unused:UNUSED_PAD src0_sel:WORD_0 src1_sel:DWORD
	v_lshrrev_b32_e32 v6, 19, v6
	v_lshrrev_b32_e32 v7, 19, v7
	v_mul_lo_u16_e32 v6, 10, v6
	v_mul_lo_u16_e32 v7, 10, v7
	v_sub_u16_sdwa v6, v2, v6 dst_sel:DWORD dst_unused:UNUSED_PAD src0_sel:WORD_1 src1_sel:DWORD
	v_sub_u16_e32 v2, v2, v7
	v_add_u16_e32 v2, v6, v2
	v_add_u16_e32 v6, -10, v2
	v_min_u16_e32 v2, v2, v6
	s_or_b64 exec, exec, s[14:15]
	s_and_saveexec_b64 s[14:15], s[0:1]
	s_cbranch_execz .LBB639_24
.LBB639_54:
	s_mov_b32 s0, 0xcccd
	v_mul_u32_u24_sdwa v6, v3, s0 dst_sel:DWORD dst_unused:UNUSED_PAD src0_sel:WORD_0 src1_sel:DWORD
	v_mul_u32_u24_sdwa v7, v2, s0 dst_sel:DWORD dst_unused:UNUSED_PAD src0_sel:WORD_0 src1_sel:DWORD
	v_lshrrev_b32_e32 v6, 19, v6
	v_lshrrev_b32_e32 v7, 19, v7
	v_mul_lo_u16_e32 v6, 10, v6
	v_mul_lo_u16_e32 v7, 10, v7
	v_sub_u16_e32 v6, v3, v6
	v_sub_u16_e32 v2, v2, v7
	v_add_u16_e32 v2, v2, v6
	v_add_u16_e32 v6, -10, v2
	v_min_u16_e32 v2, v2, v6
	s_or_b64 exec, exec, s[14:15]
	s_and_saveexec_b64 s[0:1], s[4:5]
	s_cbranch_execz .LBB639_25
.LBB639_55:
	s_mov_b32 s4, 0xcccd
	v_mul_u32_u24_sdwa v6, v3, s4 dst_sel:DWORD dst_unused:UNUSED_PAD src0_sel:WORD_1 src1_sel:DWORD
	v_lshrrev_b32_e32 v6, 19, v6
	v_mul_lo_u16_e32 v6, 10, v6
	v_sub_u16_sdwa v3, v3, v6 dst_sel:DWORD dst_unused:UNUSED_PAD src0_sel:WORD_1 src1_sel:DWORD
	v_mul_u32_u24_sdwa v6, v2, s4 dst_sel:DWORD dst_unused:UNUSED_PAD src0_sel:WORD_0 src1_sel:DWORD
	v_lshrrev_b32_e32 v6, 19, v6
	v_mul_lo_u16_e32 v6, 10, v6
	v_sub_u16_e32 v2, v2, v6
	v_add_u16_e32 v2, v2, v3
	v_add_u16_e32 v3, -10, v2
	v_min_u16_e32 v2, v2, v3
	s_or_b64 exec, exec, s[0:1]
	s_and_saveexec_b64 s[0:1], s[6:7]
	s_cbranch_execz .LBB639_26
.LBB639_56:
	s_mov_b32 s4, 0xcccd
	v_mul_u32_u24_sdwa v3, v4, s4 dst_sel:DWORD dst_unused:UNUSED_PAD src0_sel:WORD_0 src1_sel:DWORD
	v_mul_u32_u24_sdwa v6, v2, s4 dst_sel:DWORD dst_unused:UNUSED_PAD src0_sel:WORD_0 src1_sel:DWORD
	v_lshrrev_b32_e32 v3, 19, v3
	v_lshrrev_b32_e32 v6, 19, v6
	v_mul_lo_u16_e32 v3, 10, v3
	v_mul_lo_u16_e32 v6, 10, v6
	v_sub_u16_e32 v3, v4, v3
	v_sub_u16_e32 v2, v2, v6
	v_add_u16_e32 v2, v2, v3
	v_add_u16_e32 v3, -10, v2
	v_min_u16_e32 v2, v2, v3
	s_or_b64 exec, exec, s[0:1]
	s_and_saveexec_b64 s[0:1], s[8:9]
	s_cbranch_execz .LBB639_27
.LBB639_57:
	s_mov_b32 s4, 0xcccd
	v_mul_u32_u24_sdwa v3, v4, s4 dst_sel:DWORD dst_unused:UNUSED_PAD src0_sel:WORD_1 src1_sel:DWORD
	v_lshrrev_b32_e32 v3, 19, v3
	v_mul_lo_u16_e32 v3, 10, v3
	v_sub_u16_sdwa v3, v4, v3 dst_sel:DWORD dst_unused:UNUSED_PAD src0_sel:WORD_1 src1_sel:DWORD
	v_mul_u32_u24_sdwa v4, v2, s4 dst_sel:DWORD dst_unused:UNUSED_PAD src0_sel:WORD_0 src1_sel:DWORD
	v_lshrrev_b32_e32 v4, 19, v4
	v_mul_lo_u16_e32 v4, 10, v4
	v_sub_u16_e32 v2, v2, v4
	v_add_u16_e32 v2, v2, v3
	v_add_u16_e32 v3, -10, v2
	v_min_u16_e32 v2, v2, v3
	s_or_b64 exec, exec, s[0:1]
	s_and_saveexec_b64 s[0:1], s[10:11]
	s_cbranch_execz .LBB639_28
.LBB639_58:
	s_mov_b32 s4, 0xcccd
	v_mul_u32_u24_sdwa v3, v5, s4 dst_sel:DWORD dst_unused:UNUSED_PAD src0_sel:WORD_0 src1_sel:DWORD
	v_mul_u32_u24_sdwa v4, v2, s4 dst_sel:DWORD dst_unused:UNUSED_PAD src0_sel:WORD_0 src1_sel:DWORD
	v_lshrrev_b32_e32 v3, 19, v3
	v_lshrrev_b32_e32 v4, 19, v4
	v_mul_lo_u16_e32 v3, 10, v3
	v_mul_lo_u16_e32 v4, 10, v4
	v_sub_u16_e32 v3, v5, v3
	v_sub_u16_e32 v2, v2, v4
	v_add_u16_e32 v2, v2, v3
	v_add_u16_e32 v3, -10, v2
	v_min_u16_e32 v2, v2, v3
	s_or_b64 exec, exec, s[0:1]
	s_and_saveexec_b64 s[0:1], s[12:13]
	s_cbranch_execnz .LBB639_29
	s_branch .LBB639_30
	.section	.rodata,"a",@progbits
	.p2align	6, 0x0
	.amdhsa_kernel _ZN7rocprim17ROCPRIM_400000_NS6detail17trampoline_kernelINS0_14default_configENS1_22reduce_config_selectorItEEZNS1_11reduce_implILb1ES3_N6thrust23THRUST_200600_302600_NS6detail15normal_iteratorINS8_10device_ptrItEEEEPtt11plus_mod_10ItEEE10hipError_tPvRmT1_T2_T3_mT4_P12ihipStream_tbEUlT_E0_NS1_11comp_targetILNS1_3genE0ELNS1_11target_archE4294967295ELNS1_3gpuE0ELNS1_3repE0EEENS1_30default_config_static_selectorELNS0_4arch9wavefront6targetE1EEEvSK_
		.amdhsa_group_segment_fixed_size 8
		.amdhsa_private_segment_fixed_size 0
		.amdhsa_kernarg_size 56
		.amdhsa_user_sgpr_count 2
		.amdhsa_user_sgpr_dispatch_ptr 0
		.amdhsa_user_sgpr_queue_ptr 0
		.amdhsa_user_sgpr_kernarg_segment_ptr 1
		.amdhsa_user_sgpr_dispatch_id 0
		.amdhsa_user_sgpr_kernarg_preload_length 0
		.amdhsa_user_sgpr_kernarg_preload_offset 0
		.amdhsa_user_sgpr_private_segment_size 0
		.amdhsa_uses_dynamic_stack 0
		.amdhsa_enable_private_segment 0
		.amdhsa_system_sgpr_workgroup_id_x 1
		.amdhsa_system_sgpr_workgroup_id_y 0
		.amdhsa_system_sgpr_workgroup_id_z 0
		.amdhsa_system_sgpr_workgroup_info 0
		.amdhsa_system_vgpr_workitem_id 0
		.amdhsa_next_free_vgpr 21
		.amdhsa_next_free_sgpr 28
		.amdhsa_accum_offset 24
		.amdhsa_reserve_vcc 1
		.amdhsa_float_round_mode_32 0
		.amdhsa_float_round_mode_16_64 0
		.amdhsa_float_denorm_mode_32 3
		.amdhsa_float_denorm_mode_16_64 3
		.amdhsa_dx10_clamp 1
		.amdhsa_ieee_mode 1
		.amdhsa_fp16_overflow 0
		.amdhsa_tg_split 0
		.amdhsa_exception_fp_ieee_invalid_op 0
		.amdhsa_exception_fp_denorm_src 0
		.amdhsa_exception_fp_ieee_div_zero 0
		.amdhsa_exception_fp_ieee_overflow 0
		.amdhsa_exception_fp_ieee_underflow 0
		.amdhsa_exception_fp_ieee_inexact 0
		.amdhsa_exception_int_div_zero 0
	.end_amdhsa_kernel
	.section	.text._ZN7rocprim17ROCPRIM_400000_NS6detail17trampoline_kernelINS0_14default_configENS1_22reduce_config_selectorItEEZNS1_11reduce_implILb1ES3_N6thrust23THRUST_200600_302600_NS6detail15normal_iteratorINS8_10device_ptrItEEEEPtt11plus_mod_10ItEEE10hipError_tPvRmT1_T2_T3_mT4_P12ihipStream_tbEUlT_E0_NS1_11comp_targetILNS1_3genE0ELNS1_11target_archE4294967295ELNS1_3gpuE0ELNS1_3repE0EEENS1_30default_config_static_selectorELNS0_4arch9wavefront6targetE1EEEvSK_,"axG",@progbits,_ZN7rocprim17ROCPRIM_400000_NS6detail17trampoline_kernelINS0_14default_configENS1_22reduce_config_selectorItEEZNS1_11reduce_implILb1ES3_N6thrust23THRUST_200600_302600_NS6detail15normal_iteratorINS8_10device_ptrItEEEEPtt11plus_mod_10ItEEE10hipError_tPvRmT1_T2_T3_mT4_P12ihipStream_tbEUlT_E0_NS1_11comp_targetILNS1_3genE0ELNS1_11target_archE4294967295ELNS1_3gpuE0ELNS1_3repE0EEENS1_30default_config_static_selectorELNS0_4arch9wavefront6targetE1EEEvSK_,comdat
.Lfunc_end639:
	.size	_ZN7rocprim17ROCPRIM_400000_NS6detail17trampoline_kernelINS0_14default_configENS1_22reduce_config_selectorItEEZNS1_11reduce_implILb1ES3_N6thrust23THRUST_200600_302600_NS6detail15normal_iteratorINS8_10device_ptrItEEEEPtt11plus_mod_10ItEEE10hipError_tPvRmT1_T2_T3_mT4_P12ihipStream_tbEUlT_E0_NS1_11comp_targetILNS1_3genE0ELNS1_11target_archE4294967295ELNS1_3gpuE0ELNS1_3repE0EEENS1_30default_config_static_selectorELNS0_4arch9wavefront6targetE1EEEvSK_, .Lfunc_end639-_ZN7rocprim17ROCPRIM_400000_NS6detail17trampoline_kernelINS0_14default_configENS1_22reduce_config_selectorItEEZNS1_11reduce_implILb1ES3_N6thrust23THRUST_200600_302600_NS6detail15normal_iteratorINS8_10device_ptrItEEEEPtt11plus_mod_10ItEEE10hipError_tPvRmT1_T2_T3_mT4_P12ihipStream_tbEUlT_E0_NS1_11comp_targetILNS1_3genE0ELNS1_11target_archE4294967295ELNS1_3gpuE0ELNS1_3repE0EEENS1_30default_config_static_selectorELNS0_4arch9wavefront6targetE1EEEvSK_
                                        ; -- End function
	.set _ZN7rocprim17ROCPRIM_400000_NS6detail17trampoline_kernelINS0_14default_configENS1_22reduce_config_selectorItEEZNS1_11reduce_implILb1ES3_N6thrust23THRUST_200600_302600_NS6detail15normal_iteratorINS8_10device_ptrItEEEEPtt11plus_mod_10ItEEE10hipError_tPvRmT1_T2_T3_mT4_P12ihipStream_tbEUlT_E0_NS1_11comp_targetILNS1_3genE0ELNS1_11target_archE4294967295ELNS1_3gpuE0ELNS1_3repE0EEENS1_30default_config_static_selectorELNS0_4arch9wavefront6targetE1EEEvSK_.num_vgpr, 21
	.set _ZN7rocprim17ROCPRIM_400000_NS6detail17trampoline_kernelINS0_14default_configENS1_22reduce_config_selectorItEEZNS1_11reduce_implILb1ES3_N6thrust23THRUST_200600_302600_NS6detail15normal_iteratorINS8_10device_ptrItEEEEPtt11plus_mod_10ItEEE10hipError_tPvRmT1_T2_T3_mT4_P12ihipStream_tbEUlT_E0_NS1_11comp_targetILNS1_3genE0ELNS1_11target_archE4294967295ELNS1_3gpuE0ELNS1_3repE0EEENS1_30default_config_static_selectorELNS0_4arch9wavefront6targetE1EEEvSK_.num_agpr, 0
	.set _ZN7rocprim17ROCPRIM_400000_NS6detail17trampoline_kernelINS0_14default_configENS1_22reduce_config_selectorItEEZNS1_11reduce_implILb1ES3_N6thrust23THRUST_200600_302600_NS6detail15normal_iteratorINS8_10device_ptrItEEEEPtt11plus_mod_10ItEEE10hipError_tPvRmT1_T2_T3_mT4_P12ihipStream_tbEUlT_E0_NS1_11comp_targetILNS1_3genE0ELNS1_11target_archE4294967295ELNS1_3gpuE0ELNS1_3repE0EEENS1_30default_config_static_selectorELNS0_4arch9wavefront6targetE1EEEvSK_.numbered_sgpr, 28
	.set _ZN7rocprim17ROCPRIM_400000_NS6detail17trampoline_kernelINS0_14default_configENS1_22reduce_config_selectorItEEZNS1_11reduce_implILb1ES3_N6thrust23THRUST_200600_302600_NS6detail15normal_iteratorINS8_10device_ptrItEEEEPtt11plus_mod_10ItEEE10hipError_tPvRmT1_T2_T3_mT4_P12ihipStream_tbEUlT_E0_NS1_11comp_targetILNS1_3genE0ELNS1_11target_archE4294967295ELNS1_3gpuE0ELNS1_3repE0EEENS1_30default_config_static_selectorELNS0_4arch9wavefront6targetE1EEEvSK_.num_named_barrier, 0
	.set _ZN7rocprim17ROCPRIM_400000_NS6detail17trampoline_kernelINS0_14default_configENS1_22reduce_config_selectorItEEZNS1_11reduce_implILb1ES3_N6thrust23THRUST_200600_302600_NS6detail15normal_iteratorINS8_10device_ptrItEEEEPtt11plus_mod_10ItEEE10hipError_tPvRmT1_T2_T3_mT4_P12ihipStream_tbEUlT_E0_NS1_11comp_targetILNS1_3genE0ELNS1_11target_archE4294967295ELNS1_3gpuE0ELNS1_3repE0EEENS1_30default_config_static_selectorELNS0_4arch9wavefront6targetE1EEEvSK_.private_seg_size, 0
	.set _ZN7rocprim17ROCPRIM_400000_NS6detail17trampoline_kernelINS0_14default_configENS1_22reduce_config_selectorItEEZNS1_11reduce_implILb1ES3_N6thrust23THRUST_200600_302600_NS6detail15normal_iteratorINS8_10device_ptrItEEEEPtt11plus_mod_10ItEEE10hipError_tPvRmT1_T2_T3_mT4_P12ihipStream_tbEUlT_E0_NS1_11comp_targetILNS1_3genE0ELNS1_11target_archE4294967295ELNS1_3gpuE0ELNS1_3repE0EEENS1_30default_config_static_selectorELNS0_4arch9wavefront6targetE1EEEvSK_.uses_vcc, 1
	.set _ZN7rocprim17ROCPRIM_400000_NS6detail17trampoline_kernelINS0_14default_configENS1_22reduce_config_selectorItEEZNS1_11reduce_implILb1ES3_N6thrust23THRUST_200600_302600_NS6detail15normal_iteratorINS8_10device_ptrItEEEEPtt11plus_mod_10ItEEE10hipError_tPvRmT1_T2_T3_mT4_P12ihipStream_tbEUlT_E0_NS1_11comp_targetILNS1_3genE0ELNS1_11target_archE4294967295ELNS1_3gpuE0ELNS1_3repE0EEENS1_30default_config_static_selectorELNS0_4arch9wavefront6targetE1EEEvSK_.uses_flat_scratch, 0
	.set _ZN7rocprim17ROCPRIM_400000_NS6detail17trampoline_kernelINS0_14default_configENS1_22reduce_config_selectorItEEZNS1_11reduce_implILb1ES3_N6thrust23THRUST_200600_302600_NS6detail15normal_iteratorINS8_10device_ptrItEEEEPtt11plus_mod_10ItEEE10hipError_tPvRmT1_T2_T3_mT4_P12ihipStream_tbEUlT_E0_NS1_11comp_targetILNS1_3genE0ELNS1_11target_archE4294967295ELNS1_3gpuE0ELNS1_3repE0EEENS1_30default_config_static_selectorELNS0_4arch9wavefront6targetE1EEEvSK_.has_dyn_sized_stack, 0
	.set _ZN7rocprim17ROCPRIM_400000_NS6detail17trampoline_kernelINS0_14default_configENS1_22reduce_config_selectorItEEZNS1_11reduce_implILb1ES3_N6thrust23THRUST_200600_302600_NS6detail15normal_iteratorINS8_10device_ptrItEEEEPtt11plus_mod_10ItEEE10hipError_tPvRmT1_T2_T3_mT4_P12ihipStream_tbEUlT_E0_NS1_11comp_targetILNS1_3genE0ELNS1_11target_archE4294967295ELNS1_3gpuE0ELNS1_3repE0EEENS1_30default_config_static_selectorELNS0_4arch9wavefront6targetE1EEEvSK_.has_recursion, 0
	.set _ZN7rocprim17ROCPRIM_400000_NS6detail17trampoline_kernelINS0_14default_configENS1_22reduce_config_selectorItEEZNS1_11reduce_implILb1ES3_N6thrust23THRUST_200600_302600_NS6detail15normal_iteratorINS8_10device_ptrItEEEEPtt11plus_mod_10ItEEE10hipError_tPvRmT1_T2_T3_mT4_P12ihipStream_tbEUlT_E0_NS1_11comp_targetILNS1_3genE0ELNS1_11target_archE4294967295ELNS1_3gpuE0ELNS1_3repE0EEENS1_30default_config_static_selectorELNS0_4arch9wavefront6targetE1EEEvSK_.has_indirect_call, 0
	.section	.AMDGPU.csdata,"",@progbits
; Kernel info:
; codeLenInByte = 3276
; TotalNumSgprs: 34
; NumVgprs: 21
; NumAgprs: 0
; TotalNumVgprs: 21
; ScratchSize: 0
; MemoryBound: 0
; FloatMode: 240
; IeeeMode: 1
; LDSByteSize: 8 bytes/workgroup (compile time only)
; SGPRBlocks: 4
; VGPRBlocks: 2
; NumSGPRsForWavesPerEU: 34
; NumVGPRsForWavesPerEU: 21
; AccumOffset: 24
; Occupancy: 8
; WaveLimiterHint : 1
; COMPUTE_PGM_RSRC2:SCRATCH_EN: 0
; COMPUTE_PGM_RSRC2:USER_SGPR: 2
; COMPUTE_PGM_RSRC2:TRAP_HANDLER: 0
; COMPUTE_PGM_RSRC2:TGID_X_EN: 1
; COMPUTE_PGM_RSRC2:TGID_Y_EN: 0
; COMPUTE_PGM_RSRC2:TGID_Z_EN: 0
; COMPUTE_PGM_RSRC2:TIDIG_COMP_CNT: 0
; COMPUTE_PGM_RSRC3_GFX90A:ACCUM_OFFSET: 5
; COMPUTE_PGM_RSRC3_GFX90A:TG_SPLIT: 0
	.section	.text._ZN7rocprim17ROCPRIM_400000_NS6detail17trampoline_kernelINS0_14default_configENS1_22reduce_config_selectorItEEZNS1_11reduce_implILb1ES3_N6thrust23THRUST_200600_302600_NS6detail15normal_iteratorINS8_10device_ptrItEEEEPtt11plus_mod_10ItEEE10hipError_tPvRmT1_T2_T3_mT4_P12ihipStream_tbEUlT_E0_NS1_11comp_targetILNS1_3genE5ELNS1_11target_archE942ELNS1_3gpuE9ELNS1_3repE0EEENS1_30default_config_static_selectorELNS0_4arch9wavefront6targetE1EEEvSK_,"axG",@progbits,_ZN7rocprim17ROCPRIM_400000_NS6detail17trampoline_kernelINS0_14default_configENS1_22reduce_config_selectorItEEZNS1_11reduce_implILb1ES3_N6thrust23THRUST_200600_302600_NS6detail15normal_iteratorINS8_10device_ptrItEEEEPtt11plus_mod_10ItEEE10hipError_tPvRmT1_T2_T3_mT4_P12ihipStream_tbEUlT_E0_NS1_11comp_targetILNS1_3genE5ELNS1_11target_archE942ELNS1_3gpuE9ELNS1_3repE0EEENS1_30default_config_static_selectorELNS0_4arch9wavefront6targetE1EEEvSK_,comdat
	.protected	_ZN7rocprim17ROCPRIM_400000_NS6detail17trampoline_kernelINS0_14default_configENS1_22reduce_config_selectorItEEZNS1_11reduce_implILb1ES3_N6thrust23THRUST_200600_302600_NS6detail15normal_iteratorINS8_10device_ptrItEEEEPtt11plus_mod_10ItEEE10hipError_tPvRmT1_T2_T3_mT4_P12ihipStream_tbEUlT_E0_NS1_11comp_targetILNS1_3genE5ELNS1_11target_archE942ELNS1_3gpuE9ELNS1_3repE0EEENS1_30default_config_static_selectorELNS0_4arch9wavefront6targetE1EEEvSK_ ; -- Begin function _ZN7rocprim17ROCPRIM_400000_NS6detail17trampoline_kernelINS0_14default_configENS1_22reduce_config_selectorItEEZNS1_11reduce_implILb1ES3_N6thrust23THRUST_200600_302600_NS6detail15normal_iteratorINS8_10device_ptrItEEEEPtt11plus_mod_10ItEEE10hipError_tPvRmT1_T2_T3_mT4_P12ihipStream_tbEUlT_E0_NS1_11comp_targetILNS1_3genE5ELNS1_11target_archE942ELNS1_3gpuE9ELNS1_3repE0EEENS1_30default_config_static_selectorELNS0_4arch9wavefront6targetE1EEEvSK_
	.globl	_ZN7rocprim17ROCPRIM_400000_NS6detail17trampoline_kernelINS0_14default_configENS1_22reduce_config_selectorItEEZNS1_11reduce_implILb1ES3_N6thrust23THRUST_200600_302600_NS6detail15normal_iteratorINS8_10device_ptrItEEEEPtt11plus_mod_10ItEEE10hipError_tPvRmT1_T2_T3_mT4_P12ihipStream_tbEUlT_E0_NS1_11comp_targetILNS1_3genE5ELNS1_11target_archE942ELNS1_3gpuE9ELNS1_3repE0EEENS1_30default_config_static_selectorELNS0_4arch9wavefront6targetE1EEEvSK_
	.p2align	8
	.type	_ZN7rocprim17ROCPRIM_400000_NS6detail17trampoline_kernelINS0_14default_configENS1_22reduce_config_selectorItEEZNS1_11reduce_implILb1ES3_N6thrust23THRUST_200600_302600_NS6detail15normal_iteratorINS8_10device_ptrItEEEEPtt11plus_mod_10ItEEE10hipError_tPvRmT1_T2_T3_mT4_P12ihipStream_tbEUlT_E0_NS1_11comp_targetILNS1_3genE5ELNS1_11target_archE942ELNS1_3gpuE9ELNS1_3repE0EEENS1_30default_config_static_selectorELNS0_4arch9wavefront6targetE1EEEvSK_,@function
_ZN7rocprim17ROCPRIM_400000_NS6detail17trampoline_kernelINS0_14default_configENS1_22reduce_config_selectorItEEZNS1_11reduce_implILb1ES3_N6thrust23THRUST_200600_302600_NS6detail15normal_iteratorINS8_10device_ptrItEEEEPtt11plus_mod_10ItEEE10hipError_tPvRmT1_T2_T3_mT4_P12ihipStream_tbEUlT_E0_NS1_11comp_targetILNS1_3genE5ELNS1_11target_archE942ELNS1_3gpuE9ELNS1_3repE0EEENS1_30default_config_static_selectorELNS0_4arch9wavefront6targetE1EEEvSK_: ; @_ZN7rocprim17ROCPRIM_400000_NS6detail17trampoline_kernelINS0_14default_configENS1_22reduce_config_selectorItEEZNS1_11reduce_implILb1ES3_N6thrust23THRUST_200600_302600_NS6detail15normal_iteratorINS8_10device_ptrItEEEEPtt11plus_mod_10ItEEE10hipError_tPvRmT1_T2_T3_mT4_P12ihipStream_tbEUlT_E0_NS1_11comp_targetILNS1_3genE5ELNS1_11target_archE942ELNS1_3gpuE9ELNS1_3repE0EEENS1_30default_config_static_selectorELNS0_4arch9wavefront6targetE1EEEvSK_
; %bb.0:
	.section	.rodata,"a",@progbits
	.p2align	6, 0x0
	.amdhsa_kernel _ZN7rocprim17ROCPRIM_400000_NS6detail17trampoline_kernelINS0_14default_configENS1_22reduce_config_selectorItEEZNS1_11reduce_implILb1ES3_N6thrust23THRUST_200600_302600_NS6detail15normal_iteratorINS8_10device_ptrItEEEEPtt11plus_mod_10ItEEE10hipError_tPvRmT1_T2_T3_mT4_P12ihipStream_tbEUlT_E0_NS1_11comp_targetILNS1_3genE5ELNS1_11target_archE942ELNS1_3gpuE9ELNS1_3repE0EEENS1_30default_config_static_selectorELNS0_4arch9wavefront6targetE1EEEvSK_
		.amdhsa_group_segment_fixed_size 0
		.amdhsa_private_segment_fixed_size 0
		.amdhsa_kernarg_size 56
		.amdhsa_user_sgpr_count 2
		.amdhsa_user_sgpr_dispatch_ptr 0
		.amdhsa_user_sgpr_queue_ptr 0
		.amdhsa_user_sgpr_kernarg_segment_ptr 1
		.amdhsa_user_sgpr_dispatch_id 0
		.amdhsa_user_sgpr_kernarg_preload_length 0
		.amdhsa_user_sgpr_kernarg_preload_offset 0
		.amdhsa_user_sgpr_private_segment_size 0
		.amdhsa_uses_dynamic_stack 0
		.amdhsa_enable_private_segment 0
		.amdhsa_system_sgpr_workgroup_id_x 1
		.amdhsa_system_sgpr_workgroup_id_y 0
		.amdhsa_system_sgpr_workgroup_id_z 0
		.amdhsa_system_sgpr_workgroup_info 0
		.amdhsa_system_vgpr_workitem_id 0
		.amdhsa_next_free_vgpr 1
		.amdhsa_next_free_sgpr 0
		.amdhsa_accum_offset 4
		.amdhsa_reserve_vcc 0
		.amdhsa_float_round_mode_32 0
		.amdhsa_float_round_mode_16_64 0
		.amdhsa_float_denorm_mode_32 3
		.amdhsa_float_denorm_mode_16_64 3
		.amdhsa_dx10_clamp 1
		.amdhsa_ieee_mode 1
		.amdhsa_fp16_overflow 0
		.amdhsa_tg_split 0
		.amdhsa_exception_fp_ieee_invalid_op 0
		.amdhsa_exception_fp_denorm_src 0
		.amdhsa_exception_fp_ieee_div_zero 0
		.amdhsa_exception_fp_ieee_overflow 0
		.amdhsa_exception_fp_ieee_underflow 0
		.amdhsa_exception_fp_ieee_inexact 0
		.amdhsa_exception_int_div_zero 0
	.end_amdhsa_kernel
	.section	.text._ZN7rocprim17ROCPRIM_400000_NS6detail17trampoline_kernelINS0_14default_configENS1_22reduce_config_selectorItEEZNS1_11reduce_implILb1ES3_N6thrust23THRUST_200600_302600_NS6detail15normal_iteratorINS8_10device_ptrItEEEEPtt11plus_mod_10ItEEE10hipError_tPvRmT1_T2_T3_mT4_P12ihipStream_tbEUlT_E0_NS1_11comp_targetILNS1_3genE5ELNS1_11target_archE942ELNS1_3gpuE9ELNS1_3repE0EEENS1_30default_config_static_selectorELNS0_4arch9wavefront6targetE1EEEvSK_,"axG",@progbits,_ZN7rocprim17ROCPRIM_400000_NS6detail17trampoline_kernelINS0_14default_configENS1_22reduce_config_selectorItEEZNS1_11reduce_implILb1ES3_N6thrust23THRUST_200600_302600_NS6detail15normal_iteratorINS8_10device_ptrItEEEEPtt11plus_mod_10ItEEE10hipError_tPvRmT1_T2_T3_mT4_P12ihipStream_tbEUlT_E0_NS1_11comp_targetILNS1_3genE5ELNS1_11target_archE942ELNS1_3gpuE9ELNS1_3repE0EEENS1_30default_config_static_selectorELNS0_4arch9wavefront6targetE1EEEvSK_,comdat
.Lfunc_end640:
	.size	_ZN7rocprim17ROCPRIM_400000_NS6detail17trampoline_kernelINS0_14default_configENS1_22reduce_config_selectorItEEZNS1_11reduce_implILb1ES3_N6thrust23THRUST_200600_302600_NS6detail15normal_iteratorINS8_10device_ptrItEEEEPtt11plus_mod_10ItEEE10hipError_tPvRmT1_T2_T3_mT4_P12ihipStream_tbEUlT_E0_NS1_11comp_targetILNS1_3genE5ELNS1_11target_archE942ELNS1_3gpuE9ELNS1_3repE0EEENS1_30default_config_static_selectorELNS0_4arch9wavefront6targetE1EEEvSK_, .Lfunc_end640-_ZN7rocprim17ROCPRIM_400000_NS6detail17trampoline_kernelINS0_14default_configENS1_22reduce_config_selectorItEEZNS1_11reduce_implILb1ES3_N6thrust23THRUST_200600_302600_NS6detail15normal_iteratorINS8_10device_ptrItEEEEPtt11plus_mod_10ItEEE10hipError_tPvRmT1_T2_T3_mT4_P12ihipStream_tbEUlT_E0_NS1_11comp_targetILNS1_3genE5ELNS1_11target_archE942ELNS1_3gpuE9ELNS1_3repE0EEENS1_30default_config_static_selectorELNS0_4arch9wavefront6targetE1EEEvSK_
                                        ; -- End function
	.set _ZN7rocprim17ROCPRIM_400000_NS6detail17trampoline_kernelINS0_14default_configENS1_22reduce_config_selectorItEEZNS1_11reduce_implILb1ES3_N6thrust23THRUST_200600_302600_NS6detail15normal_iteratorINS8_10device_ptrItEEEEPtt11plus_mod_10ItEEE10hipError_tPvRmT1_T2_T3_mT4_P12ihipStream_tbEUlT_E0_NS1_11comp_targetILNS1_3genE5ELNS1_11target_archE942ELNS1_3gpuE9ELNS1_3repE0EEENS1_30default_config_static_selectorELNS0_4arch9wavefront6targetE1EEEvSK_.num_vgpr, 0
	.set _ZN7rocprim17ROCPRIM_400000_NS6detail17trampoline_kernelINS0_14default_configENS1_22reduce_config_selectorItEEZNS1_11reduce_implILb1ES3_N6thrust23THRUST_200600_302600_NS6detail15normal_iteratorINS8_10device_ptrItEEEEPtt11plus_mod_10ItEEE10hipError_tPvRmT1_T2_T3_mT4_P12ihipStream_tbEUlT_E0_NS1_11comp_targetILNS1_3genE5ELNS1_11target_archE942ELNS1_3gpuE9ELNS1_3repE0EEENS1_30default_config_static_selectorELNS0_4arch9wavefront6targetE1EEEvSK_.num_agpr, 0
	.set _ZN7rocprim17ROCPRIM_400000_NS6detail17trampoline_kernelINS0_14default_configENS1_22reduce_config_selectorItEEZNS1_11reduce_implILb1ES3_N6thrust23THRUST_200600_302600_NS6detail15normal_iteratorINS8_10device_ptrItEEEEPtt11plus_mod_10ItEEE10hipError_tPvRmT1_T2_T3_mT4_P12ihipStream_tbEUlT_E0_NS1_11comp_targetILNS1_3genE5ELNS1_11target_archE942ELNS1_3gpuE9ELNS1_3repE0EEENS1_30default_config_static_selectorELNS0_4arch9wavefront6targetE1EEEvSK_.numbered_sgpr, 0
	.set _ZN7rocprim17ROCPRIM_400000_NS6detail17trampoline_kernelINS0_14default_configENS1_22reduce_config_selectorItEEZNS1_11reduce_implILb1ES3_N6thrust23THRUST_200600_302600_NS6detail15normal_iteratorINS8_10device_ptrItEEEEPtt11plus_mod_10ItEEE10hipError_tPvRmT1_T2_T3_mT4_P12ihipStream_tbEUlT_E0_NS1_11comp_targetILNS1_3genE5ELNS1_11target_archE942ELNS1_3gpuE9ELNS1_3repE0EEENS1_30default_config_static_selectorELNS0_4arch9wavefront6targetE1EEEvSK_.num_named_barrier, 0
	.set _ZN7rocprim17ROCPRIM_400000_NS6detail17trampoline_kernelINS0_14default_configENS1_22reduce_config_selectorItEEZNS1_11reduce_implILb1ES3_N6thrust23THRUST_200600_302600_NS6detail15normal_iteratorINS8_10device_ptrItEEEEPtt11plus_mod_10ItEEE10hipError_tPvRmT1_T2_T3_mT4_P12ihipStream_tbEUlT_E0_NS1_11comp_targetILNS1_3genE5ELNS1_11target_archE942ELNS1_3gpuE9ELNS1_3repE0EEENS1_30default_config_static_selectorELNS0_4arch9wavefront6targetE1EEEvSK_.private_seg_size, 0
	.set _ZN7rocprim17ROCPRIM_400000_NS6detail17trampoline_kernelINS0_14default_configENS1_22reduce_config_selectorItEEZNS1_11reduce_implILb1ES3_N6thrust23THRUST_200600_302600_NS6detail15normal_iteratorINS8_10device_ptrItEEEEPtt11plus_mod_10ItEEE10hipError_tPvRmT1_T2_T3_mT4_P12ihipStream_tbEUlT_E0_NS1_11comp_targetILNS1_3genE5ELNS1_11target_archE942ELNS1_3gpuE9ELNS1_3repE0EEENS1_30default_config_static_selectorELNS0_4arch9wavefront6targetE1EEEvSK_.uses_vcc, 0
	.set _ZN7rocprim17ROCPRIM_400000_NS6detail17trampoline_kernelINS0_14default_configENS1_22reduce_config_selectorItEEZNS1_11reduce_implILb1ES3_N6thrust23THRUST_200600_302600_NS6detail15normal_iteratorINS8_10device_ptrItEEEEPtt11plus_mod_10ItEEE10hipError_tPvRmT1_T2_T3_mT4_P12ihipStream_tbEUlT_E0_NS1_11comp_targetILNS1_3genE5ELNS1_11target_archE942ELNS1_3gpuE9ELNS1_3repE0EEENS1_30default_config_static_selectorELNS0_4arch9wavefront6targetE1EEEvSK_.uses_flat_scratch, 0
	.set _ZN7rocprim17ROCPRIM_400000_NS6detail17trampoline_kernelINS0_14default_configENS1_22reduce_config_selectorItEEZNS1_11reduce_implILb1ES3_N6thrust23THRUST_200600_302600_NS6detail15normal_iteratorINS8_10device_ptrItEEEEPtt11plus_mod_10ItEEE10hipError_tPvRmT1_T2_T3_mT4_P12ihipStream_tbEUlT_E0_NS1_11comp_targetILNS1_3genE5ELNS1_11target_archE942ELNS1_3gpuE9ELNS1_3repE0EEENS1_30default_config_static_selectorELNS0_4arch9wavefront6targetE1EEEvSK_.has_dyn_sized_stack, 0
	.set _ZN7rocprim17ROCPRIM_400000_NS6detail17trampoline_kernelINS0_14default_configENS1_22reduce_config_selectorItEEZNS1_11reduce_implILb1ES3_N6thrust23THRUST_200600_302600_NS6detail15normal_iteratorINS8_10device_ptrItEEEEPtt11plus_mod_10ItEEE10hipError_tPvRmT1_T2_T3_mT4_P12ihipStream_tbEUlT_E0_NS1_11comp_targetILNS1_3genE5ELNS1_11target_archE942ELNS1_3gpuE9ELNS1_3repE0EEENS1_30default_config_static_selectorELNS0_4arch9wavefront6targetE1EEEvSK_.has_recursion, 0
	.set _ZN7rocprim17ROCPRIM_400000_NS6detail17trampoline_kernelINS0_14default_configENS1_22reduce_config_selectorItEEZNS1_11reduce_implILb1ES3_N6thrust23THRUST_200600_302600_NS6detail15normal_iteratorINS8_10device_ptrItEEEEPtt11plus_mod_10ItEEE10hipError_tPvRmT1_T2_T3_mT4_P12ihipStream_tbEUlT_E0_NS1_11comp_targetILNS1_3genE5ELNS1_11target_archE942ELNS1_3gpuE9ELNS1_3repE0EEENS1_30default_config_static_selectorELNS0_4arch9wavefront6targetE1EEEvSK_.has_indirect_call, 0
	.section	.AMDGPU.csdata,"",@progbits
; Kernel info:
; codeLenInByte = 0
; TotalNumSgprs: 6
; NumVgprs: 0
; NumAgprs: 0
; TotalNumVgprs: 0
; ScratchSize: 0
; MemoryBound: 0
; FloatMode: 240
; IeeeMode: 1
; LDSByteSize: 0 bytes/workgroup (compile time only)
; SGPRBlocks: 0
; VGPRBlocks: 0
; NumSGPRsForWavesPerEU: 6
; NumVGPRsForWavesPerEU: 1
; AccumOffset: 4
; Occupancy: 8
; WaveLimiterHint : 0
; COMPUTE_PGM_RSRC2:SCRATCH_EN: 0
; COMPUTE_PGM_RSRC2:USER_SGPR: 2
; COMPUTE_PGM_RSRC2:TRAP_HANDLER: 0
; COMPUTE_PGM_RSRC2:TGID_X_EN: 1
; COMPUTE_PGM_RSRC2:TGID_Y_EN: 0
; COMPUTE_PGM_RSRC2:TGID_Z_EN: 0
; COMPUTE_PGM_RSRC2:TIDIG_COMP_CNT: 0
; COMPUTE_PGM_RSRC3_GFX90A:ACCUM_OFFSET: 0
; COMPUTE_PGM_RSRC3_GFX90A:TG_SPLIT: 0
	.section	.text._ZN7rocprim17ROCPRIM_400000_NS6detail17trampoline_kernelINS0_14default_configENS1_22reduce_config_selectorItEEZNS1_11reduce_implILb1ES3_N6thrust23THRUST_200600_302600_NS6detail15normal_iteratorINS8_10device_ptrItEEEEPtt11plus_mod_10ItEEE10hipError_tPvRmT1_T2_T3_mT4_P12ihipStream_tbEUlT_E0_NS1_11comp_targetILNS1_3genE4ELNS1_11target_archE910ELNS1_3gpuE8ELNS1_3repE0EEENS1_30default_config_static_selectorELNS0_4arch9wavefront6targetE1EEEvSK_,"axG",@progbits,_ZN7rocprim17ROCPRIM_400000_NS6detail17trampoline_kernelINS0_14default_configENS1_22reduce_config_selectorItEEZNS1_11reduce_implILb1ES3_N6thrust23THRUST_200600_302600_NS6detail15normal_iteratorINS8_10device_ptrItEEEEPtt11plus_mod_10ItEEE10hipError_tPvRmT1_T2_T3_mT4_P12ihipStream_tbEUlT_E0_NS1_11comp_targetILNS1_3genE4ELNS1_11target_archE910ELNS1_3gpuE8ELNS1_3repE0EEENS1_30default_config_static_selectorELNS0_4arch9wavefront6targetE1EEEvSK_,comdat
	.protected	_ZN7rocprim17ROCPRIM_400000_NS6detail17trampoline_kernelINS0_14default_configENS1_22reduce_config_selectorItEEZNS1_11reduce_implILb1ES3_N6thrust23THRUST_200600_302600_NS6detail15normal_iteratorINS8_10device_ptrItEEEEPtt11plus_mod_10ItEEE10hipError_tPvRmT1_T2_T3_mT4_P12ihipStream_tbEUlT_E0_NS1_11comp_targetILNS1_3genE4ELNS1_11target_archE910ELNS1_3gpuE8ELNS1_3repE0EEENS1_30default_config_static_selectorELNS0_4arch9wavefront6targetE1EEEvSK_ ; -- Begin function _ZN7rocprim17ROCPRIM_400000_NS6detail17trampoline_kernelINS0_14default_configENS1_22reduce_config_selectorItEEZNS1_11reduce_implILb1ES3_N6thrust23THRUST_200600_302600_NS6detail15normal_iteratorINS8_10device_ptrItEEEEPtt11plus_mod_10ItEEE10hipError_tPvRmT1_T2_T3_mT4_P12ihipStream_tbEUlT_E0_NS1_11comp_targetILNS1_3genE4ELNS1_11target_archE910ELNS1_3gpuE8ELNS1_3repE0EEENS1_30default_config_static_selectorELNS0_4arch9wavefront6targetE1EEEvSK_
	.globl	_ZN7rocprim17ROCPRIM_400000_NS6detail17trampoline_kernelINS0_14default_configENS1_22reduce_config_selectorItEEZNS1_11reduce_implILb1ES3_N6thrust23THRUST_200600_302600_NS6detail15normal_iteratorINS8_10device_ptrItEEEEPtt11plus_mod_10ItEEE10hipError_tPvRmT1_T2_T3_mT4_P12ihipStream_tbEUlT_E0_NS1_11comp_targetILNS1_3genE4ELNS1_11target_archE910ELNS1_3gpuE8ELNS1_3repE0EEENS1_30default_config_static_selectorELNS0_4arch9wavefront6targetE1EEEvSK_
	.p2align	8
	.type	_ZN7rocprim17ROCPRIM_400000_NS6detail17trampoline_kernelINS0_14default_configENS1_22reduce_config_selectorItEEZNS1_11reduce_implILb1ES3_N6thrust23THRUST_200600_302600_NS6detail15normal_iteratorINS8_10device_ptrItEEEEPtt11plus_mod_10ItEEE10hipError_tPvRmT1_T2_T3_mT4_P12ihipStream_tbEUlT_E0_NS1_11comp_targetILNS1_3genE4ELNS1_11target_archE910ELNS1_3gpuE8ELNS1_3repE0EEENS1_30default_config_static_selectorELNS0_4arch9wavefront6targetE1EEEvSK_,@function
_ZN7rocprim17ROCPRIM_400000_NS6detail17trampoline_kernelINS0_14default_configENS1_22reduce_config_selectorItEEZNS1_11reduce_implILb1ES3_N6thrust23THRUST_200600_302600_NS6detail15normal_iteratorINS8_10device_ptrItEEEEPtt11plus_mod_10ItEEE10hipError_tPvRmT1_T2_T3_mT4_P12ihipStream_tbEUlT_E0_NS1_11comp_targetILNS1_3genE4ELNS1_11target_archE910ELNS1_3gpuE8ELNS1_3repE0EEENS1_30default_config_static_selectorELNS0_4arch9wavefront6targetE1EEEvSK_: ; @_ZN7rocprim17ROCPRIM_400000_NS6detail17trampoline_kernelINS0_14default_configENS1_22reduce_config_selectorItEEZNS1_11reduce_implILb1ES3_N6thrust23THRUST_200600_302600_NS6detail15normal_iteratorINS8_10device_ptrItEEEEPtt11plus_mod_10ItEEE10hipError_tPvRmT1_T2_T3_mT4_P12ihipStream_tbEUlT_E0_NS1_11comp_targetILNS1_3genE4ELNS1_11target_archE910ELNS1_3gpuE8ELNS1_3repE0EEENS1_30default_config_static_selectorELNS0_4arch9wavefront6targetE1EEEvSK_
; %bb.0:
	.section	.rodata,"a",@progbits
	.p2align	6, 0x0
	.amdhsa_kernel _ZN7rocprim17ROCPRIM_400000_NS6detail17trampoline_kernelINS0_14default_configENS1_22reduce_config_selectorItEEZNS1_11reduce_implILb1ES3_N6thrust23THRUST_200600_302600_NS6detail15normal_iteratorINS8_10device_ptrItEEEEPtt11plus_mod_10ItEEE10hipError_tPvRmT1_T2_T3_mT4_P12ihipStream_tbEUlT_E0_NS1_11comp_targetILNS1_3genE4ELNS1_11target_archE910ELNS1_3gpuE8ELNS1_3repE0EEENS1_30default_config_static_selectorELNS0_4arch9wavefront6targetE1EEEvSK_
		.amdhsa_group_segment_fixed_size 0
		.amdhsa_private_segment_fixed_size 0
		.amdhsa_kernarg_size 56
		.amdhsa_user_sgpr_count 2
		.amdhsa_user_sgpr_dispatch_ptr 0
		.amdhsa_user_sgpr_queue_ptr 0
		.amdhsa_user_sgpr_kernarg_segment_ptr 1
		.amdhsa_user_sgpr_dispatch_id 0
		.amdhsa_user_sgpr_kernarg_preload_length 0
		.amdhsa_user_sgpr_kernarg_preload_offset 0
		.amdhsa_user_sgpr_private_segment_size 0
		.amdhsa_uses_dynamic_stack 0
		.amdhsa_enable_private_segment 0
		.amdhsa_system_sgpr_workgroup_id_x 1
		.amdhsa_system_sgpr_workgroup_id_y 0
		.amdhsa_system_sgpr_workgroup_id_z 0
		.amdhsa_system_sgpr_workgroup_info 0
		.amdhsa_system_vgpr_workitem_id 0
		.amdhsa_next_free_vgpr 1
		.amdhsa_next_free_sgpr 0
		.amdhsa_accum_offset 4
		.amdhsa_reserve_vcc 0
		.amdhsa_float_round_mode_32 0
		.amdhsa_float_round_mode_16_64 0
		.amdhsa_float_denorm_mode_32 3
		.amdhsa_float_denorm_mode_16_64 3
		.amdhsa_dx10_clamp 1
		.amdhsa_ieee_mode 1
		.amdhsa_fp16_overflow 0
		.amdhsa_tg_split 0
		.amdhsa_exception_fp_ieee_invalid_op 0
		.amdhsa_exception_fp_denorm_src 0
		.amdhsa_exception_fp_ieee_div_zero 0
		.amdhsa_exception_fp_ieee_overflow 0
		.amdhsa_exception_fp_ieee_underflow 0
		.amdhsa_exception_fp_ieee_inexact 0
		.amdhsa_exception_int_div_zero 0
	.end_amdhsa_kernel
	.section	.text._ZN7rocprim17ROCPRIM_400000_NS6detail17trampoline_kernelINS0_14default_configENS1_22reduce_config_selectorItEEZNS1_11reduce_implILb1ES3_N6thrust23THRUST_200600_302600_NS6detail15normal_iteratorINS8_10device_ptrItEEEEPtt11plus_mod_10ItEEE10hipError_tPvRmT1_T2_T3_mT4_P12ihipStream_tbEUlT_E0_NS1_11comp_targetILNS1_3genE4ELNS1_11target_archE910ELNS1_3gpuE8ELNS1_3repE0EEENS1_30default_config_static_selectorELNS0_4arch9wavefront6targetE1EEEvSK_,"axG",@progbits,_ZN7rocprim17ROCPRIM_400000_NS6detail17trampoline_kernelINS0_14default_configENS1_22reduce_config_selectorItEEZNS1_11reduce_implILb1ES3_N6thrust23THRUST_200600_302600_NS6detail15normal_iteratorINS8_10device_ptrItEEEEPtt11plus_mod_10ItEEE10hipError_tPvRmT1_T2_T3_mT4_P12ihipStream_tbEUlT_E0_NS1_11comp_targetILNS1_3genE4ELNS1_11target_archE910ELNS1_3gpuE8ELNS1_3repE0EEENS1_30default_config_static_selectorELNS0_4arch9wavefront6targetE1EEEvSK_,comdat
.Lfunc_end641:
	.size	_ZN7rocprim17ROCPRIM_400000_NS6detail17trampoline_kernelINS0_14default_configENS1_22reduce_config_selectorItEEZNS1_11reduce_implILb1ES3_N6thrust23THRUST_200600_302600_NS6detail15normal_iteratorINS8_10device_ptrItEEEEPtt11plus_mod_10ItEEE10hipError_tPvRmT1_T2_T3_mT4_P12ihipStream_tbEUlT_E0_NS1_11comp_targetILNS1_3genE4ELNS1_11target_archE910ELNS1_3gpuE8ELNS1_3repE0EEENS1_30default_config_static_selectorELNS0_4arch9wavefront6targetE1EEEvSK_, .Lfunc_end641-_ZN7rocprim17ROCPRIM_400000_NS6detail17trampoline_kernelINS0_14default_configENS1_22reduce_config_selectorItEEZNS1_11reduce_implILb1ES3_N6thrust23THRUST_200600_302600_NS6detail15normal_iteratorINS8_10device_ptrItEEEEPtt11plus_mod_10ItEEE10hipError_tPvRmT1_T2_T3_mT4_P12ihipStream_tbEUlT_E0_NS1_11comp_targetILNS1_3genE4ELNS1_11target_archE910ELNS1_3gpuE8ELNS1_3repE0EEENS1_30default_config_static_selectorELNS0_4arch9wavefront6targetE1EEEvSK_
                                        ; -- End function
	.set _ZN7rocprim17ROCPRIM_400000_NS6detail17trampoline_kernelINS0_14default_configENS1_22reduce_config_selectorItEEZNS1_11reduce_implILb1ES3_N6thrust23THRUST_200600_302600_NS6detail15normal_iteratorINS8_10device_ptrItEEEEPtt11plus_mod_10ItEEE10hipError_tPvRmT1_T2_T3_mT4_P12ihipStream_tbEUlT_E0_NS1_11comp_targetILNS1_3genE4ELNS1_11target_archE910ELNS1_3gpuE8ELNS1_3repE0EEENS1_30default_config_static_selectorELNS0_4arch9wavefront6targetE1EEEvSK_.num_vgpr, 0
	.set _ZN7rocprim17ROCPRIM_400000_NS6detail17trampoline_kernelINS0_14default_configENS1_22reduce_config_selectorItEEZNS1_11reduce_implILb1ES3_N6thrust23THRUST_200600_302600_NS6detail15normal_iteratorINS8_10device_ptrItEEEEPtt11plus_mod_10ItEEE10hipError_tPvRmT1_T2_T3_mT4_P12ihipStream_tbEUlT_E0_NS1_11comp_targetILNS1_3genE4ELNS1_11target_archE910ELNS1_3gpuE8ELNS1_3repE0EEENS1_30default_config_static_selectorELNS0_4arch9wavefront6targetE1EEEvSK_.num_agpr, 0
	.set _ZN7rocprim17ROCPRIM_400000_NS6detail17trampoline_kernelINS0_14default_configENS1_22reduce_config_selectorItEEZNS1_11reduce_implILb1ES3_N6thrust23THRUST_200600_302600_NS6detail15normal_iteratorINS8_10device_ptrItEEEEPtt11plus_mod_10ItEEE10hipError_tPvRmT1_T2_T3_mT4_P12ihipStream_tbEUlT_E0_NS1_11comp_targetILNS1_3genE4ELNS1_11target_archE910ELNS1_3gpuE8ELNS1_3repE0EEENS1_30default_config_static_selectorELNS0_4arch9wavefront6targetE1EEEvSK_.numbered_sgpr, 0
	.set _ZN7rocprim17ROCPRIM_400000_NS6detail17trampoline_kernelINS0_14default_configENS1_22reduce_config_selectorItEEZNS1_11reduce_implILb1ES3_N6thrust23THRUST_200600_302600_NS6detail15normal_iteratorINS8_10device_ptrItEEEEPtt11plus_mod_10ItEEE10hipError_tPvRmT1_T2_T3_mT4_P12ihipStream_tbEUlT_E0_NS1_11comp_targetILNS1_3genE4ELNS1_11target_archE910ELNS1_3gpuE8ELNS1_3repE0EEENS1_30default_config_static_selectorELNS0_4arch9wavefront6targetE1EEEvSK_.num_named_barrier, 0
	.set _ZN7rocprim17ROCPRIM_400000_NS6detail17trampoline_kernelINS0_14default_configENS1_22reduce_config_selectorItEEZNS1_11reduce_implILb1ES3_N6thrust23THRUST_200600_302600_NS6detail15normal_iteratorINS8_10device_ptrItEEEEPtt11plus_mod_10ItEEE10hipError_tPvRmT1_T2_T3_mT4_P12ihipStream_tbEUlT_E0_NS1_11comp_targetILNS1_3genE4ELNS1_11target_archE910ELNS1_3gpuE8ELNS1_3repE0EEENS1_30default_config_static_selectorELNS0_4arch9wavefront6targetE1EEEvSK_.private_seg_size, 0
	.set _ZN7rocprim17ROCPRIM_400000_NS6detail17trampoline_kernelINS0_14default_configENS1_22reduce_config_selectorItEEZNS1_11reduce_implILb1ES3_N6thrust23THRUST_200600_302600_NS6detail15normal_iteratorINS8_10device_ptrItEEEEPtt11plus_mod_10ItEEE10hipError_tPvRmT1_T2_T3_mT4_P12ihipStream_tbEUlT_E0_NS1_11comp_targetILNS1_3genE4ELNS1_11target_archE910ELNS1_3gpuE8ELNS1_3repE0EEENS1_30default_config_static_selectorELNS0_4arch9wavefront6targetE1EEEvSK_.uses_vcc, 0
	.set _ZN7rocprim17ROCPRIM_400000_NS6detail17trampoline_kernelINS0_14default_configENS1_22reduce_config_selectorItEEZNS1_11reduce_implILb1ES3_N6thrust23THRUST_200600_302600_NS6detail15normal_iteratorINS8_10device_ptrItEEEEPtt11plus_mod_10ItEEE10hipError_tPvRmT1_T2_T3_mT4_P12ihipStream_tbEUlT_E0_NS1_11comp_targetILNS1_3genE4ELNS1_11target_archE910ELNS1_3gpuE8ELNS1_3repE0EEENS1_30default_config_static_selectorELNS0_4arch9wavefront6targetE1EEEvSK_.uses_flat_scratch, 0
	.set _ZN7rocprim17ROCPRIM_400000_NS6detail17trampoline_kernelINS0_14default_configENS1_22reduce_config_selectorItEEZNS1_11reduce_implILb1ES3_N6thrust23THRUST_200600_302600_NS6detail15normal_iteratorINS8_10device_ptrItEEEEPtt11plus_mod_10ItEEE10hipError_tPvRmT1_T2_T3_mT4_P12ihipStream_tbEUlT_E0_NS1_11comp_targetILNS1_3genE4ELNS1_11target_archE910ELNS1_3gpuE8ELNS1_3repE0EEENS1_30default_config_static_selectorELNS0_4arch9wavefront6targetE1EEEvSK_.has_dyn_sized_stack, 0
	.set _ZN7rocprim17ROCPRIM_400000_NS6detail17trampoline_kernelINS0_14default_configENS1_22reduce_config_selectorItEEZNS1_11reduce_implILb1ES3_N6thrust23THRUST_200600_302600_NS6detail15normal_iteratorINS8_10device_ptrItEEEEPtt11plus_mod_10ItEEE10hipError_tPvRmT1_T2_T3_mT4_P12ihipStream_tbEUlT_E0_NS1_11comp_targetILNS1_3genE4ELNS1_11target_archE910ELNS1_3gpuE8ELNS1_3repE0EEENS1_30default_config_static_selectorELNS0_4arch9wavefront6targetE1EEEvSK_.has_recursion, 0
	.set _ZN7rocprim17ROCPRIM_400000_NS6detail17trampoline_kernelINS0_14default_configENS1_22reduce_config_selectorItEEZNS1_11reduce_implILb1ES3_N6thrust23THRUST_200600_302600_NS6detail15normal_iteratorINS8_10device_ptrItEEEEPtt11plus_mod_10ItEEE10hipError_tPvRmT1_T2_T3_mT4_P12ihipStream_tbEUlT_E0_NS1_11comp_targetILNS1_3genE4ELNS1_11target_archE910ELNS1_3gpuE8ELNS1_3repE0EEENS1_30default_config_static_selectorELNS0_4arch9wavefront6targetE1EEEvSK_.has_indirect_call, 0
	.section	.AMDGPU.csdata,"",@progbits
; Kernel info:
; codeLenInByte = 0
; TotalNumSgprs: 6
; NumVgprs: 0
; NumAgprs: 0
; TotalNumVgprs: 0
; ScratchSize: 0
; MemoryBound: 0
; FloatMode: 240
; IeeeMode: 1
; LDSByteSize: 0 bytes/workgroup (compile time only)
; SGPRBlocks: 0
; VGPRBlocks: 0
; NumSGPRsForWavesPerEU: 6
; NumVGPRsForWavesPerEU: 1
; AccumOffset: 4
; Occupancy: 8
; WaveLimiterHint : 0
; COMPUTE_PGM_RSRC2:SCRATCH_EN: 0
; COMPUTE_PGM_RSRC2:USER_SGPR: 2
; COMPUTE_PGM_RSRC2:TRAP_HANDLER: 0
; COMPUTE_PGM_RSRC2:TGID_X_EN: 1
; COMPUTE_PGM_RSRC2:TGID_Y_EN: 0
; COMPUTE_PGM_RSRC2:TGID_Z_EN: 0
; COMPUTE_PGM_RSRC2:TIDIG_COMP_CNT: 0
; COMPUTE_PGM_RSRC3_GFX90A:ACCUM_OFFSET: 0
; COMPUTE_PGM_RSRC3_GFX90A:TG_SPLIT: 0
	.section	.text._ZN7rocprim17ROCPRIM_400000_NS6detail17trampoline_kernelINS0_14default_configENS1_22reduce_config_selectorItEEZNS1_11reduce_implILb1ES3_N6thrust23THRUST_200600_302600_NS6detail15normal_iteratorINS8_10device_ptrItEEEEPtt11plus_mod_10ItEEE10hipError_tPvRmT1_T2_T3_mT4_P12ihipStream_tbEUlT_E0_NS1_11comp_targetILNS1_3genE3ELNS1_11target_archE908ELNS1_3gpuE7ELNS1_3repE0EEENS1_30default_config_static_selectorELNS0_4arch9wavefront6targetE1EEEvSK_,"axG",@progbits,_ZN7rocprim17ROCPRIM_400000_NS6detail17trampoline_kernelINS0_14default_configENS1_22reduce_config_selectorItEEZNS1_11reduce_implILb1ES3_N6thrust23THRUST_200600_302600_NS6detail15normal_iteratorINS8_10device_ptrItEEEEPtt11plus_mod_10ItEEE10hipError_tPvRmT1_T2_T3_mT4_P12ihipStream_tbEUlT_E0_NS1_11comp_targetILNS1_3genE3ELNS1_11target_archE908ELNS1_3gpuE7ELNS1_3repE0EEENS1_30default_config_static_selectorELNS0_4arch9wavefront6targetE1EEEvSK_,comdat
	.protected	_ZN7rocprim17ROCPRIM_400000_NS6detail17trampoline_kernelINS0_14default_configENS1_22reduce_config_selectorItEEZNS1_11reduce_implILb1ES3_N6thrust23THRUST_200600_302600_NS6detail15normal_iteratorINS8_10device_ptrItEEEEPtt11plus_mod_10ItEEE10hipError_tPvRmT1_T2_T3_mT4_P12ihipStream_tbEUlT_E0_NS1_11comp_targetILNS1_3genE3ELNS1_11target_archE908ELNS1_3gpuE7ELNS1_3repE0EEENS1_30default_config_static_selectorELNS0_4arch9wavefront6targetE1EEEvSK_ ; -- Begin function _ZN7rocprim17ROCPRIM_400000_NS6detail17trampoline_kernelINS0_14default_configENS1_22reduce_config_selectorItEEZNS1_11reduce_implILb1ES3_N6thrust23THRUST_200600_302600_NS6detail15normal_iteratorINS8_10device_ptrItEEEEPtt11plus_mod_10ItEEE10hipError_tPvRmT1_T2_T3_mT4_P12ihipStream_tbEUlT_E0_NS1_11comp_targetILNS1_3genE3ELNS1_11target_archE908ELNS1_3gpuE7ELNS1_3repE0EEENS1_30default_config_static_selectorELNS0_4arch9wavefront6targetE1EEEvSK_
	.globl	_ZN7rocprim17ROCPRIM_400000_NS6detail17trampoline_kernelINS0_14default_configENS1_22reduce_config_selectorItEEZNS1_11reduce_implILb1ES3_N6thrust23THRUST_200600_302600_NS6detail15normal_iteratorINS8_10device_ptrItEEEEPtt11plus_mod_10ItEEE10hipError_tPvRmT1_T2_T3_mT4_P12ihipStream_tbEUlT_E0_NS1_11comp_targetILNS1_3genE3ELNS1_11target_archE908ELNS1_3gpuE7ELNS1_3repE0EEENS1_30default_config_static_selectorELNS0_4arch9wavefront6targetE1EEEvSK_
	.p2align	8
	.type	_ZN7rocprim17ROCPRIM_400000_NS6detail17trampoline_kernelINS0_14default_configENS1_22reduce_config_selectorItEEZNS1_11reduce_implILb1ES3_N6thrust23THRUST_200600_302600_NS6detail15normal_iteratorINS8_10device_ptrItEEEEPtt11plus_mod_10ItEEE10hipError_tPvRmT1_T2_T3_mT4_P12ihipStream_tbEUlT_E0_NS1_11comp_targetILNS1_3genE3ELNS1_11target_archE908ELNS1_3gpuE7ELNS1_3repE0EEENS1_30default_config_static_selectorELNS0_4arch9wavefront6targetE1EEEvSK_,@function
_ZN7rocprim17ROCPRIM_400000_NS6detail17trampoline_kernelINS0_14default_configENS1_22reduce_config_selectorItEEZNS1_11reduce_implILb1ES3_N6thrust23THRUST_200600_302600_NS6detail15normal_iteratorINS8_10device_ptrItEEEEPtt11plus_mod_10ItEEE10hipError_tPvRmT1_T2_T3_mT4_P12ihipStream_tbEUlT_E0_NS1_11comp_targetILNS1_3genE3ELNS1_11target_archE908ELNS1_3gpuE7ELNS1_3repE0EEENS1_30default_config_static_selectorELNS0_4arch9wavefront6targetE1EEEvSK_: ; @_ZN7rocprim17ROCPRIM_400000_NS6detail17trampoline_kernelINS0_14default_configENS1_22reduce_config_selectorItEEZNS1_11reduce_implILb1ES3_N6thrust23THRUST_200600_302600_NS6detail15normal_iteratorINS8_10device_ptrItEEEEPtt11plus_mod_10ItEEE10hipError_tPvRmT1_T2_T3_mT4_P12ihipStream_tbEUlT_E0_NS1_11comp_targetILNS1_3genE3ELNS1_11target_archE908ELNS1_3gpuE7ELNS1_3repE0EEENS1_30default_config_static_selectorELNS0_4arch9wavefront6targetE1EEEvSK_
; %bb.0:
	.section	.rodata,"a",@progbits
	.p2align	6, 0x0
	.amdhsa_kernel _ZN7rocprim17ROCPRIM_400000_NS6detail17trampoline_kernelINS0_14default_configENS1_22reduce_config_selectorItEEZNS1_11reduce_implILb1ES3_N6thrust23THRUST_200600_302600_NS6detail15normal_iteratorINS8_10device_ptrItEEEEPtt11plus_mod_10ItEEE10hipError_tPvRmT1_T2_T3_mT4_P12ihipStream_tbEUlT_E0_NS1_11comp_targetILNS1_3genE3ELNS1_11target_archE908ELNS1_3gpuE7ELNS1_3repE0EEENS1_30default_config_static_selectorELNS0_4arch9wavefront6targetE1EEEvSK_
		.amdhsa_group_segment_fixed_size 0
		.amdhsa_private_segment_fixed_size 0
		.amdhsa_kernarg_size 56
		.amdhsa_user_sgpr_count 2
		.amdhsa_user_sgpr_dispatch_ptr 0
		.amdhsa_user_sgpr_queue_ptr 0
		.amdhsa_user_sgpr_kernarg_segment_ptr 1
		.amdhsa_user_sgpr_dispatch_id 0
		.amdhsa_user_sgpr_kernarg_preload_length 0
		.amdhsa_user_sgpr_kernarg_preload_offset 0
		.amdhsa_user_sgpr_private_segment_size 0
		.amdhsa_uses_dynamic_stack 0
		.amdhsa_enable_private_segment 0
		.amdhsa_system_sgpr_workgroup_id_x 1
		.amdhsa_system_sgpr_workgroup_id_y 0
		.amdhsa_system_sgpr_workgroup_id_z 0
		.amdhsa_system_sgpr_workgroup_info 0
		.amdhsa_system_vgpr_workitem_id 0
		.amdhsa_next_free_vgpr 1
		.amdhsa_next_free_sgpr 0
		.amdhsa_accum_offset 4
		.amdhsa_reserve_vcc 0
		.amdhsa_float_round_mode_32 0
		.amdhsa_float_round_mode_16_64 0
		.amdhsa_float_denorm_mode_32 3
		.amdhsa_float_denorm_mode_16_64 3
		.amdhsa_dx10_clamp 1
		.amdhsa_ieee_mode 1
		.amdhsa_fp16_overflow 0
		.amdhsa_tg_split 0
		.amdhsa_exception_fp_ieee_invalid_op 0
		.amdhsa_exception_fp_denorm_src 0
		.amdhsa_exception_fp_ieee_div_zero 0
		.amdhsa_exception_fp_ieee_overflow 0
		.amdhsa_exception_fp_ieee_underflow 0
		.amdhsa_exception_fp_ieee_inexact 0
		.amdhsa_exception_int_div_zero 0
	.end_amdhsa_kernel
	.section	.text._ZN7rocprim17ROCPRIM_400000_NS6detail17trampoline_kernelINS0_14default_configENS1_22reduce_config_selectorItEEZNS1_11reduce_implILb1ES3_N6thrust23THRUST_200600_302600_NS6detail15normal_iteratorINS8_10device_ptrItEEEEPtt11plus_mod_10ItEEE10hipError_tPvRmT1_T2_T3_mT4_P12ihipStream_tbEUlT_E0_NS1_11comp_targetILNS1_3genE3ELNS1_11target_archE908ELNS1_3gpuE7ELNS1_3repE0EEENS1_30default_config_static_selectorELNS0_4arch9wavefront6targetE1EEEvSK_,"axG",@progbits,_ZN7rocprim17ROCPRIM_400000_NS6detail17trampoline_kernelINS0_14default_configENS1_22reduce_config_selectorItEEZNS1_11reduce_implILb1ES3_N6thrust23THRUST_200600_302600_NS6detail15normal_iteratorINS8_10device_ptrItEEEEPtt11plus_mod_10ItEEE10hipError_tPvRmT1_T2_T3_mT4_P12ihipStream_tbEUlT_E0_NS1_11comp_targetILNS1_3genE3ELNS1_11target_archE908ELNS1_3gpuE7ELNS1_3repE0EEENS1_30default_config_static_selectorELNS0_4arch9wavefront6targetE1EEEvSK_,comdat
.Lfunc_end642:
	.size	_ZN7rocprim17ROCPRIM_400000_NS6detail17trampoline_kernelINS0_14default_configENS1_22reduce_config_selectorItEEZNS1_11reduce_implILb1ES3_N6thrust23THRUST_200600_302600_NS6detail15normal_iteratorINS8_10device_ptrItEEEEPtt11plus_mod_10ItEEE10hipError_tPvRmT1_T2_T3_mT4_P12ihipStream_tbEUlT_E0_NS1_11comp_targetILNS1_3genE3ELNS1_11target_archE908ELNS1_3gpuE7ELNS1_3repE0EEENS1_30default_config_static_selectorELNS0_4arch9wavefront6targetE1EEEvSK_, .Lfunc_end642-_ZN7rocprim17ROCPRIM_400000_NS6detail17trampoline_kernelINS0_14default_configENS1_22reduce_config_selectorItEEZNS1_11reduce_implILb1ES3_N6thrust23THRUST_200600_302600_NS6detail15normal_iteratorINS8_10device_ptrItEEEEPtt11plus_mod_10ItEEE10hipError_tPvRmT1_T2_T3_mT4_P12ihipStream_tbEUlT_E0_NS1_11comp_targetILNS1_3genE3ELNS1_11target_archE908ELNS1_3gpuE7ELNS1_3repE0EEENS1_30default_config_static_selectorELNS0_4arch9wavefront6targetE1EEEvSK_
                                        ; -- End function
	.set _ZN7rocprim17ROCPRIM_400000_NS6detail17trampoline_kernelINS0_14default_configENS1_22reduce_config_selectorItEEZNS1_11reduce_implILb1ES3_N6thrust23THRUST_200600_302600_NS6detail15normal_iteratorINS8_10device_ptrItEEEEPtt11plus_mod_10ItEEE10hipError_tPvRmT1_T2_T3_mT4_P12ihipStream_tbEUlT_E0_NS1_11comp_targetILNS1_3genE3ELNS1_11target_archE908ELNS1_3gpuE7ELNS1_3repE0EEENS1_30default_config_static_selectorELNS0_4arch9wavefront6targetE1EEEvSK_.num_vgpr, 0
	.set _ZN7rocprim17ROCPRIM_400000_NS6detail17trampoline_kernelINS0_14default_configENS1_22reduce_config_selectorItEEZNS1_11reduce_implILb1ES3_N6thrust23THRUST_200600_302600_NS6detail15normal_iteratorINS8_10device_ptrItEEEEPtt11plus_mod_10ItEEE10hipError_tPvRmT1_T2_T3_mT4_P12ihipStream_tbEUlT_E0_NS1_11comp_targetILNS1_3genE3ELNS1_11target_archE908ELNS1_3gpuE7ELNS1_3repE0EEENS1_30default_config_static_selectorELNS0_4arch9wavefront6targetE1EEEvSK_.num_agpr, 0
	.set _ZN7rocprim17ROCPRIM_400000_NS6detail17trampoline_kernelINS0_14default_configENS1_22reduce_config_selectorItEEZNS1_11reduce_implILb1ES3_N6thrust23THRUST_200600_302600_NS6detail15normal_iteratorINS8_10device_ptrItEEEEPtt11plus_mod_10ItEEE10hipError_tPvRmT1_T2_T3_mT4_P12ihipStream_tbEUlT_E0_NS1_11comp_targetILNS1_3genE3ELNS1_11target_archE908ELNS1_3gpuE7ELNS1_3repE0EEENS1_30default_config_static_selectorELNS0_4arch9wavefront6targetE1EEEvSK_.numbered_sgpr, 0
	.set _ZN7rocprim17ROCPRIM_400000_NS6detail17trampoline_kernelINS0_14default_configENS1_22reduce_config_selectorItEEZNS1_11reduce_implILb1ES3_N6thrust23THRUST_200600_302600_NS6detail15normal_iteratorINS8_10device_ptrItEEEEPtt11plus_mod_10ItEEE10hipError_tPvRmT1_T2_T3_mT4_P12ihipStream_tbEUlT_E0_NS1_11comp_targetILNS1_3genE3ELNS1_11target_archE908ELNS1_3gpuE7ELNS1_3repE0EEENS1_30default_config_static_selectorELNS0_4arch9wavefront6targetE1EEEvSK_.num_named_barrier, 0
	.set _ZN7rocprim17ROCPRIM_400000_NS6detail17trampoline_kernelINS0_14default_configENS1_22reduce_config_selectorItEEZNS1_11reduce_implILb1ES3_N6thrust23THRUST_200600_302600_NS6detail15normal_iteratorINS8_10device_ptrItEEEEPtt11plus_mod_10ItEEE10hipError_tPvRmT1_T2_T3_mT4_P12ihipStream_tbEUlT_E0_NS1_11comp_targetILNS1_3genE3ELNS1_11target_archE908ELNS1_3gpuE7ELNS1_3repE0EEENS1_30default_config_static_selectorELNS0_4arch9wavefront6targetE1EEEvSK_.private_seg_size, 0
	.set _ZN7rocprim17ROCPRIM_400000_NS6detail17trampoline_kernelINS0_14default_configENS1_22reduce_config_selectorItEEZNS1_11reduce_implILb1ES3_N6thrust23THRUST_200600_302600_NS6detail15normal_iteratorINS8_10device_ptrItEEEEPtt11plus_mod_10ItEEE10hipError_tPvRmT1_T2_T3_mT4_P12ihipStream_tbEUlT_E0_NS1_11comp_targetILNS1_3genE3ELNS1_11target_archE908ELNS1_3gpuE7ELNS1_3repE0EEENS1_30default_config_static_selectorELNS0_4arch9wavefront6targetE1EEEvSK_.uses_vcc, 0
	.set _ZN7rocprim17ROCPRIM_400000_NS6detail17trampoline_kernelINS0_14default_configENS1_22reduce_config_selectorItEEZNS1_11reduce_implILb1ES3_N6thrust23THRUST_200600_302600_NS6detail15normal_iteratorINS8_10device_ptrItEEEEPtt11plus_mod_10ItEEE10hipError_tPvRmT1_T2_T3_mT4_P12ihipStream_tbEUlT_E0_NS1_11comp_targetILNS1_3genE3ELNS1_11target_archE908ELNS1_3gpuE7ELNS1_3repE0EEENS1_30default_config_static_selectorELNS0_4arch9wavefront6targetE1EEEvSK_.uses_flat_scratch, 0
	.set _ZN7rocprim17ROCPRIM_400000_NS6detail17trampoline_kernelINS0_14default_configENS1_22reduce_config_selectorItEEZNS1_11reduce_implILb1ES3_N6thrust23THRUST_200600_302600_NS6detail15normal_iteratorINS8_10device_ptrItEEEEPtt11plus_mod_10ItEEE10hipError_tPvRmT1_T2_T3_mT4_P12ihipStream_tbEUlT_E0_NS1_11comp_targetILNS1_3genE3ELNS1_11target_archE908ELNS1_3gpuE7ELNS1_3repE0EEENS1_30default_config_static_selectorELNS0_4arch9wavefront6targetE1EEEvSK_.has_dyn_sized_stack, 0
	.set _ZN7rocprim17ROCPRIM_400000_NS6detail17trampoline_kernelINS0_14default_configENS1_22reduce_config_selectorItEEZNS1_11reduce_implILb1ES3_N6thrust23THRUST_200600_302600_NS6detail15normal_iteratorINS8_10device_ptrItEEEEPtt11plus_mod_10ItEEE10hipError_tPvRmT1_T2_T3_mT4_P12ihipStream_tbEUlT_E0_NS1_11comp_targetILNS1_3genE3ELNS1_11target_archE908ELNS1_3gpuE7ELNS1_3repE0EEENS1_30default_config_static_selectorELNS0_4arch9wavefront6targetE1EEEvSK_.has_recursion, 0
	.set _ZN7rocprim17ROCPRIM_400000_NS6detail17trampoline_kernelINS0_14default_configENS1_22reduce_config_selectorItEEZNS1_11reduce_implILb1ES3_N6thrust23THRUST_200600_302600_NS6detail15normal_iteratorINS8_10device_ptrItEEEEPtt11plus_mod_10ItEEE10hipError_tPvRmT1_T2_T3_mT4_P12ihipStream_tbEUlT_E0_NS1_11comp_targetILNS1_3genE3ELNS1_11target_archE908ELNS1_3gpuE7ELNS1_3repE0EEENS1_30default_config_static_selectorELNS0_4arch9wavefront6targetE1EEEvSK_.has_indirect_call, 0
	.section	.AMDGPU.csdata,"",@progbits
; Kernel info:
; codeLenInByte = 0
; TotalNumSgprs: 6
; NumVgprs: 0
; NumAgprs: 0
; TotalNumVgprs: 0
; ScratchSize: 0
; MemoryBound: 0
; FloatMode: 240
; IeeeMode: 1
; LDSByteSize: 0 bytes/workgroup (compile time only)
; SGPRBlocks: 0
; VGPRBlocks: 0
; NumSGPRsForWavesPerEU: 6
; NumVGPRsForWavesPerEU: 1
; AccumOffset: 4
; Occupancy: 8
; WaveLimiterHint : 0
; COMPUTE_PGM_RSRC2:SCRATCH_EN: 0
; COMPUTE_PGM_RSRC2:USER_SGPR: 2
; COMPUTE_PGM_RSRC2:TRAP_HANDLER: 0
; COMPUTE_PGM_RSRC2:TGID_X_EN: 1
; COMPUTE_PGM_RSRC2:TGID_Y_EN: 0
; COMPUTE_PGM_RSRC2:TGID_Z_EN: 0
; COMPUTE_PGM_RSRC2:TIDIG_COMP_CNT: 0
; COMPUTE_PGM_RSRC3_GFX90A:ACCUM_OFFSET: 0
; COMPUTE_PGM_RSRC3_GFX90A:TG_SPLIT: 0
	.section	.text._ZN7rocprim17ROCPRIM_400000_NS6detail17trampoline_kernelINS0_14default_configENS1_22reduce_config_selectorItEEZNS1_11reduce_implILb1ES3_N6thrust23THRUST_200600_302600_NS6detail15normal_iteratorINS8_10device_ptrItEEEEPtt11plus_mod_10ItEEE10hipError_tPvRmT1_T2_T3_mT4_P12ihipStream_tbEUlT_E0_NS1_11comp_targetILNS1_3genE2ELNS1_11target_archE906ELNS1_3gpuE6ELNS1_3repE0EEENS1_30default_config_static_selectorELNS0_4arch9wavefront6targetE1EEEvSK_,"axG",@progbits,_ZN7rocprim17ROCPRIM_400000_NS6detail17trampoline_kernelINS0_14default_configENS1_22reduce_config_selectorItEEZNS1_11reduce_implILb1ES3_N6thrust23THRUST_200600_302600_NS6detail15normal_iteratorINS8_10device_ptrItEEEEPtt11plus_mod_10ItEEE10hipError_tPvRmT1_T2_T3_mT4_P12ihipStream_tbEUlT_E0_NS1_11comp_targetILNS1_3genE2ELNS1_11target_archE906ELNS1_3gpuE6ELNS1_3repE0EEENS1_30default_config_static_selectorELNS0_4arch9wavefront6targetE1EEEvSK_,comdat
	.protected	_ZN7rocprim17ROCPRIM_400000_NS6detail17trampoline_kernelINS0_14default_configENS1_22reduce_config_selectorItEEZNS1_11reduce_implILb1ES3_N6thrust23THRUST_200600_302600_NS6detail15normal_iteratorINS8_10device_ptrItEEEEPtt11plus_mod_10ItEEE10hipError_tPvRmT1_T2_T3_mT4_P12ihipStream_tbEUlT_E0_NS1_11comp_targetILNS1_3genE2ELNS1_11target_archE906ELNS1_3gpuE6ELNS1_3repE0EEENS1_30default_config_static_selectorELNS0_4arch9wavefront6targetE1EEEvSK_ ; -- Begin function _ZN7rocprim17ROCPRIM_400000_NS6detail17trampoline_kernelINS0_14default_configENS1_22reduce_config_selectorItEEZNS1_11reduce_implILb1ES3_N6thrust23THRUST_200600_302600_NS6detail15normal_iteratorINS8_10device_ptrItEEEEPtt11plus_mod_10ItEEE10hipError_tPvRmT1_T2_T3_mT4_P12ihipStream_tbEUlT_E0_NS1_11comp_targetILNS1_3genE2ELNS1_11target_archE906ELNS1_3gpuE6ELNS1_3repE0EEENS1_30default_config_static_selectorELNS0_4arch9wavefront6targetE1EEEvSK_
	.globl	_ZN7rocprim17ROCPRIM_400000_NS6detail17trampoline_kernelINS0_14default_configENS1_22reduce_config_selectorItEEZNS1_11reduce_implILb1ES3_N6thrust23THRUST_200600_302600_NS6detail15normal_iteratorINS8_10device_ptrItEEEEPtt11plus_mod_10ItEEE10hipError_tPvRmT1_T2_T3_mT4_P12ihipStream_tbEUlT_E0_NS1_11comp_targetILNS1_3genE2ELNS1_11target_archE906ELNS1_3gpuE6ELNS1_3repE0EEENS1_30default_config_static_selectorELNS0_4arch9wavefront6targetE1EEEvSK_
	.p2align	8
	.type	_ZN7rocprim17ROCPRIM_400000_NS6detail17trampoline_kernelINS0_14default_configENS1_22reduce_config_selectorItEEZNS1_11reduce_implILb1ES3_N6thrust23THRUST_200600_302600_NS6detail15normal_iteratorINS8_10device_ptrItEEEEPtt11plus_mod_10ItEEE10hipError_tPvRmT1_T2_T3_mT4_P12ihipStream_tbEUlT_E0_NS1_11comp_targetILNS1_3genE2ELNS1_11target_archE906ELNS1_3gpuE6ELNS1_3repE0EEENS1_30default_config_static_selectorELNS0_4arch9wavefront6targetE1EEEvSK_,@function
_ZN7rocprim17ROCPRIM_400000_NS6detail17trampoline_kernelINS0_14default_configENS1_22reduce_config_selectorItEEZNS1_11reduce_implILb1ES3_N6thrust23THRUST_200600_302600_NS6detail15normal_iteratorINS8_10device_ptrItEEEEPtt11plus_mod_10ItEEE10hipError_tPvRmT1_T2_T3_mT4_P12ihipStream_tbEUlT_E0_NS1_11comp_targetILNS1_3genE2ELNS1_11target_archE906ELNS1_3gpuE6ELNS1_3repE0EEENS1_30default_config_static_selectorELNS0_4arch9wavefront6targetE1EEEvSK_: ; @_ZN7rocprim17ROCPRIM_400000_NS6detail17trampoline_kernelINS0_14default_configENS1_22reduce_config_selectorItEEZNS1_11reduce_implILb1ES3_N6thrust23THRUST_200600_302600_NS6detail15normal_iteratorINS8_10device_ptrItEEEEPtt11plus_mod_10ItEEE10hipError_tPvRmT1_T2_T3_mT4_P12ihipStream_tbEUlT_E0_NS1_11comp_targetILNS1_3genE2ELNS1_11target_archE906ELNS1_3gpuE6ELNS1_3repE0EEENS1_30default_config_static_selectorELNS0_4arch9wavefront6targetE1EEEvSK_
; %bb.0:
	.section	.rodata,"a",@progbits
	.p2align	6, 0x0
	.amdhsa_kernel _ZN7rocprim17ROCPRIM_400000_NS6detail17trampoline_kernelINS0_14default_configENS1_22reduce_config_selectorItEEZNS1_11reduce_implILb1ES3_N6thrust23THRUST_200600_302600_NS6detail15normal_iteratorINS8_10device_ptrItEEEEPtt11plus_mod_10ItEEE10hipError_tPvRmT1_T2_T3_mT4_P12ihipStream_tbEUlT_E0_NS1_11comp_targetILNS1_3genE2ELNS1_11target_archE906ELNS1_3gpuE6ELNS1_3repE0EEENS1_30default_config_static_selectorELNS0_4arch9wavefront6targetE1EEEvSK_
		.amdhsa_group_segment_fixed_size 0
		.amdhsa_private_segment_fixed_size 0
		.amdhsa_kernarg_size 56
		.amdhsa_user_sgpr_count 2
		.amdhsa_user_sgpr_dispatch_ptr 0
		.amdhsa_user_sgpr_queue_ptr 0
		.amdhsa_user_sgpr_kernarg_segment_ptr 1
		.amdhsa_user_sgpr_dispatch_id 0
		.amdhsa_user_sgpr_kernarg_preload_length 0
		.amdhsa_user_sgpr_kernarg_preload_offset 0
		.amdhsa_user_sgpr_private_segment_size 0
		.amdhsa_uses_dynamic_stack 0
		.amdhsa_enable_private_segment 0
		.amdhsa_system_sgpr_workgroup_id_x 1
		.amdhsa_system_sgpr_workgroup_id_y 0
		.amdhsa_system_sgpr_workgroup_id_z 0
		.amdhsa_system_sgpr_workgroup_info 0
		.amdhsa_system_vgpr_workitem_id 0
		.amdhsa_next_free_vgpr 1
		.amdhsa_next_free_sgpr 0
		.amdhsa_accum_offset 4
		.amdhsa_reserve_vcc 0
		.amdhsa_float_round_mode_32 0
		.amdhsa_float_round_mode_16_64 0
		.amdhsa_float_denorm_mode_32 3
		.amdhsa_float_denorm_mode_16_64 3
		.amdhsa_dx10_clamp 1
		.amdhsa_ieee_mode 1
		.amdhsa_fp16_overflow 0
		.amdhsa_tg_split 0
		.amdhsa_exception_fp_ieee_invalid_op 0
		.amdhsa_exception_fp_denorm_src 0
		.amdhsa_exception_fp_ieee_div_zero 0
		.amdhsa_exception_fp_ieee_overflow 0
		.amdhsa_exception_fp_ieee_underflow 0
		.amdhsa_exception_fp_ieee_inexact 0
		.amdhsa_exception_int_div_zero 0
	.end_amdhsa_kernel
	.section	.text._ZN7rocprim17ROCPRIM_400000_NS6detail17trampoline_kernelINS0_14default_configENS1_22reduce_config_selectorItEEZNS1_11reduce_implILb1ES3_N6thrust23THRUST_200600_302600_NS6detail15normal_iteratorINS8_10device_ptrItEEEEPtt11plus_mod_10ItEEE10hipError_tPvRmT1_T2_T3_mT4_P12ihipStream_tbEUlT_E0_NS1_11comp_targetILNS1_3genE2ELNS1_11target_archE906ELNS1_3gpuE6ELNS1_3repE0EEENS1_30default_config_static_selectorELNS0_4arch9wavefront6targetE1EEEvSK_,"axG",@progbits,_ZN7rocprim17ROCPRIM_400000_NS6detail17trampoline_kernelINS0_14default_configENS1_22reduce_config_selectorItEEZNS1_11reduce_implILb1ES3_N6thrust23THRUST_200600_302600_NS6detail15normal_iteratorINS8_10device_ptrItEEEEPtt11plus_mod_10ItEEE10hipError_tPvRmT1_T2_T3_mT4_P12ihipStream_tbEUlT_E0_NS1_11comp_targetILNS1_3genE2ELNS1_11target_archE906ELNS1_3gpuE6ELNS1_3repE0EEENS1_30default_config_static_selectorELNS0_4arch9wavefront6targetE1EEEvSK_,comdat
.Lfunc_end643:
	.size	_ZN7rocprim17ROCPRIM_400000_NS6detail17trampoline_kernelINS0_14default_configENS1_22reduce_config_selectorItEEZNS1_11reduce_implILb1ES3_N6thrust23THRUST_200600_302600_NS6detail15normal_iteratorINS8_10device_ptrItEEEEPtt11plus_mod_10ItEEE10hipError_tPvRmT1_T2_T3_mT4_P12ihipStream_tbEUlT_E0_NS1_11comp_targetILNS1_3genE2ELNS1_11target_archE906ELNS1_3gpuE6ELNS1_3repE0EEENS1_30default_config_static_selectorELNS0_4arch9wavefront6targetE1EEEvSK_, .Lfunc_end643-_ZN7rocprim17ROCPRIM_400000_NS6detail17trampoline_kernelINS0_14default_configENS1_22reduce_config_selectorItEEZNS1_11reduce_implILb1ES3_N6thrust23THRUST_200600_302600_NS6detail15normal_iteratorINS8_10device_ptrItEEEEPtt11plus_mod_10ItEEE10hipError_tPvRmT1_T2_T3_mT4_P12ihipStream_tbEUlT_E0_NS1_11comp_targetILNS1_3genE2ELNS1_11target_archE906ELNS1_3gpuE6ELNS1_3repE0EEENS1_30default_config_static_selectorELNS0_4arch9wavefront6targetE1EEEvSK_
                                        ; -- End function
	.set _ZN7rocprim17ROCPRIM_400000_NS6detail17trampoline_kernelINS0_14default_configENS1_22reduce_config_selectorItEEZNS1_11reduce_implILb1ES3_N6thrust23THRUST_200600_302600_NS6detail15normal_iteratorINS8_10device_ptrItEEEEPtt11plus_mod_10ItEEE10hipError_tPvRmT1_T2_T3_mT4_P12ihipStream_tbEUlT_E0_NS1_11comp_targetILNS1_3genE2ELNS1_11target_archE906ELNS1_3gpuE6ELNS1_3repE0EEENS1_30default_config_static_selectorELNS0_4arch9wavefront6targetE1EEEvSK_.num_vgpr, 0
	.set _ZN7rocprim17ROCPRIM_400000_NS6detail17trampoline_kernelINS0_14default_configENS1_22reduce_config_selectorItEEZNS1_11reduce_implILb1ES3_N6thrust23THRUST_200600_302600_NS6detail15normal_iteratorINS8_10device_ptrItEEEEPtt11plus_mod_10ItEEE10hipError_tPvRmT1_T2_T3_mT4_P12ihipStream_tbEUlT_E0_NS1_11comp_targetILNS1_3genE2ELNS1_11target_archE906ELNS1_3gpuE6ELNS1_3repE0EEENS1_30default_config_static_selectorELNS0_4arch9wavefront6targetE1EEEvSK_.num_agpr, 0
	.set _ZN7rocprim17ROCPRIM_400000_NS6detail17trampoline_kernelINS0_14default_configENS1_22reduce_config_selectorItEEZNS1_11reduce_implILb1ES3_N6thrust23THRUST_200600_302600_NS6detail15normal_iteratorINS8_10device_ptrItEEEEPtt11plus_mod_10ItEEE10hipError_tPvRmT1_T2_T3_mT4_P12ihipStream_tbEUlT_E0_NS1_11comp_targetILNS1_3genE2ELNS1_11target_archE906ELNS1_3gpuE6ELNS1_3repE0EEENS1_30default_config_static_selectorELNS0_4arch9wavefront6targetE1EEEvSK_.numbered_sgpr, 0
	.set _ZN7rocprim17ROCPRIM_400000_NS6detail17trampoline_kernelINS0_14default_configENS1_22reduce_config_selectorItEEZNS1_11reduce_implILb1ES3_N6thrust23THRUST_200600_302600_NS6detail15normal_iteratorINS8_10device_ptrItEEEEPtt11plus_mod_10ItEEE10hipError_tPvRmT1_T2_T3_mT4_P12ihipStream_tbEUlT_E0_NS1_11comp_targetILNS1_3genE2ELNS1_11target_archE906ELNS1_3gpuE6ELNS1_3repE0EEENS1_30default_config_static_selectorELNS0_4arch9wavefront6targetE1EEEvSK_.num_named_barrier, 0
	.set _ZN7rocprim17ROCPRIM_400000_NS6detail17trampoline_kernelINS0_14default_configENS1_22reduce_config_selectorItEEZNS1_11reduce_implILb1ES3_N6thrust23THRUST_200600_302600_NS6detail15normal_iteratorINS8_10device_ptrItEEEEPtt11plus_mod_10ItEEE10hipError_tPvRmT1_T2_T3_mT4_P12ihipStream_tbEUlT_E0_NS1_11comp_targetILNS1_3genE2ELNS1_11target_archE906ELNS1_3gpuE6ELNS1_3repE0EEENS1_30default_config_static_selectorELNS0_4arch9wavefront6targetE1EEEvSK_.private_seg_size, 0
	.set _ZN7rocprim17ROCPRIM_400000_NS6detail17trampoline_kernelINS0_14default_configENS1_22reduce_config_selectorItEEZNS1_11reduce_implILb1ES3_N6thrust23THRUST_200600_302600_NS6detail15normal_iteratorINS8_10device_ptrItEEEEPtt11plus_mod_10ItEEE10hipError_tPvRmT1_T2_T3_mT4_P12ihipStream_tbEUlT_E0_NS1_11comp_targetILNS1_3genE2ELNS1_11target_archE906ELNS1_3gpuE6ELNS1_3repE0EEENS1_30default_config_static_selectorELNS0_4arch9wavefront6targetE1EEEvSK_.uses_vcc, 0
	.set _ZN7rocprim17ROCPRIM_400000_NS6detail17trampoline_kernelINS0_14default_configENS1_22reduce_config_selectorItEEZNS1_11reduce_implILb1ES3_N6thrust23THRUST_200600_302600_NS6detail15normal_iteratorINS8_10device_ptrItEEEEPtt11plus_mod_10ItEEE10hipError_tPvRmT1_T2_T3_mT4_P12ihipStream_tbEUlT_E0_NS1_11comp_targetILNS1_3genE2ELNS1_11target_archE906ELNS1_3gpuE6ELNS1_3repE0EEENS1_30default_config_static_selectorELNS0_4arch9wavefront6targetE1EEEvSK_.uses_flat_scratch, 0
	.set _ZN7rocprim17ROCPRIM_400000_NS6detail17trampoline_kernelINS0_14default_configENS1_22reduce_config_selectorItEEZNS1_11reduce_implILb1ES3_N6thrust23THRUST_200600_302600_NS6detail15normal_iteratorINS8_10device_ptrItEEEEPtt11plus_mod_10ItEEE10hipError_tPvRmT1_T2_T3_mT4_P12ihipStream_tbEUlT_E0_NS1_11comp_targetILNS1_3genE2ELNS1_11target_archE906ELNS1_3gpuE6ELNS1_3repE0EEENS1_30default_config_static_selectorELNS0_4arch9wavefront6targetE1EEEvSK_.has_dyn_sized_stack, 0
	.set _ZN7rocprim17ROCPRIM_400000_NS6detail17trampoline_kernelINS0_14default_configENS1_22reduce_config_selectorItEEZNS1_11reduce_implILb1ES3_N6thrust23THRUST_200600_302600_NS6detail15normal_iteratorINS8_10device_ptrItEEEEPtt11plus_mod_10ItEEE10hipError_tPvRmT1_T2_T3_mT4_P12ihipStream_tbEUlT_E0_NS1_11comp_targetILNS1_3genE2ELNS1_11target_archE906ELNS1_3gpuE6ELNS1_3repE0EEENS1_30default_config_static_selectorELNS0_4arch9wavefront6targetE1EEEvSK_.has_recursion, 0
	.set _ZN7rocprim17ROCPRIM_400000_NS6detail17trampoline_kernelINS0_14default_configENS1_22reduce_config_selectorItEEZNS1_11reduce_implILb1ES3_N6thrust23THRUST_200600_302600_NS6detail15normal_iteratorINS8_10device_ptrItEEEEPtt11plus_mod_10ItEEE10hipError_tPvRmT1_T2_T3_mT4_P12ihipStream_tbEUlT_E0_NS1_11comp_targetILNS1_3genE2ELNS1_11target_archE906ELNS1_3gpuE6ELNS1_3repE0EEENS1_30default_config_static_selectorELNS0_4arch9wavefront6targetE1EEEvSK_.has_indirect_call, 0
	.section	.AMDGPU.csdata,"",@progbits
; Kernel info:
; codeLenInByte = 0
; TotalNumSgprs: 6
; NumVgprs: 0
; NumAgprs: 0
; TotalNumVgprs: 0
; ScratchSize: 0
; MemoryBound: 0
; FloatMode: 240
; IeeeMode: 1
; LDSByteSize: 0 bytes/workgroup (compile time only)
; SGPRBlocks: 0
; VGPRBlocks: 0
; NumSGPRsForWavesPerEU: 6
; NumVGPRsForWavesPerEU: 1
; AccumOffset: 4
; Occupancy: 8
; WaveLimiterHint : 0
; COMPUTE_PGM_RSRC2:SCRATCH_EN: 0
; COMPUTE_PGM_RSRC2:USER_SGPR: 2
; COMPUTE_PGM_RSRC2:TRAP_HANDLER: 0
; COMPUTE_PGM_RSRC2:TGID_X_EN: 1
; COMPUTE_PGM_RSRC2:TGID_Y_EN: 0
; COMPUTE_PGM_RSRC2:TGID_Z_EN: 0
; COMPUTE_PGM_RSRC2:TIDIG_COMP_CNT: 0
; COMPUTE_PGM_RSRC3_GFX90A:ACCUM_OFFSET: 0
; COMPUTE_PGM_RSRC3_GFX90A:TG_SPLIT: 0
	.section	.text._ZN7rocprim17ROCPRIM_400000_NS6detail17trampoline_kernelINS0_14default_configENS1_22reduce_config_selectorItEEZNS1_11reduce_implILb1ES3_N6thrust23THRUST_200600_302600_NS6detail15normal_iteratorINS8_10device_ptrItEEEEPtt11plus_mod_10ItEEE10hipError_tPvRmT1_T2_T3_mT4_P12ihipStream_tbEUlT_E0_NS1_11comp_targetILNS1_3genE10ELNS1_11target_archE1201ELNS1_3gpuE5ELNS1_3repE0EEENS1_30default_config_static_selectorELNS0_4arch9wavefront6targetE1EEEvSK_,"axG",@progbits,_ZN7rocprim17ROCPRIM_400000_NS6detail17trampoline_kernelINS0_14default_configENS1_22reduce_config_selectorItEEZNS1_11reduce_implILb1ES3_N6thrust23THRUST_200600_302600_NS6detail15normal_iteratorINS8_10device_ptrItEEEEPtt11plus_mod_10ItEEE10hipError_tPvRmT1_T2_T3_mT4_P12ihipStream_tbEUlT_E0_NS1_11comp_targetILNS1_3genE10ELNS1_11target_archE1201ELNS1_3gpuE5ELNS1_3repE0EEENS1_30default_config_static_selectorELNS0_4arch9wavefront6targetE1EEEvSK_,comdat
	.protected	_ZN7rocprim17ROCPRIM_400000_NS6detail17trampoline_kernelINS0_14default_configENS1_22reduce_config_selectorItEEZNS1_11reduce_implILb1ES3_N6thrust23THRUST_200600_302600_NS6detail15normal_iteratorINS8_10device_ptrItEEEEPtt11plus_mod_10ItEEE10hipError_tPvRmT1_T2_T3_mT4_P12ihipStream_tbEUlT_E0_NS1_11comp_targetILNS1_3genE10ELNS1_11target_archE1201ELNS1_3gpuE5ELNS1_3repE0EEENS1_30default_config_static_selectorELNS0_4arch9wavefront6targetE1EEEvSK_ ; -- Begin function _ZN7rocprim17ROCPRIM_400000_NS6detail17trampoline_kernelINS0_14default_configENS1_22reduce_config_selectorItEEZNS1_11reduce_implILb1ES3_N6thrust23THRUST_200600_302600_NS6detail15normal_iteratorINS8_10device_ptrItEEEEPtt11plus_mod_10ItEEE10hipError_tPvRmT1_T2_T3_mT4_P12ihipStream_tbEUlT_E0_NS1_11comp_targetILNS1_3genE10ELNS1_11target_archE1201ELNS1_3gpuE5ELNS1_3repE0EEENS1_30default_config_static_selectorELNS0_4arch9wavefront6targetE1EEEvSK_
	.globl	_ZN7rocprim17ROCPRIM_400000_NS6detail17trampoline_kernelINS0_14default_configENS1_22reduce_config_selectorItEEZNS1_11reduce_implILb1ES3_N6thrust23THRUST_200600_302600_NS6detail15normal_iteratorINS8_10device_ptrItEEEEPtt11plus_mod_10ItEEE10hipError_tPvRmT1_T2_T3_mT4_P12ihipStream_tbEUlT_E0_NS1_11comp_targetILNS1_3genE10ELNS1_11target_archE1201ELNS1_3gpuE5ELNS1_3repE0EEENS1_30default_config_static_selectorELNS0_4arch9wavefront6targetE1EEEvSK_
	.p2align	8
	.type	_ZN7rocprim17ROCPRIM_400000_NS6detail17trampoline_kernelINS0_14default_configENS1_22reduce_config_selectorItEEZNS1_11reduce_implILb1ES3_N6thrust23THRUST_200600_302600_NS6detail15normal_iteratorINS8_10device_ptrItEEEEPtt11plus_mod_10ItEEE10hipError_tPvRmT1_T2_T3_mT4_P12ihipStream_tbEUlT_E0_NS1_11comp_targetILNS1_3genE10ELNS1_11target_archE1201ELNS1_3gpuE5ELNS1_3repE0EEENS1_30default_config_static_selectorELNS0_4arch9wavefront6targetE1EEEvSK_,@function
_ZN7rocprim17ROCPRIM_400000_NS6detail17trampoline_kernelINS0_14default_configENS1_22reduce_config_selectorItEEZNS1_11reduce_implILb1ES3_N6thrust23THRUST_200600_302600_NS6detail15normal_iteratorINS8_10device_ptrItEEEEPtt11plus_mod_10ItEEE10hipError_tPvRmT1_T2_T3_mT4_P12ihipStream_tbEUlT_E0_NS1_11comp_targetILNS1_3genE10ELNS1_11target_archE1201ELNS1_3gpuE5ELNS1_3repE0EEENS1_30default_config_static_selectorELNS0_4arch9wavefront6targetE1EEEvSK_: ; @_ZN7rocprim17ROCPRIM_400000_NS6detail17trampoline_kernelINS0_14default_configENS1_22reduce_config_selectorItEEZNS1_11reduce_implILb1ES3_N6thrust23THRUST_200600_302600_NS6detail15normal_iteratorINS8_10device_ptrItEEEEPtt11plus_mod_10ItEEE10hipError_tPvRmT1_T2_T3_mT4_P12ihipStream_tbEUlT_E0_NS1_11comp_targetILNS1_3genE10ELNS1_11target_archE1201ELNS1_3gpuE5ELNS1_3repE0EEENS1_30default_config_static_selectorELNS0_4arch9wavefront6targetE1EEEvSK_
; %bb.0:
	.section	.rodata,"a",@progbits
	.p2align	6, 0x0
	.amdhsa_kernel _ZN7rocprim17ROCPRIM_400000_NS6detail17trampoline_kernelINS0_14default_configENS1_22reduce_config_selectorItEEZNS1_11reduce_implILb1ES3_N6thrust23THRUST_200600_302600_NS6detail15normal_iteratorINS8_10device_ptrItEEEEPtt11plus_mod_10ItEEE10hipError_tPvRmT1_T2_T3_mT4_P12ihipStream_tbEUlT_E0_NS1_11comp_targetILNS1_3genE10ELNS1_11target_archE1201ELNS1_3gpuE5ELNS1_3repE0EEENS1_30default_config_static_selectorELNS0_4arch9wavefront6targetE1EEEvSK_
		.amdhsa_group_segment_fixed_size 0
		.amdhsa_private_segment_fixed_size 0
		.amdhsa_kernarg_size 56
		.amdhsa_user_sgpr_count 2
		.amdhsa_user_sgpr_dispatch_ptr 0
		.amdhsa_user_sgpr_queue_ptr 0
		.amdhsa_user_sgpr_kernarg_segment_ptr 1
		.amdhsa_user_sgpr_dispatch_id 0
		.amdhsa_user_sgpr_kernarg_preload_length 0
		.amdhsa_user_sgpr_kernarg_preload_offset 0
		.amdhsa_user_sgpr_private_segment_size 0
		.amdhsa_uses_dynamic_stack 0
		.amdhsa_enable_private_segment 0
		.amdhsa_system_sgpr_workgroup_id_x 1
		.amdhsa_system_sgpr_workgroup_id_y 0
		.amdhsa_system_sgpr_workgroup_id_z 0
		.amdhsa_system_sgpr_workgroup_info 0
		.amdhsa_system_vgpr_workitem_id 0
		.amdhsa_next_free_vgpr 1
		.amdhsa_next_free_sgpr 0
		.amdhsa_accum_offset 4
		.amdhsa_reserve_vcc 0
		.amdhsa_float_round_mode_32 0
		.amdhsa_float_round_mode_16_64 0
		.amdhsa_float_denorm_mode_32 3
		.amdhsa_float_denorm_mode_16_64 3
		.amdhsa_dx10_clamp 1
		.amdhsa_ieee_mode 1
		.amdhsa_fp16_overflow 0
		.amdhsa_tg_split 0
		.amdhsa_exception_fp_ieee_invalid_op 0
		.amdhsa_exception_fp_denorm_src 0
		.amdhsa_exception_fp_ieee_div_zero 0
		.amdhsa_exception_fp_ieee_overflow 0
		.amdhsa_exception_fp_ieee_underflow 0
		.amdhsa_exception_fp_ieee_inexact 0
		.amdhsa_exception_int_div_zero 0
	.end_amdhsa_kernel
	.section	.text._ZN7rocprim17ROCPRIM_400000_NS6detail17trampoline_kernelINS0_14default_configENS1_22reduce_config_selectorItEEZNS1_11reduce_implILb1ES3_N6thrust23THRUST_200600_302600_NS6detail15normal_iteratorINS8_10device_ptrItEEEEPtt11plus_mod_10ItEEE10hipError_tPvRmT1_T2_T3_mT4_P12ihipStream_tbEUlT_E0_NS1_11comp_targetILNS1_3genE10ELNS1_11target_archE1201ELNS1_3gpuE5ELNS1_3repE0EEENS1_30default_config_static_selectorELNS0_4arch9wavefront6targetE1EEEvSK_,"axG",@progbits,_ZN7rocprim17ROCPRIM_400000_NS6detail17trampoline_kernelINS0_14default_configENS1_22reduce_config_selectorItEEZNS1_11reduce_implILb1ES3_N6thrust23THRUST_200600_302600_NS6detail15normal_iteratorINS8_10device_ptrItEEEEPtt11plus_mod_10ItEEE10hipError_tPvRmT1_T2_T3_mT4_P12ihipStream_tbEUlT_E0_NS1_11comp_targetILNS1_3genE10ELNS1_11target_archE1201ELNS1_3gpuE5ELNS1_3repE0EEENS1_30default_config_static_selectorELNS0_4arch9wavefront6targetE1EEEvSK_,comdat
.Lfunc_end644:
	.size	_ZN7rocprim17ROCPRIM_400000_NS6detail17trampoline_kernelINS0_14default_configENS1_22reduce_config_selectorItEEZNS1_11reduce_implILb1ES3_N6thrust23THRUST_200600_302600_NS6detail15normal_iteratorINS8_10device_ptrItEEEEPtt11plus_mod_10ItEEE10hipError_tPvRmT1_T2_T3_mT4_P12ihipStream_tbEUlT_E0_NS1_11comp_targetILNS1_3genE10ELNS1_11target_archE1201ELNS1_3gpuE5ELNS1_3repE0EEENS1_30default_config_static_selectorELNS0_4arch9wavefront6targetE1EEEvSK_, .Lfunc_end644-_ZN7rocprim17ROCPRIM_400000_NS6detail17trampoline_kernelINS0_14default_configENS1_22reduce_config_selectorItEEZNS1_11reduce_implILb1ES3_N6thrust23THRUST_200600_302600_NS6detail15normal_iteratorINS8_10device_ptrItEEEEPtt11plus_mod_10ItEEE10hipError_tPvRmT1_T2_T3_mT4_P12ihipStream_tbEUlT_E0_NS1_11comp_targetILNS1_3genE10ELNS1_11target_archE1201ELNS1_3gpuE5ELNS1_3repE0EEENS1_30default_config_static_selectorELNS0_4arch9wavefront6targetE1EEEvSK_
                                        ; -- End function
	.set _ZN7rocprim17ROCPRIM_400000_NS6detail17trampoline_kernelINS0_14default_configENS1_22reduce_config_selectorItEEZNS1_11reduce_implILb1ES3_N6thrust23THRUST_200600_302600_NS6detail15normal_iteratorINS8_10device_ptrItEEEEPtt11plus_mod_10ItEEE10hipError_tPvRmT1_T2_T3_mT4_P12ihipStream_tbEUlT_E0_NS1_11comp_targetILNS1_3genE10ELNS1_11target_archE1201ELNS1_3gpuE5ELNS1_3repE0EEENS1_30default_config_static_selectorELNS0_4arch9wavefront6targetE1EEEvSK_.num_vgpr, 0
	.set _ZN7rocprim17ROCPRIM_400000_NS6detail17trampoline_kernelINS0_14default_configENS1_22reduce_config_selectorItEEZNS1_11reduce_implILb1ES3_N6thrust23THRUST_200600_302600_NS6detail15normal_iteratorINS8_10device_ptrItEEEEPtt11plus_mod_10ItEEE10hipError_tPvRmT1_T2_T3_mT4_P12ihipStream_tbEUlT_E0_NS1_11comp_targetILNS1_3genE10ELNS1_11target_archE1201ELNS1_3gpuE5ELNS1_3repE0EEENS1_30default_config_static_selectorELNS0_4arch9wavefront6targetE1EEEvSK_.num_agpr, 0
	.set _ZN7rocprim17ROCPRIM_400000_NS6detail17trampoline_kernelINS0_14default_configENS1_22reduce_config_selectorItEEZNS1_11reduce_implILb1ES3_N6thrust23THRUST_200600_302600_NS6detail15normal_iteratorINS8_10device_ptrItEEEEPtt11plus_mod_10ItEEE10hipError_tPvRmT1_T2_T3_mT4_P12ihipStream_tbEUlT_E0_NS1_11comp_targetILNS1_3genE10ELNS1_11target_archE1201ELNS1_3gpuE5ELNS1_3repE0EEENS1_30default_config_static_selectorELNS0_4arch9wavefront6targetE1EEEvSK_.numbered_sgpr, 0
	.set _ZN7rocprim17ROCPRIM_400000_NS6detail17trampoline_kernelINS0_14default_configENS1_22reduce_config_selectorItEEZNS1_11reduce_implILb1ES3_N6thrust23THRUST_200600_302600_NS6detail15normal_iteratorINS8_10device_ptrItEEEEPtt11plus_mod_10ItEEE10hipError_tPvRmT1_T2_T3_mT4_P12ihipStream_tbEUlT_E0_NS1_11comp_targetILNS1_3genE10ELNS1_11target_archE1201ELNS1_3gpuE5ELNS1_3repE0EEENS1_30default_config_static_selectorELNS0_4arch9wavefront6targetE1EEEvSK_.num_named_barrier, 0
	.set _ZN7rocprim17ROCPRIM_400000_NS6detail17trampoline_kernelINS0_14default_configENS1_22reduce_config_selectorItEEZNS1_11reduce_implILb1ES3_N6thrust23THRUST_200600_302600_NS6detail15normal_iteratorINS8_10device_ptrItEEEEPtt11plus_mod_10ItEEE10hipError_tPvRmT1_T2_T3_mT4_P12ihipStream_tbEUlT_E0_NS1_11comp_targetILNS1_3genE10ELNS1_11target_archE1201ELNS1_3gpuE5ELNS1_3repE0EEENS1_30default_config_static_selectorELNS0_4arch9wavefront6targetE1EEEvSK_.private_seg_size, 0
	.set _ZN7rocprim17ROCPRIM_400000_NS6detail17trampoline_kernelINS0_14default_configENS1_22reduce_config_selectorItEEZNS1_11reduce_implILb1ES3_N6thrust23THRUST_200600_302600_NS6detail15normal_iteratorINS8_10device_ptrItEEEEPtt11plus_mod_10ItEEE10hipError_tPvRmT1_T2_T3_mT4_P12ihipStream_tbEUlT_E0_NS1_11comp_targetILNS1_3genE10ELNS1_11target_archE1201ELNS1_3gpuE5ELNS1_3repE0EEENS1_30default_config_static_selectorELNS0_4arch9wavefront6targetE1EEEvSK_.uses_vcc, 0
	.set _ZN7rocprim17ROCPRIM_400000_NS6detail17trampoline_kernelINS0_14default_configENS1_22reduce_config_selectorItEEZNS1_11reduce_implILb1ES3_N6thrust23THRUST_200600_302600_NS6detail15normal_iteratorINS8_10device_ptrItEEEEPtt11plus_mod_10ItEEE10hipError_tPvRmT1_T2_T3_mT4_P12ihipStream_tbEUlT_E0_NS1_11comp_targetILNS1_3genE10ELNS1_11target_archE1201ELNS1_3gpuE5ELNS1_3repE0EEENS1_30default_config_static_selectorELNS0_4arch9wavefront6targetE1EEEvSK_.uses_flat_scratch, 0
	.set _ZN7rocprim17ROCPRIM_400000_NS6detail17trampoline_kernelINS0_14default_configENS1_22reduce_config_selectorItEEZNS1_11reduce_implILb1ES3_N6thrust23THRUST_200600_302600_NS6detail15normal_iteratorINS8_10device_ptrItEEEEPtt11plus_mod_10ItEEE10hipError_tPvRmT1_T2_T3_mT4_P12ihipStream_tbEUlT_E0_NS1_11comp_targetILNS1_3genE10ELNS1_11target_archE1201ELNS1_3gpuE5ELNS1_3repE0EEENS1_30default_config_static_selectorELNS0_4arch9wavefront6targetE1EEEvSK_.has_dyn_sized_stack, 0
	.set _ZN7rocprim17ROCPRIM_400000_NS6detail17trampoline_kernelINS0_14default_configENS1_22reduce_config_selectorItEEZNS1_11reduce_implILb1ES3_N6thrust23THRUST_200600_302600_NS6detail15normal_iteratorINS8_10device_ptrItEEEEPtt11plus_mod_10ItEEE10hipError_tPvRmT1_T2_T3_mT4_P12ihipStream_tbEUlT_E0_NS1_11comp_targetILNS1_3genE10ELNS1_11target_archE1201ELNS1_3gpuE5ELNS1_3repE0EEENS1_30default_config_static_selectorELNS0_4arch9wavefront6targetE1EEEvSK_.has_recursion, 0
	.set _ZN7rocprim17ROCPRIM_400000_NS6detail17trampoline_kernelINS0_14default_configENS1_22reduce_config_selectorItEEZNS1_11reduce_implILb1ES3_N6thrust23THRUST_200600_302600_NS6detail15normal_iteratorINS8_10device_ptrItEEEEPtt11plus_mod_10ItEEE10hipError_tPvRmT1_T2_T3_mT4_P12ihipStream_tbEUlT_E0_NS1_11comp_targetILNS1_3genE10ELNS1_11target_archE1201ELNS1_3gpuE5ELNS1_3repE0EEENS1_30default_config_static_selectorELNS0_4arch9wavefront6targetE1EEEvSK_.has_indirect_call, 0
	.section	.AMDGPU.csdata,"",@progbits
; Kernel info:
; codeLenInByte = 0
; TotalNumSgprs: 6
; NumVgprs: 0
; NumAgprs: 0
; TotalNumVgprs: 0
; ScratchSize: 0
; MemoryBound: 0
; FloatMode: 240
; IeeeMode: 1
; LDSByteSize: 0 bytes/workgroup (compile time only)
; SGPRBlocks: 0
; VGPRBlocks: 0
; NumSGPRsForWavesPerEU: 6
; NumVGPRsForWavesPerEU: 1
; AccumOffset: 4
; Occupancy: 8
; WaveLimiterHint : 0
; COMPUTE_PGM_RSRC2:SCRATCH_EN: 0
; COMPUTE_PGM_RSRC2:USER_SGPR: 2
; COMPUTE_PGM_RSRC2:TRAP_HANDLER: 0
; COMPUTE_PGM_RSRC2:TGID_X_EN: 1
; COMPUTE_PGM_RSRC2:TGID_Y_EN: 0
; COMPUTE_PGM_RSRC2:TGID_Z_EN: 0
; COMPUTE_PGM_RSRC2:TIDIG_COMP_CNT: 0
; COMPUTE_PGM_RSRC3_GFX90A:ACCUM_OFFSET: 0
; COMPUTE_PGM_RSRC3_GFX90A:TG_SPLIT: 0
	.section	.text._ZN7rocprim17ROCPRIM_400000_NS6detail17trampoline_kernelINS0_14default_configENS1_22reduce_config_selectorItEEZNS1_11reduce_implILb1ES3_N6thrust23THRUST_200600_302600_NS6detail15normal_iteratorINS8_10device_ptrItEEEEPtt11plus_mod_10ItEEE10hipError_tPvRmT1_T2_T3_mT4_P12ihipStream_tbEUlT_E0_NS1_11comp_targetILNS1_3genE10ELNS1_11target_archE1200ELNS1_3gpuE4ELNS1_3repE0EEENS1_30default_config_static_selectorELNS0_4arch9wavefront6targetE1EEEvSK_,"axG",@progbits,_ZN7rocprim17ROCPRIM_400000_NS6detail17trampoline_kernelINS0_14default_configENS1_22reduce_config_selectorItEEZNS1_11reduce_implILb1ES3_N6thrust23THRUST_200600_302600_NS6detail15normal_iteratorINS8_10device_ptrItEEEEPtt11plus_mod_10ItEEE10hipError_tPvRmT1_T2_T3_mT4_P12ihipStream_tbEUlT_E0_NS1_11comp_targetILNS1_3genE10ELNS1_11target_archE1200ELNS1_3gpuE4ELNS1_3repE0EEENS1_30default_config_static_selectorELNS0_4arch9wavefront6targetE1EEEvSK_,comdat
	.protected	_ZN7rocprim17ROCPRIM_400000_NS6detail17trampoline_kernelINS0_14default_configENS1_22reduce_config_selectorItEEZNS1_11reduce_implILb1ES3_N6thrust23THRUST_200600_302600_NS6detail15normal_iteratorINS8_10device_ptrItEEEEPtt11plus_mod_10ItEEE10hipError_tPvRmT1_T2_T3_mT4_P12ihipStream_tbEUlT_E0_NS1_11comp_targetILNS1_3genE10ELNS1_11target_archE1200ELNS1_3gpuE4ELNS1_3repE0EEENS1_30default_config_static_selectorELNS0_4arch9wavefront6targetE1EEEvSK_ ; -- Begin function _ZN7rocprim17ROCPRIM_400000_NS6detail17trampoline_kernelINS0_14default_configENS1_22reduce_config_selectorItEEZNS1_11reduce_implILb1ES3_N6thrust23THRUST_200600_302600_NS6detail15normal_iteratorINS8_10device_ptrItEEEEPtt11plus_mod_10ItEEE10hipError_tPvRmT1_T2_T3_mT4_P12ihipStream_tbEUlT_E0_NS1_11comp_targetILNS1_3genE10ELNS1_11target_archE1200ELNS1_3gpuE4ELNS1_3repE0EEENS1_30default_config_static_selectorELNS0_4arch9wavefront6targetE1EEEvSK_
	.globl	_ZN7rocprim17ROCPRIM_400000_NS6detail17trampoline_kernelINS0_14default_configENS1_22reduce_config_selectorItEEZNS1_11reduce_implILb1ES3_N6thrust23THRUST_200600_302600_NS6detail15normal_iteratorINS8_10device_ptrItEEEEPtt11plus_mod_10ItEEE10hipError_tPvRmT1_T2_T3_mT4_P12ihipStream_tbEUlT_E0_NS1_11comp_targetILNS1_3genE10ELNS1_11target_archE1200ELNS1_3gpuE4ELNS1_3repE0EEENS1_30default_config_static_selectorELNS0_4arch9wavefront6targetE1EEEvSK_
	.p2align	8
	.type	_ZN7rocprim17ROCPRIM_400000_NS6detail17trampoline_kernelINS0_14default_configENS1_22reduce_config_selectorItEEZNS1_11reduce_implILb1ES3_N6thrust23THRUST_200600_302600_NS6detail15normal_iteratorINS8_10device_ptrItEEEEPtt11plus_mod_10ItEEE10hipError_tPvRmT1_T2_T3_mT4_P12ihipStream_tbEUlT_E0_NS1_11comp_targetILNS1_3genE10ELNS1_11target_archE1200ELNS1_3gpuE4ELNS1_3repE0EEENS1_30default_config_static_selectorELNS0_4arch9wavefront6targetE1EEEvSK_,@function
_ZN7rocprim17ROCPRIM_400000_NS6detail17trampoline_kernelINS0_14default_configENS1_22reduce_config_selectorItEEZNS1_11reduce_implILb1ES3_N6thrust23THRUST_200600_302600_NS6detail15normal_iteratorINS8_10device_ptrItEEEEPtt11plus_mod_10ItEEE10hipError_tPvRmT1_T2_T3_mT4_P12ihipStream_tbEUlT_E0_NS1_11comp_targetILNS1_3genE10ELNS1_11target_archE1200ELNS1_3gpuE4ELNS1_3repE0EEENS1_30default_config_static_selectorELNS0_4arch9wavefront6targetE1EEEvSK_: ; @_ZN7rocprim17ROCPRIM_400000_NS6detail17trampoline_kernelINS0_14default_configENS1_22reduce_config_selectorItEEZNS1_11reduce_implILb1ES3_N6thrust23THRUST_200600_302600_NS6detail15normal_iteratorINS8_10device_ptrItEEEEPtt11plus_mod_10ItEEE10hipError_tPvRmT1_T2_T3_mT4_P12ihipStream_tbEUlT_E0_NS1_11comp_targetILNS1_3genE10ELNS1_11target_archE1200ELNS1_3gpuE4ELNS1_3repE0EEENS1_30default_config_static_selectorELNS0_4arch9wavefront6targetE1EEEvSK_
; %bb.0:
	.section	.rodata,"a",@progbits
	.p2align	6, 0x0
	.amdhsa_kernel _ZN7rocprim17ROCPRIM_400000_NS6detail17trampoline_kernelINS0_14default_configENS1_22reduce_config_selectorItEEZNS1_11reduce_implILb1ES3_N6thrust23THRUST_200600_302600_NS6detail15normal_iteratorINS8_10device_ptrItEEEEPtt11plus_mod_10ItEEE10hipError_tPvRmT1_T2_T3_mT4_P12ihipStream_tbEUlT_E0_NS1_11comp_targetILNS1_3genE10ELNS1_11target_archE1200ELNS1_3gpuE4ELNS1_3repE0EEENS1_30default_config_static_selectorELNS0_4arch9wavefront6targetE1EEEvSK_
		.amdhsa_group_segment_fixed_size 0
		.amdhsa_private_segment_fixed_size 0
		.amdhsa_kernarg_size 56
		.amdhsa_user_sgpr_count 2
		.amdhsa_user_sgpr_dispatch_ptr 0
		.amdhsa_user_sgpr_queue_ptr 0
		.amdhsa_user_sgpr_kernarg_segment_ptr 1
		.amdhsa_user_sgpr_dispatch_id 0
		.amdhsa_user_sgpr_kernarg_preload_length 0
		.amdhsa_user_sgpr_kernarg_preload_offset 0
		.amdhsa_user_sgpr_private_segment_size 0
		.amdhsa_uses_dynamic_stack 0
		.amdhsa_enable_private_segment 0
		.amdhsa_system_sgpr_workgroup_id_x 1
		.amdhsa_system_sgpr_workgroup_id_y 0
		.amdhsa_system_sgpr_workgroup_id_z 0
		.amdhsa_system_sgpr_workgroup_info 0
		.amdhsa_system_vgpr_workitem_id 0
		.amdhsa_next_free_vgpr 1
		.amdhsa_next_free_sgpr 0
		.amdhsa_accum_offset 4
		.amdhsa_reserve_vcc 0
		.amdhsa_float_round_mode_32 0
		.amdhsa_float_round_mode_16_64 0
		.amdhsa_float_denorm_mode_32 3
		.amdhsa_float_denorm_mode_16_64 3
		.amdhsa_dx10_clamp 1
		.amdhsa_ieee_mode 1
		.amdhsa_fp16_overflow 0
		.amdhsa_tg_split 0
		.amdhsa_exception_fp_ieee_invalid_op 0
		.amdhsa_exception_fp_denorm_src 0
		.amdhsa_exception_fp_ieee_div_zero 0
		.amdhsa_exception_fp_ieee_overflow 0
		.amdhsa_exception_fp_ieee_underflow 0
		.amdhsa_exception_fp_ieee_inexact 0
		.amdhsa_exception_int_div_zero 0
	.end_amdhsa_kernel
	.section	.text._ZN7rocprim17ROCPRIM_400000_NS6detail17trampoline_kernelINS0_14default_configENS1_22reduce_config_selectorItEEZNS1_11reduce_implILb1ES3_N6thrust23THRUST_200600_302600_NS6detail15normal_iteratorINS8_10device_ptrItEEEEPtt11plus_mod_10ItEEE10hipError_tPvRmT1_T2_T3_mT4_P12ihipStream_tbEUlT_E0_NS1_11comp_targetILNS1_3genE10ELNS1_11target_archE1200ELNS1_3gpuE4ELNS1_3repE0EEENS1_30default_config_static_selectorELNS0_4arch9wavefront6targetE1EEEvSK_,"axG",@progbits,_ZN7rocprim17ROCPRIM_400000_NS6detail17trampoline_kernelINS0_14default_configENS1_22reduce_config_selectorItEEZNS1_11reduce_implILb1ES3_N6thrust23THRUST_200600_302600_NS6detail15normal_iteratorINS8_10device_ptrItEEEEPtt11plus_mod_10ItEEE10hipError_tPvRmT1_T2_T3_mT4_P12ihipStream_tbEUlT_E0_NS1_11comp_targetILNS1_3genE10ELNS1_11target_archE1200ELNS1_3gpuE4ELNS1_3repE0EEENS1_30default_config_static_selectorELNS0_4arch9wavefront6targetE1EEEvSK_,comdat
.Lfunc_end645:
	.size	_ZN7rocprim17ROCPRIM_400000_NS6detail17trampoline_kernelINS0_14default_configENS1_22reduce_config_selectorItEEZNS1_11reduce_implILb1ES3_N6thrust23THRUST_200600_302600_NS6detail15normal_iteratorINS8_10device_ptrItEEEEPtt11plus_mod_10ItEEE10hipError_tPvRmT1_T2_T3_mT4_P12ihipStream_tbEUlT_E0_NS1_11comp_targetILNS1_3genE10ELNS1_11target_archE1200ELNS1_3gpuE4ELNS1_3repE0EEENS1_30default_config_static_selectorELNS0_4arch9wavefront6targetE1EEEvSK_, .Lfunc_end645-_ZN7rocprim17ROCPRIM_400000_NS6detail17trampoline_kernelINS0_14default_configENS1_22reduce_config_selectorItEEZNS1_11reduce_implILb1ES3_N6thrust23THRUST_200600_302600_NS6detail15normal_iteratorINS8_10device_ptrItEEEEPtt11plus_mod_10ItEEE10hipError_tPvRmT1_T2_T3_mT4_P12ihipStream_tbEUlT_E0_NS1_11comp_targetILNS1_3genE10ELNS1_11target_archE1200ELNS1_3gpuE4ELNS1_3repE0EEENS1_30default_config_static_selectorELNS0_4arch9wavefront6targetE1EEEvSK_
                                        ; -- End function
	.set _ZN7rocprim17ROCPRIM_400000_NS6detail17trampoline_kernelINS0_14default_configENS1_22reduce_config_selectorItEEZNS1_11reduce_implILb1ES3_N6thrust23THRUST_200600_302600_NS6detail15normal_iteratorINS8_10device_ptrItEEEEPtt11plus_mod_10ItEEE10hipError_tPvRmT1_T2_T3_mT4_P12ihipStream_tbEUlT_E0_NS1_11comp_targetILNS1_3genE10ELNS1_11target_archE1200ELNS1_3gpuE4ELNS1_3repE0EEENS1_30default_config_static_selectorELNS0_4arch9wavefront6targetE1EEEvSK_.num_vgpr, 0
	.set _ZN7rocprim17ROCPRIM_400000_NS6detail17trampoline_kernelINS0_14default_configENS1_22reduce_config_selectorItEEZNS1_11reduce_implILb1ES3_N6thrust23THRUST_200600_302600_NS6detail15normal_iteratorINS8_10device_ptrItEEEEPtt11plus_mod_10ItEEE10hipError_tPvRmT1_T2_T3_mT4_P12ihipStream_tbEUlT_E0_NS1_11comp_targetILNS1_3genE10ELNS1_11target_archE1200ELNS1_3gpuE4ELNS1_3repE0EEENS1_30default_config_static_selectorELNS0_4arch9wavefront6targetE1EEEvSK_.num_agpr, 0
	.set _ZN7rocprim17ROCPRIM_400000_NS6detail17trampoline_kernelINS0_14default_configENS1_22reduce_config_selectorItEEZNS1_11reduce_implILb1ES3_N6thrust23THRUST_200600_302600_NS6detail15normal_iteratorINS8_10device_ptrItEEEEPtt11plus_mod_10ItEEE10hipError_tPvRmT1_T2_T3_mT4_P12ihipStream_tbEUlT_E0_NS1_11comp_targetILNS1_3genE10ELNS1_11target_archE1200ELNS1_3gpuE4ELNS1_3repE0EEENS1_30default_config_static_selectorELNS0_4arch9wavefront6targetE1EEEvSK_.numbered_sgpr, 0
	.set _ZN7rocprim17ROCPRIM_400000_NS6detail17trampoline_kernelINS0_14default_configENS1_22reduce_config_selectorItEEZNS1_11reduce_implILb1ES3_N6thrust23THRUST_200600_302600_NS6detail15normal_iteratorINS8_10device_ptrItEEEEPtt11plus_mod_10ItEEE10hipError_tPvRmT1_T2_T3_mT4_P12ihipStream_tbEUlT_E0_NS1_11comp_targetILNS1_3genE10ELNS1_11target_archE1200ELNS1_3gpuE4ELNS1_3repE0EEENS1_30default_config_static_selectorELNS0_4arch9wavefront6targetE1EEEvSK_.num_named_barrier, 0
	.set _ZN7rocprim17ROCPRIM_400000_NS6detail17trampoline_kernelINS0_14default_configENS1_22reduce_config_selectorItEEZNS1_11reduce_implILb1ES3_N6thrust23THRUST_200600_302600_NS6detail15normal_iteratorINS8_10device_ptrItEEEEPtt11plus_mod_10ItEEE10hipError_tPvRmT1_T2_T3_mT4_P12ihipStream_tbEUlT_E0_NS1_11comp_targetILNS1_3genE10ELNS1_11target_archE1200ELNS1_3gpuE4ELNS1_3repE0EEENS1_30default_config_static_selectorELNS0_4arch9wavefront6targetE1EEEvSK_.private_seg_size, 0
	.set _ZN7rocprim17ROCPRIM_400000_NS6detail17trampoline_kernelINS0_14default_configENS1_22reduce_config_selectorItEEZNS1_11reduce_implILb1ES3_N6thrust23THRUST_200600_302600_NS6detail15normal_iteratorINS8_10device_ptrItEEEEPtt11plus_mod_10ItEEE10hipError_tPvRmT1_T2_T3_mT4_P12ihipStream_tbEUlT_E0_NS1_11comp_targetILNS1_3genE10ELNS1_11target_archE1200ELNS1_3gpuE4ELNS1_3repE0EEENS1_30default_config_static_selectorELNS0_4arch9wavefront6targetE1EEEvSK_.uses_vcc, 0
	.set _ZN7rocprim17ROCPRIM_400000_NS6detail17trampoline_kernelINS0_14default_configENS1_22reduce_config_selectorItEEZNS1_11reduce_implILb1ES3_N6thrust23THRUST_200600_302600_NS6detail15normal_iteratorINS8_10device_ptrItEEEEPtt11plus_mod_10ItEEE10hipError_tPvRmT1_T2_T3_mT4_P12ihipStream_tbEUlT_E0_NS1_11comp_targetILNS1_3genE10ELNS1_11target_archE1200ELNS1_3gpuE4ELNS1_3repE0EEENS1_30default_config_static_selectorELNS0_4arch9wavefront6targetE1EEEvSK_.uses_flat_scratch, 0
	.set _ZN7rocprim17ROCPRIM_400000_NS6detail17trampoline_kernelINS0_14default_configENS1_22reduce_config_selectorItEEZNS1_11reduce_implILb1ES3_N6thrust23THRUST_200600_302600_NS6detail15normal_iteratorINS8_10device_ptrItEEEEPtt11plus_mod_10ItEEE10hipError_tPvRmT1_T2_T3_mT4_P12ihipStream_tbEUlT_E0_NS1_11comp_targetILNS1_3genE10ELNS1_11target_archE1200ELNS1_3gpuE4ELNS1_3repE0EEENS1_30default_config_static_selectorELNS0_4arch9wavefront6targetE1EEEvSK_.has_dyn_sized_stack, 0
	.set _ZN7rocprim17ROCPRIM_400000_NS6detail17trampoline_kernelINS0_14default_configENS1_22reduce_config_selectorItEEZNS1_11reduce_implILb1ES3_N6thrust23THRUST_200600_302600_NS6detail15normal_iteratorINS8_10device_ptrItEEEEPtt11plus_mod_10ItEEE10hipError_tPvRmT1_T2_T3_mT4_P12ihipStream_tbEUlT_E0_NS1_11comp_targetILNS1_3genE10ELNS1_11target_archE1200ELNS1_3gpuE4ELNS1_3repE0EEENS1_30default_config_static_selectorELNS0_4arch9wavefront6targetE1EEEvSK_.has_recursion, 0
	.set _ZN7rocprim17ROCPRIM_400000_NS6detail17trampoline_kernelINS0_14default_configENS1_22reduce_config_selectorItEEZNS1_11reduce_implILb1ES3_N6thrust23THRUST_200600_302600_NS6detail15normal_iteratorINS8_10device_ptrItEEEEPtt11plus_mod_10ItEEE10hipError_tPvRmT1_T2_T3_mT4_P12ihipStream_tbEUlT_E0_NS1_11comp_targetILNS1_3genE10ELNS1_11target_archE1200ELNS1_3gpuE4ELNS1_3repE0EEENS1_30default_config_static_selectorELNS0_4arch9wavefront6targetE1EEEvSK_.has_indirect_call, 0
	.section	.AMDGPU.csdata,"",@progbits
; Kernel info:
; codeLenInByte = 0
; TotalNumSgprs: 6
; NumVgprs: 0
; NumAgprs: 0
; TotalNumVgprs: 0
; ScratchSize: 0
; MemoryBound: 0
; FloatMode: 240
; IeeeMode: 1
; LDSByteSize: 0 bytes/workgroup (compile time only)
; SGPRBlocks: 0
; VGPRBlocks: 0
; NumSGPRsForWavesPerEU: 6
; NumVGPRsForWavesPerEU: 1
; AccumOffset: 4
; Occupancy: 8
; WaveLimiterHint : 0
; COMPUTE_PGM_RSRC2:SCRATCH_EN: 0
; COMPUTE_PGM_RSRC2:USER_SGPR: 2
; COMPUTE_PGM_RSRC2:TRAP_HANDLER: 0
; COMPUTE_PGM_RSRC2:TGID_X_EN: 1
; COMPUTE_PGM_RSRC2:TGID_Y_EN: 0
; COMPUTE_PGM_RSRC2:TGID_Z_EN: 0
; COMPUTE_PGM_RSRC2:TIDIG_COMP_CNT: 0
; COMPUTE_PGM_RSRC3_GFX90A:ACCUM_OFFSET: 0
; COMPUTE_PGM_RSRC3_GFX90A:TG_SPLIT: 0
	.section	.text._ZN7rocprim17ROCPRIM_400000_NS6detail17trampoline_kernelINS0_14default_configENS1_22reduce_config_selectorItEEZNS1_11reduce_implILb1ES3_N6thrust23THRUST_200600_302600_NS6detail15normal_iteratorINS8_10device_ptrItEEEEPtt11plus_mod_10ItEEE10hipError_tPvRmT1_T2_T3_mT4_P12ihipStream_tbEUlT_E0_NS1_11comp_targetILNS1_3genE9ELNS1_11target_archE1100ELNS1_3gpuE3ELNS1_3repE0EEENS1_30default_config_static_selectorELNS0_4arch9wavefront6targetE1EEEvSK_,"axG",@progbits,_ZN7rocprim17ROCPRIM_400000_NS6detail17trampoline_kernelINS0_14default_configENS1_22reduce_config_selectorItEEZNS1_11reduce_implILb1ES3_N6thrust23THRUST_200600_302600_NS6detail15normal_iteratorINS8_10device_ptrItEEEEPtt11plus_mod_10ItEEE10hipError_tPvRmT1_T2_T3_mT4_P12ihipStream_tbEUlT_E0_NS1_11comp_targetILNS1_3genE9ELNS1_11target_archE1100ELNS1_3gpuE3ELNS1_3repE0EEENS1_30default_config_static_selectorELNS0_4arch9wavefront6targetE1EEEvSK_,comdat
	.protected	_ZN7rocprim17ROCPRIM_400000_NS6detail17trampoline_kernelINS0_14default_configENS1_22reduce_config_selectorItEEZNS1_11reduce_implILb1ES3_N6thrust23THRUST_200600_302600_NS6detail15normal_iteratorINS8_10device_ptrItEEEEPtt11plus_mod_10ItEEE10hipError_tPvRmT1_T2_T3_mT4_P12ihipStream_tbEUlT_E0_NS1_11comp_targetILNS1_3genE9ELNS1_11target_archE1100ELNS1_3gpuE3ELNS1_3repE0EEENS1_30default_config_static_selectorELNS0_4arch9wavefront6targetE1EEEvSK_ ; -- Begin function _ZN7rocprim17ROCPRIM_400000_NS6detail17trampoline_kernelINS0_14default_configENS1_22reduce_config_selectorItEEZNS1_11reduce_implILb1ES3_N6thrust23THRUST_200600_302600_NS6detail15normal_iteratorINS8_10device_ptrItEEEEPtt11plus_mod_10ItEEE10hipError_tPvRmT1_T2_T3_mT4_P12ihipStream_tbEUlT_E0_NS1_11comp_targetILNS1_3genE9ELNS1_11target_archE1100ELNS1_3gpuE3ELNS1_3repE0EEENS1_30default_config_static_selectorELNS0_4arch9wavefront6targetE1EEEvSK_
	.globl	_ZN7rocprim17ROCPRIM_400000_NS6detail17trampoline_kernelINS0_14default_configENS1_22reduce_config_selectorItEEZNS1_11reduce_implILb1ES3_N6thrust23THRUST_200600_302600_NS6detail15normal_iteratorINS8_10device_ptrItEEEEPtt11plus_mod_10ItEEE10hipError_tPvRmT1_T2_T3_mT4_P12ihipStream_tbEUlT_E0_NS1_11comp_targetILNS1_3genE9ELNS1_11target_archE1100ELNS1_3gpuE3ELNS1_3repE0EEENS1_30default_config_static_selectorELNS0_4arch9wavefront6targetE1EEEvSK_
	.p2align	8
	.type	_ZN7rocprim17ROCPRIM_400000_NS6detail17trampoline_kernelINS0_14default_configENS1_22reduce_config_selectorItEEZNS1_11reduce_implILb1ES3_N6thrust23THRUST_200600_302600_NS6detail15normal_iteratorINS8_10device_ptrItEEEEPtt11plus_mod_10ItEEE10hipError_tPvRmT1_T2_T3_mT4_P12ihipStream_tbEUlT_E0_NS1_11comp_targetILNS1_3genE9ELNS1_11target_archE1100ELNS1_3gpuE3ELNS1_3repE0EEENS1_30default_config_static_selectorELNS0_4arch9wavefront6targetE1EEEvSK_,@function
_ZN7rocprim17ROCPRIM_400000_NS6detail17trampoline_kernelINS0_14default_configENS1_22reduce_config_selectorItEEZNS1_11reduce_implILb1ES3_N6thrust23THRUST_200600_302600_NS6detail15normal_iteratorINS8_10device_ptrItEEEEPtt11plus_mod_10ItEEE10hipError_tPvRmT1_T2_T3_mT4_P12ihipStream_tbEUlT_E0_NS1_11comp_targetILNS1_3genE9ELNS1_11target_archE1100ELNS1_3gpuE3ELNS1_3repE0EEENS1_30default_config_static_selectorELNS0_4arch9wavefront6targetE1EEEvSK_: ; @_ZN7rocprim17ROCPRIM_400000_NS6detail17trampoline_kernelINS0_14default_configENS1_22reduce_config_selectorItEEZNS1_11reduce_implILb1ES3_N6thrust23THRUST_200600_302600_NS6detail15normal_iteratorINS8_10device_ptrItEEEEPtt11plus_mod_10ItEEE10hipError_tPvRmT1_T2_T3_mT4_P12ihipStream_tbEUlT_E0_NS1_11comp_targetILNS1_3genE9ELNS1_11target_archE1100ELNS1_3gpuE3ELNS1_3repE0EEENS1_30default_config_static_selectorELNS0_4arch9wavefront6targetE1EEEvSK_
; %bb.0:
	.section	.rodata,"a",@progbits
	.p2align	6, 0x0
	.amdhsa_kernel _ZN7rocprim17ROCPRIM_400000_NS6detail17trampoline_kernelINS0_14default_configENS1_22reduce_config_selectorItEEZNS1_11reduce_implILb1ES3_N6thrust23THRUST_200600_302600_NS6detail15normal_iteratorINS8_10device_ptrItEEEEPtt11plus_mod_10ItEEE10hipError_tPvRmT1_T2_T3_mT4_P12ihipStream_tbEUlT_E0_NS1_11comp_targetILNS1_3genE9ELNS1_11target_archE1100ELNS1_3gpuE3ELNS1_3repE0EEENS1_30default_config_static_selectorELNS0_4arch9wavefront6targetE1EEEvSK_
		.amdhsa_group_segment_fixed_size 0
		.amdhsa_private_segment_fixed_size 0
		.amdhsa_kernarg_size 56
		.amdhsa_user_sgpr_count 2
		.amdhsa_user_sgpr_dispatch_ptr 0
		.amdhsa_user_sgpr_queue_ptr 0
		.amdhsa_user_sgpr_kernarg_segment_ptr 1
		.amdhsa_user_sgpr_dispatch_id 0
		.amdhsa_user_sgpr_kernarg_preload_length 0
		.amdhsa_user_sgpr_kernarg_preload_offset 0
		.amdhsa_user_sgpr_private_segment_size 0
		.amdhsa_uses_dynamic_stack 0
		.amdhsa_enable_private_segment 0
		.amdhsa_system_sgpr_workgroup_id_x 1
		.amdhsa_system_sgpr_workgroup_id_y 0
		.amdhsa_system_sgpr_workgroup_id_z 0
		.amdhsa_system_sgpr_workgroup_info 0
		.amdhsa_system_vgpr_workitem_id 0
		.amdhsa_next_free_vgpr 1
		.amdhsa_next_free_sgpr 0
		.amdhsa_accum_offset 4
		.amdhsa_reserve_vcc 0
		.amdhsa_float_round_mode_32 0
		.amdhsa_float_round_mode_16_64 0
		.amdhsa_float_denorm_mode_32 3
		.amdhsa_float_denorm_mode_16_64 3
		.amdhsa_dx10_clamp 1
		.amdhsa_ieee_mode 1
		.amdhsa_fp16_overflow 0
		.amdhsa_tg_split 0
		.amdhsa_exception_fp_ieee_invalid_op 0
		.amdhsa_exception_fp_denorm_src 0
		.amdhsa_exception_fp_ieee_div_zero 0
		.amdhsa_exception_fp_ieee_overflow 0
		.amdhsa_exception_fp_ieee_underflow 0
		.amdhsa_exception_fp_ieee_inexact 0
		.amdhsa_exception_int_div_zero 0
	.end_amdhsa_kernel
	.section	.text._ZN7rocprim17ROCPRIM_400000_NS6detail17trampoline_kernelINS0_14default_configENS1_22reduce_config_selectorItEEZNS1_11reduce_implILb1ES3_N6thrust23THRUST_200600_302600_NS6detail15normal_iteratorINS8_10device_ptrItEEEEPtt11plus_mod_10ItEEE10hipError_tPvRmT1_T2_T3_mT4_P12ihipStream_tbEUlT_E0_NS1_11comp_targetILNS1_3genE9ELNS1_11target_archE1100ELNS1_3gpuE3ELNS1_3repE0EEENS1_30default_config_static_selectorELNS0_4arch9wavefront6targetE1EEEvSK_,"axG",@progbits,_ZN7rocprim17ROCPRIM_400000_NS6detail17trampoline_kernelINS0_14default_configENS1_22reduce_config_selectorItEEZNS1_11reduce_implILb1ES3_N6thrust23THRUST_200600_302600_NS6detail15normal_iteratorINS8_10device_ptrItEEEEPtt11plus_mod_10ItEEE10hipError_tPvRmT1_T2_T3_mT4_P12ihipStream_tbEUlT_E0_NS1_11comp_targetILNS1_3genE9ELNS1_11target_archE1100ELNS1_3gpuE3ELNS1_3repE0EEENS1_30default_config_static_selectorELNS0_4arch9wavefront6targetE1EEEvSK_,comdat
.Lfunc_end646:
	.size	_ZN7rocprim17ROCPRIM_400000_NS6detail17trampoline_kernelINS0_14default_configENS1_22reduce_config_selectorItEEZNS1_11reduce_implILb1ES3_N6thrust23THRUST_200600_302600_NS6detail15normal_iteratorINS8_10device_ptrItEEEEPtt11plus_mod_10ItEEE10hipError_tPvRmT1_T2_T3_mT4_P12ihipStream_tbEUlT_E0_NS1_11comp_targetILNS1_3genE9ELNS1_11target_archE1100ELNS1_3gpuE3ELNS1_3repE0EEENS1_30default_config_static_selectorELNS0_4arch9wavefront6targetE1EEEvSK_, .Lfunc_end646-_ZN7rocprim17ROCPRIM_400000_NS6detail17trampoline_kernelINS0_14default_configENS1_22reduce_config_selectorItEEZNS1_11reduce_implILb1ES3_N6thrust23THRUST_200600_302600_NS6detail15normal_iteratorINS8_10device_ptrItEEEEPtt11plus_mod_10ItEEE10hipError_tPvRmT1_T2_T3_mT4_P12ihipStream_tbEUlT_E0_NS1_11comp_targetILNS1_3genE9ELNS1_11target_archE1100ELNS1_3gpuE3ELNS1_3repE0EEENS1_30default_config_static_selectorELNS0_4arch9wavefront6targetE1EEEvSK_
                                        ; -- End function
	.set _ZN7rocprim17ROCPRIM_400000_NS6detail17trampoline_kernelINS0_14default_configENS1_22reduce_config_selectorItEEZNS1_11reduce_implILb1ES3_N6thrust23THRUST_200600_302600_NS6detail15normal_iteratorINS8_10device_ptrItEEEEPtt11plus_mod_10ItEEE10hipError_tPvRmT1_T2_T3_mT4_P12ihipStream_tbEUlT_E0_NS1_11comp_targetILNS1_3genE9ELNS1_11target_archE1100ELNS1_3gpuE3ELNS1_3repE0EEENS1_30default_config_static_selectorELNS0_4arch9wavefront6targetE1EEEvSK_.num_vgpr, 0
	.set _ZN7rocprim17ROCPRIM_400000_NS6detail17trampoline_kernelINS0_14default_configENS1_22reduce_config_selectorItEEZNS1_11reduce_implILb1ES3_N6thrust23THRUST_200600_302600_NS6detail15normal_iteratorINS8_10device_ptrItEEEEPtt11plus_mod_10ItEEE10hipError_tPvRmT1_T2_T3_mT4_P12ihipStream_tbEUlT_E0_NS1_11comp_targetILNS1_3genE9ELNS1_11target_archE1100ELNS1_3gpuE3ELNS1_3repE0EEENS1_30default_config_static_selectorELNS0_4arch9wavefront6targetE1EEEvSK_.num_agpr, 0
	.set _ZN7rocprim17ROCPRIM_400000_NS6detail17trampoline_kernelINS0_14default_configENS1_22reduce_config_selectorItEEZNS1_11reduce_implILb1ES3_N6thrust23THRUST_200600_302600_NS6detail15normal_iteratorINS8_10device_ptrItEEEEPtt11plus_mod_10ItEEE10hipError_tPvRmT1_T2_T3_mT4_P12ihipStream_tbEUlT_E0_NS1_11comp_targetILNS1_3genE9ELNS1_11target_archE1100ELNS1_3gpuE3ELNS1_3repE0EEENS1_30default_config_static_selectorELNS0_4arch9wavefront6targetE1EEEvSK_.numbered_sgpr, 0
	.set _ZN7rocprim17ROCPRIM_400000_NS6detail17trampoline_kernelINS0_14default_configENS1_22reduce_config_selectorItEEZNS1_11reduce_implILb1ES3_N6thrust23THRUST_200600_302600_NS6detail15normal_iteratorINS8_10device_ptrItEEEEPtt11plus_mod_10ItEEE10hipError_tPvRmT1_T2_T3_mT4_P12ihipStream_tbEUlT_E0_NS1_11comp_targetILNS1_3genE9ELNS1_11target_archE1100ELNS1_3gpuE3ELNS1_3repE0EEENS1_30default_config_static_selectorELNS0_4arch9wavefront6targetE1EEEvSK_.num_named_barrier, 0
	.set _ZN7rocprim17ROCPRIM_400000_NS6detail17trampoline_kernelINS0_14default_configENS1_22reduce_config_selectorItEEZNS1_11reduce_implILb1ES3_N6thrust23THRUST_200600_302600_NS6detail15normal_iteratorINS8_10device_ptrItEEEEPtt11plus_mod_10ItEEE10hipError_tPvRmT1_T2_T3_mT4_P12ihipStream_tbEUlT_E0_NS1_11comp_targetILNS1_3genE9ELNS1_11target_archE1100ELNS1_3gpuE3ELNS1_3repE0EEENS1_30default_config_static_selectorELNS0_4arch9wavefront6targetE1EEEvSK_.private_seg_size, 0
	.set _ZN7rocprim17ROCPRIM_400000_NS6detail17trampoline_kernelINS0_14default_configENS1_22reduce_config_selectorItEEZNS1_11reduce_implILb1ES3_N6thrust23THRUST_200600_302600_NS6detail15normal_iteratorINS8_10device_ptrItEEEEPtt11plus_mod_10ItEEE10hipError_tPvRmT1_T2_T3_mT4_P12ihipStream_tbEUlT_E0_NS1_11comp_targetILNS1_3genE9ELNS1_11target_archE1100ELNS1_3gpuE3ELNS1_3repE0EEENS1_30default_config_static_selectorELNS0_4arch9wavefront6targetE1EEEvSK_.uses_vcc, 0
	.set _ZN7rocprim17ROCPRIM_400000_NS6detail17trampoline_kernelINS0_14default_configENS1_22reduce_config_selectorItEEZNS1_11reduce_implILb1ES3_N6thrust23THRUST_200600_302600_NS6detail15normal_iteratorINS8_10device_ptrItEEEEPtt11plus_mod_10ItEEE10hipError_tPvRmT1_T2_T3_mT4_P12ihipStream_tbEUlT_E0_NS1_11comp_targetILNS1_3genE9ELNS1_11target_archE1100ELNS1_3gpuE3ELNS1_3repE0EEENS1_30default_config_static_selectorELNS0_4arch9wavefront6targetE1EEEvSK_.uses_flat_scratch, 0
	.set _ZN7rocprim17ROCPRIM_400000_NS6detail17trampoline_kernelINS0_14default_configENS1_22reduce_config_selectorItEEZNS1_11reduce_implILb1ES3_N6thrust23THRUST_200600_302600_NS6detail15normal_iteratorINS8_10device_ptrItEEEEPtt11plus_mod_10ItEEE10hipError_tPvRmT1_T2_T3_mT4_P12ihipStream_tbEUlT_E0_NS1_11comp_targetILNS1_3genE9ELNS1_11target_archE1100ELNS1_3gpuE3ELNS1_3repE0EEENS1_30default_config_static_selectorELNS0_4arch9wavefront6targetE1EEEvSK_.has_dyn_sized_stack, 0
	.set _ZN7rocprim17ROCPRIM_400000_NS6detail17trampoline_kernelINS0_14default_configENS1_22reduce_config_selectorItEEZNS1_11reduce_implILb1ES3_N6thrust23THRUST_200600_302600_NS6detail15normal_iteratorINS8_10device_ptrItEEEEPtt11plus_mod_10ItEEE10hipError_tPvRmT1_T2_T3_mT4_P12ihipStream_tbEUlT_E0_NS1_11comp_targetILNS1_3genE9ELNS1_11target_archE1100ELNS1_3gpuE3ELNS1_3repE0EEENS1_30default_config_static_selectorELNS0_4arch9wavefront6targetE1EEEvSK_.has_recursion, 0
	.set _ZN7rocprim17ROCPRIM_400000_NS6detail17trampoline_kernelINS0_14default_configENS1_22reduce_config_selectorItEEZNS1_11reduce_implILb1ES3_N6thrust23THRUST_200600_302600_NS6detail15normal_iteratorINS8_10device_ptrItEEEEPtt11plus_mod_10ItEEE10hipError_tPvRmT1_T2_T3_mT4_P12ihipStream_tbEUlT_E0_NS1_11comp_targetILNS1_3genE9ELNS1_11target_archE1100ELNS1_3gpuE3ELNS1_3repE0EEENS1_30default_config_static_selectorELNS0_4arch9wavefront6targetE1EEEvSK_.has_indirect_call, 0
	.section	.AMDGPU.csdata,"",@progbits
; Kernel info:
; codeLenInByte = 0
; TotalNumSgprs: 6
; NumVgprs: 0
; NumAgprs: 0
; TotalNumVgprs: 0
; ScratchSize: 0
; MemoryBound: 0
; FloatMode: 240
; IeeeMode: 1
; LDSByteSize: 0 bytes/workgroup (compile time only)
; SGPRBlocks: 0
; VGPRBlocks: 0
; NumSGPRsForWavesPerEU: 6
; NumVGPRsForWavesPerEU: 1
; AccumOffset: 4
; Occupancy: 8
; WaveLimiterHint : 0
; COMPUTE_PGM_RSRC2:SCRATCH_EN: 0
; COMPUTE_PGM_RSRC2:USER_SGPR: 2
; COMPUTE_PGM_RSRC2:TRAP_HANDLER: 0
; COMPUTE_PGM_RSRC2:TGID_X_EN: 1
; COMPUTE_PGM_RSRC2:TGID_Y_EN: 0
; COMPUTE_PGM_RSRC2:TGID_Z_EN: 0
; COMPUTE_PGM_RSRC2:TIDIG_COMP_CNT: 0
; COMPUTE_PGM_RSRC3_GFX90A:ACCUM_OFFSET: 0
; COMPUTE_PGM_RSRC3_GFX90A:TG_SPLIT: 0
	.section	.text._ZN7rocprim17ROCPRIM_400000_NS6detail17trampoline_kernelINS0_14default_configENS1_22reduce_config_selectorItEEZNS1_11reduce_implILb1ES3_N6thrust23THRUST_200600_302600_NS6detail15normal_iteratorINS8_10device_ptrItEEEEPtt11plus_mod_10ItEEE10hipError_tPvRmT1_T2_T3_mT4_P12ihipStream_tbEUlT_E0_NS1_11comp_targetILNS1_3genE8ELNS1_11target_archE1030ELNS1_3gpuE2ELNS1_3repE0EEENS1_30default_config_static_selectorELNS0_4arch9wavefront6targetE1EEEvSK_,"axG",@progbits,_ZN7rocprim17ROCPRIM_400000_NS6detail17trampoline_kernelINS0_14default_configENS1_22reduce_config_selectorItEEZNS1_11reduce_implILb1ES3_N6thrust23THRUST_200600_302600_NS6detail15normal_iteratorINS8_10device_ptrItEEEEPtt11plus_mod_10ItEEE10hipError_tPvRmT1_T2_T3_mT4_P12ihipStream_tbEUlT_E0_NS1_11comp_targetILNS1_3genE8ELNS1_11target_archE1030ELNS1_3gpuE2ELNS1_3repE0EEENS1_30default_config_static_selectorELNS0_4arch9wavefront6targetE1EEEvSK_,comdat
	.protected	_ZN7rocprim17ROCPRIM_400000_NS6detail17trampoline_kernelINS0_14default_configENS1_22reduce_config_selectorItEEZNS1_11reduce_implILb1ES3_N6thrust23THRUST_200600_302600_NS6detail15normal_iteratorINS8_10device_ptrItEEEEPtt11plus_mod_10ItEEE10hipError_tPvRmT1_T2_T3_mT4_P12ihipStream_tbEUlT_E0_NS1_11comp_targetILNS1_3genE8ELNS1_11target_archE1030ELNS1_3gpuE2ELNS1_3repE0EEENS1_30default_config_static_selectorELNS0_4arch9wavefront6targetE1EEEvSK_ ; -- Begin function _ZN7rocprim17ROCPRIM_400000_NS6detail17trampoline_kernelINS0_14default_configENS1_22reduce_config_selectorItEEZNS1_11reduce_implILb1ES3_N6thrust23THRUST_200600_302600_NS6detail15normal_iteratorINS8_10device_ptrItEEEEPtt11plus_mod_10ItEEE10hipError_tPvRmT1_T2_T3_mT4_P12ihipStream_tbEUlT_E0_NS1_11comp_targetILNS1_3genE8ELNS1_11target_archE1030ELNS1_3gpuE2ELNS1_3repE0EEENS1_30default_config_static_selectorELNS0_4arch9wavefront6targetE1EEEvSK_
	.globl	_ZN7rocprim17ROCPRIM_400000_NS6detail17trampoline_kernelINS0_14default_configENS1_22reduce_config_selectorItEEZNS1_11reduce_implILb1ES3_N6thrust23THRUST_200600_302600_NS6detail15normal_iteratorINS8_10device_ptrItEEEEPtt11plus_mod_10ItEEE10hipError_tPvRmT1_T2_T3_mT4_P12ihipStream_tbEUlT_E0_NS1_11comp_targetILNS1_3genE8ELNS1_11target_archE1030ELNS1_3gpuE2ELNS1_3repE0EEENS1_30default_config_static_selectorELNS0_4arch9wavefront6targetE1EEEvSK_
	.p2align	8
	.type	_ZN7rocprim17ROCPRIM_400000_NS6detail17trampoline_kernelINS0_14default_configENS1_22reduce_config_selectorItEEZNS1_11reduce_implILb1ES3_N6thrust23THRUST_200600_302600_NS6detail15normal_iteratorINS8_10device_ptrItEEEEPtt11plus_mod_10ItEEE10hipError_tPvRmT1_T2_T3_mT4_P12ihipStream_tbEUlT_E0_NS1_11comp_targetILNS1_3genE8ELNS1_11target_archE1030ELNS1_3gpuE2ELNS1_3repE0EEENS1_30default_config_static_selectorELNS0_4arch9wavefront6targetE1EEEvSK_,@function
_ZN7rocprim17ROCPRIM_400000_NS6detail17trampoline_kernelINS0_14default_configENS1_22reduce_config_selectorItEEZNS1_11reduce_implILb1ES3_N6thrust23THRUST_200600_302600_NS6detail15normal_iteratorINS8_10device_ptrItEEEEPtt11plus_mod_10ItEEE10hipError_tPvRmT1_T2_T3_mT4_P12ihipStream_tbEUlT_E0_NS1_11comp_targetILNS1_3genE8ELNS1_11target_archE1030ELNS1_3gpuE2ELNS1_3repE0EEENS1_30default_config_static_selectorELNS0_4arch9wavefront6targetE1EEEvSK_: ; @_ZN7rocprim17ROCPRIM_400000_NS6detail17trampoline_kernelINS0_14default_configENS1_22reduce_config_selectorItEEZNS1_11reduce_implILb1ES3_N6thrust23THRUST_200600_302600_NS6detail15normal_iteratorINS8_10device_ptrItEEEEPtt11plus_mod_10ItEEE10hipError_tPvRmT1_T2_T3_mT4_P12ihipStream_tbEUlT_E0_NS1_11comp_targetILNS1_3genE8ELNS1_11target_archE1030ELNS1_3gpuE2ELNS1_3repE0EEENS1_30default_config_static_selectorELNS0_4arch9wavefront6targetE1EEEvSK_
; %bb.0:
	.section	.rodata,"a",@progbits
	.p2align	6, 0x0
	.amdhsa_kernel _ZN7rocprim17ROCPRIM_400000_NS6detail17trampoline_kernelINS0_14default_configENS1_22reduce_config_selectorItEEZNS1_11reduce_implILb1ES3_N6thrust23THRUST_200600_302600_NS6detail15normal_iteratorINS8_10device_ptrItEEEEPtt11plus_mod_10ItEEE10hipError_tPvRmT1_T2_T3_mT4_P12ihipStream_tbEUlT_E0_NS1_11comp_targetILNS1_3genE8ELNS1_11target_archE1030ELNS1_3gpuE2ELNS1_3repE0EEENS1_30default_config_static_selectorELNS0_4arch9wavefront6targetE1EEEvSK_
		.amdhsa_group_segment_fixed_size 0
		.amdhsa_private_segment_fixed_size 0
		.amdhsa_kernarg_size 56
		.amdhsa_user_sgpr_count 2
		.amdhsa_user_sgpr_dispatch_ptr 0
		.amdhsa_user_sgpr_queue_ptr 0
		.amdhsa_user_sgpr_kernarg_segment_ptr 1
		.amdhsa_user_sgpr_dispatch_id 0
		.amdhsa_user_sgpr_kernarg_preload_length 0
		.amdhsa_user_sgpr_kernarg_preload_offset 0
		.amdhsa_user_sgpr_private_segment_size 0
		.amdhsa_uses_dynamic_stack 0
		.amdhsa_enable_private_segment 0
		.amdhsa_system_sgpr_workgroup_id_x 1
		.amdhsa_system_sgpr_workgroup_id_y 0
		.amdhsa_system_sgpr_workgroup_id_z 0
		.amdhsa_system_sgpr_workgroup_info 0
		.amdhsa_system_vgpr_workitem_id 0
		.amdhsa_next_free_vgpr 1
		.amdhsa_next_free_sgpr 0
		.amdhsa_accum_offset 4
		.amdhsa_reserve_vcc 0
		.amdhsa_float_round_mode_32 0
		.amdhsa_float_round_mode_16_64 0
		.amdhsa_float_denorm_mode_32 3
		.amdhsa_float_denorm_mode_16_64 3
		.amdhsa_dx10_clamp 1
		.amdhsa_ieee_mode 1
		.amdhsa_fp16_overflow 0
		.amdhsa_tg_split 0
		.amdhsa_exception_fp_ieee_invalid_op 0
		.amdhsa_exception_fp_denorm_src 0
		.amdhsa_exception_fp_ieee_div_zero 0
		.amdhsa_exception_fp_ieee_overflow 0
		.amdhsa_exception_fp_ieee_underflow 0
		.amdhsa_exception_fp_ieee_inexact 0
		.amdhsa_exception_int_div_zero 0
	.end_amdhsa_kernel
	.section	.text._ZN7rocprim17ROCPRIM_400000_NS6detail17trampoline_kernelINS0_14default_configENS1_22reduce_config_selectorItEEZNS1_11reduce_implILb1ES3_N6thrust23THRUST_200600_302600_NS6detail15normal_iteratorINS8_10device_ptrItEEEEPtt11plus_mod_10ItEEE10hipError_tPvRmT1_T2_T3_mT4_P12ihipStream_tbEUlT_E0_NS1_11comp_targetILNS1_3genE8ELNS1_11target_archE1030ELNS1_3gpuE2ELNS1_3repE0EEENS1_30default_config_static_selectorELNS0_4arch9wavefront6targetE1EEEvSK_,"axG",@progbits,_ZN7rocprim17ROCPRIM_400000_NS6detail17trampoline_kernelINS0_14default_configENS1_22reduce_config_selectorItEEZNS1_11reduce_implILb1ES3_N6thrust23THRUST_200600_302600_NS6detail15normal_iteratorINS8_10device_ptrItEEEEPtt11plus_mod_10ItEEE10hipError_tPvRmT1_T2_T3_mT4_P12ihipStream_tbEUlT_E0_NS1_11comp_targetILNS1_3genE8ELNS1_11target_archE1030ELNS1_3gpuE2ELNS1_3repE0EEENS1_30default_config_static_selectorELNS0_4arch9wavefront6targetE1EEEvSK_,comdat
.Lfunc_end647:
	.size	_ZN7rocprim17ROCPRIM_400000_NS6detail17trampoline_kernelINS0_14default_configENS1_22reduce_config_selectorItEEZNS1_11reduce_implILb1ES3_N6thrust23THRUST_200600_302600_NS6detail15normal_iteratorINS8_10device_ptrItEEEEPtt11plus_mod_10ItEEE10hipError_tPvRmT1_T2_T3_mT4_P12ihipStream_tbEUlT_E0_NS1_11comp_targetILNS1_3genE8ELNS1_11target_archE1030ELNS1_3gpuE2ELNS1_3repE0EEENS1_30default_config_static_selectorELNS0_4arch9wavefront6targetE1EEEvSK_, .Lfunc_end647-_ZN7rocprim17ROCPRIM_400000_NS6detail17trampoline_kernelINS0_14default_configENS1_22reduce_config_selectorItEEZNS1_11reduce_implILb1ES3_N6thrust23THRUST_200600_302600_NS6detail15normal_iteratorINS8_10device_ptrItEEEEPtt11plus_mod_10ItEEE10hipError_tPvRmT1_T2_T3_mT4_P12ihipStream_tbEUlT_E0_NS1_11comp_targetILNS1_3genE8ELNS1_11target_archE1030ELNS1_3gpuE2ELNS1_3repE0EEENS1_30default_config_static_selectorELNS0_4arch9wavefront6targetE1EEEvSK_
                                        ; -- End function
	.set _ZN7rocprim17ROCPRIM_400000_NS6detail17trampoline_kernelINS0_14default_configENS1_22reduce_config_selectorItEEZNS1_11reduce_implILb1ES3_N6thrust23THRUST_200600_302600_NS6detail15normal_iteratorINS8_10device_ptrItEEEEPtt11plus_mod_10ItEEE10hipError_tPvRmT1_T2_T3_mT4_P12ihipStream_tbEUlT_E0_NS1_11comp_targetILNS1_3genE8ELNS1_11target_archE1030ELNS1_3gpuE2ELNS1_3repE0EEENS1_30default_config_static_selectorELNS0_4arch9wavefront6targetE1EEEvSK_.num_vgpr, 0
	.set _ZN7rocprim17ROCPRIM_400000_NS6detail17trampoline_kernelINS0_14default_configENS1_22reduce_config_selectorItEEZNS1_11reduce_implILb1ES3_N6thrust23THRUST_200600_302600_NS6detail15normal_iteratorINS8_10device_ptrItEEEEPtt11plus_mod_10ItEEE10hipError_tPvRmT1_T2_T3_mT4_P12ihipStream_tbEUlT_E0_NS1_11comp_targetILNS1_3genE8ELNS1_11target_archE1030ELNS1_3gpuE2ELNS1_3repE0EEENS1_30default_config_static_selectorELNS0_4arch9wavefront6targetE1EEEvSK_.num_agpr, 0
	.set _ZN7rocprim17ROCPRIM_400000_NS6detail17trampoline_kernelINS0_14default_configENS1_22reduce_config_selectorItEEZNS1_11reduce_implILb1ES3_N6thrust23THRUST_200600_302600_NS6detail15normal_iteratorINS8_10device_ptrItEEEEPtt11plus_mod_10ItEEE10hipError_tPvRmT1_T2_T3_mT4_P12ihipStream_tbEUlT_E0_NS1_11comp_targetILNS1_3genE8ELNS1_11target_archE1030ELNS1_3gpuE2ELNS1_3repE0EEENS1_30default_config_static_selectorELNS0_4arch9wavefront6targetE1EEEvSK_.numbered_sgpr, 0
	.set _ZN7rocprim17ROCPRIM_400000_NS6detail17trampoline_kernelINS0_14default_configENS1_22reduce_config_selectorItEEZNS1_11reduce_implILb1ES3_N6thrust23THRUST_200600_302600_NS6detail15normal_iteratorINS8_10device_ptrItEEEEPtt11plus_mod_10ItEEE10hipError_tPvRmT1_T2_T3_mT4_P12ihipStream_tbEUlT_E0_NS1_11comp_targetILNS1_3genE8ELNS1_11target_archE1030ELNS1_3gpuE2ELNS1_3repE0EEENS1_30default_config_static_selectorELNS0_4arch9wavefront6targetE1EEEvSK_.num_named_barrier, 0
	.set _ZN7rocprim17ROCPRIM_400000_NS6detail17trampoline_kernelINS0_14default_configENS1_22reduce_config_selectorItEEZNS1_11reduce_implILb1ES3_N6thrust23THRUST_200600_302600_NS6detail15normal_iteratorINS8_10device_ptrItEEEEPtt11plus_mod_10ItEEE10hipError_tPvRmT1_T2_T3_mT4_P12ihipStream_tbEUlT_E0_NS1_11comp_targetILNS1_3genE8ELNS1_11target_archE1030ELNS1_3gpuE2ELNS1_3repE0EEENS1_30default_config_static_selectorELNS0_4arch9wavefront6targetE1EEEvSK_.private_seg_size, 0
	.set _ZN7rocprim17ROCPRIM_400000_NS6detail17trampoline_kernelINS0_14default_configENS1_22reduce_config_selectorItEEZNS1_11reduce_implILb1ES3_N6thrust23THRUST_200600_302600_NS6detail15normal_iteratorINS8_10device_ptrItEEEEPtt11plus_mod_10ItEEE10hipError_tPvRmT1_T2_T3_mT4_P12ihipStream_tbEUlT_E0_NS1_11comp_targetILNS1_3genE8ELNS1_11target_archE1030ELNS1_3gpuE2ELNS1_3repE0EEENS1_30default_config_static_selectorELNS0_4arch9wavefront6targetE1EEEvSK_.uses_vcc, 0
	.set _ZN7rocprim17ROCPRIM_400000_NS6detail17trampoline_kernelINS0_14default_configENS1_22reduce_config_selectorItEEZNS1_11reduce_implILb1ES3_N6thrust23THRUST_200600_302600_NS6detail15normal_iteratorINS8_10device_ptrItEEEEPtt11plus_mod_10ItEEE10hipError_tPvRmT1_T2_T3_mT4_P12ihipStream_tbEUlT_E0_NS1_11comp_targetILNS1_3genE8ELNS1_11target_archE1030ELNS1_3gpuE2ELNS1_3repE0EEENS1_30default_config_static_selectorELNS0_4arch9wavefront6targetE1EEEvSK_.uses_flat_scratch, 0
	.set _ZN7rocprim17ROCPRIM_400000_NS6detail17trampoline_kernelINS0_14default_configENS1_22reduce_config_selectorItEEZNS1_11reduce_implILb1ES3_N6thrust23THRUST_200600_302600_NS6detail15normal_iteratorINS8_10device_ptrItEEEEPtt11plus_mod_10ItEEE10hipError_tPvRmT1_T2_T3_mT4_P12ihipStream_tbEUlT_E0_NS1_11comp_targetILNS1_3genE8ELNS1_11target_archE1030ELNS1_3gpuE2ELNS1_3repE0EEENS1_30default_config_static_selectorELNS0_4arch9wavefront6targetE1EEEvSK_.has_dyn_sized_stack, 0
	.set _ZN7rocprim17ROCPRIM_400000_NS6detail17trampoline_kernelINS0_14default_configENS1_22reduce_config_selectorItEEZNS1_11reduce_implILb1ES3_N6thrust23THRUST_200600_302600_NS6detail15normal_iteratorINS8_10device_ptrItEEEEPtt11plus_mod_10ItEEE10hipError_tPvRmT1_T2_T3_mT4_P12ihipStream_tbEUlT_E0_NS1_11comp_targetILNS1_3genE8ELNS1_11target_archE1030ELNS1_3gpuE2ELNS1_3repE0EEENS1_30default_config_static_selectorELNS0_4arch9wavefront6targetE1EEEvSK_.has_recursion, 0
	.set _ZN7rocprim17ROCPRIM_400000_NS6detail17trampoline_kernelINS0_14default_configENS1_22reduce_config_selectorItEEZNS1_11reduce_implILb1ES3_N6thrust23THRUST_200600_302600_NS6detail15normal_iteratorINS8_10device_ptrItEEEEPtt11plus_mod_10ItEEE10hipError_tPvRmT1_T2_T3_mT4_P12ihipStream_tbEUlT_E0_NS1_11comp_targetILNS1_3genE8ELNS1_11target_archE1030ELNS1_3gpuE2ELNS1_3repE0EEENS1_30default_config_static_selectorELNS0_4arch9wavefront6targetE1EEEvSK_.has_indirect_call, 0
	.section	.AMDGPU.csdata,"",@progbits
; Kernel info:
; codeLenInByte = 0
; TotalNumSgprs: 6
; NumVgprs: 0
; NumAgprs: 0
; TotalNumVgprs: 0
; ScratchSize: 0
; MemoryBound: 0
; FloatMode: 240
; IeeeMode: 1
; LDSByteSize: 0 bytes/workgroup (compile time only)
; SGPRBlocks: 0
; VGPRBlocks: 0
; NumSGPRsForWavesPerEU: 6
; NumVGPRsForWavesPerEU: 1
; AccumOffset: 4
; Occupancy: 8
; WaveLimiterHint : 0
; COMPUTE_PGM_RSRC2:SCRATCH_EN: 0
; COMPUTE_PGM_RSRC2:USER_SGPR: 2
; COMPUTE_PGM_RSRC2:TRAP_HANDLER: 0
; COMPUTE_PGM_RSRC2:TGID_X_EN: 1
; COMPUTE_PGM_RSRC2:TGID_Y_EN: 0
; COMPUTE_PGM_RSRC2:TGID_Z_EN: 0
; COMPUTE_PGM_RSRC2:TIDIG_COMP_CNT: 0
; COMPUTE_PGM_RSRC3_GFX90A:ACCUM_OFFSET: 0
; COMPUTE_PGM_RSRC3_GFX90A:TG_SPLIT: 0
	.section	.text._ZN7rocprim17ROCPRIM_400000_NS6detail17trampoline_kernelINS0_14default_configENS1_22reduce_config_selectorItEEZNS1_11reduce_implILb1ES3_N6thrust23THRUST_200600_302600_NS6detail15normal_iteratorINS8_10device_ptrItEEEEPtt11plus_mod_10ItEEE10hipError_tPvRmT1_T2_T3_mT4_P12ihipStream_tbEUlT_E1_NS1_11comp_targetILNS1_3genE0ELNS1_11target_archE4294967295ELNS1_3gpuE0ELNS1_3repE0EEENS1_30default_config_static_selectorELNS0_4arch9wavefront6targetE1EEEvSK_,"axG",@progbits,_ZN7rocprim17ROCPRIM_400000_NS6detail17trampoline_kernelINS0_14default_configENS1_22reduce_config_selectorItEEZNS1_11reduce_implILb1ES3_N6thrust23THRUST_200600_302600_NS6detail15normal_iteratorINS8_10device_ptrItEEEEPtt11plus_mod_10ItEEE10hipError_tPvRmT1_T2_T3_mT4_P12ihipStream_tbEUlT_E1_NS1_11comp_targetILNS1_3genE0ELNS1_11target_archE4294967295ELNS1_3gpuE0ELNS1_3repE0EEENS1_30default_config_static_selectorELNS0_4arch9wavefront6targetE1EEEvSK_,comdat
	.protected	_ZN7rocprim17ROCPRIM_400000_NS6detail17trampoline_kernelINS0_14default_configENS1_22reduce_config_selectorItEEZNS1_11reduce_implILb1ES3_N6thrust23THRUST_200600_302600_NS6detail15normal_iteratorINS8_10device_ptrItEEEEPtt11plus_mod_10ItEEE10hipError_tPvRmT1_T2_T3_mT4_P12ihipStream_tbEUlT_E1_NS1_11comp_targetILNS1_3genE0ELNS1_11target_archE4294967295ELNS1_3gpuE0ELNS1_3repE0EEENS1_30default_config_static_selectorELNS0_4arch9wavefront6targetE1EEEvSK_ ; -- Begin function _ZN7rocprim17ROCPRIM_400000_NS6detail17trampoline_kernelINS0_14default_configENS1_22reduce_config_selectorItEEZNS1_11reduce_implILb1ES3_N6thrust23THRUST_200600_302600_NS6detail15normal_iteratorINS8_10device_ptrItEEEEPtt11plus_mod_10ItEEE10hipError_tPvRmT1_T2_T3_mT4_P12ihipStream_tbEUlT_E1_NS1_11comp_targetILNS1_3genE0ELNS1_11target_archE4294967295ELNS1_3gpuE0ELNS1_3repE0EEENS1_30default_config_static_selectorELNS0_4arch9wavefront6targetE1EEEvSK_
	.globl	_ZN7rocprim17ROCPRIM_400000_NS6detail17trampoline_kernelINS0_14default_configENS1_22reduce_config_selectorItEEZNS1_11reduce_implILb1ES3_N6thrust23THRUST_200600_302600_NS6detail15normal_iteratorINS8_10device_ptrItEEEEPtt11plus_mod_10ItEEE10hipError_tPvRmT1_T2_T3_mT4_P12ihipStream_tbEUlT_E1_NS1_11comp_targetILNS1_3genE0ELNS1_11target_archE4294967295ELNS1_3gpuE0ELNS1_3repE0EEENS1_30default_config_static_selectorELNS0_4arch9wavefront6targetE1EEEvSK_
	.p2align	8
	.type	_ZN7rocprim17ROCPRIM_400000_NS6detail17trampoline_kernelINS0_14default_configENS1_22reduce_config_selectorItEEZNS1_11reduce_implILb1ES3_N6thrust23THRUST_200600_302600_NS6detail15normal_iteratorINS8_10device_ptrItEEEEPtt11plus_mod_10ItEEE10hipError_tPvRmT1_T2_T3_mT4_P12ihipStream_tbEUlT_E1_NS1_11comp_targetILNS1_3genE0ELNS1_11target_archE4294967295ELNS1_3gpuE0ELNS1_3repE0EEENS1_30default_config_static_selectorELNS0_4arch9wavefront6targetE1EEEvSK_,@function
_ZN7rocprim17ROCPRIM_400000_NS6detail17trampoline_kernelINS0_14default_configENS1_22reduce_config_selectorItEEZNS1_11reduce_implILb1ES3_N6thrust23THRUST_200600_302600_NS6detail15normal_iteratorINS8_10device_ptrItEEEEPtt11plus_mod_10ItEEE10hipError_tPvRmT1_T2_T3_mT4_P12ihipStream_tbEUlT_E1_NS1_11comp_targetILNS1_3genE0ELNS1_11target_archE4294967295ELNS1_3gpuE0ELNS1_3repE0EEENS1_30default_config_static_selectorELNS0_4arch9wavefront6targetE1EEEvSK_: ; @_ZN7rocprim17ROCPRIM_400000_NS6detail17trampoline_kernelINS0_14default_configENS1_22reduce_config_selectorItEEZNS1_11reduce_implILb1ES3_N6thrust23THRUST_200600_302600_NS6detail15normal_iteratorINS8_10device_ptrItEEEEPtt11plus_mod_10ItEEE10hipError_tPvRmT1_T2_T3_mT4_P12ihipStream_tbEUlT_E1_NS1_11comp_targetILNS1_3genE0ELNS1_11target_archE4294967295ELNS1_3gpuE0ELNS1_3repE0EEENS1_30default_config_static_selectorELNS0_4arch9wavefront6targetE1EEEvSK_
; %bb.0:
	s_load_dword s76, s[0:1], 0x4
	s_load_dwordx4 s[68:71], s[0:1], 0x8
	s_load_dword s33, s[0:1], 0x20
	s_waitcnt lgkmcnt(0)
	s_cmp_lt_i32 s76, 8
	s_cbranch_scc1 .LBB648_10
; %bb.1:
	s_cmp_gt_i32 s76, 31
	s_cbranch_scc0 .LBB648_11
; %bb.2:
	s_cmp_gt_i32 s76, 63
	s_cbranch_scc0 .LBB648_12
; %bb.3:
	s_cmp_eq_u32 s76, 64
	s_mov_b64 s[38:39], 0
	s_cbranch_scc0 .LBB648_13
; %bb.4:
	s_mov_b32 s3, 0
	s_lshl_b32 s4, s2, 13
	s_mov_b32 s5, s3
	s_lshr_b64 s[6:7], s[70:71], 13
	s_lshl_b64 s[8:9], s[4:5], 1
	s_add_u32 s40, s68, s8
	s_addc_u32 s41, s69, s9
	s_cmp_lg_u64 s[6:7], s[2:3]
	s_cbranch_scc0 .LBB648_22
; %bb.5:
	v_lshlrev_b32_e32 v2, 1, v0
	global_load_ushort v21, v2, s[40:41] offset:256
	global_load_ushort v24, v2, s[40:41]
	global_load_ushort v25, v2, s[40:41] offset:512
	global_load_ushort v26, v2, s[40:41] offset:768
	;; [unrolled: 1-line block ×7, first 2 shown]
	v_mov_b32_e32 v3, 0
	v_lshl_add_u64 v[4:5], s[40:41], 0, v[2:3]
	s_movk_i32 s5, 0x1000
	v_add_co_u32_e32 v6, vcc, s5, v4
	s_movk_i32 s5, 0x2000
	s_nop 0
	v_addc_co_u32_e32 v7, vcc, 0, v5, vcc
	v_add_co_u32_e32 v8, vcc, s5, v4
	s_movk_i32 s5, 0x3000
	s_nop 0
	v_addc_co_u32_e32 v9, vcc, 0, v5, vcc
	v_add_co_u32_e32 v22, vcc, s5, v4
	s_mov_b32 s5, 0xcccd
	global_load_ushort v32, v2, s[40:41] offset:2304
	global_load_ushort v33, v2, s[40:41] offset:2560
	;; [unrolled: 1-line block ×7, first 2 shown]
	global_load_ushort v39, v[8:9], off offset:-4096
	global_load_ushort v40, v[6:7], off offset:256
	global_load_ushort v41, v[6:7], off offset:512
	;; [unrolled: 1-line block ×7, first 2 shown]
                                        ; kill: killed $vgpr2
	global_load_ushort v47, v[6:7], off offset:2048
	global_load_ushort v48, v[8:9], off
	global_load_ushort v49, v[8:9], off offset:256
	global_load_ushort v50, v[8:9], off offset:512
	;; [unrolled: 1-line block ×15, first 2 shown]
	v_addc_co_u32_e32 v23, vcc, 0, v5, vcc
	global_load_ushort v60, v[6:7], off offset:2304
	global_load_ushort v61, v[6:7], off offset:2560
	;; [unrolled: 1-line block ×7, first 2 shown]
	global_load_ushort v17, v[22:23], off
	global_load_ushort v15, v[22:23], off offset:256
	global_load_ushort v14, v[22:23], off offset:512
	;; [unrolled: 1-line block ×7, first 2 shown]
                                        ; kill: killed $vgpr6 killed $vgpr7
	global_load_ushort v8, v[22:23], off offset:2048
	global_load_ushort v7, v[22:23], off offset:2304
	;; [unrolled: 1-line block ×8, first 2 shown]
	s_waitcnt vmcnt(62)
	v_mul_u32_u24_sdwa v22, v21, s5 dst_sel:DWORD dst_unused:UNUSED_PAD src0_sel:WORD_0 src1_sel:DWORD
	v_lshrrev_b32_e32 v22, 19, v22
	v_mul_lo_u16_e32 v22, 10, v22
	v_sub_u16_e32 v21, v21, v22
	v_mul_u32_u24_sdwa v22, v24, s5 dst_sel:DWORD dst_unused:UNUSED_PAD src0_sel:WORD_0 src1_sel:DWORD
	v_lshrrev_b32_e32 v22, 19, v22
	v_mul_lo_u16_e32 v22, 10, v22
	v_sub_u16_e32 v22, v24, v22
	v_add_u16_e32 v21, v21, v22
	v_add_u16_e32 v22, -10, v21
	v_min_u16_e32 v21, v21, v22
	s_waitcnt vmcnt(61)
	v_mul_u32_u24_sdwa v22, v25, s5 dst_sel:DWORD dst_unused:UNUSED_PAD src0_sel:WORD_0 src1_sel:DWORD
	v_mul_u32_u24_e32 v23, 0xcccd, v21
	v_lshrrev_b32_e32 v22, 19, v22
	v_lshrrev_b32_e32 v23, 19, v23
	v_mul_lo_u16_e32 v22, 10, v22
	v_mul_lo_u16_e32 v23, 10, v23
	v_sub_u16_e32 v22, v25, v22
	v_sub_u16_e32 v21, v21, v23
	v_add_u16_e32 v21, v21, v22
	v_add_u16_e32 v22, -10, v21
	v_min_u16_e32 v21, v21, v22
	s_waitcnt vmcnt(60)
	v_mul_u32_u24_sdwa v22, v26, s5 dst_sel:DWORD dst_unused:UNUSED_PAD src0_sel:WORD_0 src1_sel:DWORD
	v_mul_u32_u24_e32 v23, 0xcccd, v21
	v_lshrrev_b32_e32 v22, 19, v22
	v_lshrrev_b32_e32 v23, 19, v23
	v_mul_lo_u16_e32 v22, 10, v22
	v_mul_lo_u16_e32 v23, 10, v23
	v_sub_u16_e32 v22, v26, v22
	;; [unrolled: 12-line block ×30, first 2 shown]
	v_sub_u16_e32 v21, v21, v23
	v_add_u16_e32 v21, v21, v22
	v_add_u16_e32 v22, -10, v21
	v_min_u16_e32 v21, v21, v22
	v_mul_u32_u24_sdwa v22, v48, s5 dst_sel:DWORD dst_unused:UNUSED_PAD src0_sel:WORD_0 src1_sel:DWORD
	v_mul_u32_u24_e32 v23, 0xcccd, v21
	v_lshrrev_b32_e32 v22, 19, v22
	v_lshrrev_b32_e32 v23, 19, v23
	v_mul_lo_u16_e32 v22, 10, v22
	v_mul_lo_u16_e32 v23, 10, v23
	v_sub_u16_e32 v22, v48, v22
	v_sub_u16_e32 v21, v21, v23
	v_add_u16_e32 v21, v21, v22
	v_add_u16_e32 v22, -10, v21
	v_min_u16_e32 v21, v21, v22
	v_mul_u32_u24_sdwa v22, v49, s5 dst_sel:DWORD dst_unused:UNUSED_PAD src0_sel:WORD_0 src1_sel:DWORD
	v_mul_u32_u24_e32 v23, 0xcccd, v21
	v_lshrrev_b32_e32 v22, 19, v22
	v_lshrrev_b32_e32 v23, 19, v23
	v_mul_lo_u16_e32 v22, 10, v22
	v_mul_lo_u16_e32 v23, 10, v23
	v_sub_u16_e32 v22, v49, v22
	;; [unrolled: 11-line block ×12, first 2 shown]
	v_sub_u16_e32 v21, v21, v23
	v_add_u16_e32 v21, v21, v22
	v_add_u16_e32 v22, -10, v21
	v_min_u16_e32 v21, v21, v22
	v_mul_u32_u24_sdwa v22, v20, s5 dst_sel:DWORD dst_unused:UNUSED_PAD src0_sel:WORD_0 src1_sel:DWORD
	v_lshrrev_b32_e32 v22, 19, v22
	v_mul_lo_u16_e32 v22, 10, v22
	v_sub_u16_e32 v20, v20, v22
	v_mul_u32_u24_e32 v22, 0xcccd, v21
	v_lshrrev_b32_e32 v22, 19, v22
	v_mul_lo_u16_e32 v22, 10, v22
	v_sub_u16_e32 v21, v21, v22
	v_add_u16_e32 v20, v21, v20
	v_add_u16_e32 v21, -10, v20
	v_min_u16_e32 v20, v20, v21
	v_mul_u32_u24_sdwa v21, v19, s5 dst_sel:DWORD dst_unused:UNUSED_PAD src0_sel:WORD_0 src1_sel:DWORD
	v_lshrrev_b32_e32 v21, 19, v21
	v_mul_lo_u16_e32 v21, 10, v21
	v_sub_u16_e32 v19, v19, v21
	v_mul_u32_u24_e32 v21, 0xcccd, v20
	v_lshrrev_b32_e32 v21, 19, v21
	v_mul_lo_u16_e32 v21, 10, v21
	;; [unrolled: 11-line block ×4, first 2 shown]
	v_sub_u16_e32 v18, v18, v19
	v_add_u16_e32 v16, v18, v16
	v_add_u16_e32 v18, -10, v16
	v_min_u16_e32 v16, v16, v18
	s_waitcnt vmcnt(15)
	v_mul_u32_u24_sdwa v18, v17, s5 dst_sel:DWORD dst_unused:UNUSED_PAD src0_sel:WORD_0 src1_sel:DWORD
	v_lshrrev_b32_e32 v18, 19, v18
	v_mul_lo_u16_e32 v18, 10, v18
	v_sub_u16_e32 v17, v17, v18
	v_mul_u32_u24_e32 v18, 0xcccd, v16
	v_lshrrev_b32_e32 v18, 19, v18
	v_mul_lo_u16_e32 v18, 10, v18
	v_sub_u16_e32 v16, v16, v18
	v_add_u16_e32 v16, v16, v17
	v_add_u16_e32 v17, -10, v16
	v_min_u16_e32 v16, v16, v17
	s_waitcnt vmcnt(14)
	v_mul_u32_u24_sdwa v17, v15, s5 dst_sel:DWORD dst_unused:UNUSED_PAD src0_sel:WORD_0 src1_sel:DWORD
	v_lshrrev_b32_e32 v17, 19, v17
	v_mul_lo_u16_e32 v17, 10, v17
	v_sub_u16_e32 v15, v15, v17
	v_mul_u32_u24_e32 v17, 0xcccd, v16
	v_lshrrev_b32_e32 v17, 19, v17
	v_mul_lo_u16_e32 v17, 10, v17
	;; [unrolled: 12-line block ×16, first 2 shown]
	v_sub_u16_e32 v2, v2, v3
	v_add_u16_e32 v1, v2, v1
	v_add_u16_e32 v2, -10, v1
	v_min_u16_e32 v2, v1, v2
	v_mul_u32_u24_e32 v4, 0xcccd, v2
	v_lshrrev_b32_e32 v4, 19, v4
	v_mov_b32_dpp v3, v2 quad_perm:[1,0,3,2] row_mask:0xf bank_mask:0xf bound_ctrl:1
	v_mul_lo_u16_e32 v4, 10, v4
	v_sub_u16_e32 v2, v2, v4
	v_mul_u32_u24_sdwa v4, v3, s5 dst_sel:DWORD dst_unused:UNUSED_PAD src0_sel:WORD_0 src1_sel:DWORD
	v_lshrrev_b32_e32 v4, 19, v4
	v_mul_lo_u16_e32 v4, 10, v4
	v_sub_u16_e32 v3, v3, v4
	v_add_u16_e32 v2, v2, v3
	v_add_u16_e32 v3, -10, v2
	v_min_u16_e32 v2, v2, v3
	v_mbcnt_lo_u32_b32 v1, -1, 0
	v_mbcnt_hi_u32_b32 v1, -1, v1
	v_mov_b32_dpp v3, v2 quad_perm:[2,3,0,1] row_mask:0xf bank_mask:0xf bound_ctrl:1
	v_mul_u32_u24_sdwa v4, v3, s5 dst_sel:DWORD dst_unused:UNUSED_PAD src0_sel:WORD_0 src1_sel:DWORD
	v_lshrrev_b32_e32 v4, 19, v4
	v_mul_lo_u16_e32 v4, 10, v4
	v_sub_u16_e32 v3, v3, v4
	v_add_u16_e32 v2, v2, v3
	v_add_u16_e32 v3, -10, v2
	v_min_u16_e32 v2, v2, v3
	v_mul_u32_u24_e32 v4, 0xcccd, v2
	v_lshrrev_b32_e32 v4, 19, v4
	v_mov_b32_dpp v3, v2 row_ror:4 row_mask:0xf bank_mask:0xf bound_ctrl:1
	v_mul_lo_u16_e32 v4, 10, v4
	v_sub_u16_e32 v2, v2, v4
	v_mul_u32_u24_sdwa v4, v3, s5 dst_sel:DWORD dst_unused:UNUSED_PAD src0_sel:WORD_0 src1_sel:DWORD
	v_lshrrev_b32_e32 v4, 19, v4
	v_mul_lo_u16_e32 v4, 10, v4
	v_sub_u16_e32 v3, v3, v4
	v_add_u16_e32 v2, v2, v3
	v_add_u16_e32 v3, -10, v2
	v_min_u16_e32 v2, v2, v3
	v_mul_u32_u24_e32 v4, 0xcccd, v2
	v_lshrrev_b32_e32 v4, 19, v4
	v_mov_b32_dpp v3, v2 row_ror:8 row_mask:0xf bank_mask:0xf bound_ctrl:1
	v_mul_lo_u16_e32 v4, 10, v4
	v_sub_u16_e32 v2, v2, v4
	v_mul_u32_u24_sdwa v4, v3, s5 dst_sel:DWORD dst_unused:UNUSED_PAD src0_sel:WORD_0 src1_sel:DWORD
	v_lshrrev_b32_e32 v4, 19, v4
	v_mul_lo_u16_e32 v4, 10, v4
	v_sub_u16_e32 v3, v3, v4
	v_add_u16_e32 v2, v2, v3
	v_add_u16_e32 v3, -10, v2
	v_min_u16_e32 v2, v2, v3
	v_mul_u32_u24_e32 v4, 0xcccd, v2
	v_lshrrev_b32_e32 v4, 19, v4
	v_mov_b32_dpp v3, v2 row_bcast:15 row_mask:0xf bank_mask:0xf bound_ctrl:1
	v_mul_lo_u16_e32 v4, 10, v4
	v_sub_u16_e32 v2, v2, v4
	v_mul_u32_u24_sdwa v4, v3, s5 dst_sel:DWORD dst_unused:UNUSED_PAD src0_sel:WORD_0 src1_sel:DWORD
	v_lshrrev_b32_e32 v4, 19, v4
	v_mul_lo_u16_e32 v4, 10, v4
	v_sub_u16_e32 v3, v3, v4
	v_add_u16_e32 v2, v2, v3
	v_add_u16_e32 v3, -10, v2
	v_min_u16_e32 v2, v2, v3
	v_mul_u32_u24_e32 v4, 0xcccd, v2
	v_lshrrev_b32_e32 v4, 19, v4
	v_mov_b32_dpp v3, v2 row_bcast:31 row_mask:0xf bank_mask:0xf bound_ctrl:1
	v_mul_lo_u16_e32 v4, 10, v4
	v_sub_u16_e32 v2, v2, v4
	v_mul_u32_u24_sdwa v4, v3, s5 dst_sel:DWORD dst_unused:UNUSED_PAD src0_sel:WORD_0 src1_sel:DWORD
	v_lshrrev_b32_e32 v4, 19, v4
	v_mul_lo_u16_e32 v4, 10, v4
	v_sub_u16_e32 v3, v3, v4
	v_add_u16_e32 v2, v2, v3
	v_add_u16_e32 v4, -10, v2
	v_lshlrev_b32_e32 v3, 2, v1
	v_or_b32_e32 v5, 0xfc, v3
	v_min_u16_e32 v2, v2, v4
	ds_bpermute_b32 v2, v5, v2
	v_cmp_eq_u32_e32 vcc, 0, v1
	s_and_saveexec_b64 s[6:7], vcc
	s_cbranch_execz .LBB648_7
; %bb.6:
	v_lshrrev_b32_e32 v4, 5, v0
	v_and_b32_e32 v4, 2, v4
	s_waitcnt lgkmcnt(0)
	ds_write_b16 v4, v2 offset:24
.LBB648_7:
	s_or_b64 exec, exec, s[6:7]
	v_cmp_gt_u32_e32 vcc, 64, v0
	s_waitcnt lgkmcnt(0)
	s_barrier
	s_and_saveexec_b64 s[6:7], vcc
	s_cbranch_execz .LBB648_9
; %bb.8:
	v_and_b32_e32 v1, 1, v1
	v_lshlrev_b32_e32 v1, 1, v1
	ds_read_u16 v1, v1 offset:24
	v_or_b32_e32 v2, 4, v3
	s_waitcnt lgkmcnt(0)
	v_and_b32_e32 v3, 0xffff, v1
	ds_bpermute_b32 v2, v2, v3
	v_mul_u32_u24_e32 v3, 0xcccd, v3
	v_lshrrev_b32_e32 v3, 19, v3
	v_mul_lo_u16_e32 v3, 10, v3
	v_sub_u16_e32 v1, v1, v3
	s_waitcnt lgkmcnt(0)
	v_mul_u32_u24_sdwa v4, v2, s5 dst_sel:DWORD dst_unused:UNUSED_PAD src0_sel:WORD_0 src1_sel:DWORD
	v_lshrrev_b32_e32 v4, 19, v4
	v_mul_lo_u16_e32 v4, 10, v4
	v_sub_u16_e32 v2, v2, v4
	v_add_u16_e32 v1, v2, v1
	v_add_u16_e32 v2, -10, v1
	v_min_u16_e32 v2, v1, v2
.LBB648_9:
	s_or_b64 exec, exec, s[6:7]
	s_mov_b64 s[6:7], 0
	s_branch .LBB648_23
.LBB648_10:
	s_mov_b64 s[66:67], 0
                                        ; implicit-def: $vgpr1
	s_cbranch_execz .LBB648_719
	s_branch .LBB648_562
.LBB648_11:
	s_mov_b64 s[66:67], 0
                                        ; implicit-def: $vgpr1
	s_cbranch_execnz .LBB648_455
	s_branch .LBB648_561
.LBB648_12:
	s_mov_b64 s[38:39], -1
.LBB648_13:
	s_mov_b64 s[66:67], 0
                                        ; implicit-def: $vgpr1
	s_and_b64 vcc, exec, s[38:39]
	s_cbranch_vccz .LBB648_398
.LBB648_14:
	s_cmp_eq_u32 s76, 32
	s_cbranch_scc0 .LBB648_21
; %bb.15:
	s_mov_b32 s3, 0
	s_lshl_b32 s4, s2, 12
	s_mov_b32 s5, s3
	s_lshr_b64 s[6:7], s[70:71], 12
	s_lshl_b64 s[8:9], s[4:5], 1
	s_add_u32 s72, s68, s8
	s_addc_u32 s73, s69, s9
	s_cmp_lg_u64 s[6:7], s[2:3]
	s_cbranch_scc0 .LBB648_236
; %bb.16:
	v_lshlrev_b32_e32 v2, 1, v0
	global_load_ushort v1, v2, s[72:73] offset:256
	global_load_ushort v6, v2, s[72:73]
	global_load_ushort v7, v2, s[72:73] offset:512
	global_load_ushort v8, v2, s[72:73] offset:768
	;; [unrolled: 1-line block ×14, first 2 shown]
	v_mov_b32_e32 v3, 0
	s_movk_i32 s6, 0x1000
	s_waitcnt lgkmcnt(0)
	v_lshl_add_u64 v[4:5], s[72:73], 0, v[2:3]
	v_add_co_u32_e32 v2, vcc, s6, v4
	s_mov_b32 s5, 0xcccd
	s_nop 0
	v_addc_co_u32_e32 v3, vcc, 0, v5, vcc
	global_load_ushort v4, v[2:3], off
	global_load_ushort v5, v[2:3], off offset:256
	global_load_ushort v21, v[2:3], off offset:512
	;; [unrolled: 1-line block ×14, first 2 shown]
	s_nop 0
	global_load_ushort v2, v[2:3], off offset:3840
	s_waitcnt vmcnt(31)
	v_mul_u32_u24_sdwa v3, v1, s5 dst_sel:DWORD dst_unused:UNUSED_PAD src0_sel:WORD_0 src1_sel:DWORD
	s_waitcnt vmcnt(30)
	v_mul_u32_u24_sdwa v34, v6, s5 dst_sel:DWORD dst_unused:UNUSED_PAD src0_sel:WORD_0 src1_sel:DWORD
	v_lshrrev_b32_e32 v3, 19, v3
	v_lshrrev_b32_e32 v34, 19, v34
	v_mul_lo_u16_e32 v3, 10, v3
	v_mul_lo_u16_e32 v34, 10, v34
	v_sub_u16_e32 v1, v1, v3
	v_sub_u16_e32 v3, v6, v34
	v_add_u16_e32 v1, v1, v3
	v_add_u16_e32 v3, -10, v1
	v_min_u16_e32 v1, v1, v3
	s_waitcnt vmcnt(29)
	v_mul_u32_u24_sdwa v35, v7, s5 dst_sel:DWORD dst_unused:UNUSED_PAD src0_sel:WORD_0 src1_sel:DWORD
	v_mul_u32_u24_e32 v3, 0xcccd, v1
	v_lshrrev_b32_e32 v35, 19, v35
	v_lshrrev_b32_e32 v3, 19, v3
	v_mul_lo_u16_e32 v35, 10, v35
	v_mul_lo_u16_e32 v3, 10, v3
	v_sub_u16_e32 v6, v7, v35
	v_sub_u16_e32 v1, v1, v3
	v_add_u16_e32 v1, v1, v6
	v_add_u16_e32 v3, -10, v1
	v_min_u16_e32 v1, v1, v3
	s_waitcnt vmcnt(28)
	v_mul_u32_u24_sdwa v36, v8, s5 dst_sel:DWORD dst_unused:UNUSED_PAD src0_sel:WORD_0 src1_sel:DWORD
	v_mul_u32_u24_e32 v3, 0xcccd, v1
	;; [unrolled: 12-line block ×14, first 2 shown]
	v_lshrrev_b32_e32 v3, 19, v3
	v_lshrrev_b32_e32 v6, 19, v6
	v_mul_lo_u16_e32 v3, 10, v3
	v_mul_lo_u16_e32 v6, 10, v6
	v_sub_u16_e32 v3, v20, v3
	v_sub_u16_e32 v1, v1, v6
	v_add_u16_e32 v1, v1, v3
	v_add_u16_e32 v3, -10, v1
	v_min_u16_e32 v1, v1, v3
	s_waitcnt vmcnt(15)
	v_mul_u32_u24_sdwa v3, v4, s5 dst_sel:DWORD dst_unused:UNUSED_PAD src0_sel:WORD_0 src1_sel:DWORD
	v_lshrrev_b32_e32 v3, 19, v3
	v_mul_lo_u16_e32 v3, 10, v3
	v_sub_u16_e32 v3, v4, v3
	v_mul_u32_u24_e32 v4, 0xcccd, v1
	v_lshrrev_b32_e32 v4, 19, v4
	v_mul_lo_u16_e32 v4, 10, v4
	v_sub_u16_e32 v1, v1, v4
	v_add_u16_e32 v1, v1, v3
	v_add_u16_e32 v3, -10, v1
	v_min_u16_e32 v1, v1, v3
	s_waitcnt vmcnt(14)
	v_mul_u32_u24_sdwa v3, v5, s5 dst_sel:DWORD dst_unused:UNUSED_PAD src0_sel:WORD_0 src1_sel:DWORD
	v_mul_u32_u24_e32 v4, 0xcccd, v1
	v_lshrrev_b32_e32 v3, 19, v3
	v_lshrrev_b32_e32 v4, 19, v4
	v_mul_lo_u16_e32 v3, 10, v3
	v_mul_lo_u16_e32 v4, 10, v4
	v_sub_u16_e32 v3, v5, v3
	v_sub_u16_e32 v1, v1, v4
	v_add_u16_e32 v1, v1, v3
	v_add_u16_e32 v3, -10, v1
	v_min_u16_e32 v1, v1, v3
	s_waitcnt vmcnt(13)
	v_mul_u32_u24_sdwa v3, v21, s5 dst_sel:DWORD dst_unused:UNUSED_PAD src0_sel:WORD_0 src1_sel:DWORD
	v_mul_u32_u24_e32 v4, 0xcccd, v1
	v_lshrrev_b32_e32 v3, 19, v3
	v_lshrrev_b32_e32 v4, 19, v4
	v_mul_lo_u16_e32 v3, 10, v3
	v_mul_lo_u16_e32 v4, 10, v4
	v_sub_u16_e32 v3, v21, v3
	;; [unrolled: 12-line block ×14, first 2 shown]
	v_sub_u16_e32 v1, v1, v4
	v_add_u16_e32 v1, v1, v3
	v_add_u16_e32 v3, -10, v1
	v_min_u16_e32 v1, v1, v3
	s_waitcnt vmcnt(0)
	v_mul_u32_u24_sdwa v3, v2, s5 dst_sel:DWORD dst_unused:UNUSED_PAD src0_sel:WORD_0 src1_sel:DWORD
	v_lshrrev_b32_e32 v3, 19, v3
	v_mul_lo_u16_e32 v3, 10, v3
	v_sub_u16_e32 v2, v2, v3
	v_mul_u32_u24_e32 v3, 0xcccd, v1
	v_lshrrev_b32_e32 v3, 19, v3
	v_mul_lo_u16_e32 v3, 10, v3
	v_sub_u16_e32 v1, v1, v3
	v_add_u16_e32 v1, v1, v2
	v_add_u16_e32 v2, -10, v1
	v_min_u16_e32 v2, v1, v2
	v_mul_u32_u24_e32 v4, 0xcccd, v2
	v_lshrrev_b32_e32 v4, 19, v4
	v_mov_b32_dpp v3, v2 quad_perm:[1,0,3,2] row_mask:0xf bank_mask:0xf bound_ctrl:1
	v_mul_lo_u16_e32 v4, 10, v4
	v_sub_u16_e32 v2, v2, v4
	v_mul_u32_u24_sdwa v4, v3, s5 dst_sel:DWORD dst_unused:UNUSED_PAD src0_sel:WORD_0 src1_sel:DWORD
	v_lshrrev_b32_e32 v4, 19, v4
	v_mul_lo_u16_e32 v4, 10, v4
	v_sub_u16_e32 v3, v3, v4
	v_add_u16_e32 v2, v2, v3
	v_add_u16_e32 v3, -10, v2
	v_min_u16_e32 v2, v2, v3
	v_mbcnt_lo_u32_b32 v1, -1, 0
	v_mbcnt_hi_u32_b32 v1, -1, v1
	v_mov_b32_dpp v3, v2 quad_perm:[2,3,0,1] row_mask:0xf bank_mask:0xf bound_ctrl:1
	v_mul_u32_u24_sdwa v4, v3, s5 dst_sel:DWORD dst_unused:UNUSED_PAD src0_sel:WORD_0 src1_sel:DWORD
	v_lshrrev_b32_e32 v4, 19, v4
	v_mul_lo_u16_e32 v4, 10, v4
	v_sub_u16_e32 v3, v3, v4
	v_add_u16_e32 v2, v2, v3
	v_add_u16_e32 v3, -10, v2
	v_min_u16_e32 v2, v2, v3
	v_mul_u32_u24_e32 v4, 0xcccd, v2
	v_lshrrev_b32_e32 v4, 19, v4
	v_mov_b32_dpp v3, v2 row_ror:4 row_mask:0xf bank_mask:0xf bound_ctrl:1
	v_mul_lo_u16_e32 v4, 10, v4
	v_sub_u16_e32 v2, v2, v4
	v_mul_u32_u24_sdwa v4, v3, s5 dst_sel:DWORD dst_unused:UNUSED_PAD src0_sel:WORD_0 src1_sel:DWORD
	v_lshrrev_b32_e32 v4, 19, v4
	v_mul_lo_u16_e32 v4, 10, v4
	v_sub_u16_e32 v3, v3, v4
	v_add_u16_e32 v2, v2, v3
	v_add_u16_e32 v3, -10, v2
	v_min_u16_e32 v2, v2, v3
	v_mul_u32_u24_e32 v4, 0xcccd, v2
	v_lshrrev_b32_e32 v4, 19, v4
	v_mov_b32_dpp v3, v2 row_ror:8 row_mask:0xf bank_mask:0xf bound_ctrl:1
	v_mul_lo_u16_e32 v4, 10, v4
	v_sub_u16_e32 v2, v2, v4
	v_mul_u32_u24_sdwa v4, v3, s5 dst_sel:DWORD dst_unused:UNUSED_PAD src0_sel:WORD_0 src1_sel:DWORD
	v_lshrrev_b32_e32 v4, 19, v4
	v_mul_lo_u16_e32 v4, 10, v4
	v_sub_u16_e32 v3, v3, v4
	v_add_u16_e32 v2, v2, v3
	v_add_u16_e32 v3, -10, v2
	v_min_u16_e32 v2, v2, v3
	v_mul_u32_u24_e32 v4, 0xcccd, v2
	v_lshrrev_b32_e32 v4, 19, v4
	v_mov_b32_dpp v3, v2 row_bcast:15 row_mask:0xf bank_mask:0xf bound_ctrl:1
	v_mul_lo_u16_e32 v4, 10, v4
	v_sub_u16_e32 v2, v2, v4
	v_mul_u32_u24_sdwa v4, v3, s5 dst_sel:DWORD dst_unused:UNUSED_PAD src0_sel:WORD_0 src1_sel:DWORD
	v_lshrrev_b32_e32 v4, 19, v4
	v_mul_lo_u16_e32 v4, 10, v4
	v_sub_u16_e32 v3, v3, v4
	v_add_u16_e32 v2, v2, v3
	v_add_u16_e32 v3, -10, v2
	v_min_u16_e32 v2, v2, v3
	v_mul_u32_u24_e32 v4, 0xcccd, v2
	v_lshrrev_b32_e32 v4, 19, v4
	v_mov_b32_dpp v3, v2 row_bcast:31 row_mask:0xf bank_mask:0xf bound_ctrl:1
	v_mul_lo_u16_e32 v4, 10, v4
	v_sub_u16_e32 v2, v2, v4
	v_mul_u32_u24_sdwa v4, v3, s5 dst_sel:DWORD dst_unused:UNUSED_PAD src0_sel:WORD_0 src1_sel:DWORD
	v_lshrrev_b32_e32 v4, 19, v4
	v_mul_lo_u16_e32 v4, 10, v4
	v_sub_u16_e32 v3, v3, v4
	v_add_u16_e32 v2, v2, v3
	v_add_u16_e32 v4, -10, v2
	v_lshlrev_b32_e32 v3, 2, v1
	v_or_b32_e32 v5, 0xfc, v3
	v_min_u16_e32 v2, v2, v4
	ds_bpermute_b32 v2, v5, v2
	v_cmp_eq_u32_e32 vcc, 0, v1
	s_and_saveexec_b64 s[6:7], vcc
	s_cbranch_execz .LBB648_18
; %bb.17:
	v_lshrrev_b32_e32 v4, 5, v0
	v_and_b32_e32 v4, 2, v4
	s_waitcnt lgkmcnt(0)
	ds_write_b16 v4, v2 offset:16
.LBB648_18:
	s_or_b64 exec, exec, s[6:7]
	v_cmp_gt_u32_e32 vcc, 64, v0
	s_waitcnt lgkmcnt(0)
	s_barrier
	s_and_saveexec_b64 s[6:7], vcc
	s_cbranch_execz .LBB648_20
; %bb.19:
	v_and_b32_e32 v1, 1, v1
	v_lshlrev_b32_e32 v1, 1, v1
	ds_read_u16 v1, v1 offset:16
	v_or_b32_e32 v2, 4, v3
	s_waitcnt lgkmcnt(0)
	v_and_b32_e32 v3, 0xffff, v1
	ds_bpermute_b32 v2, v2, v3
	v_mul_u32_u24_e32 v3, 0xcccd, v3
	v_lshrrev_b32_e32 v3, 19, v3
	v_mul_lo_u16_e32 v3, 10, v3
	v_sub_u16_e32 v1, v1, v3
	s_waitcnt lgkmcnt(0)
	v_mul_u32_u24_sdwa v4, v2, s5 dst_sel:DWORD dst_unused:UNUSED_PAD src0_sel:WORD_0 src1_sel:DWORD
	v_lshrrev_b32_e32 v4, 19, v4
	v_mul_lo_u16_e32 v4, 10, v4
	v_sub_u16_e32 v2, v2, v4
	v_add_u16_e32 v1, v2, v1
	v_add_u16_e32 v2, -10, v1
	v_min_u16_e32 v2, v1, v2
.LBB648_20:
	s_or_b64 exec, exec, s[6:7]
	s_mov_b64 s[6:7], 0
	s_branch .LBB648_237
.LBB648_21:
                                        ; implicit-def: $vgpr1
	s_branch .LBB648_561
.LBB648_22:
	s_mov_b64 s[6:7], -1
                                        ; implicit-def: $vgpr2
.LBB648_23:
	s_and_b64 vcc, exec, s[6:7]
	s_cbranch_vccz .LBB648_393
; %bb.24:
	s_sub_i32 s77, s70, s4
	s_mov_b32 s4, 0
	s_mov_b32 s5, s4
	;; [unrolled: 1-line block ×16, first 2 shown]
	v_mov_b64_e32 v[2:3], s[4:5]
	v_mov_b64_e32 v[16:17], s[18:19]
	;; [unrolled: 1-line block ×9, first 2 shown]
	v_cmp_gt_u32_e32 vcc, s77, v0
	v_mov_b64_e32 v[30:31], v[14:15]
	v_mov_b64_e32 v[28:29], v[12:13]
	;; [unrolled: 1-line block ×7, first 2 shown]
	s_and_saveexec_b64 s[4:5], vcc
	s_cbranch_execz .LBB648_26
; %bb.25:
	v_lshlrev_b32_e32 v1, 1, v0
	global_load_ushort v1, v1, s[40:41]
	v_mov_b32_e32 v3, 0
	v_mov_b32_e32 v4, v3
	;; [unrolled: 1-line block ×31, first 2 shown]
	s_waitcnt vmcnt(0)
	v_and_b32_e32 v2, 0xffff, v1
.LBB648_26:
	s_or_b64 exec, exec, s[4:5]
	v_or_b32_e32 v1, 0x80, v0
	v_cmp_gt_u32_e64 s[6:7], s77, v1
	s_mov_b64 s[4:5], exec
                                        ; implicit-def: $vgpr67 : SGPR spill to VGPR lane
	s_nop 0
	v_writelane_b32 v67, s6, 0
	s_nop 1
	v_writelane_b32 v67, s7, 1
	s_and_b64 s[6:7], s[4:5], s[6:7]
	s_mov_b64 exec, s[6:7]
	s_cbranch_execz .LBB648_28
; %bb.27:
	v_lshlrev_b32_e32 v1, 1, v0
	global_load_ushort v1, v1, s[40:41] offset:256
	s_mov_b32 s6, 0x5040100
	s_waitcnt vmcnt(0)
	v_perm_b32 v2, v1, v2, s6
.LBB648_28:
	s_or_b64 exec, exec, s[4:5]
	v_or_b32_e32 v1, 0x100, v0
	v_cmp_gt_u32_e64 s[6:7], s77, v1
	s_mov_b64 s[4:5], exec
	s_nop 0
	v_writelane_b32 v67, s6, 2
	s_nop 1
	v_writelane_b32 v67, s7, 3
	s_and_b64 s[6:7], s[4:5], s[6:7]
	s_mov_b64 exec, s[6:7]
	s_cbranch_execz .LBB648_30
; %bb.29:
	v_lshlrev_b32_e32 v1, 1, v0
	global_load_ushort v1, v1, s[40:41] offset:512
	s_mov_b32 s6, 0xffff
	s_waitcnt vmcnt(0)
	v_bfi_b32 v3, s6, v1, v3
.LBB648_30:
	s_or_b64 exec, exec, s[4:5]
	v_or_b32_e32 v1, 0x180, v0
	v_cmp_gt_u32_e64 s[6:7], s77, v1
	s_mov_b64 s[4:5], exec
	s_nop 0
	v_writelane_b32 v67, s6, 4
	s_nop 1
	v_writelane_b32 v67, s7, 5
	s_and_b64 s[6:7], s[4:5], s[6:7]
	s_mov_b64 exec, s[6:7]
	s_cbranch_execz .LBB648_32
; %bb.31:
	v_lshlrev_b32_e32 v1, 1, v0
	global_load_ushort v1, v1, s[40:41] offset:768
	s_mov_b32 s6, 0x5040100
	s_waitcnt vmcnt(0)
	v_perm_b32 v3, v1, v3, s6
.LBB648_32:
	s_or_b64 exec, exec, s[4:5]
	v_or_b32_e32 v1, 0x200, v0
	v_cmp_gt_u32_e64 s[6:7], s77, v1
	s_mov_b64 s[4:5], exec
	s_nop 0
	v_writelane_b32 v67, s6, 6
	s_nop 1
	v_writelane_b32 v67, s7, 7
	s_and_b64 s[6:7], s[4:5], s[6:7]
	s_mov_b64 exec, s[6:7]
	s_cbranch_execz .LBB648_34
; %bb.33:
	v_lshlrev_b32_e32 v1, 1, v0
	global_load_ushort v1, v1, s[40:41] offset:1024
	s_mov_b32 s6, 0xffff
	s_waitcnt vmcnt(0)
	v_bfi_b32 v4, s6, v1, v4
.LBB648_34:
	s_or_b64 exec, exec, s[4:5]
	v_or_b32_e32 v1, 0x280, v0
	v_cmp_gt_u32_e64 s[6:7], s77, v1
	s_mov_b64 s[4:5], exec
	s_nop 0
	v_writelane_b32 v67, s6, 8
	s_nop 1
	v_writelane_b32 v67, s7, 9
	s_and_b64 s[6:7], s[4:5], s[6:7]
	s_mov_b64 exec, s[6:7]
	s_cbranch_execz .LBB648_36
; %bb.35:
	v_lshlrev_b32_e32 v1, 1, v0
	global_load_ushort v1, v1, s[40:41] offset:1280
	s_mov_b32 s6, 0x5040100
	s_waitcnt vmcnt(0)
	v_perm_b32 v4, v1, v4, s6
.LBB648_36:
	s_or_b64 exec, exec, s[4:5]
	v_or_b32_e32 v1, 0x300, v0
	v_cmp_gt_u32_e64 s[6:7], s77, v1
	s_mov_b64 s[4:5], exec
	s_nop 0
	v_writelane_b32 v67, s6, 10
	s_nop 1
	v_writelane_b32 v67, s7, 11
	s_and_b64 s[6:7], s[4:5], s[6:7]
	s_mov_b64 exec, s[6:7]
	s_cbranch_execz .LBB648_38
; %bb.37:
	v_lshlrev_b32_e32 v1, 1, v0
	global_load_ushort v1, v1, s[40:41] offset:1536
	s_mov_b32 s6, 0xffff
	s_waitcnt vmcnt(0)
	v_bfi_b32 v5, s6, v1, v5
.LBB648_38:
	s_or_b64 exec, exec, s[4:5]
	v_or_b32_e32 v1, 0x380, v0
	v_cmp_gt_u32_e64 s[6:7], s77, v1
	s_mov_b64 s[4:5], exec
	s_nop 0
	v_writelane_b32 v67, s6, 12
	s_nop 1
	v_writelane_b32 v67, s7, 13
	s_and_b64 s[6:7], s[4:5], s[6:7]
	s_mov_b64 exec, s[6:7]
	s_cbranch_execz .LBB648_40
; %bb.39:
	v_lshlrev_b32_e32 v1, 1, v0
	global_load_ushort v1, v1, s[40:41] offset:1792
	s_mov_b32 s6, 0x5040100
	s_waitcnt vmcnt(0)
	v_perm_b32 v5, v1, v5, s6
.LBB648_40:
	s_or_b64 exec, exec, s[4:5]
	v_or_b32_e32 v1, 0x400, v0
	v_cmp_gt_u32_e64 s[6:7], s77, v1
	s_mov_b64 s[4:5], exec
	s_nop 0
	v_writelane_b32 v67, s6, 14
	s_nop 1
	v_writelane_b32 v67, s7, 15
	s_and_b64 s[6:7], s[4:5], s[6:7]
	s_mov_b64 exec, s[6:7]
	s_cbranch_execz .LBB648_42
; %bb.41:
	v_lshlrev_b32_e32 v1, 1, v0
	global_load_ushort v1, v1, s[40:41] offset:2048
	s_mov_b32 s6, 0xffff
	s_waitcnt vmcnt(0)
	v_bfi_b32 v6, s6, v1, v6
.LBB648_42:
	s_or_b64 exec, exec, s[4:5]
	v_or_b32_e32 v1, 0x480, v0
	v_cmp_gt_u32_e64 s[6:7], s77, v1
	s_mov_b64 s[4:5], exec
	s_nop 0
	v_writelane_b32 v67, s6, 16
	s_nop 1
	v_writelane_b32 v67, s7, 17
	s_and_b64 s[6:7], s[4:5], s[6:7]
	s_mov_b64 exec, s[6:7]
	s_cbranch_execz .LBB648_44
; %bb.43:
	v_lshlrev_b32_e32 v1, 1, v0
	global_load_ushort v1, v1, s[40:41] offset:2304
	s_mov_b32 s6, 0x5040100
	s_waitcnt vmcnt(0)
	v_perm_b32 v6, v1, v6, s6
.LBB648_44:
	s_or_b64 exec, exec, s[4:5]
	v_or_b32_e32 v1, 0x500, v0
	v_cmp_gt_u32_e64 s[6:7], s77, v1
	s_mov_b64 s[4:5], exec
	s_nop 0
	v_writelane_b32 v67, s6, 18
	s_nop 1
	v_writelane_b32 v67, s7, 19
	s_and_b64 s[6:7], s[4:5], s[6:7]
	s_mov_b64 exec, s[6:7]
	s_cbranch_execz .LBB648_46
; %bb.45:
	v_lshlrev_b32_e32 v1, 1, v0
	global_load_ushort v1, v1, s[40:41] offset:2560
	s_mov_b32 s6, 0xffff
	s_waitcnt vmcnt(0)
	v_bfi_b32 v7, s6, v1, v7
.LBB648_46:
	s_or_b64 exec, exec, s[4:5]
	v_or_b32_e32 v1, 0x580, v0
	v_cmp_gt_u32_e64 s[6:7], s77, v1
	s_mov_b64 s[4:5], exec
	s_nop 0
	v_writelane_b32 v67, s6, 20
	s_nop 1
	v_writelane_b32 v67, s7, 21
	s_and_b64 s[6:7], s[4:5], s[6:7]
	s_mov_b64 exec, s[6:7]
	s_cbranch_execz .LBB648_48
; %bb.47:
	v_lshlrev_b32_e32 v1, 1, v0
	global_load_ushort v1, v1, s[40:41] offset:2816
	s_mov_b32 s6, 0x5040100
	s_waitcnt vmcnt(0)
	v_perm_b32 v7, v1, v7, s6
.LBB648_48:
	s_or_b64 exec, exec, s[4:5]
	v_or_b32_e32 v1, 0x600, v0
	v_cmp_gt_u32_e64 s[6:7], s77, v1
	s_mov_b64 s[4:5], exec
	s_nop 0
	v_writelane_b32 v67, s6, 22
	s_nop 1
	v_writelane_b32 v67, s7, 23
	s_and_b64 s[6:7], s[4:5], s[6:7]
	s_mov_b64 exec, s[6:7]
	s_cbranch_execz .LBB648_50
; %bb.49:
	v_lshlrev_b32_e32 v1, 1, v0
	global_load_ushort v1, v1, s[40:41] offset:3072
	s_mov_b32 s6, 0xffff
	s_waitcnt vmcnt(0)
	v_bfi_b32 v8, s6, v1, v8
.LBB648_50:
	s_or_b64 exec, exec, s[4:5]
	v_or_b32_e32 v1, 0x680, v0
	v_cmp_gt_u32_e64 s[6:7], s77, v1
	s_mov_b64 s[4:5], exec
	s_nop 0
	v_writelane_b32 v67, s6, 24
	s_nop 1
	v_writelane_b32 v67, s7, 25
	s_and_b64 s[6:7], s[4:5], s[6:7]
	s_mov_b64 exec, s[6:7]
	s_cbranch_execz .LBB648_52
; %bb.51:
	v_lshlrev_b32_e32 v1, 1, v0
	global_load_ushort v1, v1, s[40:41] offset:3328
	s_mov_b32 s6, 0x5040100
	s_waitcnt vmcnt(0)
	v_perm_b32 v8, v1, v8, s6
.LBB648_52:
	s_or_b64 exec, exec, s[4:5]
	v_or_b32_e32 v1, 0x700, v0
	v_cmp_gt_u32_e64 s[6:7], s77, v1
	s_mov_b64 s[4:5], exec
	s_nop 0
	v_writelane_b32 v67, s6, 26
	s_nop 1
	v_writelane_b32 v67, s7, 27
	s_and_b64 s[6:7], s[4:5], s[6:7]
	s_mov_b64 exec, s[6:7]
	s_cbranch_execz .LBB648_54
; %bb.53:
	v_lshlrev_b32_e32 v1, 1, v0
	global_load_ushort v1, v1, s[40:41] offset:3584
	s_mov_b32 s6, 0xffff
	s_waitcnt vmcnt(0)
	v_bfi_b32 v9, s6, v1, v9
.LBB648_54:
	s_or_b64 exec, exec, s[4:5]
	v_or_b32_e32 v1, 0x780, v0
	v_cmp_gt_u32_e64 s[6:7], s77, v1
	s_mov_b64 s[4:5], exec
	s_nop 0
	v_writelane_b32 v67, s6, 28
	s_nop 1
	v_writelane_b32 v67, s7, 29
	s_and_b64 s[6:7], s[4:5], s[6:7]
	s_mov_b64 exec, s[6:7]
	s_cbranch_execz .LBB648_56
; %bb.55:
	v_lshlrev_b32_e32 v1, 1, v0
	global_load_ushort v1, v1, s[40:41] offset:3840
	s_mov_b32 s6, 0x5040100
	s_waitcnt vmcnt(0)
	v_perm_b32 v9, v1, v9, s6
.LBB648_56:
	s_or_b64 exec, exec, s[4:5]
	v_or_b32_e32 v1, 0x800, v0
	v_cmp_gt_u32_e64 s[6:7], s77, v1
	s_mov_b64 s[4:5], exec
	s_nop 0
	v_writelane_b32 v67, s6, 30
	s_nop 1
	v_writelane_b32 v67, s7, 31
	s_and_b64 s[6:7], s[4:5], s[6:7]
	s_mov_b64 exec, s[6:7]
	s_cbranch_execz .LBB648_58
; %bb.57:
	v_lshlrev_b32_e32 v1, 1, v1
	global_load_ushort v1, v1, s[40:41]
	s_mov_b32 s6, 0xffff
	s_waitcnt vmcnt(0)
	v_bfi_b32 v10, s6, v1, v10
.LBB648_58:
	s_or_b64 exec, exec, s[4:5]
	v_or_b32_e32 v1, 0x880, v0
	v_cmp_gt_u32_e64 s[6:7], s77, v1
	s_mov_b64 s[4:5], exec
	s_nop 0
	v_writelane_b32 v67, s6, 32
	s_nop 1
	v_writelane_b32 v67, s7, 33
	s_and_b64 s[6:7], s[4:5], s[6:7]
	s_mov_b64 exec, s[6:7]
	s_cbranch_execz .LBB648_60
; %bb.59:
	v_lshlrev_b32_e32 v1, 1, v1
	global_load_ushort v1, v1, s[40:41]
	s_mov_b32 s6, 0x5040100
	s_waitcnt vmcnt(0)
	v_perm_b32 v10, v1, v10, s6
.LBB648_60:
	s_or_b64 exec, exec, s[4:5]
	v_or_b32_e32 v1, 0x900, v0
	v_cmp_gt_u32_e64 s[6:7], s77, v1
	s_mov_b64 s[4:5], exec
	s_nop 0
	v_writelane_b32 v67, s6, 34
	s_nop 1
	v_writelane_b32 v67, s7, 35
	s_and_b64 s[6:7], s[4:5], s[6:7]
	s_mov_b64 exec, s[6:7]
	s_cbranch_execz .LBB648_62
; %bb.61:
	v_lshlrev_b32_e32 v1, 1, v1
	global_load_ushort v1, v1, s[40:41]
	s_mov_b32 s6, 0xffff
	s_waitcnt vmcnt(0)
	v_bfi_b32 v11, s6, v1, v11
.LBB648_62:
	s_or_b64 exec, exec, s[4:5]
	v_or_b32_e32 v1, 0x980, v0
	v_cmp_gt_u32_e64 s[6:7], s77, v1
	s_mov_b64 s[4:5], exec
	s_nop 0
	v_writelane_b32 v67, s6, 36
	s_nop 1
	v_writelane_b32 v67, s7, 37
	s_and_b64 s[6:7], s[4:5], s[6:7]
	s_mov_b64 exec, s[6:7]
	s_cbranch_execz .LBB648_64
; %bb.63:
	v_lshlrev_b32_e32 v1, 1, v1
	global_load_ushort v1, v1, s[40:41]
	s_mov_b32 s6, 0x5040100
	s_waitcnt vmcnt(0)
	v_perm_b32 v11, v1, v11, s6
.LBB648_64:
	;; [unrolled: 36-line block ×3, first 2 shown]
	s_or_b64 exec, exec, s[4:5]
	v_or_b32_e32 v1, 0xb00, v0
	v_cmp_gt_u32_e64 s[6:7], s77, v1
	s_mov_b64 s[4:5], exec
	s_nop 0
	v_writelane_b32 v67, s6, 42
	s_nop 1
	v_writelane_b32 v67, s7, 43
	s_and_b64 s[6:7], s[4:5], s[6:7]
	s_mov_b64 exec, s[6:7]
	s_cbranch_execz .LBB648_70
; %bb.69:
	v_lshlrev_b32_e32 v1, 1, v1
	global_load_ushort v1, v1, s[40:41]
	s_mov_b32 s6, 0xffff
	s_waitcnt vmcnt(0)
	v_bfi_b32 v13, s6, v1, v13
.LBB648_70:
	s_or_b64 exec, exec, s[4:5]
	v_or_b32_e32 v1, 0xb80, v0
	v_cmp_gt_u32_e64 s[48:49], s77, v1
	s_and_saveexec_b64 s[4:5], s[48:49]
	s_cbranch_execz .LBB648_72
; %bb.71:
	v_lshlrev_b32_e32 v1, 1, v1
	global_load_ushort v1, v1, s[40:41]
	s_mov_b32 s6, 0x5040100
	s_waitcnt vmcnt(0)
	v_perm_b32 v13, v1, v13, s6
.LBB648_72:
	s_or_b64 exec, exec, s[4:5]
	v_or_b32_e32 v1, 0xc00, v0
	v_cmp_gt_u32_e64 s[50:51], s77, v1
	s_and_saveexec_b64 s[4:5], s[50:51]
	s_cbranch_execz .LBB648_74
; %bb.73:
	v_lshlrev_b32_e32 v1, 1, v1
	global_load_ushort v1, v1, s[40:41]
	s_mov_b32 s6, 0xffff
	s_waitcnt vmcnt(0)
	v_bfi_b32 v14, s6, v1, v14
.LBB648_74:
	s_or_b64 exec, exec, s[4:5]
	v_or_b32_e32 v1, 0xc80, v0
	v_cmp_gt_u32_e64 s[52:53], s77, v1
	s_and_saveexec_b64 s[4:5], s[52:53]
	s_cbranch_execz .LBB648_76
; %bb.75:
	v_lshlrev_b32_e32 v1, 1, v1
	global_load_ushort v1, v1, s[40:41]
	s_mov_b32 s6, 0x5040100
	s_waitcnt vmcnt(0)
	v_perm_b32 v14, v1, v14, s6
.LBB648_76:
	s_or_b64 exec, exec, s[4:5]
	v_or_b32_e32 v1, 0xd00, v0
	v_cmp_gt_u32_e64 s[54:55], s77, v1
	s_and_saveexec_b64 s[4:5], s[54:55]
	;; [unrolled: 24-line block ×19, first 2 shown]
	s_cbranch_execz .LBB648_146
; %bb.145:
	v_lshlrev_b32_e32 v1, 1, v1
	global_load_ushort v1, v1, s[40:41]
	s_mov_b32 s30, 0xffff
	s_waitcnt vmcnt(0)
	v_bfi_b32 v32, s30, v1, v32
.LBB648_146:
	s_or_b64 exec, exec, s[28:29]
	v_or_b32_e32 v1, 0x1e80, v0
	v_cmp_gt_u32_e64 s[28:29], s77, v1
	s_and_saveexec_b64 s[30:31], s[28:29]
	s_cbranch_execz .LBB648_148
; %bb.147:
	v_lshlrev_b32_e32 v1, 1, v1
	global_load_ushort v1, v1, s[40:41]
	s_mov_b32 s42, 0x5040100
	s_waitcnt vmcnt(0)
	v_perm_b32 v32, v1, v32, s42
.LBB648_148:
	s_or_b64 exec, exec, s[30:31]
	v_or_b32_e32 v1, 0x1f00, v0
	v_cmp_gt_u32_e64 s[30:31], s77, v1
	s_and_saveexec_b64 vcc, s[30:31]
	s_cbranch_execz .LBB648_150
; %bb.149:
	v_lshlrev_b32_e32 v1, 1, v1
	global_load_ushort v1, v1, s[40:41]
	s_mov_b32 s42, 0xffff
	s_waitcnt vmcnt(0)
	v_bfi_b32 v33, s42, v1, v33
.LBB648_150:
	s_or_b64 exec, exec, vcc
	v_or_b32_e32 v1, 0x1f80, v0
	v_cmp_gt_u32_e32 vcc, s77, v1
	s_and_saveexec_b64 s[42:43], vcc
	s_cbranch_execz .LBB648_152
; %bb.151:
	v_lshlrev_b32_e32 v1, 1, v1
	global_load_ushort v1, v1, s[40:41]
	s_mov_b32 s40, 0x5040100
	s_waitcnt vmcnt(0)
	v_perm_b32 v33, v1, v33, s40
.LBB648_152:
	s_or_b64 exec, exec, s[42:43]
	s_mov_b64 s[40:41], exec
	v_readlane_b32 s42, v67, 0
	v_readlane_b32 s43, v67, 1
	s_and_b64 s[42:43], s[40:41], s[42:43]
	s_mov_b64 exec, s[42:43]
	s_cbranch_execz .LBB648_154
; %bb.153:
	s_mov_b32 s42, 0xcccd
	v_mul_u32_u24_sdwa v1, v2, s42 dst_sel:DWORD dst_unused:UNUSED_PAD src0_sel:WORD_1 src1_sel:DWORD
	v_mul_u32_u24_sdwa v34, v2, s42 dst_sel:DWORD dst_unused:UNUSED_PAD src0_sel:WORD_0 src1_sel:DWORD
	v_lshrrev_b32_e32 v1, 19, v1
	v_lshrrev_b32_e32 v34, 19, v34
	v_mul_lo_u16_e32 v1, 10, v1
	v_mul_lo_u16_e32 v34, 10, v34
	v_sub_u16_sdwa v1, v2, v1 dst_sel:DWORD dst_unused:UNUSED_PAD src0_sel:WORD_1 src1_sel:DWORD
	v_sub_u16_e32 v2, v2, v34
	v_add_u16_e32 v1, v1, v2
	v_add_u16_e32 v2, -10, v1
	v_min_u16_e32 v2, v1, v2
.LBB648_154:
	s_or_b64 exec, exec, s[40:41]
	s_mov_b64 s[40:41], exec
	v_readlane_b32 s42, v67, 2
	v_readlane_b32 s43, v67, 3
	s_and_b64 s[42:43], s[40:41], s[42:43]
	s_mov_b64 exec, s[42:43]
	s_cbranch_execz .LBB648_156
; %bb.155:
	s_mov_b32 s42, 0xcccd
	v_mul_u32_u24_sdwa v1, v3, s42 dst_sel:DWORD dst_unused:UNUSED_PAD src0_sel:WORD_0 src1_sel:DWORD
	v_mul_u32_u24_sdwa v34, v2, s42 dst_sel:DWORD dst_unused:UNUSED_PAD src0_sel:WORD_0 src1_sel:DWORD
	v_lshrrev_b32_e32 v1, 19, v1
	v_lshrrev_b32_e32 v34, 19, v34
	v_mul_lo_u16_e32 v1, 10, v1
	v_mul_lo_u16_e32 v34, 10, v34
	v_sub_u16_e32 v1, v3, v1
	v_sub_u16_e32 v2, v2, v34
	v_add_u16_e32 v1, v2, v1
	v_add_u16_e32 v2, -10, v1
	v_min_u16_e32 v2, v1, v2
.LBB648_156:
	s_or_b64 exec, exec, s[40:41]
	s_mov_b64 s[40:41], exec
	v_readlane_b32 s42, v67, 4
	v_readlane_b32 s43, v67, 5
	s_and_b64 s[42:43], s[40:41], s[42:43]
	s_mov_b64 exec, s[42:43]
	s_cbranch_execz .LBB648_158
; %bb.157:
	s_mov_b32 s42, 0xcccd
	v_mul_u32_u24_sdwa v1, v3, s42 dst_sel:DWORD dst_unused:UNUSED_PAD src0_sel:WORD_1 src1_sel:DWORD
	v_lshrrev_b32_e32 v1, 19, v1
	v_mul_lo_u16_e32 v1, 10, v1
	v_sub_u16_sdwa v1, v3, v1 dst_sel:DWORD dst_unused:UNUSED_PAD src0_sel:WORD_1 src1_sel:DWORD
	v_mul_u32_u24_sdwa v3, v2, s42 dst_sel:DWORD dst_unused:UNUSED_PAD src0_sel:WORD_0 src1_sel:DWORD
	v_lshrrev_b32_e32 v3, 19, v3
	v_mul_lo_u16_e32 v3, 10, v3
	v_sub_u16_e32 v2, v2, v3
	v_add_u16_e32 v1, v2, v1
	v_add_u16_e32 v2, -10, v1
	v_min_u16_e32 v2, v1, v2
.LBB648_158:
	s_or_b64 exec, exec, s[40:41]
	s_mov_b64 s[40:41], exec
	v_readlane_b32 s42, v67, 6
	v_readlane_b32 s43, v67, 7
	s_and_b64 s[42:43], s[40:41], s[42:43]
	s_mov_b64 exec, s[42:43]
	s_cbranch_execz .LBB648_160
; %bb.159:
	s_mov_b32 s42, 0xcccd
	v_mul_u32_u24_sdwa v1, v4, s42 dst_sel:DWORD dst_unused:UNUSED_PAD src0_sel:WORD_0 src1_sel:DWORD
	v_mul_u32_u24_sdwa v3, v2, s42 dst_sel:DWORD dst_unused:UNUSED_PAD src0_sel:WORD_0 src1_sel:DWORD
	v_lshrrev_b32_e32 v1, 19, v1
	v_lshrrev_b32_e32 v3, 19, v3
	v_mul_lo_u16_e32 v1, 10, v1
	v_mul_lo_u16_e32 v3, 10, v3
	v_sub_u16_e32 v1, v4, v1
	v_sub_u16_e32 v2, v2, v3
	v_add_u16_e32 v1, v2, v1
	v_add_u16_e32 v2, -10, v1
	v_min_u16_e32 v2, v1, v2
.LBB648_160:
	s_or_b64 exec, exec, s[40:41]
	s_mov_b64 s[40:41], exec
	v_readlane_b32 s42, v67, 8
	v_readlane_b32 s43, v67, 9
	s_and_b64 s[42:43], s[40:41], s[42:43]
	s_mov_b64 exec, s[42:43]
	s_cbranch_execz .LBB648_162
; %bb.161:
	s_mov_b32 s42, 0xcccd
	v_mul_u32_u24_sdwa v1, v4, s42 dst_sel:DWORD dst_unused:UNUSED_PAD src0_sel:WORD_1 src1_sel:DWORD
	v_mul_u32_u24_sdwa v3, v2, s42 dst_sel:DWORD dst_unused:UNUSED_PAD src0_sel:WORD_0 src1_sel:DWORD
	v_lshrrev_b32_e32 v1, 19, v1
	v_lshrrev_b32_e32 v3, 19, v3
	v_mul_lo_u16_e32 v1, 10, v1
	v_mul_lo_u16_e32 v3, 10, v3
	v_sub_u16_sdwa v1, v4, v1 dst_sel:DWORD dst_unused:UNUSED_PAD src0_sel:WORD_1 src1_sel:DWORD
	v_sub_u16_e32 v2, v2, v3
	v_add_u16_e32 v1, v2, v1
	v_add_u16_e32 v2, -10, v1
	v_min_u16_e32 v2, v1, v2
.LBB648_162:
	s_or_b64 exec, exec, s[40:41]
	s_mov_b64 s[40:41], exec
	v_readlane_b32 s42, v67, 10
	v_readlane_b32 s43, v67, 11
	s_and_b64 s[42:43], s[40:41], s[42:43]
	s_mov_b64 exec, s[42:43]
	s_cbranch_execz .LBB648_164
; %bb.163:
	s_mov_b32 s42, 0xcccd
	v_mul_u32_u24_sdwa v1, v5, s42 dst_sel:DWORD dst_unused:UNUSED_PAD src0_sel:WORD_0 src1_sel:DWORD
	v_mul_u32_u24_sdwa v3, v2, s42 dst_sel:DWORD dst_unused:UNUSED_PAD src0_sel:WORD_0 src1_sel:DWORD
	v_lshrrev_b32_e32 v1, 19, v1
	v_lshrrev_b32_e32 v3, 19, v3
	v_mul_lo_u16_e32 v1, 10, v1
	v_mul_lo_u16_e32 v3, 10, v3
	v_sub_u16_e32 v1, v5, v1
	v_sub_u16_e32 v2, v2, v3
	v_add_u16_e32 v1, v2, v1
	v_add_u16_e32 v2, -10, v1
	v_min_u16_e32 v2, v1, v2
.LBB648_164:
	s_or_b64 exec, exec, s[40:41]
	s_mov_b64 s[40:41], exec
	v_readlane_b32 s42, v67, 12
	v_readlane_b32 s43, v67, 13
	s_and_b64 s[42:43], s[40:41], s[42:43]
	s_mov_b64 exec, s[42:43]
	s_cbranch_execz .LBB648_166
; %bb.165:
	s_mov_b32 s42, 0xcccd
	v_mul_u32_u24_sdwa v1, v5, s42 dst_sel:DWORD dst_unused:UNUSED_PAD src0_sel:WORD_1 src1_sel:DWORD
	v_mul_u32_u24_sdwa v3, v2, s42 dst_sel:DWORD dst_unused:UNUSED_PAD src0_sel:WORD_0 src1_sel:DWORD
	v_lshrrev_b32_e32 v1, 19, v1
	v_lshrrev_b32_e32 v3, 19, v3
	v_mul_lo_u16_e32 v1, 10, v1
	v_mul_lo_u16_e32 v3, 10, v3
	v_sub_u16_sdwa v1, v5, v1 dst_sel:DWORD dst_unused:UNUSED_PAD src0_sel:WORD_1 src1_sel:DWORD
	v_sub_u16_e32 v2, v2, v3
	v_add_u16_e32 v1, v2, v1
	v_add_u16_e32 v2, -10, v1
	v_min_u16_e32 v2, v1, v2
.LBB648_166:
	;; [unrolled: 42-line block ×9, first 2 shown]
	s_or_b64 exec, exec, s[40:41]
	s_mov_b64 s[40:41], exec
	v_readlane_b32 s42, v67, 42
	v_readlane_b32 s43, v67, 43
	s_and_b64 s[42:43], s[40:41], s[42:43]
	s_mov_b64 exec, s[42:43]
	s_cbranch_execz .LBB648_332
; %bb.195:
	s_mov_b32 s42, 0xcccd
	v_mul_u32_u24_sdwa v1, v13, s42 dst_sel:DWORD dst_unused:UNUSED_PAD src0_sel:WORD_0 src1_sel:DWORD
	v_mul_u32_u24_sdwa v3, v2, s42 dst_sel:DWORD dst_unused:UNUSED_PAD src0_sel:WORD_0 src1_sel:DWORD
	v_lshrrev_b32_e32 v1, 19, v1
	v_lshrrev_b32_e32 v3, 19, v3
	v_mul_lo_u16_e32 v1, 10, v1
	v_mul_lo_u16_e32 v3, 10, v3
	v_sub_u16_e32 v1, v13, v1
	v_sub_u16_e32 v2, v2, v3
	v_add_u16_e32 v1, v2, v1
	v_add_u16_e32 v2, -10, v1
	v_min_u16_e32 v2, v1, v2
	s_or_b64 exec, exec, s[40:41]
	s_and_saveexec_b64 s[40:41], s[48:49]
	s_cbranch_execnz .LBB648_333
.LBB648_196:
	s_or_b64 exec, exec, s[40:41]
	s_and_saveexec_b64 s[40:41], s[50:51]
	s_cbranch_execz .LBB648_334
.LBB648_197:
	s_mov_b32 s42, 0xcccd
	v_mul_u32_u24_sdwa v1, v14, s42 dst_sel:DWORD dst_unused:UNUSED_PAD src0_sel:WORD_0 src1_sel:DWORD
	v_mul_u32_u24_sdwa v3, v2, s42 dst_sel:DWORD dst_unused:UNUSED_PAD src0_sel:WORD_0 src1_sel:DWORD
	v_lshrrev_b32_e32 v1, 19, v1
	v_lshrrev_b32_e32 v3, 19, v3
	v_mul_lo_u16_e32 v1, 10, v1
	v_mul_lo_u16_e32 v3, 10, v3
	v_sub_u16_e32 v1, v14, v1
	v_sub_u16_e32 v2, v2, v3
	v_add_u16_e32 v1, v2, v1
	v_add_u16_e32 v2, -10, v1
	v_min_u16_e32 v2, v1, v2
	s_or_b64 exec, exec, s[40:41]
	s_and_saveexec_b64 s[40:41], s[52:53]
	s_cbranch_execnz .LBB648_335
.LBB648_198:
	s_or_b64 exec, exec, s[40:41]
	s_and_saveexec_b64 s[40:41], s[54:55]
	s_cbranch_execz .LBB648_336
.LBB648_199:
	s_mov_b32 s42, 0xcccd
	v_mul_u32_u24_sdwa v1, v15, s42 dst_sel:DWORD dst_unused:UNUSED_PAD src0_sel:WORD_0 src1_sel:DWORD
	v_mul_u32_u24_sdwa v3, v2, s42 dst_sel:DWORD dst_unused:UNUSED_PAD src0_sel:WORD_0 src1_sel:DWORD
	v_lshrrev_b32_e32 v1, 19, v1
	v_lshrrev_b32_e32 v3, 19, v3
	v_mul_lo_u16_e32 v1, 10, v1
	v_mul_lo_u16_e32 v3, 10, v3
	v_sub_u16_e32 v1, v15, v1
	v_sub_u16_e32 v2, v2, v3
	v_add_u16_e32 v1, v2, v1
	v_add_u16_e32 v2, -10, v1
	v_min_u16_e32 v2, v1, v2
	s_or_b64 exec, exec, s[40:41]
	s_and_saveexec_b64 s[40:41], s[56:57]
	s_cbranch_execnz .LBB648_337
.LBB648_200:
	s_or_b64 exec, exec, s[40:41]
	s_and_saveexec_b64 s[40:41], s[58:59]
	s_cbranch_execz .LBB648_338
.LBB648_201:
	s_mov_b32 s42, 0xcccd
	v_mul_u32_u24_sdwa v1, v16, s42 dst_sel:DWORD dst_unused:UNUSED_PAD src0_sel:WORD_0 src1_sel:DWORD
	v_mul_u32_u24_sdwa v3, v2, s42 dst_sel:DWORD dst_unused:UNUSED_PAD src0_sel:WORD_0 src1_sel:DWORD
	v_lshrrev_b32_e32 v1, 19, v1
	v_lshrrev_b32_e32 v3, 19, v3
	v_mul_lo_u16_e32 v1, 10, v1
	v_mul_lo_u16_e32 v3, 10, v3
	v_sub_u16_e32 v1, v16, v1
	v_sub_u16_e32 v2, v2, v3
	v_add_u16_e32 v1, v2, v1
	v_add_u16_e32 v2, -10, v1
	v_min_u16_e32 v2, v1, v2
	s_or_b64 exec, exec, s[40:41]
	s_and_saveexec_b64 s[40:41], s[60:61]
	s_cbranch_execnz .LBB648_339
.LBB648_202:
	s_or_b64 exec, exec, s[40:41]
	s_and_saveexec_b64 s[40:41], s[62:63]
	s_cbranch_execz .LBB648_340
.LBB648_203:
	s_mov_b32 s42, 0xcccd
	v_mul_u32_u24_sdwa v1, v17, s42 dst_sel:DWORD dst_unused:UNUSED_PAD src0_sel:WORD_0 src1_sel:DWORD
	v_mul_u32_u24_sdwa v3, v2, s42 dst_sel:DWORD dst_unused:UNUSED_PAD src0_sel:WORD_0 src1_sel:DWORD
	v_lshrrev_b32_e32 v1, 19, v1
	v_lshrrev_b32_e32 v3, 19, v3
	v_mul_lo_u16_e32 v1, 10, v1
	v_mul_lo_u16_e32 v3, 10, v3
	v_sub_u16_e32 v1, v17, v1
	v_sub_u16_e32 v2, v2, v3
	v_add_u16_e32 v1, v2, v1
	v_add_u16_e32 v2, -10, v1
	v_min_u16_e32 v2, v1, v2
	s_or_b64 exec, exec, s[40:41]
	s_and_saveexec_b64 s[40:41], s[64:65]
	s_cbranch_execnz .LBB648_341
.LBB648_204:
	s_or_b64 exec, exec, s[40:41]
	s_and_saveexec_b64 s[40:41], s[66:67]
	s_cbranch_execz .LBB648_342
.LBB648_205:
	s_mov_b32 s42, 0xcccd
	v_mul_u32_u24_sdwa v1, v18, s42 dst_sel:DWORD dst_unused:UNUSED_PAD src0_sel:WORD_0 src1_sel:DWORD
	v_mul_u32_u24_sdwa v3, v2, s42 dst_sel:DWORD dst_unused:UNUSED_PAD src0_sel:WORD_0 src1_sel:DWORD
	v_lshrrev_b32_e32 v1, 19, v1
	v_lshrrev_b32_e32 v3, 19, v3
	v_mul_lo_u16_e32 v1, 10, v1
	v_mul_lo_u16_e32 v3, 10, v3
	v_sub_u16_e32 v1, v18, v1
	v_sub_u16_e32 v2, v2, v3
	v_add_u16_e32 v1, v2, v1
	v_add_u16_e32 v2, -10, v1
	v_min_u16_e32 v2, v1, v2
	s_or_b64 exec, exec, s[40:41]
	s_and_saveexec_b64 s[40:41], s[34:35]
	s_cbranch_execnz .LBB648_343
.LBB648_206:
	s_or_b64 exec, exec, s[40:41]
	s_and_saveexec_b64 s[34:35], s[36:37]
	s_cbranch_execz .LBB648_344
.LBB648_207:
	s_mov_b32 s36, 0xcccd
	v_mul_u32_u24_sdwa v1, v19, s36 dst_sel:DWORD dst_unused:UNUSED_PAD src0_sel:WORD_0 src1_sel:DWORD
	v_mul_u32_u24_sdwa v3, v2, s36 dst_sel:DWORD dst_unused:UNUSED_PAD src0_sel:WORD_0 src1_sel:DWORD
	v_lshrrev_b32_e32 v1, 19, v1
	v_lshrrev_b32_e32 v3, 19, v3
	v_mul_lo_u16_e32 v1, 10, v1
	v_mul_lo_u16_e32 v3, 10, v3
	v_sub_u16_e32 v1, v19, v1
	v_sub_u16_e32 v2, v2, v3
	v_add_u16_e32 v1, v2, v1
	v_add_u16_e32 v2, -10, v1
	v_min_u16_e32 v2, v1, v2
	s_or_b64 exec, exec, s[34:35]
	s_and_saveexec_b64 s[34:35], s[72:73]
	s_cbranch_execnz .LBB648_345
.LBB648_208:
	s_or_b64 exec, exec, s[34:35]
	s_and_saveexec_b64 s[34:35], s[74:75]
	s_cbranch_execz .LBB648_346
.LBB648_209:
	s_mov_b32 s36, 0xcccd
	v_mul_u32_u24_sdwa v1, v20, s36 dst_sel:DWORD dst_unused:UNUSED_PAD src0_sel:WORD_0 src1_sel:DWORD
	v_mul_u32_u24_sdwa v3, v2, s36 dst_sel:DWORD dst_unused:UNUSED_PAD src0_sel:WORD_0 src1_sel:DWORD
	v_lshrrev_b32_e32 v1, 19, v1
	v_lshrrev_b32_e32 v3, 19, v3
	v_mul_lo_u16_e32 v1, 10, v1
	v_mul_lo_u16_e32 v3, 10, v3
	v_sub_u16_e32 v1, v20, v1
	v_sub_u16_e32 v2, v2, v3
	v_add_u16_e32 v1, v2, v1
	v_add_u16_e32 v2, -10, v1
	v_min_u16_e32 v2, v1, v2
	s_or_b64 exec, exec, s[34:35]
	s_and_saveexec_b64 s[34:35], s[44:45]
	s_cbranch_execnz .LBB648_347
.LBB648_210:
	s_or_b64 exec, exec, s[34:35]
	s_and_saveexec_b64 s[34:35], s[78:79]
	s_cbranch_execz .LBB648_348
.LBB648_211:
	s_mov_b32 s36, 0xcccd
	v_mul_u32_u24_sdwa v1, v21, s36 dst_sel:DWORD dst_unused:UNUSED_PAD src0_sel:WORD_0 src1_sel:DWORD
	v_mul_u32_u24_sdwa v3, v2, s36 dst_sel:DWORD dst_unused:UNUSED_PAD src0_sel:WORD_0 src1_sel:DWORD
	v_lshrrev_b32_e32 v1, 19, v1
	v_lshrrev_b32_e32 v3, 19, v3
	v_mul_lo_u16_e32 v1, 10, v1
	v_mul_lo_u16_e32 v3, 10, v3
	v_sub_u16_e32 v1, v21, v1
	v_sub_u16_e32 v2, v2, v3
	v_add_u16_e32 v1, v2, v1
	v_add_u16_e32 v2, -10, v1
	v_min_u16_e32 v2, v1, v2
	s_or_b64 exec, exec, s[34:35]
	s_and_saveexec_b64 s[34:35], s[80:81]
	s_cbranch_execnz .LBB648_349
.LBB648_212:
	s_or_b64 exec, exec, s[34:35]
	s_and_saveexec_b64 s[34:35], s[82:83]
	s_cbranch_execz .LBB648_350
.LBB648_213:
	s_mov_b32 s36, 0xcccd
	v_mul_u32_u24_sdwa v1, v22, s36 dst_sel:DWORD dst_unused:UNUSED_PAD src0_sel:WORD_0 src1_sel:DWORD
	v_mul_u32_u24_sdwa v3, v2, s36 dst_sel:DWORD dst_unused:UNUSED_PAD src0_sel:WORD_0 src1_sel:DWORD
	v_lshrrev_b32_e32 v1, 19, v1
	v_lshrrev_b32_e32 v3, 19, v3
	v_mul_lo_u16_e32 v1, 10, v1
	v_mul_lo_u16_e32 v3, 10, v3
	v_sub_u16_e32 v1, v22, v1
	v_sub_u16_e32 v2, v2, v3
	v_add_u16_e32 v1, v2, v1
	v_add_u16_e32 v2, -10, v1
	v_min_u16_e32 v2, v1, v2
	s_or_b64 exec, exec, s[34:35]
	s_and_saveexec_b64 s[34:35], s[84:85]
	s_cbranch_execnz .LBB648_351
.LBB648_214:
	s_or_b64 exec, exec, s[34:35]
	s_and_saveexec_b64 s[34:35], s[86:87]
	s_cbranch_execz .LBB648_352
.LBB648_215:
	s_mov_b32 s36, 0xcccd
	v_mul_u32_u24_sdwa v1, v23, s36 dst_sel:DWORD dst_unused:UNUSED_PAD src0_sel:WORD_0 src1_sel:DWORD
	v_mul_u32_u24_sdwa v3, v2, s36 dst_sel:DWORD dst_unused:UNUSED_PAD src0_sel:WORD_0 src1_sel:DWORD
	v_lshrrev_b32_e32 v1, 19, v1
	v_lshrrev_b32_e32 v3, 19, v3
	v_mul_lo_u16_e32 v1, 10, v1
	v_mul_lo_u16_e32 v3, 10, v3
	v_sub_u16_e32 v1, v23, v1
	v_sub_u16_e32 v2, v2, v3
	v_add_u16_e32 v1, v2, v1
	v_add_u16_e32 v2, -10, v1
	v_min_u16_e32 v2, v1, v2
	s_or_b64 exec, exec, s[34:35]
	s_and_saveexec_b64 s[34:35], s[88:89]
	s_cbranch_execnz .LBB648_353
.LBB648_216:
	s_or_b64 exec, exec, s[34:35]
	s_and_saveexec_b64 s[34:35], s[90:91]
	s_cbranch_execz .LBB648_354
.LBB648_217:
	s_mov_b32 s36, 0xcccd
	v_mul_u32_u24_sdwa v1, v24, s36 dst_sel:DWORD dst_unused:UNUSED_PAD src0_sel:WORD_0 src1_sel:DWORD
	v_mul_u32_u24_sdwa v3, v2, s36 dst_sel:DWORD dst_unused:UNUSED_PAD src0_sel:WORD_0 src1_sel:DWORD
	v_lshrrev_b32_e32 v1, 19, v1
	v_lshrrev_b32_e32 v3, 19, v3
	v_mul_lo_u16_e32 v1, 10, v1
	v_mul_lo_u16_e32 v3, 10, v3
	v_sub_u16_e32 v1, v24, v1
	v_sub_u16_e32 v2, v2, v3
	v_add_u16_e32 v1, v2, v1
	v_add_u16_e32 v2, -10, v1
	v_min_u16_e32 v2, v1, v2
	s_or_b64 exec, exec, s[34:35]
	s_and_saveexec_b64 s[34:35], s[92:93]
	s_cbranch_execnz .LBB648_355
.LBB648_218:
	s_or_b64 exec, exec, s[34:35]
	s_and_saveexec_b64 s[34:35], s[94:95]
	s_cbranch_execz .LBB648_356
.LBB648_219:
	s_mov_b32 s36, 0xcccd
	v_mul_u32_u24_sdwa v1, v25, s36 dst_sel:DWORD dst_unused:UNUSED_PAD src0_sel:WORD_0 src1_sel:DWORD
	v_mul_u32_u24_sdwa v3, v2, s36 dst_sel:DWORD dst_unused:UNUSED_PAD src0_sel:WORD_0 src1_sel:DWORD
	v_lshrrev_b32_e32 v1, 19, v1
	v_lshrrev_b32_e32 v3, 19, v3
	v_mul_lo_u16_e32 v1, 10, v1
	v_mul_lo_u16_e32 v3, 10, v3
	v_sub_u16_e32 v1, v25, v1
	v_sub_u16_e32 v2, v2, v3
	v_add_u16_e32 v1, v2, v1
	v_add_u16_e32 v2, -10, v1
	v_min_u16_e32 v2, v1, v2
	s_or_b64 exec, exec, s[34:35]
	s_and_saveexec_b64 s[34:35], s[96:97]
	s_cbranch_execnz .LBB648_357
.LBB648_220:
	s_or_b64 exec, exec, s[34:35]
	s_and_saveexec_b64 s[34:35], s[98:99]
	s_cbranch_execz .LBB648_358
.LBB648_221:
	s_mov_b32 s36, 0xcccd
	v_mul_u32_u24_sdwa v1, v26, s36 dst_sel:DWORD dst_unused:UNUSED_PAD src0_sel:WORD_0 src1_sel:DWORD
	v_mul_u32_u24_sdwa v3, v2, s36 dst_sel:DWORD dst_unused:UNUSED_PAD src0_sel:WORD_0 src1_sel:DWORD
	v_lshrrev_b32_e32 v1, 19, v1
	v_lshrrev_b32_e32 v3, 19, v3
	v_mul_lo_u16_e32 v1, 10, v1
	v_mul_lo_u16_e32 v3, 10, v3
	v_sub_u16_e32 v1, v26, v1
	v_sub_u16_e32 v2, v2, v3
	v_add_u16_e32 v1, v2, v1
	v_add_u16_e32 v2, -10, v1
	v_min_u16_e32 v2, v1, v2
	s_or_b64 exec, exec, s[34:35]
	s_and_saveexec_b64 s[34:35], s[4:5]
	s_cbranch_execnz .LBB648_359
.LBB648_222:
	s_or_b64 exec, exec, s[34:35]
	s_and_saveexec_b64 s[4:5], s[6:7]
	s_cbranch_execz .LBB648_360
.LBB648_223:
	s_mov_b32 s6, 0xcccd
	v_mul_u32_u24_sdwa v1, v27, s6 dst_sel:DWORD dst_unused:UNUSED_PAD src0_sel:WORD_0 src1_sel:DWORD
	v_mul_u32_u24_sdwa v3, v2, s6 dst_sel:DWORD dst_unused:UNUSED_PAD src0_sel:WORD_0 src1_sel:DWORD
	v_lshrrev_b32_e32 v1, 19, v1
	v_lshrrev_b32_e32 v3, 19, v3
	v_mul_lo_u16_e32 v1, 10, v1
	v_mul_lo_u16_e32 v3, 10, v3
	v_sub_u16_e32 v1, v27, v1
	v_sub_u16_e32 v2, v2, v3
	v_add_u16_e32 v1, v2, v1
	v_add_u16_e32 v2, -10, v1
	v_min_u16_e32 v2, v1, v2
	s_or_b64 exec, exec, s[4:5]
	s_and_saveexec_b64 s[4:5], s[8:9]
	s_cbranch_execnz .LBB648_361
.LBB648_224:
	s_or_b64 exec, exec, s[4:5]
	s_and_saveexec_b64 s[4:5], s[10:11]
	s_cbranch_execz .LBB648_362
.LBB648_225:
	s_mov_b32 s6, 0xcccd
	v_mul_u32_u24_sdwa v1, v28, s6 dst_sel:DWORD dst_unused:UNUSED_PAD src0_sel:WORD_0 src1_sel:DWORD
	v_mul_u32_u24_sdwa v3, v2, s6 dst_sel:DWORD dst_unused:UNUSED_PAD src0_sel:WORD_0 src1_sel:DWORD
	v_lshrrev_b32_e32 v1, 19, v1
	v_lshrrev_b32_e32 v3, 19, v3
	v_mul_lo_u16_e32 v1, 10, v1
	v_mul_lo_u16_e32 v3, 10, v3
	v_sub_u16_e32 v1, v28, v1
	v_sub_u16_e32 v2, v2, v3
	v_add_u16_e32 v1, v2, v1
	v_add_u16_e32 v2, -10, v1
	v_min_u16_e32 v2, v1, v2
	s_or_b64 exec, exec, s[4:5]
	s_and_saveexec_b64 s[4:5], s[12:13]
	s_cbranch_execnz .LBB648_363
.LBB648_226:
	s_or_b64 exec, exec, s[4:5]
	s_and_saveexec_b64 s[4:5], s[14:15]
	s_cbranch_execz .LBB648_364
.LBB648_227:
	s_mov_b32 s6, 0xcccd
	v_mul_u32_u24_sdwa v1, v29, s6 dst_sel:DWORD dst_unused:UNUSED_PAD src0_sel:WORD_0 src1_sel:DWORD
	v_mul_u32_u24_sdwa v3, v2, s6 dst_sel:DWORD dst_unused:UNUSED_PAD src0_sel:WORD_0 src1_sel:DWORD
	v_lshrrev_b32_e32 v1, 19, v1
	v_lshrrev_b32_e32 v3, 19, v3
	v_mul_lo_u16_e32 v1, 10, v1
	v_mul_lo_u16_e32 v3, 10, v3
	v_sub_u16_e32 v1, v29, v1
	v_sub_u16_e32 v2, v2, v3
	v_add_u16_e32 v1, v2, v1
	v_add_u16_e32 v2, -10, v1
	v_min_u16_e32 v2, v1, v2
	s_or_b64 exec, exec, s[4:5]
	s_and_saveexec_b64 s[4:5], s[16:17]
	s_cbranch_execnz .LBB648_365
.LBB648_228:
	s_or_b64 exec, exec, s[4:5]
	s_and_saveexec_b64 s[4:5], s[18:19]
	s_cbranch_execz .LBB648_366
.LBB648_229:
	s_mov_b32 s6, 0xcccd
	v_mul_u32_u24_sdwa v1, v30, s6 dst_sel:DWORD dst_unused:UNUSED_PAD src0_sel:WORD_0 src1_sel:DWORD
	v_mul_u32_u24_sdwa v3, v2, s6 dst_sel:DWORD dst_unused:UNUSED_PAD src0_sel:WORD_0 src1_sel:DWORD
	v_lshrrev_b32_e32 v1, 19, v1
	v_lshrrev_b32_e32 v3, 19, v3
	v_mul_lo_u16_e32 v1, 10, v1
	v_mul_lo_u16_e32 v3, 10, v3
	v_sub_u16_e32 v1, v30, v1
	v_sub_u16_e32 v2, v2, v3
	v_add_u16_e32 v1, v2, v1
	v_add_u16_e32 v2, -10, v1
	v_min_u16_e32 v2, v1, v2
	s_or_b64 exec, exec, s[4:5]
	s_and_saveexec_b64 s[4:5], s[20:21]
	s_cbranch_execnz .LBB648_367
.LBB648_230:
	s_or_b64 exec, exec, s[4:5]
	s_and_saveexec_b64 s[4:5], s[22:23]
	s_cbranch_execz .LBB648_368
.LBB648_231:
	s_mov_b32 s6, 0xcccd
	v_mul_u32_u24_sdwa v1, v31, s6 dst_sel:DWORD dst_unused:UNUSED_PAD src0_sel:WORD_0 src1_sel:DWORD
	v_mul_u32_u24_sdwa v3, v2, s6 dst_sel:DWORD dst_unused:UNUSED_PAD src0_sel:WORD_0 src1_sel:DWORD
	v_lshrrev_b32_e32 v1, 19, v1
	v_lshrrev_b32_e32 v3, 19, v3
	v_mul_lo_u16_e32 v1, 10, v1
	v_mul_lo_u16_e32 v3, 10, v3
	v_sub_u16_e32 v1, v31, v1
	v_sub_u16_e32 v2, v2, v3
	v_add_u16_e32 v1, v2, v1
	v_add_u16_e32 v2, -10, v1
	v_min_u16_e32 v2, v1, v2
	s_or_b64 exec, exec, s[4:5]
	s_and_saveexec_b64 s[4:5], s[24:25]
	s_cbranch_execnz .LBB648_369
.LBB648_232:
	s_or_b64 exec, exec, s[4:5]
	s_and_saveexec_b64 s[4:5], s[26:27]
	s_cbranch_execz .LBB648_370
.LBB648_233:
	s_mov_b32 s6, 0xcccd
	v_mul_u32_u24_sdwa v1, v32, s6 dst_sel:DWORD dst_unused:UNUSED_PAD src0_sel:WORD_0 src1_sel:DWORD
	v_mul_u32_u24_sdwa v3, v2, s6 dst_sel:DWORD dst_unused:UNUSED_PAD src0_sel:WORD_0 src1_sel:DWORD
	v_lshrrev_b32_e32 v1, 19, v1
	v_lshrrev_b32_e32 v3, 19, v3
	v_mul_lo_u16_e32 v1, 10, v1
	v_mul_lo_u16_e32 v3, 10, v3
	v_sub_u16_e32 v1, v32, v1
	v_sub_u16_e32 v2, v2, v3
	v_add_u16_e32 v1, v2, v1
	v_add_u16_e32 v2, -10, v1
	v_min_u16_e32 v2, v1, v2
	s_or_b64 exec, exec, s[4:5]
	s_and_saveexec_b64 s[4:5], s[28:29]
	s_cbranch_execnz .LBB648_371
.LBB648_234:
	s_or_b64 exec, exec, s[4:5]
	s_and_saveexec_b64 s[4:5], s[30:31]
	s_cbranch_execz .LBB648_372
.LBB648_235:
	s_mov_b32 s6, 0xcccd
	v_mul_u32_u24_sdwa v1, v33, s6 dst_sel:DWORD dst_unused:UNUSED_PAD src0_sel:WORD_0 src1_sel:DWORD
	v_mul_u32_u24_sdwa v3, v2, s6 dst_sel:DWORD dst_unused:UNUSED_PAD src0_sel:WORD_0 src1_sel:DWORD
	v_lshrrev_b32_e32 v1, 19, v1
	v_lshrrev_b32_e32 v3, 19, v3
	v_mul_lo_u16_e32 v1, 10, v1
	v_mul_lo_u16_e32 v3, 10, v3
	v_sub_u16_e32 v1, v33, v1
	v_sub_u16_e32 v2, v2, v3
	v_add_u16_e32 v1, v2, v1
	v_add_u16_e32 v2, -10, v1
	v_min_u16_e32 v2, v1, v2
	s_or_b64 exec, exec, s[4:5]
	s_and_saveexec_b64 s[4:5], vcc
	s_cbranch_execnz .LBB648_373
	s_branch .LBB648_374
.LBB648_236:
	s_mov_b64 s[6:7], -1
                                        ; implicit-def: $vgpr2
.LBB648_237:
	s_and_b64 vcc, exec, s[6:7]
	s_cbranch_vccz .LBB648_450
; %bb.238:
	s_sub_i32 s77, s70, s4
	v_mov_b32_e32 v2, 0
	v_cmp_gt_u32_e32 vcc, s77, v0
	v_mov_b32_e32 v3, v2
	s_waitcnt lgkmcnt(0)
	v_mov_b32_e32 v4, v2
	v_mov_b32_e32 v5, v2
	;; [unrolled: 1-line block ×14, first 2 shown]
	s_and_saveexec_b64 s[4:5], vcc
	s_cbranch_execz .LBB648_240
; %bb.239:
	v_lshlrev_b32_e32 v1, 1, v0
	global_load_ushort v1, v1, s[72:73]
	v_mov_b32_e32 v5, v2
	v_mov_b32_e32 v6, v2
	;; [unrolled: 1-line block ×15, first 2 shown]
	s_waitcnt vmcnt(0)
	v_and_b32_e32 v4, 0xffff, v1
	v_mov_b64_e32 v[2:3], v[4:5]
	v_mov_b64_e32 v[4:5], v[6:7]
	;; [unrolled: 1-line block ×8, first 2 shown]
.LBB648_240:
	s_or_b64 exec, exec, s[4:5]
	v_or_b32_e32 v1, 0x80, v0
	v_cmp_gt_u32_e32 vcc, s77, v1
	s_and_saveexec_b64 s[4:5], vcc
	s_cbranch_execz .LBB648_242
; %bb.241:
	v_lshlrev_b32_e32 v1, 1, v0
	global_load_ushort v1, v1, s[72:73] offset:256
	s_mov_b32 s6, 0x5040100
	s_waitcnt vmcnt(0)
	v_perm_b32 v2, v1, v2, s6
.LBB648_242:
	s_or_b64 exec, exec, s[4:5]
	v_or_b32_e32 v1, 0x100, v0
	v_cmp_gt_u32_e64 s[4:5], s77, v1
	s_and_saveexec_b64 s[6:7], s[4:5]
	s_cbranch_execz .LBB648_244
; %bb.243:
	v_lshlrev_b32_e32 v1, 1, v0
	global_load_ushort v1, v1, s[72:73] offset:512
	s_mov_b32 s8, 0xffff
	s_waitcnt vmcnt(0)
	v_bfi_b32 v3, s8, v1, v3
.LBB648_244:
	s_or_b64 exec, exec, s[6:7]
	v_or_b32_e32 v1, 0x180, v0
	v_cmp_gt_u32_e64 s[6:7], s77, v1
	s_and_saveexec_b64 s[8:9], s[6:7]
	s_cbranch_execz .LBB648_246
; %bb.245:
	v_lshlrev_b32_e32 v1, 1, v0
	global_load_ushort v1, v1, s[72:73] offset:768
	s_mov_b32 s10, 0x5040100
	s_waitcnt vmcnt(0)
	v_perm_b32 v3, v1, v3, s10
.LBB648_246:
	s_or_b64 exec, exec, s[8:9]
	v_or_b32_e32 v1, 0x200, v0
	v_cmp_gt_u32_e64 s[8:9], s77, v1
	s_and_saveexec_b64 s[10:11], s[8:9]
	s_cbranch_execz .LBB648_248
; %bb.247:
	v_lshlrev_b32_e32 v1, 1, v0
	global_load_ushort v1, v1, s[72:73] offset:1024
	s_mov_b32 s12, 0xffff
	s_waitcnt vmcnt(0)
	v_bfi_b32 v4, s12, v1, v4
.LBB648_248:
	s_or_b64 exec, exec, s[10:11]
	v_or_b32_e32 v1, 0x280, v0
	v_cmp_gt_u32_e64 s[10:11], s77, v1
	s_and_saveexec_b64 s[12:13], s[10:11]
	;; [unrolled: 24-line block ×7, first 2 shown]
	s_cbranch_execz .LBB648_270
; %bb.269:
	v_lshlrev_b32_e32 v1, 1, v0
	global_load_ushort v1, v1, s[72:73] offset:3840
	s_mov_b32 s36, 0x5040100
	s_waitcnt vmcnt(0)
	v_perm_b32 v9, v1, v9, s36
.LBB648_270:
	s_or_b64 exec, exec, s[34:35]
	v_or_b32_e32 v1, 0x800, v0
	v_cmp_gt_u32_e64 s[34:35], s77, v1
	s_and_saveexec_b64 s[36:37], s[34:35]
	s_cbranch_execz .LBB648_272
; %bb.271:
	v_lshlrev_b32_e32 v1, 1, v1
	global_load_ushort v1, v1, s[72:73]
	s_mov_b32 s38, 0xffff
	s_waitcnt vmcnt(0)
	v_bfi_b32 v10, s38, v1, v10
.LBB648_272:
	s_or_b64 exec, exec, s[36:37]
	v_or_b32_e32 v1, 0x880, v0
	v_cmp_gt_u32_e64 s[36:37], s77, v1
	s_and_saveexec_b64 s[38:39], s[36:37]
	s_cbranch_execz .LBB648_274
; %bb.273:
	v_lshlrev_b32_e32 v1, 1, v1
	global_load_ushort v1, v1, s[72:73]
	s_mov_b32 s40, 0x5040100
	s_waitcnt vmcnt(0)
	v_perm_b32 v10, v1, v10, s40
.LBB648_274:
	s_or_b64 exec, exec, s[38:39]
	v_or_b32_e32 v1, 0x900, v0
	v_cmp_gt_u32_e64 s[38:39], s77, v1
	s_and_saveexec_b64 s[40:41], s[38:39]
	s_cbranch_execz .LBB648_276
; %bb.275:
	v_lshlrev_b32_e32 v1, 1, v1
	global_load_ushort v1, v1, s[72:73]
	s_mov_b32 s42, 0xffff
	s_waitcnt vmcnt(0)
	v_bfi_b32 v11, s42, v1, v11
.LBB648_276:
	s_or_b64 exec, exec, s[40:41]
	v_or_b32_e32 v1, 0x980, v0
	v_cmp_gt_u32_e64 s[40:41], s77, v1
	s_and_saveexec_b64 s[42:43], s[40:41]
	s_cbranch_execz .LBB648_278
; %bb.277:
	v_lshlrev_b32_e32 v1, 1, v1
	global_load_ushort v1, v1, s[72:73]
	s_mov_b32 s44, 0x5040100
	s_waitcnt vmcnt(0)
	v_perm_b32 v11, v1, v11, s44
.LBB648_278:
	;; [unrolled: 24-line block ×7, first 2 shown]
	s_or_b64 exec, exec, s[62:63]
	v_or_b32_e32 v1, 0xf00, v0
	v_cmp_gt_u32_e64 s[62:63], s77, v1
	s_and_saveexec_b64 s[64:65], s[62:63]
	s_cbranch_execz .LBB648_300
; %bb.299:
	v_lshlrev_b32_e32 v1, 1, v1
	global_load_ushort v1, v1, s[72:73]
	s_mov_b32 s74, 0xffff
	s_waitcnt vmcnt(0)
	v_bfi_b32 v17, s74, v1, v17
.LBB648_300:
	s_or_b64 exec, exec, s[64:65]
	v_or_b32_e32 v1, 0xf80, v0
	v_cmp_gt_u32_e64 s[64:65], s77, v1
	s_and_saveexec_b64 s[74:75], s[64:65]
	s_cbranch_execz .LBB648_399
; %bb.301:
	v_lshlrev_b32_e32 v1, 1, v1
	global_load_ushort v1, v1, s[72:73]
	s_mov_b32 s72, 0x5040100
	s_waitcnt vmcnt(0)
	v_perm_b32 v17, v1, v17, s72
	s_or_b64 exec, exec, s[74:75]
	s_and_saveexec_b64 s[72:73], vcc
	s_cbranch_execnz .LBB648_400
.LBB648_302:
	s_or_b64 exec, exec, s[72:73]
	s_and_saveexec_b64 s[72:73], s[4:5]
	s_cbranch_execz .LBB648_401
.LBB648_303:
	s_mov_b32 s4, 0xcccd
	v_mul_u32_u24_sdwa v1, v3, s4 dst_sel:DWORD dst_unused:UNUSED_PAD src0_sel:WORD_0 src1_sel:DWORD
	v_mul_u32_u24_sdwa v18, v2, s4 dst_sel:DWORD dst_unused:UNUSED_PAD src0_sel:WORD_0 src1_sel:DWORD
	v_lshrrev_b32_e32 v1, 19, v1
	v_lshrrev_b32_e32 v18, 19, v18
	v_mul_lo_u16_e32 v1, 10, v1
	v_mul_lo_u16_e32 v18, 10, v18
	v_sub_u16_e32 v1, v3, v1
	v_sub_u16_e32 v2, v2, v18
	v_add_u16_e32 v1, v2, v1
	v_add_u16_e32 v2, -10, v1
	v_min_u16_e32 v2, v1, v2
	s_or_b64 exec, exec, s[72:73]
	s_and_saveexec_b64 s[4:5], s[6:7]
	s_cbranch_execnz .LBB648_402
.LBB648_304:
	s_or_b64 exec, exec, s[4:5]
	s_and_saveexec_b64 s[4:5], s[8:9]
	s_cbranch_execz .LBB648_403
.LBB648_305:
	s_mov_b32 s6, 0xcccd
	v_mul_u32_u24_sdwa v1, v4, s6 dst_sel:DWORD dst_unused:UNUSED_PAD src0_sel:WORD_0 src1_sel:DWORD
	v_mul_u32_u24_sdwa v3, v2, s6 dst_sel:DWORD dst_unused:UNUSED_PAD src0_sel:WORD_0 src1_sel:DWORD
	v_lshrrev_b32_e32 v1, 19, v1
	v_lshrrev_b32_e32 v3, 19, v3
	v_mul_lo_u16_e32 v1, 10, v1
	v_mul_lo_u16_e32 v3, 10, v3
	v_sub_u16_e32 v1, v4, v1
	v_sub_u16_e32 v2, v2, v3
	v_add_u16_e32 v1, v2, v1
	v_add_u16_e32 v2, -10, v1
	v_min_u16_e32 v2, v1, v2
	s_or_b64 exec, exec, s[4:5]
	s_and_saveexec_b64 s[4:5], s[10:11]
	s_cbranch_execnz .LBB648_404
.LBB648_306:
	s_or_b64 exec, exec, s[4:5]
	s_and_saveexec_b64 s[4:5], s[12:13]
	s_cbranch_execz .LBB648_405
.LBB648_307:
	s_mov_b32 s6, 0xcccd
	v_mul_u32_u24_sdwa v1, v5, s6 dst_sel:DWORD dst_unused:UNUSED_PAD src0_sel:WORD_0 src1_sel:DWORD
	v_mul_u32_u24_sdwa v3, v2, s6 dst_sel:DWORD dst_unused:UNUSED_PAD src0_sel:WORD_0 src1_sel:DWORD
	v_lshrrev_b32_e32 v1, 19, v1
	v_lshrrev_b32_e32 v3, 19, v3
	v_mul_lo_u16_e32 v1, 10, v1
	v_mul_lo_u16_e32 v3, 10, v3
	v_sub_u16_e32 v1, v5, v1
	v_sub_u16_e32 v2, v2, v3
	v_add_u16_e32 v1, v2, v1
	v_add_u16_e32 v2, -10, v1
	v_min_u16_e32 v2, v1, v2
	s_or_b64 exec, exec, s[4:5]
	s_and_saveexec_b64 s[4:5], s[14:15]
	s_cbranch_execnz .LBB648_406
.LBB648_308:
	s_or_b64 exec, exec, s[4:5]
	s_and_saveexec_b64 s[4:5], s[16:17]
	s_cbranch_execz .LBB648_407
.LBB648_309:
	s_mov_b32 s6, 0xcccd
	v_mul_u32_u24_sdwa v1, v6, s6 dst_sel:DWORD dst_unused:UNUSED_PAD src0_sel:WORD_0 src1_sel:DWORD
	v_mul_u32_u24_sdwa v3, v2, s6 dst_sel:DWORD dst_unused:UNUSED_PAD src0_sel:WORD_0 src1_sel:DWORD
	v_lshrrev_b32_e32 v1, 19, v1
	v_lshrrev_b32_e32 v3, 19, v3
	v_mul_lo_u16_e32 v1, 10, v1
	v_mul_lo_u16_e32 v3, 10, v3
	v_sub_u16_e32 v1, v6, v1
	v_sub_u16_e32 v2, v2, v3
	v_add_u16_e32 v1, v2, v1
	v_add_u16_e32 v2, -10, v1
	v_min_u16_e32 v2, v1, v2
	s_or_b64 exec, exec, s[4:5]
	s_and_saveexec_b64 s[4:5], s[18:19]
	s_cbranch_execnz .LBB648_408
.LBB648_310:
	s_or_b64 exec, exec, s[4:5]
	s_and_saveexec_b64 s[4:5], s[20:21]
	s_cbranch_execz .LBB648_409
.LBB648_311:
	s_mov_b32 s6, 0xcccd
	v_mul_u32_u24_sdwa v1, v7, s6 dst_sel:DWORD dst_unused:UNUSED_PAD src0_sel:WORD_0 src1_sel:DWORD
	v_mul_u32_u24_sdwa v3, v2, s6 dst_sel:DWORD dst_unused:UNUSED_PAD src0_sel:WORD_0 src1_sel:DWORD
	v_lshrrev_b32_e32 v1, 19, v1
	v_lshrrev_b32_e32 v3, 19, v3
	v_mul_lo_u16_e32 v1, 10, v1
	v_mul_lo_u16_e32 v3, 10, v3
	v_sub_u16_e32 v1, v7, v1
	v_sub_u16_e32 v2, v2, v3
	v_add_u16_e32 v1, v2, v1
	v_add_u16_e32 v2, -10, v1
	v_min_u16_e32 v2, v1, v2
	s_or_b64 exec, exec, s[4:5]
	s_and_saveexec_b64 s[4:5], s[22:23]
	s_cbranch_execnz .LBB648_410
.LBB648_312:
	s_or_b64 exec, exec, s[4:5]
	s_and_saveexec_b64 s[4:5], s[24:25]
	s_cbranch_execz .LBB648_411
.LBB648_313:
	s_mov_b32 s6, 0xcccd
	v_mul_u32_u24_sdwa v1, v8, s6 dst_sel:DWORD dst_unused:UNUSED_PAD src0_sel:WORD_0 src1_sel:DWORD
	v_mul_u32_u24_sdwa v3, v2, s6 dst_sel:DWORD dst_unused:UNUSED_PAD src0_sel:WORD_0 src1_sel:DWORD
	v_lshrrev_b32_e32 v1, 19, v1
	v_lshrrev_b32_e32 v3, 19, v3
	v_mul_lo_u16_e32 v1, 10, v1
	v_mul_lo_u16_e32 v3, 10, v3
	v_sub_u16_e32 v1, v8, v1
	v_sub_u16_e32 v2, v2, v3
	v_add_u16_e32 v1, v2, v1
	v_add_u16_e32 v2, -10, v1
	v_min_u16_e32 v2, v1, v2
	s_or_b64 exec, exec, s[4:5]
	s_and_saveexec_b64 s[4:5], s[26:27]
	s_cbranch_execnz .LBB648_412
.LBB648_314:
	s_or_b64 exec, exec, s[4:5]
	s_and_saveexec_b64 s[4:5], s[28:29]
	s_cbranch_execz .LBB648_413
.LBB648_315:
	s_mov_b32 s6, 0xcccd
	v_mul_u32_u24_sdwa v1, v9, s6 dst_sel:DWORD dst_unused:UNUSED_PAD src0_sel:WORD_0 src1_sel:DWORD
	v_mul_u32_u24_sdwa v3, v2, s6 dst_sel:DWORD dst_unused:UNUSED_PAD src0_sel:WORD_0 src1_sel:DWORD
	v_lshrrev_b32_e32 v1, 19, v1
	v_lshrrev_b32_e32 v3, 19, v3
	v_mul_lo_u16_e32 v1, 10, v1
	v_mul_lo_u16_e32 v3, 10, v3
	v_sub_u16_e32 v1, v9, v1
	v_sub_u16_e32 v2, v2, v3
	v_add_u16_e32 v1, v2, v1
	v_add_u16_e32 v2, -10, v1
	v_min_u16_e32 v2, v1, v2
	s_or_b64 exec, exec, s[4:5]
	s_and_saveexec_b64 s[4:5], s[30:31]
	s_cbranch_execnz .LBB648_414
.LBB648_316:
	s_or_b64 exec, exec, s[4:5]
	s_and_saveexec_b64 s[4:5], s[34:35]
	s_cbranch_execz .LBB648_415
.LBB648_317:
	s_mov_b32 s6, 0xcccd
	v_mul_u32_u24_sdwa v1, v10, s6 dst_sel:DWORD dst_unused:UNUSED_PAD src0_sel:WORD_0 src1_sel:DWORD
	v_mul_u32_u24_sdwa v3, v2, s6 dst_sel:DWORD dst_unused:UNUSED_PAD src0_sel:WORD_0 src1_sel:DWORD
	v_lshrrev_b32_e32 v1, 19, v1
	v_lshrrev_b32_e32 v3, 19, v3
	v_mul_lo_u16_e32 v1, 10, v1
	v_mul_lo_u16_e32 v3, 10, v3
	v_sub_u16_e32 v1, v10, v1
	v_sub_u16_e32 v2, v2, v3
	v_add_u16_e32 v1, v2, v1
	v_add_u16_e32 v2, -10, v1
	v_min_u16_e32 v2, v1, v2
	s_or_b64 exec, exec, s[4:5]
	s_and_saveexec_b64 s[4:5], s[36:37]
	s_cbranch_execnz .LBB648_416
.LBB648_318:
	s_or_b64 exec, exec, s[4:5]
	s_and_saveexec_b64 s[4:5], s[38:39]
	s_cbranch_execz .LBB648_417
.LBB648_319:
	s_mov_b32 s6, 0xcccd
	v_mul_u32_u24_sdwa v1, v11, s6 dst_sel:DWORD dst_unused:UNUSED_PAD src0_sel:WORD_0 src1_sel:DWORD
	v_mul_u32_u24_sdwa v3, v2, s6 dst_sel:DWORD dst_unused:UNUSED_PAD src0_sel:WORD_0 src1_sel:DWORD
	v_lshrrev_b32_e32 v1, 19, v1
	v_lshrrev_b32_e32 v3, 19, v3
	v_mul_lo_u16_e32 v1, 10, v1
	v_mul_lo_u16_e32 v3, 10, v3
	v_sub_u16_e32 v1, v11, v1
	v_sub_u16_e32 v2, v2, v3
	v_add_u16_e32 v1, v2, v1
	v_add_u16_e32 v2, -10, v1
	v_min_u16_e32 v2, v1, v2
	s_or_b64 exec, exec, s[4:5]
	s_and_saveexec_b64 s[4:5], s[40:41]
	s_cbranch_execnz .LBB648_418
.LBB648_320:
	s_or_b64 exec, exec, s[4:5]
	s_and_saveexec_b64 s[4:5], s[42:43]
	s_cbranch_execz .LBB648_419
.LBB648_321:
	s_mov_b32 s6, 0xcccd
	v_mul_u32_u24_sdwa v1, v12, s6 dst_sel:DWORD dst_unused:UNUSED_PAD src0_sel:WORD_0 src1_sel:DWORD
	v_mul_u32_u24_sdwa v3, v2, s6 dst_sel:DWORD dst_unused:UNUSED_PAD src0_sel:WORD_0 src1_sel:DWORD
	v_lshrrev_b32_e32 v1, 19, v1
	v_lshrrev_b32_e32 v3, 19, v3
	v_mul_lo_u16_e32 v1, 10, v1
	v_mul_lo_u16_e32 v3, 10, v3
	v_sub_u16_e32 v1, v12, v1
	v_sub_u16_e32 v2, v2, v3
	v_add_u16_e32 v1, v2, v1
	v_add_u16_e32 v2, -10, v1
	v_min_u16_e32 v2, v1, v2
	s_or_b64 exec, exec, s[4:5]
	s_and_saveexec_b64 s[4:5], s[44:45]
	s_cbranch_execnz .LBB648_420
.LBB648_322:
	s_or_b64 exec, exec, s[4:5]
	s_and_saveexec_b64 s[4:5], s[46:47]
	s_cbranch_execz .LBB648_421
.LBB648_323:
	s_mov_b32 s6, 0xcccd
	v_mul_u32_u24_sdwa v1, v13, s6 dst_sel:DWORD dst_unused:UNUSED_PAD src0_sel:WORD_0 src1_sel:DWORD
	v_mul_u32_u24_sdwa v3, v2, s6 dst_sel:DWORD dst_unused:UNUSED_PAD src0_sel:WORD_0 src1_sel:DWORD
	v_lshrrev_b32_e32 v1, 19, v1
	v_lshrrev_b32_e32 v3, 19, v3
	v_mul_lo_u16_e32 v1, 10, v1
	v_mul_lo_u16_e32 v3, 10, v3
	v_sub_u16_e32 v1, v13, v1
	v_sub_u16_e32 v2, v2, v3
	v_add_u16_e32 v1, v2, v1
	v_add_u16_e32 v2, -10, v1
	v_min_u16_e32 v2, v1, v2
	s_or_b64 exec, exec, s[4:5]
	s_and_saveexec_b64 s[4:5], s[48:49]
	s_cbranch_execnz .LBB648_422
.LBB648_324:
	s_or_b64 exec, exec, s[4:5]
	s_and_saveexec_b64 s[4:5], s[50:51]
	s_cbranch_execz .LBB648_423
.LBB648_325:
	s_mov_b32 s6, 0xcccd
	v_mul_u32_u24_sdwa v1, v14, s6 dst_sel:DWORD dst_unused:UNUSED_PAD src0_sel:WORD_0 src1_sel:DWORD
	v_mul_u32_u24_sdwa v3, v2, s6 dst_sel:DWORD dst_unused:UNUSED_PAD src0_sel:WORD_0 src1_sel:DWORD
	v_lshrrev_b32_e32 v1, 19, v1
	v_lshrrev_b32_e32 v3, 19, v3
	v_mul_lo_u16_e32 v1, 10, v1
	v_mul_lo_u16_e32 v3, 10, v3
	v_sub_u16_e32 v1, v14, v1
	v_sub_u16_e32 v2, v2, v3
	v_add_u16_e32 v1, v2, v1
	v_add_u16_e32 v2, -10, v1
	v_min_u16_e32 v2, v1, v2
	s_or_b64 exec, exec, s[4:5]
	s_and_saveexec_b64 s[4:5], s[52:53]
	s_cbranch_execnz .LBB648_424
.LBB648_326:
	s_or_b64 exec, exec, s[4:5]
	s_and_saveexec_b64 s[4:5], s[54:55]
	s_cbranch_execz .LBB648_425
.LBB648_327:
	s_mov_b32 s6, 0xcccd
	v_mul_u32_u24_sdwa v1, v15, s6 dst_sel:DWORD dst_unused:UNUSED_PAD src0_sel:WORD_0 src1_sel:DWORD
	v_mul_u32_u24_sdwa v3, v2, s6 dst_sel:DWORD dst_unused:UNUSED_PAD src0_sel:WORD_0 src1_sel:DWORD
	v_lshrrev_b32_e32 v1, 19, v1
	v_lshrrev_b32_e32 v3, 19, v3
	v_mul_lo_u16_e32 v1, 10, v1
	v_mul_lo_u16_e32 v3, 10, v3
	v_sub_u16_e32 v1, v15, v1
	v_sub_u16_e32 v2, v2, v3
	v_add_u16_e32 v1, v2, v1
	v_add_u16_e32 v2, -10, v1
	v_min_u16_e32 v2, v1, v2
	s_or_b64 exec, exec, s[4:5]
	s_and_saveexec_b64 s[4:5], s[56:57]
	s_cbranch_execnz .LBB648_426
.LBB648_328:
	s_or_b64 exec, exec, s[4:5]
	s_and_saveexec_b64 s[4:5], s[58:59]
	s_cbranch_execz .LBB648_427
.LBB648_329:
	s_mov_b32 s6, 0xcccd
	v_mul_u32_u24_sdwa v1, v16, s6 dst_sel:DWORD dst_unused:UNUSED_PAD src0_sel:WORD_0 src1_sel:DWORD
	v_mul_u32_u24_sdwa v3, v2, s6 dst_sel:DWORD dst_unused:UNUSED_PAD src0_sel:WORD_0 src1_sel:DWORD
	v_lshrrev_b32_e32 v1, 19, v1
	v_lshrrev_b32_e32 v3, 19, v3
	v_mul_lo_u16_e32 v1, 10, v1
	v_mul_lo_u16_e32 v3, 10, v3
	v_sub_u16_e32 v1, v16, v1
	v_sub_u16_e32 v2, v2, v3
	v_add_u16_e32 v1, v2, v1
	v_add_u16_e32 v2, -10, v1
	v_min_u16_e32 v2, v1, v2
	s_or_b64 exec, exec, s[4:5]
	s_and_saveexec_b64 s[4:5], s[60:61]
	s_cbranch_execnz .LBB648_428
.LBB648_330:
	s_or_b64 exec, exec, s[4:5]
	s_and_saveexec_b64 s[4:5], s[62:63]
	s_cbranch_execz .LBB648_429
.LBB648_331:
	s_mov_b32 s6, 0xcccd
	v_mul_u32_u24_sdwa v1, v17, s6 dst_sel:DWORD dst_unused:UNUSED_PAD src0_sel:WORD_0 src1_sel:DWORD
	v_mul_u32_u24_sdwa v3, v2, s6 dst_sel:DWORD dst_unused:UNUSED_PAD src0_sel:WORD_0 src1_sel:DWORD
	v_lshrrev_b32_e32 v1, 19, v1
	v_lshrrev_b32_e32 v3, 19, v3
	v_mul_lo_u16_e32 v1, 10, v1
	v_mul_lo_u16_e32 v3, 10, v3
	v_sub_u16_e32 v1, v17, v1
	v_sub_u16_e32 v2, v2, v3
	v_add_u16_e32 v1, v2, v1
	v_add_u16_e32 v2, -10, v1
	v_min_u16_e32 v2, v1, v2
	s_or_b64 exec, exec, s[4:5]
	s_and_saveexec_b64 s[4:5], s[64:65]
	s_cbranch_execnz .LBB648_430
	s_branch .LBB648_431
.LBB648_332:
	s_or_b64 exec, exec, s[40:41]
	s_and_saveexec_b64 s[40:41], s[48:49]
	s_cbranch_execz .LBB648_196
.LBB648_333:
	s_mov_b32 s42, 0xcccd
	v_mul_u32_u24_sdwa v1, v13, s42 dst_sel:DWORD dst_unused:UNUSED_PAD src0_sel:WORD_1 src1_sel:DWORD
	v_mul_u32_u24_sdwa v3, v2, s42 dst_sel:DWORD dst_unused:UNUSED_PAD src0_sel:WORD_0 src1_sel:DWORD
	v_lshrrev_b32_e32 v1, 19, v1
	v_lshrrev_b32_e32 v3, 19, v3
	v_mul_lo_u16_e32 v1, 10, v1
	v_mul_lo_u16_e32 v3, 10, v3
	v_sub_u16_sdwa v1, v13, v1 dst_sel:DWORD dst_unused:UNUSED_PAD src0_sel:WORD_1 src1_sel:DWORD
	v_sub_u16_e32 v2, v2, v3
	v_add_u16_e32 v1, v2, v1
	v_add_u16_e32 v2, -10, v1
	v_min_u16_e32 v2, v1, v2
	s_or_b64 exec, exec, s[40:41]
	s_and_saveexec_b64 s[40:41], s[50:51]
	s_cbranch_execnz .LBB648_197
.LBB648_334:
	s_or_b64 exec, exec, s[40:41]
	s_and_saveexec_b64 s[40:41], s[52:53]
	s_cbranch_execz .LBB648_198
.LBB648_335:
	s_mov_b32 s42, 0xcccd
	v_mul_u32_u24_sdwa v1, v14, s42 dst_sel:DWORD dst_unused:UNUSED_PAD src0_sel:WORD_1 src1_sel:DWORD
	v_mul_u32_u24_sdwa v3, v2, s42 dst_sel:DWORD dst_unused:UNUSED_PAD src0_sel:WORD_0 src1_sel:DWORD
	v_lshrrev_b32_e32 v1, 19, v1
	v_lshrrev_b32_e32 v3, 19, v3
	v_mul_lo_u16_e32 v1, 10, v1
	v_mul_lo_u16_e32 v3, 10, v3
	v_sub_u16_sdwa v1, v14, v1 dst_sel:DWORD dst_unused:UNUSED_PAD src0_sel:WORD_1 src1_sel:DWORD
	v_sub_u16_e32 v2, v2, v3
	v_add_u16_e32 v1, v2, v1
	v_add_u16_e32 v2, -10, v1
	v_min_u16_e32 v2, v1, v2
	s_or_b64 exec, exec, s[40:41]
	s_and_saveexec_b64 s[40:41], s[54:55]
	s_cbranch_execnz .LBB648_199
.LBB648_336:
	s_or_b64 exec, exec, s[40:41]
	s_and_saveexec_b64 s[40:41], s[56:57]
	s_cbranch_execz .LBB648_200
.LBB648_337:
	s_mov_b32 s42, 0xcccd
	v_mul_u32_u24_sdwa v1, v15, s42 dst_sel:DWORD dst_unused:UNUSED_PAD src0_sel:WORD_1 src1_sel:DWORD
	v_mul_u32_u24_sdwa v3, v2, s42 dst_sel:DWORD dst_unused:UNUSED_PAD src0_sel:WORD_0 src1_sel:DWORD
	v_lshrrev_b32_e32 v1, 19, v1
	v_lshrrev_b32_e32 v3, 19, v3
	v_mul_lo_u16_e32 v1, 10, v1
	v_mul_lo_u16_e32 v3, 10, v3
	v_sub_u16_sdwa v1, v15, v1 dst_sel:DWORD dst_unused:UNUSED_PAD src0_sel:WORD_1 src1_sel:DWORD
	v_sub_u16_e32 v2, v2, v3
	v_add_u16_e32 v1, v2, v1
	v_add_u16_e32 v2, -10, v1
	v_min_u16_e32 v2, v1, v2
	s_or_b64 exec, exec, s[40:41]
	s_and_saveexec_b64 s[40:41], s[58:59]
	s_cbranch_execnz .LBB648_201
.LBB648_338:
	s_or_b64 exec, exec, s[40:41]
	s_and_saveexec_b64 s[40:41], s[60:61]
	s_cbranch_execz .LBB648_202
.LBB648_339:
	s_mov_b32 s42, 0xcccd
	v_mul_u32_u24_sdwa v1, v16, s42 dst_sel:DWORD dst_unused:UNUSED_PAD src0_sel:WORD_1 src1_sel:DWORD
	v_mul_u32_u24_sdwa v3, v2, s42 dst_sel:DWORD dst_unused:UNUSED_PAD src0_sel:WORD_0 src1_sel:DWORD
	v_lshrrev_b32_e32 v1, 19, v1
	v_lshrrev_b32_e32 v3, 19, v3
	v_mul_lo_u16_e32 v1, 10, v1
	v_mul_lo_u16_e32 v3, 10, v3
	v_sub_u16_sdwa v1, v16, v1 dst_sel:DWORD dst_unused:UNUSED_PAD src0_sel:WORD_1 src1_sel:DWORD
	v_sub_u16_e32 v2, v2, v3
	v_add_u16_e32 v1, v2, v1
	v_add_u16_e32 v2, -10, v1
	v_min_u16_e32 v2, v1, v2
	s_or_b64 exec, exec, s[40:41]
	s_and_saveexec_b64 s[40:41], s[62:63]
	s_cbranch_execnz .LBB648_203
.LBB648_340:
	s_or_b64 exec, exec, s[40:41]
	s_and_saveexec_b64 s[40:41], s[64:65]
	s_cbranch_execz .LBB648_204
.LBB648_341:
	s_mov_b32 s42, 0xcccd
	v_mul_u32_u24_sdwa v1, v17, s42 dst_sel:DWORD dst_unused:UNUSED_PAD src0_sel:WORD_1 src1_sel:DWORD
	v_mul_u32_u24_sdwa v3, v2, s42 dst_sel:DWORD dst_unused:UNUSED_PAD src0_sel:WORD_0 src1_sel:DWORD
	v_lshrrev_b32_e32 v1, 19, v1
	v_lshrrev_b32_e32 v3, 19, v3
	v_mul_lo_u16_e32 v1, 10, v1
	v_mul_lo_u16_e32 v3, 10, v3
	v_sub_u16_sdwa v1, v17, v1 dst_sel:DWORD dst_unused:UNUSED_PAD src0_sel:WORD_1 src1_sel:DWORD
	v_sub_u16_e32 v2, v2, v3
	v_add_u16_e32 v1, v2, v1
	v_add_u16_e32 v2, -10, v1
	v_min_u16_e32 v2, v1, v2
	s_or_b64 exec, exec, s[40:41]
	s_and_saveexec_b64 s[40:41], s[66:67]
	s_cbranch_execnz .LBB648_205
.LBB648_342:
	s_or_b64 exec, exec, s[40:41]
	s_and_saveexec_b64 s[40:41], s[34:35]
	s_cbranch_execz .LBB648_206
.LBB648_343:
	s_mov_b32 s34, 0xcccd
	v_mul_u32_u24_sdwa v1, v18, s34 dst_sel:DWORD dst_unused:UNUSED_PAD src0_sel:WORD_1 src1_sel:DWORD
	v_mul_u32_u24_sdwa v3, v2, s34 dst_sel:DWORD dst_unused:UNUSED_PAD src0_sel:WORD_0 src1_sel:DWORD
	v_lshrrev_b32_e32 v1, 19, v1
	v_lshrrev_b32_e32 v3, 19, v3
	v_mul_lo_u16_e32 v1, 10, v1
	v_mul_lo_u16_e32 v3, 10, v3
	v_sub_u16_sdwa v1, v18, v1 dst_sel:DWORD dst_unused:UNUSED_PAD src0_sel:WORD_1 src1_sel:DWORD
	v_sub_u16_e32 v2, v2, v3
	v_add_u16_e32 v1, v2, v1
	v_add_u16_e32 v2, -10, v1
	v_min_u16_e32 v2, v1, v2
	s_or_b64 exec, exec, s[40:41]
	s_and_saveexec_b64 s[34:35], s[36:37]
	s_cbranch_execnz .LBB648_207
.LBB648_344:
	s_or_b64 exec, exec, s[34:35]
	s_and_saveexec_b64 s[34:35], s[72:73]
	s_cbranch_execz .LBB648_208
.LBB648_345:
	s_mov_b32 s36, 0xcccd
	v_mul_u32_u24_sdwa v1, v19, s36 dst_sel:DWORD dst_unused:UNUSED_PAD src0_sel:WORD_1 src1_sel:DWORD
	v_mul_u32_u24_sdwa v3, v2, s36 dst_sel:DWORD dst_unused:UNUSED_PAD src0_sel:WORD_0 src1_sel:DWORD
	v_lshrrev_b32_e32 v1, 19, v1
	v_lshrrev_b32_e32 v3, 19, v3
	v_mul_lo_u16_e32 v1, 10, v1
	v_mul_lo_u16_e32 v3, 10, v3
	v_sub_u16_sdwa v1, v19, v1 dst_sel:DWORD dst_unused:UNUSED_PAD src0_sel:WORD_1 src1_sel:DWORD
	v_sub_u16_e32 v2, v2, v3
	v_add_u16_e32 v1, v2, v1
	v_add_u16_e32 v2, -10, v1
	v_min_u16_e32 v2, v1, v2
	s_or_b64 exec, exec, s[34:35]
	s_and_saveexec_b64 s[34:35], s[74:75]
	s_cbranch_execnz .LBB648_209
.LBB648_346:
	s_or_b64 exec, exec, s[34:35]
	s_and_saveexec_b64 s[34:35], s[44:45]
	s_cbranch_execz .LBB648_210
.LBB648_347:
	s_mov_b32 s36, 0xcccd
	v_mul_u32_u24_sdwa v1, v20, s36 dst_sel:DWORD dst_unused:UNUSED_PAD src0_sel:WORD_1 src1_sel:DWORD
	v_mul_u32_u24_sdwa v3, v2, s36 dst_sel:DWORD dst_unused:UNUSED_PAD src0_sel:WORD_0 src1_sel:DWORD
	v_lshrrev_b32_e32 v1, 19, v1
	v_lshrrev_b32_e32 v3, 19, v3
	v_mul_lo_u16_e32 v1, 10, v1
	v_mul_lo_u16_e32 v3, 10, v3
	v_sub_u16_sdwa v1, v20, v1 dst_sel:DWORD dst_unused:UNUSED_PAD src0_sel:WORD_1 src1_sel:DWORD
	v_sub_u16_e32 v2, v2, v3
	v_add_u16_e32 v1, v2, v1
	v_add_u16_e32 v2, -10, v1
	v_min_u16_e32 v2, v1, v2
	s_or_b64 exec, exec, s[34:35]
	s_and_saveexec_b64 s[34:35], s[78:79]
	s_cbranch_execnz .LBB648_211
.LBB648_348:
	s_or_b64 exec, exec, s[34:35]
	s_and_saveexec_b64 s[34:35], s[80:81]
	s_cbranch_execz .LBB648_212
.LBB648_349:
	s_mov_b32 s36, 0xcccd
	v_mul_u32_u24_sdwa v1, v21, s36 dst_sel:DWORD dst_unused:UNUSED_PAD src0_sel:WORD_1 src1_sel:DWORD
	v_mul_u32_u24_sdwa v3, v2, s36 dst_sel:DWORD dst_unused:UNUSED_PAD src0_sel:WORD_0 src1_sel:DWORD
	v_lshrrev_b32_e32 v1, 19, v1
	v_lshrrev_b32_e32 v3, 19, v3
	v_mul_lo_u16_e32 v1, 10, v1
	v_mul_lo_u16_e32 v3, 10, v3
	v_sub_u16_sdwa v1, v21, v1 dst_sel:DWORD dst_unused:UNUSED_PAD src0_sel:WORD_1 src1_sel:DWORD
	v_sub_u16_e32 v2, v2, v3
	v_add_u16_e32 v1, v2, v1
	v_add_u16_e32 v2, -10, v1
	v_min_u16_e32 v2, v1, v2
	s_or_b64 exec, exec, s[34:35]
	s_and_saveexec_b64 s[34:35], s[82:83]
	s_cbranch_execnz .LBB648_213
.LBB648_350:
	s_or_b64 exec, exec, s[34:35]
	s_and_saveexec_b64 s[34:35], s[84:85]
	s_cbranch_execz .LBB648_214
.LBB648_351:
	s_mov_b32 s36, 0xcccd
	v_mul_u32_u24_sdwa v1, v22, s36 dst_sel:DWORD dst_unused:UNUSED_PAD src0_sel:WORD_1 src1_sel:DWORD
	v_mul_u32_u24_sdwa v3, v2, s36 dst_sel:DWORD dst_unused:UNUSED_PAD src0_sel:WORD_0 src1_sel:DWORD
	v_lshrrev_b32_e32 v1, 19, v1
	v_lshrrev_b32_e32 v3, 19, v3
	v_mul_lo_u16_e32 v1, 10, v1
	v_mul_lo_u16_e32 v3, 10, v3
	v_sub_u16_sdwa v1, v22, v1 dst_sel:DWORD dst_unused:UNUSED_PAD src0_sel:WORD_1 src1_sel:DWORD
	v_sub_u16_e32 v2, v2, v3
	v_add_u16_e32 v1, v2, v1
	v_add_u16_e32 v2, -10, v1
	v_min_u16_e32 v2, v1, v2
	s_or_b64 exec, exec, s[34:35]
	s_and_saveexec_b64 s[34:35], s[86:87]
	s_cbranch_execnz .LBB648_215
.LBB648_352:
	s_or_b64 exec, exec, s[34:35]
	s_and_saveexec_b64 s[34:35], s[88:89]
	s_cbranch_execz .LBB648_216
.LBB648_353:
	s_mov_b32 s36, 0xcccd
	v_mul_u32_u24_sdwa v1, v23, s36 dst_sel:DWORD dst_unused:UNUSED_PAD src0_sel:WORD_1 src1_sel:DWORD
	v_mul_u32_u24_sdwa v3, v2, s36 dst_sel:DWORD dst_unused:UNUSED_PAD src0_sel:WORD_0 src1_sel:DWORD
	v_lshrrev_b32_e32 v1, 19, v1
	v_lshrrev_b32_e32 v3, 19, v3
	v_mul_lo_u16_e32 v1, 10, v1
	v_mul_lo_u16_e32 v3, 10, v3
	v_sub_u16_sdwa v1, v23, v1 dst_sel:DWORD dst_unused:UNUSED_PAD src0_sel:WORD_1 src1_sel:DWORD
	v_sub_u16_e32 v2, v2, v3
	v_add_u16_e32 v1, v2, v1
	v_add_u16_e32 v2, -10, v1
	v_min_u16_e32 v2, v1, v2
	s_or_b64 exec, exec, s[34:35]
	s_and_saveexec_b64 s[34:35], s[90:91]
	s_cbranch_execnz .LBB648_217
.LBB648_354:
	s_or_b64 exec, exec, s[34:35]
	s_and_saveexec_b64 s[34:35], s[92:93]
	s_cbranch_execz .LBB648_218
.LBB648_355:
	s_mov_b32 s36, 0xcccd
	v_mul_u32_u24_sdwa v1, v24, s36 dst_sel:DWORD dst_unused:UNUSED_PAD src0_sel:WORD_1 src1_sel:DWORD
	v_mul_u32_u24_sdwa v3, v2, s36 dst_sel:DWORD dst_unused:UNUSED_PAD src0_sel:WORD_0 src1_sel:DWORD
	v_lshrrev_b32_e32 v1, 19, v1
	v_lshrrev_b32_e32 v3, 19, v3
	v_mul_lo_u16_e32 v1, 10, v1
	v_mul_lo_u16_e32 v3, 10, v3
	v_sub_u16_sdwa v1, v24, v1 dst_sel:DWORD dst_unused:UNUSED_PAD src0_sel:WORD_1 src1_sel:DWORD
	v_sub_u16_e32 v2, v2, v3
	v_add_u16_e32 v1, v2, v1
	v_add_u16_e32 v2, -10, v1
	v_min_u16_e32 v2, v1, v2
	s_or_b64 exec, exec, s[34:35]
	s_and_saveexec_b64 s[34:35], s[94:95]
	s_cbranch_execnz .LBB648_219
.LBB648_356:
	s_or_b64 exec, exec, s[34:35]
	s_and_saveexec_b64 s[34:35], s[96:97]
	s_cbranch_execz .LBB648_220
.LBB648_357:
	s_mov_b32 s36, 0xcccd
	v_mul_u32_u24_sdwa v1, v25, s36 dst_sel:DWORD dst_unused:UNUSED_PAD src0_sel:WORD_1 src1_sel:DWORD
	v_mul_u32_u24_sdwa v3, v2, s36 dst_sel:DWORD dst_unused:UNUSED_PAD src0_sel:WORD_0 src1_sel:DWORD
	v_lshrrev_b32_e32 v1, 19, v1
	v_lshrrev_b32_e32 v3, 19, v3
	v_mul_lo_u16_e32 v1, 10, v1
	v_mul_lo_u16_e32 v3, 10, v3
	v_sub_u16_sdwa v1, v25, v1 dst_sel:DWORD dst_unused:UNUSED_PAD src0_sel:WORD_1 src1_sel:DWORD
	v_sub_u16_e32 v2, v2, v3
	v_add_u16_e32 v1, v2, v1
	v_add_u16_e32 v2, -10, v1
	v_min_u16_e32 v2, v1, v2
	s_or_b64 exec, exec, s[34:35]
	s_and_saveexec_b64 s[34:35], s[98:99]
	s_cbranch_execnz .LBB648_221
.LBB648_358:
	s_or_b64 exec, exec, s[34:35]
	s_and_saveexec_b64 s[34:35], s[4:5]
	s_cbranch_execz .LBB648_222
.LBB648_359:
	s_mov_b32 s4, 0xcccd
	v_mul_u32_u24_sdwa v1, v26, s4 dst_sel:DWORD dst_unused:UNUSED_PAD src0_sel:WORD_1 src1_sel:DWORD
	v_mul_u32_u24_sdwa v3, v2, s4 dst_sel:DWORD dst_unused:UNUSED_PAD src0_sel:WORD_0 src1_sel:DWORD
	v_lshrrev_b32_e32 v1, 19, v1
	v_lshrrev_b32_e32 v3, 19, v3
	v_mul_lo_u16_e32 v1, 10, v1
	v_mul_lo_u16_e32 v3, 10, v3
	v_sub_u16_sdwa v1, v26, v1 dst_sel:DWORD dst_unused:UNUSED_PAD src0_sel:WORD_1 src1_sel:DWORD
	v_sub_u16_e32 v2, v2, v3
	v_add_u16_e32 v1, v2, v1
	v_add_u16_e32 v2, -10, v1
	v_min_u16_e32 v2, v1, v2
	s_or_b64 exec, exec, s[34:35]
	s_and_saveexec_b64 s[4:5], s[6:7]
	s_cbranch_execnz .LBB648_223
.LBB648_360:
	s_or_b64 exec, exec, s[4:5]
	s_and_saveexec_b64 s[4:5], s[8:9]
	s_cbranch_execz .LBB648_224
.LBB648_361:
	s_mov_b32 s6, 0xcccd
	v_mul_u32_u24_sdwa v1, v27, s6 dst_sel:DWORD dst_unused:UNUSED_PAD src0_sel:WORD_1 src1_sel:DWORD
	v_mul_u32_u24_sdwa v3, v2, s6 dst_sel:DWORD dst_unused:UNUSED_PAD src0_sel:WORD_0 src1_sel:DWORD
	v_lshrrev_b32_e32 v1, 19, v1
	v_lshrrev_b32_e32 v3, 19, v3
	v_mul_lo_u16_e32 v1, 10, v1
	v_mul_lo_u16_e32 v3, 10, v3
	v_sub_u16_sdwa v1, v27, v1 dst_sel:DWORD dst_unused:UNUSED_PAD src0_sel:WORD_1 src1_sel:DWORD
	v_sub_u16_e32 v2, v2, v3
	v_add_u16_e32 v1, v2, v1
	v_add_u16_e32 v2, -10, v1
	v_min_u16_e32 v2, v1, v2
	s_or_b64 exec, exec, s[4:5]
	s_and_saveexec_b64 s[4:5], s[10:11]
	s_cbranch_execnz .LBB648_225
.LBB648_362:
	s_or_b64 exec, exec, s[4:5]
	s_and_saveexec_b64 s[4:5], s[12:13]
	s_cbranch_execz .LBB648_226
.LBB648_363:
	s_mov_b32 s6, 0xcccd
	v_mul_u32_u24_sdwa v1, v28, s6 dst_sel:DWORD dst_unused:UNUSED_PAD src0_sel:WORD_1 src1_sel:DWORD
	v_mul_u32_u24_sdwa v3, v2, s6 dst_sel:DWORD dst_unused:UNUSED_PAD src0_sel:WORD_0 src1_sel:DWORD
	v_lshrrev_b32_e32 v1, 19, v1
	v_lshrrev_b32_e32 v3, 19, v3
	v_mul_lo_u16_e32 v1, 10, v1
	v_mul_lo_u16_e32 v3, 10, v3
	v_sub_u16_sdwa v1, v28, v1 dst_sel:DWORD dst_unused:UNUSED_PAD src0_sel:WORD_1 src1_sel:DWORD
	v_sub_u16_e32 v2, v2, v3
	v_add_u16_e32 v1, v2, v1
	v_add_u16_e32 v2, -10, v1
	v_min_u16_e32 v2, v1, v2
	s_or_b64 exec, exec, s[4:5]
	s_and_saveexec_b64 s[4:5], s[14:15]
	s_cbranch_execnz .LBB648_227
.LBB648_364:
	s_or_b64 exec, exec, s[4:5]
	s_and_saveexec_b64 s[4:5], s[16:17]
	s_cbranch_execz .LBB648_228
.LBB648_365:
	s_mov_b32 s6, 0xcccd
	v_mul_u32_u24_sdwa v1, v29, s6 dst_sel:DWORD dst_unused:UNUSED_PAD src0_sel:WORD_1 src1_sel:DWORD
	v_mul_u32_u24_sdwa v3, v2, s6 dst_sel:DWORD dst_unused:UNUSED_PAD src0_sel:WORD_0 src1_sel:DWORD
	v_lshrrev_b32_e32 v1, 19, v1
	v_lshrrev_b32_e32 v3, 19, v3
	v_mul_lo_u16_e32 v1, 10, v1
	v_mul_lo_u16_e32 v3, 10, v3
	v_sub_u16_sdwa v1, v29, v1 dst_sel:DWORD dst_unused:UNUSED_PAD src0_sel:WORD_1 src1_sel:DWORD
	v_sub_u16_e32 v2, v2, v3
	v_add_u16_e32 v1, v2, v1
	v_add_u16_e32 v2, -10, v1
	v_min_u16_e32 v2, v1, v2
	s_or_b64 exec, exec, s[4:5]
	s_and_saveexec_b64 s[4:5], s[18:19]
	s_cbranch_execnz .LBB648_229
.LBB648_366:
	s_or_b64 exec, exec, s[4:5]
	s_and_saveexec_b64 s[4:5], s[20:21]
	s_cbranch_execz .LBB648_230
.LBB648_367:
	s_mov_b32 s6, 0xcccd
	v_mul_u32_u24_sdwa v1, v30, s6 dst_sel:DWORD dst_unused:UNUSED_PAD src0_sel:WORD_1 src1_sel:DWORD
	v_mul_u32_u24_sdwa v3, v2, s6 dst_sel:DWORD dst_unused:UNUSED_PAD src0_sel:WORD_0 src1_sel:DWORD
	v_lshrrev_b32_e32 v1, 19, v1
	v_lshrrev_b32_e32 v3, 19, v3
	v_mul_lo_u16_e32 v1, 10, v1
	v_mul_lo_u16_e32 v3, 10, v3
	v_sub_u16_sdwa v1, v30, v1 dst_sel:DWORD dst_unused:UNUSED_PAD src0_sel:WORD_1 src1_sel:DWORD
	v_sub_u16_e32 v2, v2, v3
	v_add_u16_e32 v1, v2, v1
	v_add_u16_e32 v2, -10, v1
	v_min_u16_e32 v2, v1, v2
	s_or_b64 exec, exec, s[4:5]
	s_and_saveexec_b64 s[4:5], s[22:23]
	s_cbranch_execnz .LBB648_231
.LBB648_368:
	s_or_b64 exec, exec, s[4:5]
	s_and_saveexec_b64 s[4:5], s[24:25]
	s_cbranch_execz .LBB648_232
.LBB648_369:
	s_mov_b32 s6, 0xcccd
	v_mul_u32_u24_sdwa v1, v31, s6 dst_sel:DWORD dst_unused:UNUSED_PAD src0_sel:WORD_1 src1_sel:DWORD
	v_mul_u32_u24_sdwa v3, v2, s6 dst_sel:DWORD dst_unused:UNUSED_PAD src0_sel:WORD_0 src1_sel:DWORD
	v_lshrrev_b32_e32 v1, 19, v1
	v_lshrrev_b32_e32 v3, 19, v3
	v_mul_lo_u16_e32 v1, 10, v1
	v_mul_lo_u16_e32 v3, 10, v3
	v_sub_u16_sdwa v1, v31, v1 dst_sel:DWORD dst_unused:UNUSED_PAD src0_sel:WORD_1 src1_sel:DWORD
	v_sub_u16_e32 v2, v2, v3
	v_add_u16_e32 v1, v2, v1
	v_add_u16_e32 v2, -10, v1
	v_min_u16_e32 v2, v1, v2
	s_or_b64 exec, exec, s[4:5]
	s_and_saveexec_b64 s[4:5], s[26:27]
	s_cbranch_execnz .LBB648_233
.LBB648_370:
	s_or_b64 exec, exec, s[4:5]
	s_and_saveexec_b64 s[4:5], s[28:29]
	s_cbranch_execz .LBB648_234
.LBB648_371:
	s_mov_b32 s6, 0xcccd
	v_mul_u32_u24_sdwa v1, v32, s6 dst_sel:DWORD dst_unused:UNUSED_PAD src0_sel:WORD_1 src1_sel:DWORD
	v_mul_u32_u24_sdwa v3, v2, s6 dst_sel:DWORD dst_unused:UNUSED_PAD src0_sel:WORD_0 src1_sel:DWORD
	v_lshrrev_b32_e32 v1, 19, v1
	v_lshrrev_b32_e32 v3, 19, v3
	v_mul_lo_u16_e32 v1, 10, v1
	v_mul_lo_u16_e32 v3, 10, v3
	v_sub_u16_sdwa v1, v32, v1 dst_sel:DWORD dst_unused:UNUSED_PAD src0_sel:WORD_1 src1_sel:DWORD
	v_sub_u16_e32 v2, v2, v3
	v_add_u16_e32 v1, v2, v1
	v_add_u16_e32 v2, -10, v1
	v_min_u16_e32 v2, v1, v2
	s_or_b64 exec, exec, s[4:5]
	s_and_saveexec_b64 s[4:5], s[30:31]
	s_cbranch_execnz .LBB648_235
.LBB648_372:
	s_or_b64 exec, exec, s[4:5]
	s_and_saveexec_b64 s[4:5], vcc
	s_cbranch_execz .LBB648_374
.LBB648_373:
	s_mov_b32 s6, 0xcccd
	v_mul_u32_u24_sdwa v1, v33, s6 dst_sel:DWORD dst_unused:UNUSED_PAD src0_sel:WORD_1 src1_sel:DWORD
	v_mul_u32_u24_sdwa v3, v2, s6 dst_sel:DWORD dst_unused:UNUSED_PAD src0_sel:WORD_0 src1_sel:DWORD
	v_lshrrev_b32_e32 v1, 19, v1
	v_lshrrev_b32_e32 v3, 19, v3
	v_mul_lo_u16_e32 v1, 10, v1
	v_mul_lo_u16_e32 v3, 10, v3
	v_sub_u16_sdwa v1, v33, v1 dst_sel:DWORD dst_unused:UNUSED_PAD src0_sel:WORD_1 src1_sel:DWORD
	v_sub_u16_e32 v2, v2, v3
	v_add_u16_e32 v1, v2, v1
	v_add_u16_e32 v2, -10, v1
	v_min_u16_e32 v2, v1, v2
.LBB648_374:
	s_or_b64 exec, exec, s[4:5]
	v_mbcnt_lo_u32_b32 v1, -1, 0
	v_mbcnt_hi_u32_b32 v1, -1, v1
	v_and_b32_e32 v3, 63, v1
	v_cmp_ne_u32_e32 vcc, 63, v3
	v_and_b32_e32 v5, 0xffff, v2
	s_min_u32 s6, s77, 0x80
	v_addc_co_u32_e32 v4, vcc, 0, v1, vcc
	v_lshlrev_b32_e32 v4, 2, v4
	ds_bpermute_b32 v6, v4, v5
	v_and_b32_e32 v4, 64, v0
	v_sub_u32_e64 v4, s6, v4 clamp
	v_add_u32_e32 v7, 1, v3
	v_cmp_lt_u32_e32 vcc, v7, v4
	s_and_saveexec_b64 s[4:5], vcc
	s_xor_b64 s[4:5], exec, s[4:5]
	s_cbranch_execz .LBB648_376
; %bb.375:
	s_mov_b32 s7, 0xcccd
	s_waitcnt lgkmcnt(0)
	v_mul_u32_u24_sdwa v5, v6, s7 dst_sel:DWORD dst_unused:UNUSED_PAD src0_sel:WORD_0 src1_sel:DWORD
	v_lshrrev_b32_e32 v5, 19, v5
	v_mul_lo_u16_e32 v5, 10, v5
	v_sub_u16_e32 v5, v6, v5
	v_mul_u32_u24_sdwa v6, v2, s7 dst_sel:DWORD dst_unused:UNUSED_PAD src0_sel:WORD_0 src1_sel:DWORD
	v_lshrrev_b32_e32 v6, 19, v6
	v_mul_lo_u16_e32 v6, 10, v6
	v_sub_u16_e32 v2, v2, v6
	v_add_u16_e32 v5, v5, v2
	v_add_u16_e32 v6, -10, v5
	v_min_u16_e32 v2, v5, v6
	v_min_u16_e32 v5, v5, v6
.LBB648_376:
	s_or_b64 exec, exec, s[4:5]
	v_cmp_gt_u32_e32 vcc, 62, v3
	v_add_u32_e32 v7, 2, v3
	s_waitcnt lgkmcnt(0)
	v_cndmask_b32_e64 v6, 0, 2, vcc
	v_add_lshl_u32 v6, v6, v1, 2
	ds_bpermute_b32 v6, v6, v5
	v_cmp_lt_u32_e32 vcc, v7, v4
	s_and_saveexec_b64 s[4:5], vcc
	s_cbranch_execz .LBB648_378
; %bb.377:
	s_mov_b32 s7, 0xcccd
	s_waitcnt lgkmcnt(0)
	v_mul_u32_u24_sdwa v5, v6, s7 dst_sel:DWORD dst_unused:UNUSED_PAD src0_sel:WORD_0 src1_sel:DWORD
	v_lshrrev_b32_e32 v5, 19, v5
	v_mul_lo_u16_e32 v5, 10, v5
	v_sub_u16_e32 v5, v6, v5
	v_mul_u32_u24_sdwa v6, v2, s7 dst_sel:DWORD dst_unused:UNUSED_PAD src0_sel:WORD_0 src1_sel:DWORD
	v_lshrrev_b32_e32 v6, 19, v6
	v_mul_lo_u16_e32 v6, 10, v6
	v_sub_u16_e32 v2, v2, v6
	v_add_u16_e32 v5, v5, v2
	v_add_u16_e32 v6, -10, v5
	v_min_u16_e32 v2, v5, v6
	v_min_u16_e32 v5, v5, v6
.LBB648_378:
	s_or_b64 exec, exec, s[4:5]
	v_cmp_gt_u32_e32 vcc, 60, v3
	v_add_u32_e32 v7, 4, v3
	s_waitcnt lgkmcnt(0)
	v_cndmask_b32_e64 v6, 0, 4, vcc
	v_add_lshl_u32 v6, v6, v1, 2
	ds_bpermute_b32 v6, v6, v5
	v_cmp_lt_u32_e32 vcc, v7, v4
	s_and_saveexec_b64 s[4:5], vcc
	;; [unrolled: 26-line block ×4, first 2 shown]
	s_cbranch_execz .LBB648_384
; %bb.383:
	s_mov_b32 s7, 0xcccd
	s_waitcnt lgkmcnt(0)
	v_mul_u32_u24_sdwa v5, v6, s7 dst_sel:DWORD dst_unused:UNUSED_PAD src0_sel:WORD_0 src1_sel:DWORD
	v_lshrrev_b32_e32 v5, 19, v5
	v_mul_lo_u16_e32 v5, 10, v5
	v_sub_u16_e32 v5, v6, v5
	v_mul_u32_u24_sdwa v6, v2, s7 dst_sel:DWORD dst_unused:UNUSED_PAD src0_sel:WORD_0 src1_sel:DWORD
	v_lshrrev_b32_e32 v6, 19, v6
	v_mul_lo_u16_e32 v6, 10, v6
	v_sub_u16_e32 v2, v2, v6
	v_add_u16_e32 v5, v5, v2
	v_add_u16_e32 v6, -10, v5
	v_min_u16_e32 v2, v5, v6
	v_min_u16_e32 v5, v5, v6
.LBB648_384:
	s_or_b64 exec, exec, s[4:5]
	s_waitcnt lgkmcnt(0)
	v_lshlrev_b32_e32 v6, 2, v1
	v_or_b32_e32 v7, 0x80, v6
	ds_bpermute_b32 v5, v7, v5
	v_add_u32_e32 v3, 32, v3
	v_cmp_lt_u32_e32 vcc, v3, v4
	s_and_saveexec_b64 s[4:5], vcc
	s_cbranch_execz .LBB648_386
; %bb.385:
	s_mov_b32 s7, 0xcccd
	s_waitcnt lgkmcnt(0)
	v_mul_u32_u24_sdwa v3, v5, s7 dst_sel:DWORD dst_unused:UNUSED_PAD src0_sel:WORD_0 src1_sel:DWORD
	v_mul_u32_u24_sdwa v4, v2, s7 dst_sel:DWORD dst_unused:UNUSED_PAD src0_sel:WORD_0 src1_sel:DWORD
	v_lshrrev_b32_e32 v3, 19, v3
	v_lshrrev_b32_e32 v4, 19, v4
	v_mul_lo_u16_e32 v3, 10, v3
	v_mul_lo_u16_e32 v4, 10, v4
	v_sub_u16_e32 v3, v5, v3
	v_sub_u16_e32 v2, v2, v4
	v_add_u16_e32 v2, v3, v2
	v_add_u16_e32 v3, -10, v2
	v_min_u16_e32 v2, v2, v3
.LBB648_386:
	s_or_b64 exec, exec, s[4:5]
	v_cmp_eq_u32_e32 vcc, 0, v1
	s_and_saveexec_b64 s[4:5], vcc
; %bb.387:
	v_lshrrev_b32_e32 v3, 5, v0
	v_and_b32_e32 v3, 2, v3
	ds_write_b16 v3, v2
; %bb.388:
	s_or_b64 exec, exec, s[4:5]
	v_cmp_gt_u32_e32 vcc, 2, v0
	s_waitcnt lgkmcnt(0)
	s_barrier
	s_and_saveexec_b64 s[4:5], vcc
	s_cbranch_execz .LBB648_392
; %bb.389:
	v_lshlrev_b32_e32 v2, 1, v1
	ds_read_u16 v2, v2
	v_or_b32_e32 v4, 4, v6
	s_add_i32 s6, s6, 63
	v_and_b32_e32 v1, 1, v1
	s_lshr_b32 s6, s6, 6
	s_waitcnt lgkmcnt(0)
	v_and_b32_e32 v3, 0xffff, v2
	ds_bpermute_b32 v4, v4, v3
	v_add_u32_e32 v1, 1, v1
	v_cmp_gt_u32_e32 vcc, s6, v1
	s_and_saveexec_b64 s[6:7], vcc
	s_cbranch_execz .LBB648_391
; %bb.390:
	s_mov_b32 s8, 0xcccd
	s_waitcnt lgkmcnt(0)
	v_mul_u32_u24_sdwa v1, v4, s8 dst_sel:DWORD dst_unused:UNUSED_PAD src0_sel:WORD_0 src1_sel:DWORD
	v_mul_u32_u24_e32 v3, 0xcccd, v3
	v_lshrrev_b32_e32 v1, 19, v1
	v_lshrrev_b32_e32 v3, 19, v3
	v_mul_lo_u16_e32 v1, 10, v1
	v_mul_lo_u16_e32 v3, 10, v3
	v_sub_u16_e32 v1, v4, v1
	v_sub_u16_e32 v2, v2, v3
	v_add_u16_e32 v1, v1, v2
	v_add_u16_e32 v2, -10, v1
	v_min_u16_e32 v2, v1, v2
.LBB648_391:
	s_or_b64 exec, exec, s[6:7]
.LBB648_392:
	s_or_b64 exec, exec, s[4:5]
.LBB648_393:
	v_cmp_eq_u32_e32 vcc, 0, v0
	s_mov_b64 s[66:67], 0
                                        ; implicit-def: $vgpr1
	s_and_saveexec_b64 s[4:5], vcc
	s_xor_b64 s[4:5], exec, s[4:5]
	s_cbranch_execz .LBB648_397
; %bb.394:
	s_cmp_eq_u64 s[70:71], 0
	v_mov_b32_e32 v1, s33
	s_cbranch_scc1 .LBB648_396
; %bb.395:
	s_mov_b32 s6, 0xcccd
	v_mul_u32_u24_sdwa v1, v2, s6 dst_sel:DWORD dst_unused:UNUSED_PAD src0_sel:WORD_0 src1_sel:DWORD
	s_and_b32 s6, 0xffff, s33
	s_mul_i32 s6, s6, 0xcccd
	v_lshrrev_b32_e32 v1, 19, v1
	s_lshr_b32 s6, s6, 19
	v_mul_lo_u16_e32 v1, 10, v1
	s_mul_i32 s6, s6, 10
	v_sub_u16_e32 v1, v2, v1
	s_sub_i32 s6, s33, s6
	v_add_u16_e32 v1, s6, v1
	v_add_u16_e32 v2, -10, v1
	v_min_u16_e32 v1, v1, v2
.LBB648_396:
	s_mov_b64 s[66:67], exec
.LBB648_397:
	s_or_b64 exec, exec, s[4:5]
	s_and_b64 vcc, exec, s[38:39]
	s_cbranch_vccnz .LBB648_14
.LBB648_398:
	s_branch .LBB648_561
.LBB648_399:
	s_or_b64 exec, exec, s[74:75]
	s_and_saveexec_b64 s[72:73], vcc
	s_cbranch_execz .LBB648_302
.LBB648_400:
	s_mov_b32 s74, 0xcccd
	v_mul_u32_u24_sdwa v1, v2, s74 dst_sel:DWORD dst_unused:UNUSED_PAD src0_sel:WORD_1 src1_sel:DWORD
	v_mul_u32_u24_sdwa v18, v2, s74 dst_sel:DWORD dst_unused:UNUSED_PAD src0_sel:WORD_0 src1_sel:DWORD
	v_lshrrev_b32_e32 v1, 19, v1
	v_lshrrev_b32_e32 v18, 19, v18
	v_mul_lo_u16_e32 v1, 10, v1
	v_mul_lo_u16_e32 v18, 10, v18
	v_sub_u16_sdwa v1, v2, v1 dst_sel:DWORD dst_unused:UNUSED_PAD src0_sel:WORD_1 src1_sel:DWORD
	v_sub_u16_e32 v2, v2, v18
	v_add_u16_e32 v1, v1, v2
	v_add_u16_e32 v2, -10, v1
	v_min_u16_e32 v2, v1, v2
	s_or_b64 exec, exec, s[72:73]
	s_and_saveexec_b64 s[72:73], s[4:5]
	s_cbranch_execnz .LBB648_303
.LBB648_401:
	s_or_b64 exec, exec, s[72:73]
	s_and_saveexec_b64 s[4:5], s[6:7]
	s_cbranch_execz .LBB648_304
.LBB648_402:
	s_mov_b32 s6, 0xcccd
	v_mul_u32_u24_sdwa v1, v3, s6 dst_sel:DWORD dst_unused:UNUSED_PAD src0_sel:WORD_1 src1_sel:DWORD
	v_lshrrev_b32_e32 v1, 19, v1
	v_mul_lo_u16_e32 v1, 10, v1
	v_sub_u16_sdwa v1, v3, v1 dst_sel:DWORD dst_unused:UNUSED_PAD src0_sel:WORD_1 src1_sel:DWORD
	v_mul_u32_u24_sdwa v3, v2, s6 dst_sel:DWORD dst_unused:UNUSED_PAD src0_sel:WORD_0 src1_sel:DWORD
	v_lshrrev_b32_e32 v3, 19, v3
	v_mul_lo_u16_e32 v3, 10, v3
	v_sub_u16_e32 v2, v2, v3
	v_add_u16_e32 v1, v2, v1
	v_add_u16_e32 v2, -10, v1
	v_min_u16_e32 v2, v1, v2
	s_or_b64 exec, exec, s[4:5]
	s_and_saveexec_b64 s[4:5], s[8:9]
	s_cbranch_execnz .LBB648_305
.LBB648_403:
	s_or_b64 exec, exec, s[4:5]
	s_and_saveexec_b64 s[4:5], s[10:11]
	s_cbranch_execz .LBB648_306
.LBB648_404:
	s_mov_b32 s6, 0xcccd
	v_mul_u32_u24_sdwa v1, v4, s6 dst_sel:DWORD dst_unused:UNUSED_PAD src0_sel:WORD_1 src1_sel:DWORD
	v_mul_u32_u24_sdwa v3, v2, s6 dst_sel:DWORD dst_unused:UNUSED_PAD src0_sel:WORD_0 src1_sel:DWORD
	v_lshrrev_b32_e32 v1, 19, v1
	v_lshrrev_b32_e32 v3, 19, v3
	v_mul_lo_u16_e32 v1, 10, v1
	v_mul_lo_u16_e32 v3, 10, v3
	v_sub_u16_sdwa v1, v4, v1 dst_sel:DWORD dst_unused:UNUSED_PAD src0_sel:WORD_1 src1_sel:DWORD
	v_sub_u16_e32 v2, v2, v3
	v_add_u16_e32 v1, v2, v1
	v_add_u16_e32 v2, -10, v1
	v_min_u16_e32 v2, v1, v2
	s_or_b64 exec, exec, s[4:5]
	s_and_saveexec_b64 s[4:5], s[12:13]
	s_cbranch_execnz .LBB648_307
.LBB648_405:
	s_or_b64 exec, exec, s[4:5]
	s_and_saveexec_b64 s[4:5], s[14:15]
	s_cbranch_execz .LBB648_308
.LBB648_406:
	s_mov_b32 s6, 0xcccd
	v_mul_u32_u24_sdwa v1, v5, s6 dst_sel:DWORD dst_unused:UNUSED_PAD src0_sel:WORD_1 src1_sel:DWORD
	v_mul_u32_u24_sdwa v3, v2, s6 dst_sel:DWORD dst_unused:UNUSED_PAD src0_sel:WORD_0 src1_sel:DWORD
	v_lshrrev_b32_e32 v1, 19, v1
	v_lshrrev_b32_e32 v3, 19, v3
	v_mul_lo_u16_e32 v1, 10, v1
	v_mul_lo_u16_e32 v3, 10, v3
	v_sub_u16_sdwa v1, v5, v1 dst_sel:DWORD dst_unused:UNUSED_PAD src0_sel:WORD_1 src1_sel:DWORD
	v_sub_u16_e32 v2, v2, v3
	v_add_u16_e32 v1, v2, v1
	v_add_u16_e32 v2, -10, v1
	v_min_u16_e32 v2, v1, v2
	s_or_b64 exec, exec, s[4:5]
	s_and_saveexec_b64 s[4:5], s[16:17]
	s_cbranch_execnz .LBB648_309
.LBB648_407:
	s_or_b64 exec, exec, s[4:5]
	s_and_saveexec_b64 s[4:5], s[18:19]
	s_cbranch_execz .LBB648_310
.LBB648_408:
	s_mov_b32 s6, 0xcccd
	v_mul_u32_u24_sdwa v1, v6, s6 dst_sel:DWORD dst_unused:UNUSED_PAD src0_sel:WORD_1 src1_sel:DWORD
	v_mul_u32_u24_sdwa v3, v2, s6 dst_sel:DWORD dst_unused:UNUSED_PAD src0_sel:WORD_0 src1_sel:DWORD
	v_lshrrev_b32_e32 v1, 19, v1
	v_lshrrev_b32_e32 v3, 19, v3
	v_mul_lo_u16_e32 v1, 10, v1
	v_mul_lo_u16_e32 v3, 10, v3
	v_sub_u16_sdwa v1, v6, v1 dst_sel:DWORD dst_unused:UNUSED_PAD src0_sel:WORD_1 src1_sel:DWORD
	v_sub_u16_e32 v2, v2, v3
	v_add_u16_e32 v1, v2, v1
	v_add_u16_e32 v2, -10, v1
	v_min_u16_e32 v2, v1, v2
	s_or_b64 exec, exec, s[4:5]
	s_and_saveexec_b64 s[4:5], s[20:21]
	s_cbranch_execnz .LBB648_311
.LBB648_409:
	s_or_b64 exec, exec, s[4:5]
	s_and_saveexec_b64 s[4:5], s[22:23]
	s_cbranch_execz .LBB648_312
.LBB648_410:
	s_mov_b32 s6, 0xcccd
	v_mul_u32_u24_sdwa v1, v7, s6 dst_sel:DWORD dst_unused:UNUSED_PAD src0_sel:WORD_1 src1_sel:DWORD
	v_mul_u32_u24_sdwa v3, v2, s6 dst_sel:DWORD dst_unused:UNUSED_PAD src0_sel:WORD_0 src1_sel:DWORD
	v_lshrrev_b32_e32 v1, 19, v1
	v_lshrrev_b32_e32 v3, 19, v3
	v_mul_lo_u16_e32 v1, 10, v1
	v_mul_lo_u16_e32 v3, 10, v3
	v_sub_u16_sdwa v1, v7, v1 dst_sel:DWORD dst_unused:UNUSED_PAD src0_sel:WORD_1 src1_sel:DWORD
	v_sub_u16_e32 v2, v2, v3
	v_add_u16_e32 v1, v2, v1
	v_add_u16_e32 v2, -10, v1
	v_min_u16_e32 v2, v1, v2
	s_or_b64 exec, exec, s[4:5]
	s_and_saveexec_b64 s[4:5], s[24:25]
	s_cbranch_execnz .LBB648_313
.LBB648_411:
	s_or_b64 exec, exec, s[4:5]
	s_and_saveexec_b64 s[4:5], s[26:27]
	s_cbranch_execz .LBB648_314
.LBB648_412:
	s_mov_b32 s6, 0xcccd
	v_mul_u32_u24_sdwa v1, v8, s6 dst_sel:DWORD dst_unused:UNUSED_PAD src0_sel:WORD_1 src1_sel:DWORD
	v_mul_u32_u24_sdwa v3, v2, s6 dst_sel:DWORD dst_unused:UNUSED_PAD src0_sel:WORD_0 src1_sel:DWORD
	v_lshrrev_b32_e32 v1, 19, v1
	v_lshrrev_b32_e32 v3, 19, v3
	v_mul_lo_u16_e32 v1, 10, v1
	v_mul_lo_u16_e32 v3, 10, v3
	v_sub_u16_sdwa v1, v8, v1 dst_sel:DWORD dst_unused:UNUSED_PAD src0_sel:WORD_1 src1_sel:DWORD
	v_sub_u16_e32 v2, v2, v3
	v_add_u16_e32 v1, v2, v1
	v_add_u16_e32 v2, -10, v1
	v_min_u16_e32 v2, v1, v2
	s_or_b64 exec, exec, s[4:5]
	s_and_saveexec_b64 s[4:5], s[28:29]
	s_cbranch_execnz .LBB648_315
.LBB648_413:
	s_or_b64 exec, exec, s[4:5]
	s_and_saveexec_b64 s[4:5], s[30:31]
	s_cbranch_execz .LBB648_316
.LBB648_414:
	s_mov_b32 s6, 0xcccd
	v_mul_u32_u24_sdwa v1, v9, s6 dst_sel:DWORD dst_unused:UNUSED_PAD src0_sel:WORD_1 src1_sel:DWORD
	v_mul_u32_u24_sdwa v3, v2, s6 dst_sel:DWORD dst_unused:UNUSED_PAD src0_sel:WORD_0 src1_sel:DWORD
	v_lshrrev_b32_e32 v1, 19, v1
	v_lshrrev_b32_e32 v3, 19, v3
	v_mul_lo_u16_e32 v1, 10, v1
	v_mul_lo_u16_e32 v3, 10, v3
	v_sub_u16_sdwa v1, v9, v1 dst_sel:DWORD dst_unused:UNUSED_PAD src0_sel:WORD_1 src1_sel:DWORD
	v_sub_u16_e32 v2, v2, v3
	v_add_u16_e32 v1, v2, v1
	v_add_u16_e32 v2, -10, v1
	v_min_u16_e32 v2, v1, v2
	s_or_b64 exec, exec, s[4:5]
	s_and_saveexec_b64 s[4:5], s[34:35]
	s_cbranch_execnz .LBB648_317
.LBB648_415:
	s_or_b64 exec, exec, s[4:5]
	s_and_saveexec_b64 s[4:5], s[36:37]
	s_cbranch_execz .LBB648_318
.LBB648_416:
	s_mov_b32 s6, 0xcccd
	v_mul_u32_u24_sdwa v1, v10, s6 dst_sel:DWORD dst_unused:UNUSED_PAD src0_sel:WORD_1 src1_sel:DWORD
	v_mul_u32_u24_sdwa v3, v2, s6 dst_sel:DWORD dst_unused:UNUSED_PAD src0_sel:WORD_0 src1_sel:DWORD
	v_lshrrev_b32_e32 v1, 19, v1
	v_lshrrev_b32_e32 v3, 19, v3
	v_mul_lo_u16_e32 v1, 10, v1
	v_mul_lo_u16_e32 v3, 10, v3
	v_sub_u16_sdwa v1, v10, v1 dst_sel:DWORD dst_unused:UNUSED_PAD src0_sel:WORD_1 src1_sel:DWORD
	v_sub_u16_e32 v2, v2, v3
	v_add_u16_e32 v1, v2, v1
	v_add_u16_e32 v2, -10, v1
	v_min_u16_e32 v2, v1, v2
	s_or_b64 exec, exec, s[4:5]
	s_and_saveexec_b64 s[4:5], s[38:39]
	s_cbranch_execnz .LBB648_319
.LBB648_417:
	s_or_b64 exec, exec, s[4:5]
	s_and_saveexec_b64 s[4:5], s[40:41]
	s_cbranch_execz .LBB648_320
.LBB648_418:
	s_mov_b32 s6, 0xcccd
	v_mul_u32_u24_sdwa v1, v11, s6 dst_sel:DWORD dst_unused:UNUSED_PAD src0_sel:WORD_1 src1_sel:DWORD
	v_mul_u32_u24_sdwa v3, v2, s6 dst_sel:DWORD dst_unused:UNUSED_PAD src0_sel:WORD_0 src1_sel:DWORD
	v_lshrrev_b32_e32 v1, 19, v1
	v_lshrrev_b32_e32 v3, 19, v3
	v_mul_lo_u16_e32 v1, 10, v1
	v_mul_lo_u16_e32 v3, 10, v3
	v_sub_u16_sdwa v1, v11, v1 dst_sel:DWORD dst_unused:UNUSED_PAD src0_sel:WORD_1 src1_sel:DWORD
	v_sub_u16_e32 v2, v2, v3
	v_add_u16_e32 v1, v2, v1
	v_add_u16_e32 v2, -10, v1
	v_min_u16_e32 v2, v1, v2
	s_or_b64 exec, exec, s[4:5]
	s_and_saveexec_b64 s[4:5], s[42:43]
	s_cbranch_execnz .LBB648_321
.LBB648_419:
	s_or_b64 exec, exec, s[4:5]
	s_and_saveexec_b64 s[4:5], s[44:45]
	s_cbranch_execz .LBB648_322
.LBB648_420:
	s_mov_b32 s6, 0xcccd
	v_mul_u32_u24_sdwa v1, v12, s6 dst_sel:DWORD dst_unused:UNUSED_PAD src0_sel:WORD_1 src1_sel:DWORD
	v_mul_u32_u24_sdwa v3, v2, s6 dst_sel:DWORD dst_unused:UNUSED_PAD src0_sel:WORD_0 src1_sel:DWORD
	v_lshrrev_b32_e32 v1, 19, v1
	v_lshrrev_b32_e32 v3, 19, v3
	v_mul_lo_u16_e32 v1, 10, v1
	v_mul_lo_u16_e32 v3, 10, v3
	v_sub_u16_sdwa v1, v12, v1 dst_sel:DWORD dst_unused:UNUSED_PAD src0_sel:WORD_1 src1_sel:DWORD
	v_sub_u16_e32 v2, v2, v3
	v_add_u16_e32 v1, v2, v1
	v_add_u16_e32 v2, -10, v1
	v_min_u16_e32 v2, v1, v2
	s_or_b64 exec, exec, s[4:5]
	s_and_saveexec_b64 s[4:5], s[46:47]
	s_cbranch_execnz .LBB648_323
.LBB648_421:
	s_or_b64 exec, exec, s[4:5]
	s_and_saveexec_b64 s[4:5], s[48:49]
	s_cbranch_execz .LBB648_324
.LBB648_422:
	s_mov_b32 s6, 0xcccd
	v_mul_u32_u24_sdwa v1, v13, s6 dst_sel:DWORD dst_unused:UNUSED_PAD src0_sel:WORD_1 src1_sel:DWORD
	v_mul_u32_u24_sdwa v3, v2, s6 dst_sel:DWORD dst_unused:UNUSED_PAD src0_sel:WORD_0 src1_sel:DWORD
	v_lshrrev_b32_e32 v1, 19, v1
	v_lshrrev_b32_e32 v3, 19, v3
	v_mul_lo_u16_e32 v1, 10, v1
	v_mul_lo_u16_e32 v3, 10, v3
	v_sub_u16_sdwa v1, v13, v1 dst_sel:DWORD dst_unused:UNUSED_PAD src0_sel:WORD_1 src1_sel:DWORD
	v_sub_u16_e32 v2, v2, v3
	v_add_u16_e32 v1, v2, v1
	v_add_u16_e32 v2, -10, v1
	v_min_u16_e32 v2, v1, v2
	s_or_b64 exec, exec, s[4:5]
	s_and_saveexec_b64 s[4:5], s[50:51]
	s_cbranch_execnz .LBB648_325
.LBB648_423:
	s_or_b64 exec, exec, s[4:5]
	s_and_saveexec_b64 s[4:5], s[52:53]
	s_cbranch_execz .LBB648_326
.LBB648_424:
	s_mov_b32 s6, 0xcccd
	v_mul_u32_u24_sdwa v1, v14, s6 dst_sel:DWORD dst_unused:UNUSED_PAD src0_sel:WORD_1 src1_sel:DWORD
	v_mul_u32_u24_sdwa v3, v2, s6 dst_sel:DWORD dst_unused:UNUSED_PAD src0_sel:WORD_0 src1_sel:DWORD
	v_lshrrev_b32_e32 v1, 19, v1
	v_lshrrev_b32_e32 v3, 19, v3
	v_mul_lo_u16_e32 v1, 10, v1
	v_mul_lo_u16_e32 v3, 10, v3
	v_sub_u16_sdwa v1, v14, v1 dst_sel:DWORD dst_unused:UNUSED_PAD src0_sel:WORD_1 src1_sel:DWORD
	v_sub_u16_e32 v2, v2, v3
	v_add_u16_e32 v1, v2, v1
	v_add_u16_e32 v2, -10, v1
	v_min_u16_e32 v2, v1, v2
	s_or_b64 exec, exec, s[4:5]
	s_and_saveexec_b64 s[4:5], s[54:55]
	s_cbranch_execnz .LBB648_327
.LBB648_425:
	s_or_b64 exec, exec, s[4:5]
	s_and_saveexec_b64 s[4:5], s[56:57]
	s_cbranch_execz .LBB648_328
.LBB648_426:
	s_mov_b32 s6, 0xcccd
	v_mul_u32_u24_sdwa v1, v15, s6 dst_sel:DWORD dst_unused:UNUSED_PAD src0_sel:WORD_1 src1_sel:DWORD
	v_mul_u32_u24_sdwa v3, v2, s6 dst_sel:DWORD dst_unused:UNUSED_PAD src0_sel:WORD_0 src1_sel:DWORD
	v_lshrrev_b32_e32 v1, 19, v1
	v_lshrrev_b32_e32 v3, 19, v3
	v_mul_lo_u16_e32 v1, 10, v1
	v_mul_lo_u16_e32 v3, 10, v3
	v_sub_u16_sdwa v1, v15, v1 dst_sel:DWORD dst_unused:UNUSED_PAD src0_sel:WORD_1 src1_sel:DWORD
	v_sub_u16_e32 v2, v2, v3
	v_add_u16_e32 v1, v2, v1
	v_add_u16_e32 v2, -10, v1
	v_min_u16_e32 v2, v1, v2
	s_or_b64 exec, exec, s[4:5]
	s_and_saveexec_b64 s[4:5], s[58:59]
	s_cbranch_execnz .LBB648_329
.LBB648_427:
	s_or_b64 exec, exec, s[4:5]
	s_and_saveexec_b64 s[4:5], s[60:61]
	s_cbranch_execz .LBB648_330
.LBB648_428:
	s_mov_b32 s6, 0xcccd
	v_mul_u32_u24_sdwa v1, v16, s6 dst_sel:DWORD dst_unused:UNUSED_PAD src0_sel:WORD_1 src1_sel:DWORD
	v_mul_u32_u24_sdwa v3, v2, s6 dst_sel:DWORD dst_unused:UNUSED_PAD src0_sel:WORD_0 src1_sel:DWORD
	v_lshrrev_b32_e32 v1, 19, v1
	v_lshrrev_b32_e32 v3, 19, v3
	v_mul_lo_u16_e32 v1, 10, v1
	v_mul_lo_u16_e32 v3, 10, v3
	v_sub_u16_sdwa v1, v16, v1 dst_sel:DWORD dst_unused:UNUSED_PAD src0_sel:WORD_1 src1_sel:DWORD
	v_sub_u16_e32 v2, v2, v3
	v_add_u16_e32 v1, v2, v1
	v_add_u16_e32 v2, -10, v1
	v_min_u16_e32 v2, v1, v2
	s_or_b64 exec, exec, s[4:5]
	s_and_saveexec_b64 s[4:5], s[62:63]
	s_cbranch_execnz .LBB648_331
.LBB648_429:
	s_or_b64 exec, exec, s[4:5]
	s_and_saveexec_b64 s[4:5], s[64:65]
	s_cbranch_execz .LBB648_431
.LBB648_430:
	s_mov_b32 s6, 0xcccd
	v_mul_u32_u24_sdwa v1, v17, s6 dst_sel:DWORD dst_unused:UNUSED_PAD src0_sel:WORD_1 src1_sel:DWORD
	v_mul_u32_u24_sdwa v3, v2, s6 dst_sel:DWORD dst_unused:UNUSED_PAD src0_sel:WORD_0 src1_sel:DWORD
	v_lshrrev_b32_e32 v1, 19, v1
	v_lshrrev_b32_e32 v3, 19, v3
	v_mul_lo_u16_e32 v1, 10, v1
	v_mul_lo_u16_e32 v3, 10, v3
	v_sub_u16_sdwa v1, v17, v1 dst_sel:DWORD dst_unused:UNUSED_PAD src0_sel:WORD_1 src1_sel:DWORD
	v_sub_u16_e32 v2, v2, v3
	v_add_u16_e32 v1, v2, v1
	v_add_u16_e32 v2, -10, v1
	v_min_u16_e32 v2, v1, v2
.LBB648_431:
	s_or_b64 exec, exec, s[4:5]
	v_mbcnt_lo_u32_b32 v1, -1, 0
	v_mbcnt_hi_u32_b32 v1, -1, v1
	v_and_b32_e32 v3, 63, v1
	v_cmp_ne_u32_e32 vcc, 63, v3
	v_and_b32_e32 v5, 0xffff, v2
	s_min_u32 s6, s77, 0x80
	v_addc_co_u32_e32 v4, vcc, 0, v1, vcc
	v_lshlrev_b32_e32 v4, 2, v4
	ds_bpermute_b32 v6, v4, v5
	v_and_b32_e32 v4, 64, v0
	v_sub_u32_e64 v4, s6, v4 clamp
	v_add_u32_e32 v7, 1, v3
	v_cmp_lt_u32_e32 vcc, v7, v4
	s_and_saveexec_b64 s[4:5], vcc
	s_xor_b64 s[4:5], exec, s[4:5]
	s_cbranch_execz .LBB648_433
; %bb.432:
	s_mov_b32 s7, 0xcccd
	s_waitcnt lgkmcnt(0)
	v_mul_u32_u24_sdwa v5, v6, s7 dst_sel:DWORD dst_unused:UNUSED_PAD src0_sel:WORD_0 src1_sel:DWORD
	v_lshrrev_b32_e32 v5, 19, v5
	v_mul_lo_u16_e32 v5, 10, v5
	v_sub_u16_e32 v5, v6, v5
	v_mul_u32_u24_sdwa v6, v2, s7 dst_sel:DWORD dst_unused:UNUSED_PAD src0_sel:WORD_0 src1_sel:DWORD
	v_lshrrev_b32_e32 v6, 19, v6
	v_mul_lo_u16_e32 v6, 10, v6
	v_sub_u16_e32 v2, v2, v6
	v_add_u16_e32 v5, v5, v2
	v_add_u16_e32 v6, -10, v5
	v_min_u16_e32 v2, v5, v6
	v_min_u16_e32 v5, v5, v6
.LBB648_433:
	s_or_b64 exec, exec, s[4:5]
	v_cmp_gt_u32_e32 vcc, 62, v3
	v_add_u32_e32 v7, 2, v3
	s_waitcnt lgkmcnt(0)
	v_cndmask_b32_e64 v6, 0, 2, vcc
	v_add_lshl_u32 v6, v6, v1, 2
	ds_bpermute_b32 v6, v6, v5
	v_cmp_lt_u32_e32 vcc, v7, v4
	s_and_saveexec_b64 s[4:5], vcc
	s_cbranch_execz .LBB648_435
; %bb.434:
	s_mov_b32 s7, 0xcccd
	s_waitcnt lgkmcnt(0)
	v_mul_u32_u24_sdwa v5, v6, s7 dst_sel:DWORD dst_unused:UNUSED_PAD src0_sel:WORD_0 src1_sel:DWORD
	v_lshrrev_b32_e32 v5, 19, v5
	v_mul_lo_u16_e32 v5, 10, v5
	v_sub_u16_e32 v5, v6, v5
	v_mul_u32_u24_sdwa v6, v2, s7 dst_sel:DWORD dst_unused:UNUSED_PAD src0_sel:WORD_0 src1_sel:DWORD
	v_lshrrev_b32_e32 v6, 19, v6
	v_mul_lo_u16_e32 v6, 10, v6
	v_sub_u16_e32 v2, v2, v6
	v_add_u16_e32 v5, v5, v2
	v_add_u16_e32 v6, -10, v5
	v_min_u16_e32 v2, v5, v6
	v_min_u16_e32 v5, v5, v6
.LBB648_435:
	s_or_b64 exec, exec, s[4:5]
	v_cmp_gt_u32_e32 vcc, 60, v3
	v_add_u32_e32 v7, 4, v3
	s_waitcnt lgkmcnt(0)
	v_cndmask_b32_e64 v6, 0, 4, vcc
	v_add_lshl_u32 v6, v6, v1, 2
	ds_bpermute_b32 v6, v6, v5
	v_cmp_lt_u32_e32 vcc, v7, v4
	s_and_saveexec_b64 s[4:5], vcc
	;; [unrolled: 26-line block ×4, first 2 shown]
	s_cbranch_execz .LBB648_441
; %bb.440:
	s_mov_b32 s7, 0xcccd
	s_waitcnt lgkmcnt(0)
	v_mul_u32_u24_sdwa v5, v6, s7 dst_sel:DWORD dst_unused:UNUSED_PAD src0_sel:WORD_0 src1_sel:DWORD
	v_lshrrev_b32_e32 v5, 19, v5
	v_mul_lo_u16_e32 v5, 10, v5
	v_sub_u16_e32 v5, v6, v5
	v_mul_u32_u24_sdwa v6, v2, s7 dst_sel:DWORD dst_unused:UNUSED_PAD src0_sel:WORD_0 src1_sel:DWORD
	v_lshrrev_b32_e32 v6, 19, v6
	v_mul_lo_u16_e32 v6, 10, v6
	v_sub_u16_e32 v2, v2, v6
	v_add_u16_e32 v5, v5, v2
	v_add_u16_e32 v6, -10, v5
	v_min_u16_e32 v2, v5, v6
	v_min_u16_e32 v5, v5, v6
.LBB648_441:
	s_or_b64 exec, exec, s[4:5]
	s_waitcnt lgkmcnt(0)
	v_lshlrev_b32_e32 v6, 2, v1
	v_or_b32_e32 v7, 0x80, v6
	ds_bpermute_b32 v5, v7, v5
	v_add_u32_e32 v3, 32, v3
	v_cmp_lt_u32_e32 vcc, v3, v4
	s_and_saveexec_b64 s[4:5], vcc
	s_cbranch_execz .LBB648_443
; %bb.442:
	s_mov_b32 s7, 0xcccd
	s_waitcnt lgkmcnt(0)
	v_mul_u32_u24_sdwa v3, v5, s7 dst_sel:DWORD dst_unused:UNUSED_PAD src0_sel:WORD_0 src1_sel:DWORD
	v_mul_u32_u24_sdwa v4, v2, s7 dst_sel:DWORD dst_unused:UNUSED_PAD src0_sel:WORD_0 src1_sel:DWORD
	v_lshrrev_b32_e32 v3, 19, v3
	v_lshrrev_b32_e32 v4, 19, v4
	v_mul_lo_u16_e32 v3, 10, v3
	v_mul_lo_u16_e32 v4, 10, v4
	v_sub_u16_e32 v3, v5, v3
	v_sub_u16_e32 v2, v2, v4
	v_add_u16_e32 v2, v3, v2
	v_add_u16_e32 v3, -10, v2
	v_min_u16_e32 v2, v2, v3
.LBB648_443:
	s_or_b64 exec, exec, s[4:5]
	v_cmp_eq_u32_e32 vcc, 0, v1
	s_and_saveexec_b64 s[4:5], vcc
; %bb.444:
	v_lshrrev_b32_e32 v3, 5, v0
	v_and_b32_e32 v3, 2, v3
	ds_write_b16 v3, v2
; %bb.445:
	s_or_b64 exec, exec, s[4:5]
	v_cmp_gt_u32_e32 vcc, 2, v0
	s_waitcnt lgkmcnt(0)
	s_barrier
	s_and_saveexec_b64 s[4:5], vcc
	s_cbranch_execz .LBB648_449
; %bb.446:
	v_lshlrev_b32_e32 v2, 1, v1
	ds_read_u16 v2, v2
	v_or_b32_e32 v4, 4, v6
	s_add_i32 s6, s6, 63
	v_and_b32_e32 v1, 1, v1
	s_lshr_b32 s6, s6, 6
	s_waitcnt lgkmcnt(0)
	v_and_b32_e32 v3, 0xffff, v2
	ds_bpermute_b32 v4, v4, v3
	v_add_u32_e32 v1, 1, v1
	v_cmp_gt_u32_e32 vcc, s6, v1
	s_and_saveexec_b64 s[6:7], vcc
	s_cbranch_execz .LBB648_448
; %bb.447:
	s_mov_b32 s8, 0xcccd
	s_waitcnt lgkmcnt(0)
	v_mul_u32_u24_sdwa v1, v4, s8 dst_sel:DWORD dst_unused:UNUSED_PAD src0_sel:WORD_0 src1_sel:DWORD
	v_mul_u32_u24_e32 v3, 0xcccd, v3
	v_lshrrev_b32_e32 v1, 19, v1
	v_lshrrev_b32_e32 v3, 19, v3
	v_mul_lo_u16_e32 v1, 10, v1
	v_mul_lo_u16_e32 v3, 10, v3
	v_sub_u16_e32 v1, v4, v1
	v_sub_u16_e32 v2, v2, v3
	v_add_u16_e32 v1, v1, v2
	v_add_u16_e32 v2, -10, v1
	v_min_u16_e32 v2, v1, v2
.LBB648_448:
	s_or_b64 exec, exec, s[6:7]
.LBB648_449:
	s_or_b64 exec, exec, s[4:5]
.LBB648_450:
	v_cmp_eq_u32_e32 vcc, 0, v0
                                        ; implicit-def: $vgpr1
	s_and_saveexec_b64 s[4:5], vcc
	s_xor_b64 s[4:5], exec, s[4:5]
	s_cbranch_execz .LBB648_454
; %bb.451:
	s_cmp_eq_u64 s[70:71], 0
	v_mov_b32_e32 v1, s33
	s_cbranch_scc1 .LBB648_453
; %bb.452:
	s_mov_b32 s6, 0xcccd
	v_mul_u32_u24_sdwa v1, v2, s6 dst_sel:DWORD dst_unused:UNUSED_PAD src0_sel:WORD_0 src1_sel:DWORD
	s_and_b32 s6, 0xffff, s33
	s_mul_i32 s6, s6, 0xcccd
	v_lshrrev_b32_e32 v1, 19, v1
	s_lshr_b32 s6, s6, 19
	v_mul_lo_u16_e32 v1, 10, v1
	s_mul_i32 s6, s6, 10
	v_sub_u16_e32 v1, v2, v1
	s_sub_i32 s6, s33, s6
	v_add_u16_e32 v1, s6, v1
	v_add_u16_e32 v2, -10, v1
	v_min_u16_e32 v1, v1, v2
.LBB648_453:
	s_or_b64 s[66:67], s[66:67], exec
.LBB648_454:
	s_or_b64 exec, exec, s[4:5]
	s_branch .LBB648_561
.LBB648_455:
	s_cmp_gt_i32 s76, 15
	s_cbranch_scc0 .LBB648_463
; %bb.456:
	s_cmp_eq_u32 s76, 16
	s_cbranch_scc0 .LBB648_464
; %bb.457:
	s_mov_b32 s3, 0
	s_lshl_b32 s4, s2, 11
	s_mov_b32 s5, s3
	s_lshr_b64 s[6:7], s[70:71], 11
	s_lshl_b64 s[8:9], s[4:5], 1
	s_add_u32 s34, s68, s8
	s_addc_u32 s35, s69, s9
	s_cmp_lg_u64 s[6:7], s[2:3]
	s_cbranch_scc0 .LBB648_465
; %bb.458:
	v_lshlrev_b32_e32 v1, 1, v0
	global_load_ushort v2, v1, s[34:35] offset:256
	global_load_ushort v3, v1, s[34:35]
	s_waitcnt lgkmcnt(0)
	global_load_ushort v4, v1, s[34:35] offset:512
	global_load_ushort v5, v1, s[34:35] offset:768
	;; [unrolled: 1-line block ×14, first 2 shown]
	s_mov_b32 s5, 0xcccd
	v_mbcnt_lo_u32_b32 v1, -1, 0
	v_mbcnt_hi_u32_b32 v1, -1, v1
	v_cmp_eq_u32_e32 vcc, 0, v1
	s_waitcnt vmcnt(15)
	v_mul_u32_u24_sdwa v18, v2, s5 dst_sel:DWORD dst_unused:UNUSED_PAD src0_sel:WORD_0 src1_sel:DWORD
	s_waitcnt vmcnt(14)
	v_mul_u32_u24_sdwa v19, v3, s5 dst_sel:DWORD dst_unused:UNUSED_PAD src0_sel:WORD_0 src1_sel:DWORD
	v_lshrrev_b32_e32 v18, 19, v18
	v_lshrrev_b32_e32 v19, 19, v19
	v_mul_lo_u16_e32 v18, 10, v18
	v_mul_lo_u16_e32 v19, 10, v19
	v_sub_u16_e32 v2, v2, v18
	v_sub_u16_e32 v3, v3, v19
	v_add_u16_e32 v2, v2, v3
	v_add_u16_e32 v3, -10, v2
	v_min_u16_e32 v2, v2, v3
	s_waitcnt vmcnt(13)
	v_mul_u32_u24_sdwa v20, v4, s5 dst_sel:DWORD dst_unused:UNUSED_PAD src0_sel:WORD_0 src1_sel:DWORD
	v_mul_u32_u24_e32 v3, 0xcccd, v2
	v_lshrrev_b32_e32 v20, 19, v20
	v_lshrrev_b32_e32 v3, 19, v3
	v_mul_lo_u16_e32 v20, 10, v20
	v_mul_lo_u16_e32 v3, 10, v3
	v_sub_u16_e32 v4, v4, v20
	v_sub_u16_e32 v2, v2, v3
	v_add_u16_e32 v2, v2, v4
	v_add_u16_e32 v3, -10, v2
	v_min_u16_e32 v2, v2, v3
	s_waitcnt vmcnt(12)
	v_mul_u32_u24_sdwa v21, v5, s5 dst_sel:DWORD dst_unused:UNUSED_PAD src0_sel:WORD_0 src1_sel:DWORD
	v_mul_u32_u24_e32 v3, 0xcccd, v2
	v_lshrrev_b32_e32 v21, 19, v21
	v_lshrrev_b32_e32 v3, 19, v3
	v_mul_lo_u16_e32 v21, 10, v21
	v_mul_lo_u16_e32 v3, 10, v3
	v_sub_u16_e32 v5, v5, v21
	v_sub_u16_e32 v2, v2, v3
	v_add_u16_e32 v2, v2, v5
	v_add_u16_e32 v3, -10, v2
	v_min_u16_e32 v2, v2, v3
	s_waitcnt vmcnt(11)
	v_mul_u32_u24_sdwa v22, v6, s5 dst_sel:DWORD dst_unused:UNUSED_PAD src0_sel:WORD_0 src1_sel:DWORD
	v_mul_u32_u24_e32 v3, 0xcccd, v2
	v_lshrrev_b32_e32 v22, 19, v22
	v_lshrrev_b32_e32 v3, 19, v3
	v_mul_lo_u16_e32 v22, 10, v22
	v_mul_lo_u16_e32 v3, 10, v3
	v_sub_u16_e32 v6, v6, v22
	v_sub_u16_e32 v2, v2, v3
	v_add_u16_e32 v2, v2, v6
	v_add_u16_e32 v3, -10, v2
	v_min_u16_e32 v2, v2, v3
	s_waitcnt vmcnt(10)
	v_mul_u32_u24_sdwa v23, v7, s5 dst_sel:DWORD dst_unused:UNUSED_PAD src0_sel:WORD_0 src1_sel:DWORD
	v_mul_u32_u24_e32 v3, 0xcccd, v2
	v_lshrrev_b32_e32 v23, 19, v23
	v_lshrrev_b32_e32 v3, 19, v3
	v_mul_lo_u16_e32 v23, 10, v23
	v_mul_lo_u16_e32 v3, 10, v3
	v_sub_u16_e32 v7, v7, v23
	v_sub_u16_e32 v2, v2, v3
	v_add_u16_e32 v2, v2, v7
	v_add_u16_e32 v3, -10, v2
	v_min_u16_e32 v2, v2, v3
	s_waitcnt vmcnt(9)
	v_mul_u32_u24_sdwa v24, v8, s5 dst_sel:DWORD dst_unused:UNUSED_PAD src0_sel:WORD_0 src1_sel:DWORD
	v_mul_u32_u24_e32 v3, 0xcccd, v2
	v_lshrrev_b32_e32 v24, 19, v24
	v_lshrrev_b32_e32 v3, 19, v3
	v_mul_lo_u16_e32 v24, 10, v24
	v_mul_lo_u16_e32 v3, 10, v3
	v_sub_u16_e32 v8, v8, v24
	v_sub_u16_e32 v2, v2, v3
	v_add_u16_e32 v2, v2, v8
	v_add_u16_e32 v3, -10, v2
	v_min_u16_e32 v2, v2, v3
	s_waitcnt vmcnt(8)
	v_mul_u32_u24_sdwa v25, v9, s5 dst_sel:DWORD dst_unused:UNUSED_PAD src0_sel:WORD_0 src1_sel:DWORD
	v_mul_u32_u24_e32 v3, 0xcccd, v2
	v_lshrrev_b32_e32 v25, 19, v25
	v_lshrrev_b32_e32 v3, 19, v3
	v_mul_lo_u16_e32 v25, 10, v25
	v_mul_lo_u16_e32 v3, 10, v3
	v_sub_u16_e32 v9, v9, v25
	v_sub_u16_e32 v2, v2, v3
	v_add_u16_e32 v2, v2, v9
	v_add_u16_e32 v3, -10, v2
	v_min_u16_e32 v2, v2, v3
	s_waitcnt vmcnt(7)
	v_mul_u32_u24_sdwa v26, v10, s5 dst_sel:DWORD dst_unused:UNUSED_PAD src0_sel:WORD_0 src1_sel:DWORD
	v_mul_u32_u24_e32 v3, 0xcccd, v2
	v_lshrrev_b32_e32 v26, 19, v26
	v_lshrrev_b32_e32 v3, 19, v3
	v_mul_lo_u16_e32 v26, 10, v26
	v_mul_lo_u16_e32 v3, 10, v3
	v_sub_u16_e32 v10, v10, v26
	v_sub_u16_e32 v2, v2, v3
	v_add_u16_e32 v2, v2, v10
	v_add_u16_e32 v3, -10, v2
	v_min_u16_e32 v2, v2, v3
	s_waitcnt vmcnt(6)
	v_mul_u32_u24_sdwa v27, v11, s5 dst_sel:DWORD dst_unused:UNUSED_PAD src0_sel:WORD_0 src1_sel:DWORD
	v_mul_u32_u24_e32 v3, 0xcccd, v2
	v_lshrrev_b32_e32 v27, 19, v27
	v_lshrrev_b32_e32 v3, 19, v3
	v_mul_lo_u16_e32 v27, 10, v27
	v_mul_lo_u16_e32 v3, 10, v3
	v_sub_u16_e32 v11, v11, v27
	v_sub_u16_e32 v2, v2, v3
	v_add_u16_e32 v2, v2, v11
	v_add_u16_e32 v3, -10, v2
	v_min_u16_e32 v2, v2, v3
	s_waitcnt vmcnt(5)
	v_mul_u32_u24_sdwa v28, v12, s5 dst_sel:DWORD dst_unused:UNUSED_PAD src0_sel:WORD_0 src1_sel:DWORD
	v_mul_u32_u24_e32 v3, 0xcccd, v2
	v_lshrrev_b32_e32 v28, 19, v28
	v_lshrrev_b32_e32 v3, 19, v3
	v_mul_lo_u16_e32 v28, 10, v28
	v_mul_lo_u16_e32 v3, 10, v3
	v_sub_u16_e32 v12, v12, v28
	v_sub_u16_e32 v2, v2, v3
	v_add_u16_e32 v2, v2, v12
	v_add_u16_e32 v3, -10, v2
	v_min_u16_e32 v2, v2, v3
	s_waitcnt vmcnt(4)
	v_mul_u32_u24_sdwa v29, v13, s5 dst_sel:DWORD dst_unused:UNUSED_PAD src0_sel:WORD_0 src1_sel:DWORD
	v_mul_u32_u24_e32 v3, 0xcccd, v2
	v_lshrrev_b32_e32 v29, 19, v29
	v_lshrrev_b32_e32 v3, 19, v3
	v_mul_lo_u16_e32 v29, 10, v29
	v_mul_lo_u16_e32 v3, 10, v3
	v_sub_u16_e32 v13, v13, v29
	v_sub_u16_e32 v2, v2, v3
	v_add_u16_e32 v2, v2, v13
	v_add_u16_e32 v3, -10, v2
	v_min_u16_e32 v2, v2, v3
	s_waitcnt vmcnt(3)
	v_mul_u32_u24_sdwa v30, v14, s5 dst_sel:DWORD dst_unused:UNUSED_PAD src0_sel:WORD_0 src1_sel:DWORD
	v_mul_u32_u24_e32 v3, 0xcccd, v2
	v_lshrrev_b32_e32 v30, 19, v30
	v_lshrrev_b32_e32 v3, 19, v3
	v_mul_lo_u16_e32 v30, 10, v30
	v_mul_lo_u16_e32 v3, 10, v3
	v_sub_u16_e32 v14, v14, v30
	v_sub_u16_e32 v2, v2, v3
	v_add_u16_e32 v2, v2, v14
	v_add_u16_e32 v3, -10, v2
	v_min_u16_e32 v2, v2, v3
	s_waitcnt vmcnt(2)
	v_mul_u32_u24_sdwa v31, v15, s5 dst_sel:DWORD dst_unused:UNUSED_PAD src0_sel:WORD_0 src1_sel:DWORD
	v_mul_u32_u24_e32 v3, 0xcccd, v2
	v_lshrrev_b32_e32 v31, 19, v31
	v_lshrrev_b32_e32 v3, 19, v3
	v_mul_lo_u16_e32 v31, 10, v31
	v_mul_lo_u16_e32 v3, 10, v3
	v_sub_u16_e32 v15, v15, v31
	v_sub_u16_e32 v2, v2, v3
	v_add_u16_e32 v2, v2, v15
	v_add_u16_e32 v3, -10, v2
	v_min_u16_e32 v2, v2, v3
	s_waitcnt vmcnt(1)
	v_mul_u32_u24_sdwa v32, v16, s5 dst_sel:DWORD dst_unused:UNUSED_PAD src0_sel:WORD_0 src1_sel:DWORD
	v_mul_u32_u24_e32 v3, 0xcccd, v2
	v_lshrrev_b32_e32 v32, 19, v32
	v_lshrrev_b32_e32 v3, 19, v3
	v_mul_lo_u16_e32 v32, 10, v32
	v_mul_lo_u16_e32 v3, 10, v3
	v_sub_u16_e32 v16, v16, v32
	v_sub_u16_e32 v2, v2, v3
	v_add_u16_e32 v2, v2, v16
	v_add_u16_e32 v3, -10, v2
	v_min_u16_e32 v2, v2, v3
	s_waitcnt vmcnt(0)
	v_mul_u32_u24_sdwa v33, v17, s5 dst_sel:DWORD dst_unused:UNUSED_PAD src0_sel:WORD_0 src1_sel:DWORD
	v_mul_u32_u24_e32 v3, 0xcccd, v2
	v_lshrrev_b32_e32 v33, 19, v33
	v_lshrrev_b32_e32 v3, 19, v3
	v_mul_lo_u16_e32 v33, 10, v33
	v_mul_lo_u16_e32 v3, 10, v3
	v_sub_u16_e32 v17, v17, v33
	v_sub_u16_e32 v2, v2, v3
	v_add_u16_e32 v2, v2, v17
	v_add_u16_e32 v3, -10, v2
	v_min_u16_e32 v2, v2, v3
	v_mul_u32_u24_e32 v4, 0xcccd, v2
	v_lshrrev_b32_e32 v4, 19, v4
	v_mov_b32_dpp v3, v2 quad_perm:[1,0,3,2] row_mask:0xf bank_mask:0xf bound_ctrl:1
	v_mul_lo_u16_e32 v4, 10, v4
	v_sub_u16_e32 v2, v2, v4
	v_mul_u32_u24_sdwa v4, v3, s5 dst_sel:DWORD dst_unused:UNUSED_PAD src0_sel:WORD_0 src1_sel:DWORD
	v_lshrrev_b32_e32 v4, 19, v4
	v_mul_lo_u16_e32 v4, 10, v4
	v_sub_u16_e32 v3, v3, v4
	v_add_u16_e32 v2, v2, v3
	v_add_u16_e32 v3, -10, v2
	v_min_u16_e32 v2, v2, v3
	s_nop 1
	v_mov_b32_dpp v3, v2 quad_perm:[2,3,0,1] row_mask:0xf bank_mask:0xf bound_ctrl:1
	v_mul_u32_u24_sdwa v4, v3, s5 dst_sel:DWORD dst_unused:UNUSED_PAD src0_sel:WORD_0 src1_sel:DWORD
	v_lshrrev_b32_e32 v4, 19, v4
	v_mul_lo_u16_e32 v4, 10, v4
	v_sub_u16_e32 v3, v3, v4
	v_add_u16_e32 v2, v2, v3
	v_add_u16_e32 v3, -10, v2
	v_min_u16_e32 v2, v2, v3
	v_mul_u32_u24_e32 v4, 0xcccd, v2
	v_lshrrev_b32_e32 v4, 19, v4
	v_mov_b32_dpp v3, v2 row_ror:4 row_mask:0xf bank_mask:0xf bound_ctrl:1
	v_mul_lo_u16_e32 v4, 10, v4
	v_sub_u16_e32 v2, v2, v4
	v_mul_u32_u24_sdwa v4, v3, s5 dst_sel:DWORD dst_unused:UNUSED_PAD src0_sel:WORD_0 src1_sel:DWORD
	v_lshrrev_b32_e32 v4, 19, v4
	v_mul_lo_u16_e32 v4, 10, v4
	v_sub_u16_e32 v3, v3, v4
	v_add_u16_e32 v2, v2, v3
	v_add_u16_e32 v3, -10, v2
	v_min_u16_e32 v2, v2, v3
	v_mul_u32_u24_e32 v4, 0xcccd, v2
	v_lshrrev_b32_e32 v4, 19, v4
	v_mov_b32_dpp v3, v2 row_ror:8 row_mask:0xf bank_mask:0xf bound_ctrl:1
	v_mul_lo_u16_e32 v4, 10, v4
	v_sub_u16_e32 v2, v2, v4
	v_mul_u32_u24_sdwa v4, v3, s5 dst_sel:DWORD dst_unused:UNUSED_PAD src0_sel:WORD_0 src1_sel:DWORD
	v_lshrrev_b32_e32 v4, 19, v4
	v_mul_lo_u16_e32 v4, 10, v4
	v_sub_u16_e32 v3, v3, v4
	v_add_u16_e32 v2, v2, v3
	v_add_u16_e32 v3, -10, v2
	v_min_u16_e32 v2, v2, v3
	v_mul_u32_u24_e32 v4, 0xcccd, v2
	v_lshrrev_b32_e32 v4, 19, v4
	v_mov_b32_dpp v3, v2 row_bcast:15 row_mask:0xf bank_mask:0xf bound_ctrl:1
	v_mul_lo_u16_e32 v4, 10, v4
	v_sub_u16_e32 v2, v2, v4
	v_mul_u32_u24_sdwa v4, v3, s5 dst_sel:DWORD dst_unused:UNUSED_PAD src0_sel:WORD_0 src1_sel:DWORD
	v_lshrrev_b32_e32 v4, 19, v4
	v_mul_lo_u16_e32 v4, 10, v4
	v_sub_u16_e32 v3, v3, v4
	v_add_u16_e32 v2, v2, v3
	v_add_u16_e32 v3, -10, v2
	v_min_u16_e32 v2, v2, v3
	v_mul_u32_u24_e32 v4, 0xcccd, v2
	v_lshrrev_b32_e32 v4, 19, v4
	v_mov_b32_dpp v3, v2 row_bcast:31 row_mask:0xf bank_mask:0xf bound_ctrl:1
	v_mul_lo_u16_e32 v4, 10, v4
	v_sub_u16_e32 v2, v2, v4
	v_mul_u32_u24_sdwa v4, v3, s5 dst_sel:DWORD dst_unused:UNUSED_PAD src0_sel:WORD_0 src1_sel:DWORD
	v_lshrrev_b32_e32 v4, 19, v4
	v_mul_lo_u16_e32 v4, 10, v4
	v_sub_u16_e32 v3, v3, v4
	v_add_u16_e32 v2, v2, v3
	v_add_u16_e32 v4, -10, v2
	v_lshlrev_b32_e32 v3, 2, v1
	v_or_b32_e32 v5, 0xfc, v3
	v_min_u16_e32 v2, v2, v4
	ds_bpermute_b32 v2, v5, v2
	s_and_saveexec_b64 s[6:7], vcc
	s_cbranch_execz .LBB648_460
; %bb.459:
	v_lshrrev_b32_e32 v4, 5, v0
	v_and_b32_e32 v4, 2, v4
	s_waitcnt lgkmcnt(0)
	ds_write_b16 v4, v2 offset:4
.LBB648_460:
	s_or_b64 exec, exec, s[6:7]
	v_cmp_gt_u32_e32 vcc, 64, v0
	s_waitcnt lgkmcnt(0)
	s_barrier
	s_and_saveexec_b64 s[6:7], vcc
	s_cbranch_execz .LBB648_462
; %bb.461:
	v_and_b32_e32 v1, 1, v1
	v_lshlrev_b32_e32 v1, 1, v1
	ds_read_u16 v1, v1 offset:4
	v_or_b32_e32 v2, 4, v3
	s_waitcnt lgkmcnt(0)
	v_and_b32_e32 v3, 0xffff, v1
	ds_bpermute_b32 v2, v2, v3
	v_mul_u32_u24_e32 v3, 0xcccd, v3
	v_lshrrev_b32_e32 v3, 19, v3
	v_mul_lo_u16_e32 v3, 10, v3
	v_sub_u16_e32 v1, v1, v3
	s_waitcnt lgkmcnt(0)
	v_mul_u32_u24_sdwa v4, v2, s5 dst_sel:DWORD dst_unused:UNUSED_PAD src0_sel:WORD_0 src1_sel:DWORD
	v_lshrrev_b32_e32 v4, 19, v4
	v_mul_lo_u16_e32 v4, 10, v4
	v_sub_u16_e32 v2, v2, v4
	v_add_u16_e32 v1, v2, v1
	v_add_u16_e32 v2, -10, v1
	v_min_u16_e32 v2, v1, v2
.LBB648_462:
	s_or_b64 exec, exec, s[6:7]
	s_mov_b64 s[6:7], 0
	s_branch .LBB648_466
.LBB648_463:
                                        ; implicit-def: $vgpr1
	s_cbranch_execz .LBB648_561
	s_branch .LBB648_553
.LBB648_464:
                                        ; implicit-def: $vgpr1
	s_branch .LBB648_561
.LBB648_465:
	s_mov_b64 s[6:7], -1
                                        ; implicit-def: $vgpr2
.LBB648_466:
	s_and_b64 vcc, exec, s[6:7]
	s_cbranch_vccz .LBB648_548
; %bb.467:
	s_sub_i32 s38, s70, s4
	v_mov_b32_e32 v2, 0
	v_cmp_gt_u32_e32 vcc, s38, v0
	v_mov_b32_e32 v3, v2
	s_waitcnt lgkmcnt(0)
	v_mov_b32_e32 v4, v2
	v_mov_b32_e32 v5, v2
	;; [unrolled: 1-line block ×6, first 2 shown]
	s_and_saveexec_b64 s[4:5], vcc
	s_cbranch_execz .LBB648_469
; %bb.468:
	v_lshlrev_b32_e32 v1, 1, v0
	global_load_ushort v1, v1, s[34:35]
	v_mov_b32_e32 v5, v2
	v_mov_b32_e32 v6, v2
	v_mov_b32_e32 v7, v2
	v_mov_b32_e32 v8, v2
	v_mov_b32_e32 v9, v2
	v_mov_b32_e32 v10, v2
	v_mov_b32_e32 v11, v2
	s_waitcnt vmcnt(0)
	v_and_b32_e32 v4, 0xffff, v1
	v_mov_b64_e32 v[2:3], v[4:5]
	v_mov_b64_e32 v[4:5], v[6:7]
	;; [unrolled: 1-line block ×4, first 2 shown]
.LBB648_469:
	s_or_b64 exec, exec, s[4:5]
	v_or_b32_e32 v1, 0x80, v0
	v_cmp_gt_u32_e32 vcc, s38, v1
	s_and_saveexec_b64 s[4:5], vcc
	s_cbranch_execz .LBB648_471
; %bb.470:
	v_lshlrev_b32_e32 v1, 1, v0
	global_load_ushort v1, v1, s[34:35] offset:256
	s_mov_b32 s6, 0x5040100
	s_waitcnt vmcnt(0)
	v_perm_b32 v2, v1, v2, s6
.LBB648_471:
	s_or_b64 exec, exec, s[4:5]
	v_or_b32_e32 v1, 0x100, v0
	v_cmp_gt_u32_e64 s[4:5], s38, v1
	s_and_saveexec_b64 s[6:7], s[4:5]
	s_cbranch_execz .LBB648_473
; %bb.472:
	v_lshlrev_b32_e32 v1, 1, v0
	global_load_ushort v1, v1, s[34:35] offset:512
	s_mov_b32 s8, 0xffff
	s_waitcnt vmcnt(0)
	v_bfi_b32 v3, s8, v1, v3
.LBB648_473:
	s_or_b64 exec, exec, s[6:7]
	v_or_b32_e32 v1, 0x180, v0
	v_cmp_gt_u32_e64 s[6:7], s38, v1
	s_and_saveexec_b64 s[8:9], s[6:7]
	s_cbranch_execz .LBB648_475
; %bb.474:
	v_lshlrev_b32_e32 v1, 1, v0
	global_load_ushort v1, v1, s[34:35] offset:768
	s_mov_b32 s10, 0x5040100
	s_waitcnt vmcnt(0)
	v_perm_b32 v3, v1, v3, s10
.LBB648_475:
	s_or_b64 exec, exec, s[8:9]
	v_or_b32_e32 v1, 0x200, v0
	v_cmp_gt_u32_e64 s[8:9], s38, v1
	s_and_saveexec_b64 s[10:11], s[8:9]
	s_cbranch_execz .LBB648_477
; %bb.476:
	v_lshlrev_b32_e32 v1, 1, v0
	global_load_ushort v1, v1, s[34:35] offset:1024
	s_mov_b32 s12, 0xffff
	s_waitcnt vmcnt(0)
	v_bfi_b32 v4, s12, v1, v4
.LBB648_477:
	s_or_b64 exec, exec, s[10:11]
	v_or_b32_e32 v1, 0x280, v0
	v_cmp_gt_u32_e64 s[10:11], s38, v1
	s_and_saveexec_b64 s[12:13], s[10:11]
	;; [unrolled: 24-line block ×7, first 2 shown]
	s_cbranch_execz .LBB648_513
; %bb.498:
	v_lshlrev_b32_e32 v1, 1, v0
	global_load_ushort v1, v1, s[34:35] offset:3840
	s_mov_b32 s34, 0x5040100
	s_waitcnt vmcnt(0)
	v_perm_b32 v9, v1, v9, s34
	s_or_b64 exec, exec, s[36:37]
	s_and_saveexec_b64 s[34:35], vcc
	s_cbranch_execnz .LBB648_514
.LBB648_499:
	s_or_b64 exec, exec, s[34:35]
	s_and_saveexec_b64 s[34:35], s[4:5]
	s_cbranch_execz .LBB648_515
.LBB648_500:
	s_mov_b32 s4, 0xcccd
	v_mul_u32_u24_sdwa v1, v3, s4 dst_sel:DWORD dst_unused:UNUSED_PAD src0_sel:WORD_0 src1_sel:DWORD
	v_mul_u32_u24_sdwa v10, v2, s4 dst_sel:DWORD dst_unused:UNUSED_PAD src0_sel:WORD_0 src1_sel:DWORD
	v_lshrrev_b32_e32 v1, 19, v1
	v_lshrrev_b32_e32 v10, 19, v10
	v_mul_lo_u16_e32 v1, 10, v1
	v_mul_lo_u16_e32 v10, 10, v10
	v_sub_u16_e32 v1, v3, v1
	v_sub_u16_e32 v2, v2, v10
	v_add_u16_e32 v1, v2, v1
	v_add_u16_e32 v2, -10, v1
	v_min_u16_e32 v2, v1, v2
	s_or_b64 exec, exec, s[34:35]
	s_and_saveexec_b64 s[4:5], s[6:7]
	s_cbranch_execnz .LBB648_516
.LBB648_501:
	s_or_b64 exec, exec, s[4:5]
	s_and_saveexec_b64 s[4:5], s[8:9]
	s_cbranch_execz .LBB648_517
.LBB648_502:
	s_mov_b32 s6, 0xcccd
	v_mul_u32_u24_sdwa v1, v4, s6 dst_sel:DWORD dst_unused:UNUSED_PAD src0_sel:WORD_0 src1_sel:DWORD
	v_mul_u32_u24_sdwa v3, v2, s6 dst_sel:DWORD dst_unused:UNUSED_PAD src0_sel:WORD_0 src1_sel:DWORD
	v_lshrrev_b32_e32 v1, 19, v1
	v_lshrrev_b32_e32 v3, 19, v3
	v_mul_lo_u16_e32 v1, 10, v1
	v_mul_lo_u16_e32 v3, 10, v3
	v_sub_u16_e32 v1, v4, v1
	v_sub_u16_e32 v2, v2, v3
	v_add_u16_e32 v1, v2, v1
	v_add_u16_e32 v2, -10, v1
	v_min_u16_e32 v2, v1, v2
	s_or_b64 exec, exec, s[4:5]
	s_and_saveexec_b64 s[4:5], s[10:11]
	s_cbranch_execnz .LBB648_518
.LBB648_503:
	s_or_b64 exec, exec, s[4:5]
	s_and_saveexec_b64 s[4:5], s[12:13]
	s_cbranch_execz .LBB648_519
.LBB648_504:
	s_mov_b32 s6, 0xcccd
	v_mul_u32_u24_sdwa v1, v5, s6 dst_sel:DWORD dst_unused:UNUSED_PAD src0_sel:WORD_0 src1_sel:DWORD
	v_mul_u32_u24_sdwa v3, v2, s6 dst_sel:DWORD dst_unused:UNUSED_PAD src0_sel:WORD_0 src1_sel:DWORD
	v_lshrrev_b32_e32 v1, 19, v1
	v_lshrrev_b32_e32 v3, 19, v3
	v_mul_lo_u16_e32 v1, 10, v1
	v_mul_lo_u16_e32 v3, 10, v3
	v_sub_u16_e32 v1, v5, v1
	v_sub_u16_e32 v2, v2, v3
	v_add_u16_e32 v1, v2, v1
	v_add_u16_e32 v2, -10, v1
	v_min_u16_e32 v2, v1, v2
	s_or_b64 exec, exec, s[4:5]
	s_and_saveexec_b64 s[4:5], s[14:15]
	s_cbranch_execnz .LBB648_520
.LBB648_505:
	s_or_b64 exec, exec, s[4:5]
	s_and_saveexec_b64 s[4:5], s[16:17]
	s_cbranch_execz .LBB648_521
.LBB648_506:
	s_mov_b32 s6, 0xcccd
	v_mul_u32_u24_sdwa v1, v6, s6 dst_sel:DWORD dst_unused:UNUSED_PAD src0_sel:WORD_0 src1_sel:DWORD
	v_mul_u32_u24_sdwa v3, v2, s6 dst_sel:DWORD dst_unused:UNUSED_PAD src0_sel:WORD_0 src1_sel:DWORD
	v_lshrrev_b32_e32 v1, 19, v1
	v_lshrrev_b32_e32 v3, 19, v3
	v_mul_lo_u16_e32 v1, 10, v1
	v_mul_lo_u16_e32 v3, 10, v3
	v_sub_u16_e32 v1, v6, v1
	v_sub_u16_e32 v2, v2, v3
	v_add_u16_e32 v1, v2, v1
	v_add_u16_e32 v2, -10, v1
	v_min_u16_e32 v2, v1, v2
	s_or_b64 exec, exec, s[4:5]
	s_and_saveexec_b64 s[4:5], s[18:19]
	s_cbranch_execnz .LBB648_522
.LBB648_507:
	s_or_b64 exec, exec, s[4:5]
	s_and_saveexec_b64 s[4:5], s[20:21]
	s_cbranch_execz .LBB648_523
.LBB648_508:
	s_mov_b32 s6, 0xcccd
	v_mul_u32_u24_sdwa v1, v7, s6 dst_sel:DWORD dst_unused:UNUSED_PAD src0_sel:WORD_0 src1_sel:DWORD
	v_mul_u32_u24_sdwa v3, v2, s6 dst_sel:DWORD dst_unused:UNUSED_PAD src0_sel:WORD_0 src1_sel:DWORD
	v_lshrrev_b32_e32 v1, 19, v1
	v_lshrrev_b32_e32 v3, 19, v3
	v_mul_lo_u16_e32 v1, 10, v1
	v_mul_lo_u16_e32 v3, 10, v3
	v_sub_u16_e32 v1, v7, v1
	v_sub_u16_e32 v2, v2, v3
	v_add_u16_e32 v1, v2, v1
	v_add_u16_e32 v2, -10, v1
	v_min_u16_e32 v2, v1, v2
	s_or_b64 exec, exec, s[4:5]
	s_and_saveexec_b64 s[4:5], s[22:23]
	s_cbranch_execnz .LBB648_524
.LBB648_509:
	s_or_b64 exec, exec, s[4:5]
	s_and_saveexec_b64 s[4:5], s[24:25]
	s_cbranch_execz .LBB648_525
.LBB648_510:
	s_mov_b32 s6, 0xcccd
	v_mul_u32_u24_sdwa v1, v8, s6 dst_sel:DWORD dst_unused:UNUSED_PAD src0_sel:WORD_0 src1_sel:DWORD
	v_mul_u32_u24_sdwa v3, v2, s6 dst_sel:DWORD dst_unused:UNUSED_PAD src0_sel:WORD_0 src1_sel:DWORD
	v_lshrrev_b32_e32 v1, 19, v1
	v_lshrrev_b32_e32 v3, 19, v3
	v_mul_lo_u16_e32 v1, 10, v1
	v_mul_lo_u16_e32 v3, 10, v3
	v_sub_u16_e32 v1, v8, v1
	v_sub_u16_e32 v2, v2, v3
	v_add_u16_e32 v1, v2, v1
	v_add_u16_e32 v2, -10, v1
	v_min_u16_e32 v2, v1, v2
	s_or_b64 exec, exec, s[4:5]
	s_and_saveexec_b64 s[4:5], s[26:27]
	s_cbranch_execnz .LBB648_526
.LBB648_511:
	s_or_b64 exec, exec, s[4:5]
	s_and_saveexec_b64 s[4:5], s[28:29]
	s_cbranch_execz .LBB648_527
.LBB648_512:
	s_mov_b32 s6, 0xcccd
	v_mul_u32_u24_sdwa v1, v9, s6 dst_sel:DWORD dst_unused:UNUSED_PAD src0_sel:WORD_0 src1_sel:DWORD
	v_mul_u32_u24_sdwa v3, v2, s6 dst_sel:DWORD dst_unused:UNUSED_PAD src0_sel:WORD_0 src1_sel:DWORD
	v_lshrrev_b32_e32 v1, 19, v1
	v_lshrrev_b32_e32 v3, 19, v3
	v_mul_lo_u16_e32 v1, 10, v1
	v_mul_lo_u16_e32 v3, 10, v3
	v_sub_u16_e32 v1, v9, v1
	v_sub_u16_e32 v2, v2, v3
	v_add_u16_e32 v1, v2, v1
	v_add_u16_e32 v2, -10, v1
	v_min_u16_e32 v2, v1, v2
	s_or_b64 exec, exec, s[4:5]
	s_and_saveexec_b64 s[4:5], s[30:31]
	s_cbranch_execnz .LBB648_528
	s_branch .LBB648_529
.LBB648_513:
	s_or_b64 exec, exec, s[36:37]
	s_and_saveexec_b64 s[34:35], vcc
	s_cbranch_execz .LBB648_499
.LBB648_514:
	s_mov_b32 s36, 0xcccd
	v_mul_u32_u24_sdwa v1, v2, s36 dst_sel:DWORD dst_unused:UNUSED_PAD src0_sel:WORD_1 src1_sel:DWORD
	v_mul_u32_u24_sdwa v10, v2, s36 dst_sel:DWORD dst_unused:UNUSED_PAD src0_sel:WORD_0 src1_sel:DWORD
	v_lshrrev_b32_e32 v1, 19, v1
	v_lshrrev_b32_e32 v10, 19, v10
	v_mul_lo_u16_e32 v1, 10, v1
	v_mul_lo_u16_e32 v10, 10, v10
	v_sub_u16_sdwa v1, v2, v1 dst_sel:DWORD dst_unused:UNUSED_PAD src0_sel:WORD_1 src1_sel:DWORD
	v_sub_u16_e32 v2, v2, v10
	v_add_u16_e32 v1, v1, v2
	v_add_u16_e32 v2, -10, v1
	v_min_u16_e32 v2, v1, v2
	s_or_b64 exec, exec, s[34:35]
	s_and_saveexec_b64 s[34:35], s[4:5]
	s_cbranch_execnz .LBB648_500
.LBB648_515:
	s_or_b64 exec, exec, s[34:35]
	s_and_saveexec_b64 s[4:5], s[6:7]
	s_cbranch_execz .LBB648_501
.LBB648_516:
	s_mov_b32 s6, 0xcccd
	v_mul_u32_u24_sdwa v1, v3, s6 dst_sel:DWORD dst_unused:UNUSED_PAD src0_sel:WORD_1 src1_sel:DWORD
	v_lshrrev_b32_e32 v1, 19, v1
	v_mul_lo_u16_e32 v1, 10, v1
	v_sub_u16_sdwa v1, v3, v1 dst_sel:DWORD dst_unused:UNUSED_PAD src0_sel:WORD_1 src1_sel:DWORD
	v_mul_u32_u24_sdwa v3, v2, s6 dst_sel:DWORD dst_unused:UNUSED_PAD src0_sel:WORD_0 src1_sel:DWORD
	v_lshrrev_b32_e32 v3, 19, v3
	v_mul_lo_u16_e32 v3, 10, v3
	v_sub_u16_e32 v2, v2, v3
	v_add_u16_e32 v1, v2, v1
	v_add_u16_e32 v2, -10, v1
	v_min_u16_e32 v2, v1, v2
	s_or_b64 exec, exec, s[4:5]
	s_and_saveexec_b64 s[4:5], s[8:9]
	s_cbranch_execnz .LBB648_502
.LBB648_517:
	s_or_b64 exec, exec, s[4:5]
	s_and_saveexec_b64 s[4:5], s[10:11]
	s_cbranch_execz .LBB648_503
.LBB648_518:
	s_mov_b32 s6, 0xcccd
	v_mul_u32_u24_sdwa v1, v4, s6 dst_sel:DWORD dst_unused:UNUSED_PAD src0_sel:WORD_1 src1_sel:DWORD
	v_mul_u32_u24_sdwa v3, v2, s6 dst_sel:DWORD dst_unused:UNUSED_PAD src0_sel:WORD_0 src1_sel:DWORD
	v_lshrrev_b32_e32 v1, 19, v1
	v_lshrrev_b32_e32 v3, 19, v3
	v_mul_lo_u16_e32 v1, 10, v1
	v_mul_lo_u16_e32 v3, 10, v3
	v_sub_u16_sdwa v1, v4, v1 dst_sel:DWORD dst_unused:UNUSED_PAD src0_sel:WORD_1 src1_sel:DWORD
	v_sub_u16_e32 v2, v2, v3
	v_add_u16_e32 v1, v2, v1
	v_add_u16_e32 v2, -10, v1
	v_min_u16_e32 v2, v1, v2
	s_or_b64 exec, exec, s[4:5]
	s_and_saveexec_b64 s[4:5], s[12:13]
	s_cbranch_execnz .LBB648_504
.LBB648_519:
	s_or_b64 exec, exec, s[4:5]
	s_and_saveexec_b64 s[4:5], s[14:15]
	s_cbranch_execz .LBB648_505
.LBB648_520:
	s_mov_b32 s6, 0xcccd
	v_mul_u32_u24_sdwa v1, v5, s6 dst_sel:DWORD dst_unused:UNUSED_PAD src0_sel:WORD_1 src1_sel:DWORD
	v_mul_u32_u24_sdwa v3, v2, s6 dst_sel:DWORD dst_unused:UNUSED_PAD src0_sel:WORD_0 src1_sel:DWORD
	v_lshrrev_b32_e32 v1, 19, v1
	v_lshrrev_b32_e32 v3, 19, v3
	v_mul_lo_u16_e32 v1, 10, v1
	v_mul_lo_u16_e32 v3, 10, v3
	v_sub_u16_sdwa v1, v5, v1 dst_sel:DWORD dst_unused:UNUSED_PAD src0_sel:WORD_1 src1_sel:DWORD
	v_sub_u16_e32 v2, v2, v3
	v_add_u16_e32 v1, v2, v1
	v_add_u16_e32 v2, -10, v1
	v_min_u16_e32 v2, v1, v2
	s_or_b64 exec, exec, s[4:5]
	s_and_saveexec_b64 s[4:5], s[16:17]
	s_cbranch_execnz .LBB648_506
.LBB648_521:
	s_or_b64 exec, exec, s[4:5]
	s_and_saveexec_b64 s[4:5], s[18:19]
	s_cbranch_execz .LBB648_507
.LBB648_522:
	s_mov_b32 s6, 0xcccd
	v_mul_u32_u24_sdwa v1, v6, s6 dst_sel:DWORD dst_unused:UNUSED_PAD src0_sel:WORD_1 src1_sel:DWORD
	v_mul_u32_u24_sdwa v3, v2, s6 dst_sel:DWORD dst_unused:UNUSED_PAD src0_sel:WORD_0 src1_sel:DWORD
	v_lshrrev_b32_e32 v1, 19, v1
	v_lshrrev_b32_e32 v3, 19, v3
	v_mul_lo_u16_e32 v1, 10, v1
	v_mul_lo_u16_e32 v3, 10, v3
	v_sub_u16_sdwa v1, v6, v1 dst_sel:DWORD dst_unused:UNUSED_PAD src0_sel:WORD_1 src1_sel:DWORD
	v_sub_u16_e32 v2, v2, v3
	v_add_u16_e32 v1, v2, v1
	v_add_u16_e32 v2, -10, v1
	v_min_u16_e32 v2, v1, v2
	s_or_b64 exec, exec, s[4:5]
	s_and_saveexec_b64 s[4:5], s[20:21]
	s_cbranch_execnz .LBB648_508
.LBB648_523:
	s_or_b64 exec, exec, s[4:5]
	s_and_saveexec_b64 s[4:5], s[22:23]
	s_cbranch_execz .LBB648_509
.LBB648_524:
	s_mov_b32 s6, 0xcccd
	v_mul_u32_u24_sdwa v1, v7, s6 dst_sel:DWORD dst_unused:UNUSED_PAD src0_sel:WORD_1 src1_sel:DWORD
	v_mul_u32_u24_sdwa v3, v2, s6 dst_sel:DWORD dst_unused:UNUSED_PAD src0_sel:WORD_0 src1_sel:DWORD
	v_lshrrev_b32_e32 v1, 19, v1
	v_lshrrev_b32_e32 v3, 19, v3
	v_mul_lo_u16_e32 v1, 10, v1
	v_mul_lo_u16_e32 v3, 10, v3
	v_sub_u16_sdwa v1, v7, v1 dst_sel:DWORD dst_unused:UNUSED_PAD src0_sel:WORD_1 src1_sel:DWORD
	v_sub_u16_e32 v2, v2, v3
	v_add_u16_e32 v1, v2, v1
	v_add_u16_e32 v2, -10, v1
	v_min_u16_e32 v2, v1, v2
	s_or_b64 exec, exec, s[4:5]
	s_and_saveexec_b64 s[4:5], s[24:25]
	s_cbranch_execnz .LBB648_510
.LBB648_525:
	s_or_b64 exec, exec, s[4:5]
	s_and_saveexec_b64 s[4:5], s[26:27]
	s_cbranch_execz .LBB648_511
.LBB648_526:
	s_mov_b32 s6, 0xcccd
	v_mul_u32_u24_sdwa v1, v8, s6 dst_sel:DWORD dst_unused:UNUSED_PAD src0_sel:WORD_1 src1_sel:DWORD
	v_mul_u32_u24_sdwa v3, v2, s6 dst_sel:DWORD dst_unused:UNUSED_PAD src0_sel:WORD_0 src1_sel:DWORD
	v_lshrrev_b32_e32 v1, 19, v1
	v_lshrrev_b32_e32 v3, 19, v3
	v_mul_lo_u16_e32 v1, 10, v1
	v_mul_lo_u16_e32 v3, 10, v3
	v_sub_u16_sdwa v1, v8, v1 dst_sel:DWORD dst_unused:UNUSED_PAD src0_sel:WORD_1 src1_sel:DWORD
	v_sub_u16_e32 v2, v2, v3
	v_add_u16_e32 v1, v2, v1
	v_add_u16_e32 v2, -10, v1
	v_min_u16_e32 v2, v1, v2
	s_or_b64 exec, exec, s[4:5]
	s_and_saveexec_b64 s[4:5], s[28:29]
	s_cbranch_execnz .LBB648_512
.LBB648_527:
	s_or_b64 exec, exec, s[4:5]
	s_and_saveexec_b64 s[4:5], s[30:31]
	s_cbranch_execz .LBB648_529
.LBB648_528:
	s_mov_b32 s6, 0xcccd
	v_mul_u32_u24_sdwa v1, v9, s6 dst_sel:DWORD dst_unused:UNUSED_PAD src0_sel:WORD_1 src1_sel:DWORD
	v_mul_u32_u24_sdwa v3, v2, s6 dst_sel:DWORD dst_unused:UNUSED_PAD src0_sel:WORD_0 src1_sel:DWORD
	v_lshrrev_b32_e32 v1, 19, v1
	v_lshrrev_b32_e32 v3, 19, v3
	v_mul_lo_u16_e32 v1, 10, v1
	v_mul_lo_u16_e32 v3, 10, v3
	v_sub_u16_sdwa v1, v9, v1 dst_sel:DWORD dst_unused:UNUSED_PAD src0_sel:WORD_1 src1_sel:DWORD
	v_sub_u16_e32 v2, v2, v3
	v_add_u16_e32 v1, v2, v1
	v_add_u16_e32 v2, -10, v1
	v_min_u16_e32 v2, v1, v2
.LBB648_529:
	s_or_b64 exec, exec, s[4:5]
	v_mbcnt_lo_u32_b32 v1, -1, 0
	v_mbcnt_hi_u32_b32 v1, -1, v1
	v_and_b32_e32 v3, 63, v1
	v_cmp_ne_u32_e32 vcc, 63, v3
	v_and_b32_e32 v5, 0xffff, v2
	s_min_u32 s6, s38, 0x80
	v_addc_co_u32_e32 v4, vcc, 0, v1, vcc
	v_lshlrev_b32_e32 v4, 2, v4
	ds_bpermute_b32 v6, v4, v5
	v_and_b32_e32 v4, 64, v0
	v_sub_u32_e64 v4, s6, v4 clamp
	v_add_u32_e32 v7, 1, v3
	v_cmp_lt_u32_e32 vcc, v7, v4
	s_and_saveexec_b64 s[4:5], vcc
	s_xor_b64 s[4:5], exec, s[4:5]
	s_cbranch_execz .LBB648_531
; %bb.530:
	s_mov_b32 s7, 0xcccd
	s_waitcnt lgkmcnt(0)
	v_mul_u32_u24_sdwa v5, v6, s7 dst_sel:DWORD dst_unused:UNUSED_PAD src0_sel:WORD_0 src1_sel:DWORD
	v_lshrrev_b32_e32 v5, 19, v5
	v_mul_lo_u16_e32 v5, 10, v5
	v_sub_u16_e32 v5, v6, v5
	v_mul_u32_u24_sdwa v6, v2, s7 dst_sel:DWORD dst_unused:UNUSED_PAD src0_sel:WORD_0 src1_sel:DWORD
	v_lshrrev_b32_e32 v6, 19, v6
	v_mul_lo_u16_e32 v6, 10, v6
	v_sub_u16_e32 v2, v2, v6
	v_add_u16_e32 v5, v5, v2
	v_add_u16_e32 v6, -10, v5
	v_min_u16_e32 v2, v5, v6
	v_min_u16_e32 v5, v5, v6
.LBB648_531:
	s_or_b64 exec, exec, s[4:5]
	v_cmp_gt_u32_e32 vcc, 62, v3
	v_add_u32_e32 v7, 2, v3
	s_waitcnt lgkmcnt(0)
	v_cndmask_b32_e64 v6, 0, 2, vcc
	v_add_lshl_u32 v6, v6, v1, 2
	ds_bpermute_b32 v6, v6, v5
	v_cmp_lt_u32_e32 vcc, v7, v4
	s_and_saveexec_b64 s[4:5], vcc
	s_cbranch_execz .LBB648_533
; %bb.532:
	s_mov_b32 s7, 0xcccd
	s_waitcnt lgkmcnt(0)
	v_mul_u32_u24_sdwa v5, v6, s7 dst_sel:DWORD dst_unused:UNUSED_PAD src0_sel:WORD_0 src1_sel:DWORD
	v_lshrrev_b32_e32 v5, 19, v5
	v_mul_lo_u16_e32 v5, 10, v5
	v_sub_u16_e32 v5, v6, v5
	v_mul_u32_u24_sdwa v6, v2, s7 dst_sel:DWORD dst_unused:UNUSED_PAD src0_sel:WORD_0 src1_sel:DWORD
	v_lshrrev_b32_e32 v6, 19, v6
	v_mul_lo_u16_e32 v6, 10, v6
	v_sub_u16_e32 v2, v2, v6
	v_add_u16_e32 v5, v5, v2
	v_add_u16_e32 v6, -10, v5
	v_min_u16_e32 v2, v5, v6
	v_min_u16_e32 v5, v5, v6
.LBB648_533:
	s_or_b64 exec, exec, s[4:5]
	v_cmp_gt_u32_e32 vcc, 60, v3
	v_add_u32_e32 v7, 4, v3
	s_waitcnt lgkmcnt(0)
	v_cndmask_b32_e64 v6, 0, 4, vcc
	v_add_lshl_u32 v6, v6, v1, 2
	ds_bpermute_b32 v6, v6, v5
	v_cmp_lt_u32_e32 vcc, v7, v4
	s_and_saveexec_b64 s[4:5], vcc
	;; [unrolled: 26-line block ×4, first 2 shown]
	s_cbranch_execz .LBB648_539
; %bb.538:
	s_mov_b32 s7, 0xcccd
	s_waitcnt lgkmcnt(0)
	v_mul_u32_u24_sdwa v5, v6, s7 dst_sel:DWORD dst_unused:UNUSED_PAD src0_sel:WORD_0 src1_sel:DWORD
	v_lshrrev_b32_e32 v5, 19, v5
	v_mul_lo_u16_e32 v5, 10, v5
	v_sub_u16_e32 v5, v6, v5
	v_mul_u32_u24_sdwa v6, v2, s7 dst_sel:DWORD dst_unused:UNUSED_PAD src0_sel:WORD_0 src1_sel:DWORD
	v_lshrrev_b32_e32 v6, 19, v6
	v_mul_lo_u16_e32 v6, 10, v6
	v_sub_u16_e32 v2, v2, v6
	v_add_u16_e32 v5, v5, v2
	v_add_u16_e32 v6, -10, v5
	v_min_u16_e32 v2, v5, v6
	v_min_u16_e32 v5, v5, v6
.LBB648_539:
	s_or_b64 exec, exec, s[4:5]
	s_waitcnt lgkmcnt(0)
	v_lshlrev_b32_e32 v6, 2, v1
	v_or_b32_e32 v7, 0x80, v6
	ds_bpermute_b32 v5, v7, v5
	v_add_u32_e32 v3, 32, v3
	v_cmp_lt_u32_e32 vcc, v3, v4
	s_and_saveexec_b64 s[4:5], vcc
	s_cbranch_execz .LBB648_541
; %bb.540:
	s_mov_b32 s7, 0xcccd
	s_waitcnt lgkmcnt(0)
	v_mul_u32_u24_sdwa v3, v5, s7 dst_sel:DWORD dst_unused:UNUSED_PAD src0_sel:WORD_0 src1_sel:DWORD
	v_mul_u32_u24_sdwa v4, v2, s7 dst_sel:DWORD dst_unused:UNUSED_PAD src0_sel:WORD_0 src1_sel:DWORD
	v_lshrrev_b32_e32 v3, 19, v3
	v_lshrrev_b32_e32 v4, 19, v4
	v_mul_lo_u16_e32 v3, 10, v3
	v_mul_lo_u16_e32 v4, 10, v4
	v_sub_u16_e32 v3, v5, v3
	v_sub_u16_e32 v2, v2, v4
	v_add_u16_e32 v2, v3, v2
	v_add_u16_e32 v3, -10, v2
	v_min_u16_e32 v2, v2, v3
.LBB648_541:
	s_or_b64 exec, exec, s[4:5]
	v_cmp_eq_u32_e32 vcc, 0, v1
	s_and_saveexec_b64 s[4:5], vcc
; %bb.542:
	v_lshrrev_b32_e32 v3, 5, v0
	v_and_b32_e32 v3, 2, v3
	ds_write_b16 v3, v2
; %bb.543:
	s_or_b64 exec, exec, s[4:5]
	v_cmp_gt_u32_e32 vcc, 2, v0
	s_waitcnt lgkmcnt(0)
	s_barrier
	s_and_saveexec_b64 s[4:5], vcc
	s_cbranch_execz .LBB648_547
; %bb.544:
	v_lshlrev_b32_e32 v2, 1, v1
	ds_read_u16 v2, v2
	v_or_b32_e32 v4, 4, v6
	s_add_i32 s6, s6, 63
	v_and_b32_e32 v1, 1, v1
	s_lshr_b32 s6, s6, 6
	s_waitcnt lgkmcnt(0)
	v_and_b32_e32 v3, 0xffff, v2
	ds_bpermute_b32 v4, v4, v3
	v_add_u32_e32 v1, 1, v1
	v_cmp_gt_u32_e32 vcc, s6, v1
	s_and_saveexec_b64 s[6:7], vcc
	s_cbranch_execz .LBB648_546
; %bb.545:
	s_mov_b32 s8, 0xcccd
	s_waitcnt lgkmcnt(0)
	v_mul_u32_u24_sdwa v1, v4, s8 dst_sel:DWORD dst_unused:UNUSED_PAD src0_sel:WORD_0 src1_sel:DWORD
	v_mul_u32_u24_e32 v3, 0xcccd, v3
	v_lshrrev_b32_e32 v1, 19, v1
	v_lshrrev_b32_e32 v3, 19, v3
	v_mul_lo_u16_e32 v1, 10, v1
	v_mul_lo_u16_e32 v3, 10, v3
	v_sub_u16_e32 v1, v4, v1
	v_sub_u16_e32 v2, v2, v3
	v_add_u16_e32 v1, v1, v2
	v_add_u16_e32 v2, -10, v1
	v_min_u16_e32 v2, v1, v2
.LBB648_546:
	s_or_b64 exec, exec, s[6:7]
.LBB648_547:
	s_or_b64 exec, exec, s[4:5]
.LBB648_548:
	v_cmp_eq_u32_e32 vcc, 0, v0
                                        ; implicit-def: $vgpr1
	s_and_saveexec_b64 s[4:5], vcc
	s_xor_b64 s[4:5], exec, s[4:5]
	s_cbranch_execz .LBB648_552
; %bb.549:
	s_cmp_eq_u64 s[70:71], 0
	v_mov_b32_e32 v1, s33
	s_cbranch_scc1 .LBB648_551
; %bb.550:
	s_mov_b32 s6, 0xcccd
	v_mul_u32_u24_sdwa v1, v2, s6 dst_sel:DWORD dst_unused:UNUSED_PAD src0_sel:WORD_0 src1_sel:DWORD
	s_and_b32 s6, 0xffff, s33
	s_mul_i32 s6, s6, 0xcccd
	v_lshrrev_b32_e32 v1, 19, v1
	s_lshr_b32 s6, s6, 19
	v_mul_lo_u16_e32 v1, 10, v1
	s_mul_i32 s6, s6, 10
	v_sub_u16_e32 v1, v2, v1
	s_sub_i32 s6, s33, s6
	v_add_u16_e32 v1, s6, v1
	v_add_u16_e32 v2, -10, v1
	v_min_u16_e32 v1, v1, v2
.LBB648_551:
	s_or_b64 s[66:67], s[66:67], exec
.LBB648_552:
	s_or_b64 exec, exec, s[4:5]
	s_branch .LBB648_561
.LBB648_553:
	s_cmp_eq_u32 s76, 8
	s_cbranch_scc0 .LBB648_560
; %bb.554:
	s_mov_b32 s3, 0
	s_lshl_b32 s4, s2, 10
	s_mov_b32 s5, s3
	s_lshr_b64 s[6:7], s[70:71], 10
	s_lshl_b64 s[8:9], s[4:5], 1
	s_add_u32 s16, s68, s8
	s_addc_u32 s17, s69, s9
	s_cmp_lg_u64 s[6:7], s[2:3]
	s_cbranch_scc0 .LBB648_582
; %bb.555:
	v_lshlrev_b32_e32 v1, 1, v0
	global_load_ushort v2, v1, s[16:17] offset:256
	s_waitcnt lgkmcnt(0)
	global_load_ushort v4, v1, s[16:17]
	global_load_ushort v5, v1, s[16:17] offset:512
	global_load_ushort v6, v1, s[16:17] offset:768
	;; [unrolled: 1-line block ×6, first 2 shown]
	s_mov_b32 s5, 0xcccd
	v_mbcnt_lo_u32_b32 v1, -1, 0
	v_mbcnt_hi_u32_b32 v1, -1, v1
	v_lshlrev_b32_e32 v3, 2, v1
	v_cmp_eq_u32_e32 vcc, 0, v1
	s_waitcnt vmcnt(7)
	v_mul_u32_u24_sdwa v11, v2, s5 dst_sel:DWORD dst_unused:UNUSED_PAD src0_sel:WORD_0 src1_sel:DWORD
	s_waitcnt vmcnt(6)
	v_mul_u32_u24_sdwa v12, v4, s5 dst_sel:DWORD dst_unused:UNUSED_PAD src0_sel:WORD_0 src1_sel:DWORD
	v_lshrrev_b32_e32 v11, 19, v11
	v_lshrrev_b32_e32 v12, 19, v12
	v_mul_lo_u16_e32 v11, 10, v11
	v_mul_lo_u16_e32 v12, 10, v12
	v_sub_u16_e32 v2, v2, v11
	v_sub_u16_e32 v4, v4, v12
	v_add_u16_e32 v2, v2, v4
	v_add_u16_e32 v4, -10, v2
	v_min_u16_e32 v2, v2, v4
	s_waitcnt vmcnt(5)
	v_mul_u32_u24_sdwa v13, v5, s5 dst_sel:DWORD dst_unused:UNUSED_PAD src0_sel:WORD_0 src1_sel:DWORD
	v_mul_u32_u24_e32 v4, 0xcccd, v2
	v_lshrrev_b32_e32 v13, 19, v13
	v_lshrrev_b32_e32 v4, 19, v4
	v_mul_lo_u16_e32 v13, 10, v13
	v_mul_lo_u16_e32 v4, 10, v4
	v_sub_u16_e32 v5, v5, v13
	v_sub_u16_e32 v2, v2, v4
	v_add_u16_e32 v2, v2, v5
	v_add_u16_e32 v4, -10, v2
	v_min_u16_e32 v2, v2, v4
	s_waitcnt vmcnt(4)
	v_mul_u32_u24_sdwa v14, v6, s5 dst_sel:DWORD dst_unused:UNUSED_PAD src0_sel:WORD_0 src1_sel:DWORD
	v_mul_u32_u24_e32 v4, 0xcccd, v2
	;; [unrolled: 12-line block ×6, first 2 shown]
	v_lshrrev_b32_e32 v18, 19, v18
	v_lshrrev_b32_e32 v4, 19, v4
	v_mul_lo_u16_e32 v18, 10, v18
	v_mul_lo_u16_e32 v4, 10, v4
	v_sub_u16_e32 v10, v10, v18
	v_sub_u16_e32 v2, v2, v4
	v_add_u16_e32 v2, v2, v10
	v_add_u16_e32 v4, -10, v2
	v_min_u16_e32 v2, v2, v4
	v_mul_u32_u24_e32 v5, 0xcccd, v2
	v_lshrrev_b32_e32 v5, 19, v5
	v_mov_b32_dpp v4, v2 quad_perm:[1,0,3,2] row_mask:0xf bank_mask:0xf bound_ctrl:1
	v_mul_u32_u24_sdwa v6, v4, s5 dst_sel:DWORD dst_unused:UNUSED_PAD src0_sel:WORD_0 src1_sel:DWORD
	v_mul_lo_u16_e32 v5, 10, v5
	v_lshrrev_b32_e32 v6, 19, v6
	v_sub_u16_e32 v2, v2, v5
	v_mul_lo_u16_e32 v5, 10, v6
	v_sub_u16_e32 v4, v4, v5
	v_add_u16_e32 v2, v2, v4
	v_add_u16_e32 v4, -10, v2
	v_min_u16_e32 v2, v2, v4
	s_nop 1
	v_mov_b32_dpp v4, v2 quad_perm:[2,3,0,1] row_mask:0xf bank_mask:0xf bound_ctrl:1
	v_mul_u32_u24_sdwa v5, v4, s5 dst_sel:DWORD dst_unused:UNUSED_PAD src0_sel:WORD_0 src1_sel:DWORD
	v_lshrrev_b32_e32 v5, 19, v5
	v_mul_lo_u16_e32 v5, 10, v5
	v_sub_u16_e32 v4, v4, v5
	v_add_u16_e32 v2, v2, v4
	v_add_u16_e32 v4, -10, v2
	v_min_u16_e32 v2, v2, v4
	v_mul_u32_u24_e32 v5, 0xcccd, v2
	v_lshrrev_b32_e32 v5, 19, v5
	v_mov_b32_dpp v4, v2 row_ror:4 row_mask:0xf bank_mask:0xf bound_ctrl:1
	v_mul_u32_u24_sdwa v6, v4, s5 dst_sel:DWORD dst_unused:UNUSED_PAD src0_sel:WORD_0 src1_sel:DWORD
	v_mul_lo_u16_e32 v5, 10, v5
	v_lshrrev_b32_e32 v6, 19, v6
	v_sub_u16_e32 v2, v2, v5
	v_mul_lo_u16_e32 v5, 10, v6
	v_sub_u16_e32 v4, v4, v5
	v_add_u16_e32 v2, v2, v4
	v_add_u16_e32 v4, -10, v2
	v_min_u16_e32 v2, v2, v4
	v_mul_u32_u24_e32 v5, 0xcccd, v2
	v_lshrrev_b32_e32 v5, 19, v5
	v_mov_b32_dpp v4, v2 row_ror:8 row_mask:0xf bank_mask:0xf bound_ctrl:1
	v_mul_u32_u24_sdwa v6, v4, s5 dst_sel:DWORD dst_unused:UNUSED_PAD src0_sel:WORD_0 src1_sel:DWORD
	v_mul_lo_u16_e32 v5, 10, v5
	v_lshrrev_b32_e32 v6, 19, v6
	v_sub_u16_e32 v2, v2, v5
	v_mul_lo_u16_e32 v5, 10, v6
	v_sub_u16_e32 v4, v4, v5
	v_add_u16_e32 v2, v2, v4
	v_add_u16_e32 v4, -10, v2
	v_min_u16_e32 v2, v2, v4
	v_mul_u32_u24_e32 v5, 0xcccd, v2
	v_lshrrev_b32_e32 v5, 19, v5
	v_mov_b32_dpp v4, v2 row_bcast:15 row_mask:0xf bank_mask:0xf bound_ctrl:1
	v_mul_u32_u24_sdwa v6, v4, s5 dst_sel:DWORD dst_unused:UNUSED_PAD src0_sel:WORD_0 src1_sel:DWORD
	v_mul_lo_u16_e32 v5, 10, v5
	v_lshrrev_b32_e32 v6, 19, v6
	v_sub_u16_e32 v2, v2, v5
	v_mul_lo_u16_e32 v5, 10, v6
	v_sub_u16_e32 v4, v4, v5
	v_add_u16_e32 v2, v2, v4
	v_add_u16_e32 v4, -10, v2
	v_min_u16_e32 v2, v2, v4
	v_mul_u32_u24_e32 v5, 0xcccd, v2
	v_lshrrev_b32_e32 v5, 19, v5
	v_mov_b32_dpp v4, v2 row_bcast:31 row_mask:0xf bank_mask:0xf bound_ctrl:1
	v_mul_u32_u24_sdwa v6, v4, s5 dst_sel:DWORD dst_unused:UNUSED_PAD src0_sel:WORD_0 src1_sel:DWORD
	v_mul_lo_u16_e32 v5, 10, v5
	v_lshrrev_b32_e32 v6, 19, v6
	v_sub_u16_e32 v2, v2, v5
	v_mul_lo_u16_e32 v5, 10, v6
	v_sub_u16_e32 v4, v4, v5
	v_add_u16_e32 v2, v2, v4
	v_add_u16_e32 v4, -10, v2
	v_or_b32_e32 v5, 0xfc, v3
	v_min_u16_e32 v2, v2, v4
	ds_bpermute_b32 v2, v5, v2
	s_and_saveexec_b64 s[6:7], vcc
	s_cbranch_execz .LBB648_557
; %bb.556:
	v_lshrrev_b32_e32 v4, 5, v0
	v_and_b32_e32 v4, 2, v4
	s_waitcnt lgkmcnt(0)
	ds_write_b16 v4, v2 offset:28
.LBB648_557:
	s_or_b64 exec, exec, s[6:7]
	v_cmp_gt_u32_e32 vcc, 64, v0
	s_waitcnt lgkmcnt(0)
	s_barrier
	s_and_saveexec_b64 s[6:7], vcc
	s_cbranch_execz .LBB648_559
; %bb.558:
	v_and_b32_e32 v1, 1, v1
	v_lshlrev_b32_e32 v1, 1, v1
	ds_read_u16 v1, v1 offset:28
	v_or_b32_e32 v2, 4, v3
	s_waitcnt lgkmcnt(0)
	v_and_b32_e32 v3, 0xffff, v1
	ds_bpermute_b32 v2, v2, v3
	v_mul_u32_u24_e32 v3, 0xcccd, v3
	v_lshrrev_b32_e32 v3, 19, v3
	v_mul_lo_u16_e32 v3, 10, v3
	v_sub_u16_e32 v1, v1, v3
	s_waitcnt lgkmcnt(0)
	v_mul_u32_u24_sdwa v4, v2, s5 dst_sel:DWORD dst_unused:UNUSED_PAD src0_sel:WORD_0 src1_sel:DWORD
	v_lshrrev_b32_e32 v4, 19, v4
	v_mul_lo_u16_e32 v4, 10, v4
	v_sub_u16_e32 v2, v2, v4
	v_add_u16_e32 v1, v2, v1
	v_add_u16_e32 v2, -10, v1
	v_min_u16_e32 v2, v1, v2
.LBB648_559:
	s_or_b64 exec, exec, s[6:7]
	s_mov_b64 s[6:7], 0
	s_branch .LBB648_583
.LBB648_560:
                                        ; implicit-def: $vgpr1
.LBB648_561:
	s_branch .LBB648_719
.LBB648_562:
	s_cmp_gt_i32 s76, 1
	s_cbranch_scc0 .LBB648_571
; %bb.563:
	s_cmp_gt_i32 s76, 3
	s_cbranch_scc0 .LBB648_572
; %bb.564:
	s_cmp_eq_u32 s76, 4
	s_cbranch_scc0 .LBB648_580
; %bb.565:
	s_mov_b32 s3, 0
	s_lshl_b32 s4, s2, 9
	s_mov_b32 s5, s3
	s_lshr_b64 s[6:7], s[70:71], 9
	s_lshl_b64 s[8:9], s[4:5], 1
	s_add_u32 s8, s68, s8
	s_addc_u32 s9, s69, s9
	s_cmp_lg_u64 s[6:7], s[2:3]
	s_cbranch_scc0 .LBB648_606
; %bb.566:
	v_lshlrev_b32_e32 v1, 1, v0
	global_load_ushort v2, v1, s[8:9] offset:256
	s_waitcnt lgkmcnt(0)
	global_load_ushort v4, v1, s[8:9]
	global_load_ushort v5, v1, s[8:9] offset:512
	global_load_ushort v6, v1, s[8:9] offset:768
	s_mov_b32 s5, 0xcccd
	v_mbcnt_lo_u32_b32 v1, -1, 0
	v_mbcnt_hi_u32_b32 v1, -1, v1
	v_lshlrev_b32_e32 v3, 2, v1
	v_cmp_eq_u32_e32 vcc, 0, v1
	s_waitcnt vmcnt(3)
	v_mul_u32_u24_sdwa v7, v2, s5 dst_sel:DWORD dst_unused:UNUSED_PAD src0_sel:WORD_0 src1_sel:DWORD
	s_waitcnt vmcnt(2)
	v_mul_u32_u24_sdwa v8, v4, s5 dst_sel:DWORD dst_unused:UNUSED_PAD src0_sel:WORD_0 src1_sel:DWORD
	v_lshrrev_b32_e32 v7, 19, v7
	v_lshrrev_b32_e32 v8, 19, v8
	v_mul_lo_u16_e32 v7, 10, v7
	v_mul_lo_u16_e32 v8, 10, v8
	v_sub_u16_e32 v2, v2, v7
	v_sub_u16_e32 v4, v4, v8
	v_add_u16_e32 v2, v2, v4
	v_add_u16_e32 v4, -10, v2
	v_min_u16_e32 v2, v2, v4
	s_waitcnt vmcnt(1)
	v_mul_u32_u24_sdwa v9, v5, s5 dst_sel:DWORD dst_unused:UNUSED_PAD src0_sel:WORD_0 src1_sel:DWORD
	v_mul_u32_u24_e32 v4, 0xcccd, v2
	v_lshrrev_b32_e32 v9, 19, v9
	v_lshrrev_b32_e32 v4, 19, v4
	v_mul_lo_u16_e32 v9, 10, v9
	v_mul_lo_u16_e32 v4, 10, v4
	v_sub_u16_e32 v5, v5, v9
	v_sub_u16_e32 v2, v2, v4
	v_add_u16_e32 v2, v2, v5
	v_add_u16_e32 v4, -10, v2
	v_min_u16_e32 v2, v2, v4
	s_waitcnt vmcnt(0)
	v_mul_u32_u24_sdwa v10, v6, s5 dst_sel:DWORD dst_unused:UNUSED_PAD src0_sel:WORD_0 src1_sel:DWORD
	v_mul_u32_u24_e32 v4, 0xcccd, v2
	v_lshrrev_b32_e32 v10, 19, v10
	v_lshrrev_b32_e32 v4, 19, v4
	v_mul_lo_u16_e32 v10, 10, v10
	v_mul_lo_u16_e32 v4, 10, v4
	v_sub_u16_e32 v6, v6, v10
	v_sub_u16_e32 v2, v2, v4
	v_add_u16_e32 v2, v2, v6
	v_add_u16_e32 v4, -10, v2
	v_min_u16_e32 v2, v2, v4
	v_mul_u32_u24_e32 v5, 0xcccd, v2
	v_lshrrev_b32_e32 v5, 19, v5
	v_mov_b32_dpp v4, v2 quad_perm:[1,0,3,2] row_mask:0xf bank_mask:0xf bound_ctrl:1
	v_mul_u32_u24_sdwa v6, v4, s5 dst_sel:DWORD dst_unused:UNUSED_PAD src0_sel:WORD_0 src1_sel:DWORD
	v_mul_lo_u16_e32 v5, 10, v5
	v_lshrrev_b32_e32 v6, 19, v6
	v_sub_u16_e32 v2, v2, v5
	v_mul_lo_u16_e32 v5, 10, v6
	v_sub_u16_e32 v4, v4, v5
	v_add_u16_e32 v2, v2, v4
	v_add_u16_e32 v4, -10, v2
	v_min_u16_e32 v2, v2, v4
	s_nop 1
	v_mov_b32_dpp v4, v2 quad_perm:[2,3,0,1] row_mask:0xf bank_mask:0xf bound_ctrl:1
	v_mul_u32_u24_sdwa v5, v4, s5 dst_sel:DWORD dst_unused:UNUSED_PAD src0_sel:WORD_0 src1_sel:DWORD
	v_lshrrev_b32_e32 v5, 19, v5
	v_mul_lo_u16_e32 v5, 10, v5
	v_sub_u16_e32 v4, v4, v5
	v_add_u16_e32 v2, v2, v4
	v_add_u16_e32 v4, -10, v2
	v_min_u16_e32 v2, v2, v4
	v_mul_u32_u24_e32 v5, 0xcccd, v2
	v_lshrrev_b32_e32 v5, 19, v5
	v_mov_b32_dpp v4, v2 row_ror:4 row_mask:0xf bank_mask:0xf bound_ctrl:1
	v_mul_u32_u24_sdwa v6, v4, s5 dst_sel:DWORD dst_unused:UNUSED_PAD src0_sel:WORD_0 src1_sel:DWORD
	v_mul_lo_u16_e32 v5, 10, v5
	v_lshrrev_b32_e32 v6, 19, v6
	v_sub_u16_e32 v2, v2, v5
	v_mul_lo_u16_e32 v5, 10, v6
	v_sub_u16_e32 v4, v4, v5
	v_add_u16_e32 v2, v2, v4
	v_add_u16_e32 v4, -10, v2
	v_min_u16_e32 v2, v2, v4
	v_mul_u32_u24_e32 v5, 0xcccd, v2
	v_lshrrev_b32_e32 v5, 19, v5
	v_mov_b32_dpp v4, v2 row_ror:8 row_mask:0xf bank_mask:0xf bound_ctrl:1
	v_mul_u32_u24_sdwa v6, v4, s5 dst_sel:DWORD dst_unused:UNUSED_PAD src0_sel:WORD_0 src1_sel:DWORD
	v_mul_lo_u16_e32 v5, 10, v5
	v_lshrrev_b32_e32 v6, 19, v6
	v_sub_u16_e32 v2, v2, v5
	v_mul_lo_u16_e32 v5, 10, v6
	v_sub_u16_e32 v4, v4, v5
	v_add_u16_e32 v2, v2, v4
	v_add_u16_e32 v4, -10, v2
	v_min_u16_e32 v2, v2, v4
	v_mul_u32_u24_e32 v5, 0xcccd, v2
	v_lshrrev_b32_e32 v5, 19, v5
	v_mov_b32_dpp v4, v2 row_bcast:15 row_mask:0xf bank_mask:0xf bound_ctrl:1
	v_mul_u32_u24_sdwa v6, v4, s5 dst_sel:DWORD dst_unused:UNUSED_PAD src0_sel:WORD_0 src1_sel:DWORD
	v_mul_lo_u16_e32 v5, 10, v5
	v_lshrrev_b32_e32 v6, 19, v6
	v_sub_u16_e32 v2, v2, v5
	v_mul_lo_u16_e32 v5, 10, v6
	v_sub_u16_e32 v4, v4, v5
	v_add_u16_e32 v2, v2, v4
	v_add_u16_e32 v4, -10, v2
	v_min_u16_e32 v2, v2, v4
	v_mul_u32_u24_e32 v5, 0xcccd, v2
	v_lshrrev_b32_e32 v5, 19, v5
	v_mov_b32_dpp v4, v2 row_bcast:31 row_mask:0xf bank_mask:0xf bound_ctrl:1
	v_mul_u32_u24_sdwa v6, v4, s5 dst_sel:DWORD dst_unused:UNUSED_PAD src0_sel:WORD_0 src1_sel:DWORD
	v_mul_lo_u16_e32 v5, 10, v5
	v_lshrrev_b32_e32 v6, 19, v6
	v_sub_u16_e32 v2, v2, v5
	v_mul_lo_u16_e32 v5, 10, v6
	v_sub_u16_e32 v4, v4, v5
	v_add_u16_e32 v2, v2, v4
	v_add_u16_e32 v4, -10, v2
	v_or_b32_e32 v5, 0xfc, v3
	v_min_u16_e32 v2, v2, v4
	ds_bpermute_b32 v2, v5, v2
	s_and_saveexec_b64 s[6:7], vcc
	s_cbranch_execz .LBB648_568
; %bb.567:
	v_lshrrev_b32_e32 v4, 5, v0
	v_and_b32_e32 v4, 2, v4
	s_waitcnt lgkmcnt(0)
	ds_write_b16 v4, v2 offset:20
.LBB648_568:
	s_or_b64 exec, exec, s[6:7]
	v_cmp_gt_u32_e32 vcc, 64, v0
	s_waitcnt lgkmcnt(0)
	s_barrier
	s_and_saveexec_b64 s[6:7], vcc
	s_cbranch_execz .LBB648_570
; %bb.569:
	v_and_b32_e32 v1, 1, v1
	v_lshlrev_b32_e32 v1, 1, v1
	ds_read_u16 v1, v1 offset:20
	v_or_b32_e32 v2, 4, v3
	s_waitcnt lgkmcnt(0)
	v_and_b32_e32 v3, 0xffff, v1
	ds_bpermute_b32 v2, v2, v3
	v_mul_u32_u24_e32 v3, 0xcccd, v3
	v_lshrrev_b32_e32 v3, 19, v3
	v_mul_lo_u16_e32 v3, 10, v3
	v_sub_u16_e32 v1, v1, v3
	s_waitcnt lgkmcnt(0)
	v_mul_u32_u24_sdwa v4, v2, s5 dst_sel:DWORD dst_unused:UNUSED_PAD src0_sel:WORD_0 src1_sel:DWORD
	v_lshrrev_b32_e32 v4, 19, v4
	v_mul_lo_u16_e32 v4, 10, v4
	v_sub_u16_e32 v2, v2, v4
	v_add_u16_e32 v1, v2, v1
	v_add_u16_e32 v2, -10, v1
	v_min_u16_e32 v2, v1, v2
.LBB648_570:
	s_or_b64 exec, exec, s[6:7]
	s_mov_b64 s[6:7], 0
	s_branch .LBB648_607
.LBB648_571:
                                        ; implicit-def: $vgpr1
	s_cbranch_execnz .LBB648_711
	s_branch .LBB648_719
.LBB648_572:
                                        ; implicit-def: $vgpr1
	s_cbranch_execz .LBB648_710
; %bb.573:
	s_cmp_eq_u32 s76, 2
	s_cbranch_scc0 .LBB648_581
; %bb.574:
	s_mov_b32 s3, 0
	s_lshl_b32 s6, s2, 8
	s_mov_b32 s7, s3
	s_lshr_b64 s[8:9], s[70:71], 8
	s_lshl_b64 s[4:5], s[6:7], 1
	s_add_u32 s4, s68, s4
	s_addc_u32 s5, s69, s5
	s_cmp_lg_u64 s[8:9], s[2:3]
	s_cbranch_scc0 .LBB648_618
; %bb.575:
	v_lshlrev_b32_e32 v1, 1, v0
	global_load_ushort v2, v1, s[4:5] offset:256
	s_waitcnt lgkmcnt(0)
	global_load_ushort v4, v1, s[4:5]
	s_mov_b32 s7, 0xcccd
	v_mbcnt_lo_u32_b32 v1, -1, 0
	v_mbcnt_hi_u32_b32 v1, -1, v1
	v_lshlrev_b32_e32 v3, 2, v1
	v_cmp_eq_u32_e32 vcc, 0, v1
	s_waitcnt vmcnt(1)
	v_mul_u32_u24_sdwa v5, v2, s7 dst_sel:DWORD dst_unused:UNUSED_PAD src0_sel:WORD_0 src1_sel:DWORD
	s_waitcnt vmcnt(0)
	v_mul_u32_u24_sdwa v6, v4, s7 dst_sel:DWORD dst_unused:UNUSED_PAD src0_sel:WORD_0 src1_sel:DWORD
	v_lshrrev_b32_e32 v5, 19, v5
	v_lshrrev_b32_e32 v6, 19, v6
	v_mul_lo_u16_e32 v5, 10, v5
	v_mul_lo_u16_e32 v6, 10, v6
	v_sub_u16_e32 v2, v2, v5
	v_sub_u16_e32 v4, v4, v6
	v_add_u16_e32 v2, v2, v4
	v_add_u16_e32 v4, -10, v2
	v_min_u16_e32 v2, v2, v4
	v_mul_u32_u24_e32 v5, 0xcccd, v2
	v_lshrrev_b32_e32 v5, 19, v5
	v_mov_b32_dpp v4, v2 quad_perm:[1,0,3,2] row_mask:0xf bank_mask:0xf bound_ctrl:1
	v_mul_u32_u24_sdwa v6, v4, s7 dst_sel:DWORD dst_unused:UNUSED_PAD src0_sel:WORD_0 src1_sel:DWORD
	v_mul_lo_u16_e32 v5, 10, v5
	v_lshrrev_b32_e32 v6, 19, v6
	v_sub_u16_e32 v2, v2, v5
	v_mul_lo_u16_e32 v5, 10, v6
	v_sub_u16_e32 v4, v4, v5
	v_add_u16_e32 v2, v4, v2
	v_add_u16_e32 v4, -10, v2
	v_min_u16_e32 v2, v2, v4
	s_nop 1
	v_mov_b32_dpp v4, v2 quad_perm:[2,3,0,1] row_mask:0xf bank_mask:0xf bound_ctrl:1
	v_mul_u32_u24_sdwa v5, v4, s7 dst_sel:DWORD dst_unused:UNUSED_PAD src0_sel:WORD_0 src1_sel:DWORD
	v_lshrrev_b32_e32 v5, 19, v5
	v_mul_lo_u16_e32 v5, 10, v5
	v_sub_u16_e32 v4, v4, v5
	v_add_u16_e32 v2, v2, v4
	v_add_u16_e32 v4, -10, v2
	v_min_u16_e32 v2, v2, v4
	v_mul_u32_u24_e32 v5, 0xcccd, v2
	v_lshrrev_b32_e32 v5, 19, v5
	v_mov_b32_dpp v4, v2 row_ror:4 row_mask:0xf bank_mask:0xf bound_ctrl:1
	v_mul_u32_u24_sdwa v6, v4, s7 dst_sel:DWORD dst_unused:UNUSED_PAD src0_sel:WORD_0 src1_sel:DWORD
	v_mul_lo_u16_e32 v5, 10, v5
	v_lshrrev_b32_e32 v6, 19, v6
	v_sub_u16_e32 v2, v2, v5
	v_mul_lo_u16_e32 v5, 10, v6
	v_sub_u16_e32 v4, v4, v5
	v_add_u16_e32 v2, v2, v4
	v_add_u16_e32 v4, -10, v2
	v_min_u16_e32 v2, v2, v4
	v_mul_u32_u24_e32 v5, 0xcccd, v2
	v_lshrrev_b32_e32 v5, 19, v5
	v_mov_b32_dpp v4, v2 row_ror:8 row_mask:0xf bank_mask:0xf bound_ctrl:1
	v_mul_u32_u24_sdwa v6, v4, s7 dst_sel:DWORD dst_unused:UNUSED_PAD src0_sel:WORD_0 src1_sel:DWORD
	v_mul_lo_u16_e32 v5, 10, v5
	v_lshrrev_b32_e32 v6, 19, v6
	v_sub_u16_e32 v2, v2, v5
	v_mul_lo_u16_e32 v5, 10, v6
	v_sub_u16_e32 v4, v4, v5
	v_add_u16_e32 v2, v2, v4
	v_add_u16_e32 v4, -10, v2
	v_min_u16_e32 v2, v2, v4
	v_mul_u32_u24_e32 v5, 0xcccd, v2
	v_lshrrev_b32_e32 v5, 19, v5
	v_mov_b32_dpp v4, v2 row_bcast:15 row_mask:0xf bank_mask:0xf bound_ctrl:1
	v_mul_u32_u24_sdwa v6, v4, s7 dst_sel:DWORD dst_unused:UNUSED_PAD src0_sel:WORD_0 src1_sel:DWORD
	v_mul_lo_u16_e32 v5, 10, v5
	v_lshrrev_b32_e32 v6, 19, v6
	v_sub_u16_e32 v2, v2, v5
	v_mul_lo_u16_e32 v5, 10, v6
	v_sub_u16_e32 v4, v4, v5
	v_add_u16_e32 v2, v2, v4
	v_add_u16_e32 v4, -10, v2
	v_min_u16_e32 v2, v2, v4
	v_mul_u32_u24_e32 v5, 0xcccd, v2
	v_lshrrev_b32_e32 v5, 19, v5
	v_mov_b32_dpp v4, v2 row_bcast:31 row_mask:0xf bank_mask:0xf bound_ctrl:1
	v_mul_u32_u24_sdwa v6, v4, s7 dst_sel:DWORD dst_unused:UNUSED_PAD src0_sel:WORD_0 src1_sel:DWORD
	v_mul_lo_u16_e32 v5, 10, v5
	v_lshrrev_b32_e32 v6, 19, v6
	v_sub_u16_e32 v2, v2, v5
	v_mul_lo_u16_e32 v5, 10, v6
	v_sub_u16_e32 v4, v4, v5
	v_add_u16_e32 v2, v2, v4
	v_add_u16_e32 v4, -10, v2
	v_or_b32_e32 v5, 0xfc, v3
	v_min_u16_e32 v2, v2, v4
	ds_bpermute_b32 v2, v5, v2
	s_and_saveexec_b64 s[8:9], vcc
	s_cbranch_execz .LBB648_577
; %bb.576:
	v_lshrrev_b32_e32 v4, 5, v0
	v_and_b32_e32 v4, 2, v4
	s_waitcnt lgkmcnt(0)
	ds_write_b16 v4, v2 offset:12
.LBB648_577:
	s_or_b64 exec, exec, s[8:9]
	v_cmp_gt_u32_e32 vcc, 64, v0
	s_waitcnt lgkmcnt(0)
	s_barrier
	s_and_saveexec_b64 s[8:9], vcc
	s_cbranch_execz .LBB648_579
; %bb.578:
	v_and_b32_e32 v1, 1, v1
	v_lshlrev_b32_e32 v1, 1, v1
	ds_read_u16 v1, v1 offset:12
	v_or_b32_e32 v2, 4, v3
	s_waitcnt lgkmcnt(0)
	v_and_b32_e32 v3, 0xffff, v1
	ds_bpermute_b32 v2, v2, v3
	v_mul_u32_u24_e32 v3, 0xcccd, v3
	v_lshrrev_b32_e32 v3, 19, v3
	v_mul_lo_u16_e32 v3, 10, v3
	v_sub_u16_e32 v1, v1, v3
	s_waitcnt lgkmcnt(0)
	v_mul_u32_u24_sdwa v4, v2, s7 dst_sel:DWORD dst_unused:UNUSED_PAD src0_sel:WORD_0 src1_sel:DWORD
	v_lshrrev_b32_e32 v4, 19, v4
	v_mul_lo_u16_e32 v4, 10, v4
	v_sub_u16_e32 v2, v2, v4
	v_add_u16_e32 v1, v2, v1
	v_add_u16_e32 v2, -10, v1
	v_min_u16_e32 v2, v1, v2
.LBB648_579:
	s_or_b64 exec, exec, s[8:9]
	s_mov_b64 s[8:9], 0
	s_branch .LBB648_619
.LBB648_580:
                                        ; implicit-def: $vgpr1
	s_branch .LBB648_710
.LBB648_581:
                                        ; implicit-def: $vgpr1
	s_branch .LBB648_719
.LBB648_582:
	s_mov_b64 s[6:7], -1
                                        ; implicit-def: $vgpr2
.LBB648_583:
	s_and_b64 vcc, exec, s[6:7]
	s_cbranch_vccz .LBB648_677
; %bb.584:
	s_sub_i32 s20, s70, s4
	v_mov_b32_e32 v2, 0
	v_cmp_gt_u32_e32 vcc, s20, v0
	v_mov_b32_e32 v3, v2
	s_waitcnt lgkmcnt(0)
	v_mov_b32_e32 v4, v2
	v_mov_b32_e32 v5, v2
	s_and_saveexec_b64 s[4:5], vcc
	s_cbranch_execz .LBB648_586
; %bb.585:
	v_lshlrev_b32_e32 v1, 1, v0
	global_load_ushort v1, v1, s[16:17]
	v_mov_b32_e32 v5, v2
	v_mov_b32_e32 v6, v2
	;; [unrolled: 1-line block ×3, first 2 shown]
	s_waitcnt vmcnt(0)
	v_and_b32_e32 v4, 0xffff, v1
	v_mov_b64_e32 v[2:3], v[4:5]
	v_mov_b64_e32 v[4:5], v[6:7]
.LBB648_586:
	s_or_b64 exec, exec, s[4:5]
	v_or_b32_e32 v1, 0x80, v0
	v_cmp_gt_u32_e64 s[14:15], s20, v1
	s_and_saveexec_b64 s[4:5], s[14:15]
	s_cbranch_execz .LBB648_588
; %bb.587:
	v_lshlrev_b32_e32 v1, 1, v0
	global_load_ushort v1, v1, s[16:17] offset:256
	s_mov_b32 s6, 0x5040100
	s_waitcnt vmcnt(0)
	v_perm_b32 v2, v1, v2, s6
.LBB648_588:
	s_or_b64 exec, exec, s[4:5]
	v_or_b32_e32 v1, 0x100, v0
	v_cmp_gt_u32_e64 s[12:13], s20, v1
	s_and_saveexec_b64 s[4:5], s[12:13]
	s_cbranch_execz .LBB648_590
; %bb.589:
	v_lshlrev_b32_e32 v1, 1, v0
	global_load_ushort v1, v1, s[16:17] offset:512
	s_mov_b32 s6, 0xffff
	s_waitcnt vmcnt(0)
	v_bfi_b32 v3, s6, v1, v3
.LBB648_590:
	s_or_b64 exec, exec, s[4:5]
	v_or_b32_e32 v1, 0x180, v0
	v_cmp_gt_u32_e64 s[10:11], s20, v1
	s_and_saveexec_b64 s[4:5], s[10:11]
	s_cbranch_execz .LBB648_592
; %bb.591:
	v_lshlrev_b32_e32 v1, 1, v0
	global_load_ushort v1, v1, s[16:17] offset:768
	s_mov_b32 s6, 0x5040100
	s_waitcnt vmcnt(0)
	v_perm_b32 v3, v1, v3, s6
.LBB648_592:
	s_or_b64 exec, exec, s[4:5]
	v_or_b32_e32 v1, 0x200, v0
	v_cmp_gt_u32_e64 s[8:9], s20, v1
	s_and_saveexec_b64 s[4:5], s[8:9]
	s_cbranch_execz .LBB648_594
; %bb.593:
	v_lshlrev_b32_e32 v1, 1, v0
	global_load_ushort v1, v1, s[16:17] offset:1024
	s_mov_b32 s6, 0xffff
	s_waitcnt vmcnt(0)
	v_bfi_b32 v4, s6, v1, v4
.LBB648_594:
	;; [unrolled: 24-line block ×3, first 2 shown]
	s_or_b64 exec, exec, s[18:19]
	v_or_b32_e32 v1, 0x380, v0
	v_cmp_gt_u32_e32 vcc, s20, v1
	s_and_saveexec_b64 s[18:19], vcc
	s_cbranch_execz .LBB648_650
; %bb.599:
	v_lshlrev_b32_e32 v1, 1, v0
	global_load_ushort v1, v1, s[16:17] offset:1792
	s_mov_b32 s16, 0x5040100
	s_waitcnt vmcnt(0)
	v_perm_b32 v5, v1, v5, s16
	s_or_b64 exec, exec, s[18:19]
	s_and_saveexec_b64 s[16:17], s[14:15]
	s_cbranch_execnz .LBB648_651
.LBB648_600:
	s_or_b64 exec, exec, s[16:17]
	s_and_saveexec_b64 s[14:15], s[12:13]
	s_cbranch_execz .LBB648_652
.LBB648_601:
	s_mov_b32 s12, 0xcccd
	v_mul_u32_u24_sdwa v1, v3, s12 dst_sel:DWORD dst_unused:UNUSED_PAD src0_sel:WORD_0 src1_sel:DWORD
	v_mul_u32_u24_sdwa v6, v2, s12 dst_sel:DWORD dst_unused:UNUSED_PAD src0_sel:WORD_0 src1_sel:DWORD
	v_lshrrev_b32_e32 v1, 19, v1
	v_lshrrev_b32_e32 v6, 19, v6
	v_mul_lo_u16_e32 v1, 10, v1
	v_mul_lo_u16_e32 v6, 10, v6
	v_sub_u16_e32 v1, v3, v1
	v_sub_u16_e32 v2, v2, v6
	v_add_u16_e32 v1, v2, v1
	v_add_u16_e32 v2, -10, v1
	v_min_u16_e32 v2, v1, v2
	s_or_b64 exec, exec, s[14:15]
	s_and_saveexec_b64 s[12:13], s[10:11]
	s_cbranch_execnz .LBB648_653
.LBB648_602:
	s_or_b64 exec, exec, s[12:13]
	s_and_saveexec_b64 s[10:11], s[8:9]
	s_cbranch_execz .LBB648_654
.LBB648_603:
	s_mov_b32 s8, 0xcccd
	v_mul_u32_u24_sdwa v1, v4, s8 dst_sel:DWORD dst_unused:UNUSED_PAD src0_sel:WORD_0 src1_sel:DWORD
	v_mul_u32_u24_sdwa v3, v2, s8 dst_sel:DWORD dst_unused:UNUSED_PAD src0_sel:WORD_0 src1_sel:DWORD
	v_lshrrev_b32_e32 v1, 19, v1
	v_lshrrev_b32_e32 v3, 19, v3
	v_mul_lo_u16_e32 v1, 10, v1
	v_mul_lo_u16_e32 v3, 10, v3
	v_sub_u16_e32 v1, v4, v1
	v_sub_u16_e32 v2, v2, v3
	v_add_u16_e32 v1, v2, v1
	v_add_u16_e32 v2, -10, v1
	v_min_u16_e32 v2, v1, v2
	s_or_b64 exec, exec, s[10:11]
	s_and_saveexec_b64 s[8:9], s[6:7]
	s_cbranch_execnz .LBB648_655
.LBB648_604:
	s_or_b64 exec, exec, s[8:9]
	s_and_saveexec_b64 s[6:7], s[4:5]
	s_cbranch_execz .LBB648_656
.LBB648_605:
	s_mov_b32 s4, 0xcccd
	v_mul_u32_u24_sdwa v1, v5, s4 dst_sel:DWORD dst_unused:UNUSED_PAD src0_sel:WORD_0 src1_sel:DWORD
	v_mul_u32_u24_sdwa v3, v2, s4 dst_sel:DWORD dst_unused:UNUSED_PAD src0_sel:WORD_0 src1_sel:DWORD
	v_lshrrev_b32_e32 v1, 19, v1
	v_lshrrev_b32_e32 v3, 19, v3
	v_mul_lo_u16_e32 v1, 10, v1
	v_mul_lo_u16_e32 v3, 10, v3
	v_sub_u16_e32 v1, v5, v1
	v_sub_u16_e32 v2, v2, v3
	v_add_u16_e32 v1, v2, v1
	v_add_u16_e32 v2, -10, v1
	v_min_u16_e32 v2, v1, v2
	s_or_b64 exec, exec, s[6:7]
	s_and_saveexec_b64 s[4:5], vcc
	s_cbranch_execnz .LBB648_657
	s_branch .LBB648_658
.LBB648_606:
	s_mov_b64 s[6:7], -1
                                        ; implicit-def: $vgpr2
.LBB648_607:
	s_and_b64 vcc, exec, s[6:7]
	s_cbranch_vccz .LBB648_705
; %bb.608:
	s_sub_i32 s12, s70, s4
	v_mov_b32_e32 v2, 0
	v_cmp_gt_u32_e32 vcc, s12, v0
	v_mov_b32_e32 v3, v2
	s_and_saveexec_b64 s[4:5], vcc
	s_cbranch_execz .LBB648_610
; %bb.609:
	v_lshlrev_b32_e32 v1, 1, v0
	global_load_ushort v1, v1, s[8:9]
	v_mov_b32_e32 v5, v2
	s_waitcnt vmcnt(0) lgkmcnt(0)
	v_and_b32_e32 v4, 0xffff, v1
	v_mov_b64_e32 v[2:3], v[4:5]
.LBB648_610:
	s_or_b64 exec, exec, s[4:5]
	v_or_b32_e32 v1, 0x80, v0
	v_cmp_gt_u32_e64 s[6:7], s12, v1
	s_and_saveexec_b64 s[4:5], s[6:7]
	s_cbranch_execz .LBB648_612
; %bb.611:
	v_lshlrev_b32_e32 v1, 1, v0
	global_load_ushort v1, v1, s[8:9] offset:256
	s_mov_b32 s10, 0x5040100
	s_waitcnt vmcnt(0)
	v_perm_b32 v2, v1, v2, s10
.LBB648_612:
	s_or_b64 exec, exec, s[4:5]
	v_or_b32_e32 v1, 0x100, v0
	v_cmp_gt_u32_e64 s[4:5], s12, v1
	s_and_saveexec_b64 s[10:11], s[4:5]
	s_cbranch_execz .LBB648_614
; %bb.613:
	v_lshlrev_b32_e32 v1, 1, v0
	global_load_ushort v1, v1, s[8:9] offset:512
	s_mov_b32 s13, 0xffff
	s_waitcnt vmcnt(0)
	v_bfi_b32 v3, s13, v1, v3
.LBB648_614:
	s_or_b64 exec, exec, s[10:11]
	v_or_b32_e32 v1, 0x180, v0
	v_cmp_gt_u32_e32 vcc, s12, v1
	s_and_saveexec_b64 s[10:11], vcc
	s_cbranch_execz .LBB648_682
; %bb.615:
	v_lshlrev_b32_e32 v1, 1, v0
	global_load_ushort v1, v1, s[8:9] offset:768
	s_mov_b32 s8, 0x5040100
	s_waitcnt vmcnt(0)
	v_perm_b32 v3, v1, v3, s8
	s_or_b64 exec, exec, s[10:11]
	s_and_saveexec_b64 s[8:9], s[6:7]
	s_cbranch_execnz .LBB648_683
.LBB648_616:
	s_or_b64 exec, exec, s[8:9]
	s_and_saveexec_b64 s[6:7], s[4:5]
	s_cbranch_execz .LBB648_684
.LBB648_617:
	s_mov_b32 s4, 0xcccd
	v_mul_u32_u24_sdwa v1, v3, s4 dst_sel:DWORD dst_unused:UNUSED_PAD src0_sel:WORD_0 src1_sel:DWORD
	s_waitcnt lgkmcnt(0)
	v_mul_u32_u24_sdwa v4, v2, s4 dst_sel:DWORD dst_unused:UNUSED_PAD src0_sel:WORD_0 src1_sel:DWORD
	v_lshrrev_b32_e32 v1, 19, v1
	v_lshrrev_b32_e32 v4, 19, v4
	v_mul_lo_u16_e32 v1, 10, v1
	v_mul_lo_u16_e32 v4, 10, v4
	v_sub_u16_e32 v1, v3, v1
	v_sub_u16_e32 v2, v2, v4
	v_add_u16_e32 v1, v2, v1
	v_add_u16_e32 v2, -10, v1
	v_min_u16_e32 v2, v1, v2
	s_or_b64 exec, exec, s[6:7]
	s_and_saveexec_b64 s[4:5], vcc
	s_cbranch_execnz .LBB648_685
	s_branch .LBB648_686
.LBB648_618:
	s_mov_b64 s[8:9], -1
                                        ; implicit-def: $vgpr2
.LBB648_619:
	s_and_b64 vcc, exec, s[8:9]
	s_cbranch_vccz .LBB648_645
; %bb.620:
	s_sub_i32 s8, s70, s6
	v_cmp_gt_u32_e32 vcc, s8, v0
	v_mov_b32_e32 v2, 0
	s_and_saveexec_b64 s[6:7], vcc
	s_cbranch_execz .LBB648_622
; %bb.621:
	v_lshlrev_b32_e32 v1, 1, v0
	global_load_ushort v1, v1, s[4:5]
	s_waitcnt vmcnt(0)
	v_and_b32_e32 v2, 0xffff, v1
.LBB648_622:
	s_or_b64 exec, exec, s[6:7]
	v_or_b32_e32 v1, 0x80, v0
	v_cmp_gt_u32_e32 vcc, s8, v1
	s_and_saveexec_b64 s[6:7], vcc
	s_cbranch_execz .LBB648_624
; %bb.623:
	v_lshlrev_b32_e32 v1, 1, v0
	global_load_ushort v1, v1, s[4:5] offset:256
	s_mov_b32 s4, 0x5040100
	s_waitcnt vmcnt(0)
	v_perm_b32 v2, v1, v2, s4
.LBB648_624:
	s_or_b64 exec, exec, s[6:7]
	s_and_saveexec_b64 s[4:5], vcc
	s_cbranch_execz .LBB648_626
; %bb.625:
	s_mov_b32 s6, 0xcccd
	v_mul_u32_u24_sdwa v1, v2, s6 dst_sel:DWORD dst_unused:UNUSED_PAD src0_sel:WORD_1 src1_sel:DWORD
	v_mul_u32_u24_sdwa v3, v2, s6 dst_sel:DWORD dst_unused:UNUSED_PAD src0_sel:WORD_0 src1_sel:DWORD
	v_lshrrev_b32_e32 v1, 19, v1
	v_lshrrev_b32_e32 v3, 19, v3
	v_mul_lo_u16_e32 v1, 10, v1
	v_mul_lo_u16_e32 v3, 10, v3
	v_sub_u16_sdwa v1, v2, v1 dst_sel:DWORD dst_unused:UNUSED_PAD src0_sel:WORD_1 src1_sel:DWORD
	v_sub_u16_e32 v2, v2, v3
	v_add_u16_e32 v1, v2, v1
	v_add_u16_e32 v2, -10, v1
	v_min_u16_e32 v2, v1, v2
.LBB648_626:
	s_or_b64 exec, exec, s[4:5]
	v_mbcnt_lo_u32_b32 v1, -1, 0
	v_mbcnt_hi_u32_b32 v1, -1, v1
	v_and_b32_e32 v3, 63, v1
	v_cmp_ne_u32_e32 vcc, 63, v3
	v_and_b32_e32 v5, 0xffff, v2
	s_min_u32 s6, s8, 0x80
	s_waitcnt lgkmcnt(0)
	v_addc_co_u32_e32 v4, vcc, 0, v1, vcc
	v_lshlrev_b32_e32 v4, 2, v4
	ds_bpermute_b32 v6, v4, v5
	v_and_b32_e32 v4, 64, v0
	v_sub_u32_e64 v4, s6, v4 clamp
	v_add_u32_e32 v7, 1, v3
	v_cmp_lt_u32_e32 vcc, v7, v4
	s_and_saveexec_b64 s[4:5], vcc
	s_xor_b64 s[4:5], exec, s[4:5]
	s_cbranch_execz .LBB648_628
; %bb.627:
	s_mov_b32 s7, 0xcccd
	s_waitcnt lgkmcnt(0)
	v_mul_u32_u24_sdwa v5, v6, s7 dst_sel:DWORD dst_unused:UNUSED_PAD src0_sel:WORD_0 src1_sel:DWORD
	v_lshrrev_b32_e32 v5, 19, v5
	v_mul_lo_u16_e32 v5, 10, v5
	v_sub_u16_e32 v5, v6, v5
	v_mul_u32_u24_sdwa v6, v2, s7 dst_sel:DWORD dst_unused:UNUSED_PAD src0_sel:WORD_0 src1_sel:DWORD
	v_lshrrev_b32_e32 v6, 19, v6
	v_mul_lo_u16_e32 v6, 10, v6
	v_sub_u16_e32 v2, v2, v6
	v_add_u16_e32 v5, v5, v2
	v_add_u16_e32 v6, -10, v5
	v_min_u16_e32 v2, v5, v6
	v_min_u16_e32 v5, v5, v6
.LBB648_628:
	s_or_b64 exec, exec, s[4:5]
	v_cmp_gt_u32_e32 vcc, 62, v3
	v_add_u32_e32 v7, 2, v3
	s_waitcnt lgkmcnt(0)
	v_cndmask_b32_e64 v6, 0, 2, vcc
	v_add_lshl_u32 v6, v6, v1, 2
	ds_bpermute_b32 v6, v6, v5
	v_cmp_lt_u32_e32 vcc, v7, v4
	s_and_saveexec_b64 s[4:5], vcc
	s_cbranch_execz .LBB648_630
; %bb.629:
	s_mov_b32 s7, 0xcccd
	s_waitcnt lgkmcnt(0)
	v_mul_u32_u24_sdwa v5, v6, s7 dst_sel:DWORD dst_unused:UNUSED_PAD src0_sel:WORD_0 src1_sel:DWORD
	v_lshrrev_b32_e32 v5, 19, v5
	v_mul_lo_u16_e32 v5, 10, v5
	v_sub_u16_e32 v5, v6, v5
	v_mul_u32_u24_sdwa v6, v2, s7 dst_sel:DWORD dst_unused:UNUSED_PAD src0_sel:WORD_0 src1_sel:DWORD
	v_lshrrev_b32_e32 v6, 19, v6
	v_mul_lo_u16_e32 v6, 10, v6
	v_sub_u16_e32 v2, v2, v6
	v_add_u16_e32 v5, v5, v2
	v_add_u16_e32 v6, -10, v5
	v_min_u16_e32 v2, v5, v6
	v_min_u16_e32 v5, v5, v6
.LBB648_630:
	s_or_b64 exec, exec, s[4:5]
	v_cmp_gt_u32_e32 vcc, 60, v3
	v_add_u32_e32 v7, 4, v3
	s_waitcnt lgkmcnt(0)
	v_cndmask_b32_e64 v6, 0, 4, vcc
	v_add_lshl_u32 v6, v6, v1, 2
	ds_bpermute_b32 v6, v6, v5
	v_cmp_lt_u32_e32 vcc, v7, v4
	s_and_saveexec_b64 s[4:5], vcc
	;; [unrolled: 26-line block ×4, first 2 shown]
	s_cbranch_execz .LBB648_636
; %bb.635:
	s_mov_b32 s7, 0xcccd
	s_waitcnt lgkmcnt(0)
	v_mul_u32_u24_sdwa v5, v6, s7 dst_sel:DWORD dst_unused:UNUSED_PAD src0_sel:WORD_0 src1_sel:DWORD
	v_lshrrev_b32_e32 v5, 19, v5
	v_mul_lo_u16_e32 v5, 10, v5
	v_sub_u16_e32 v5, v6, v5
	v_mul_u32_u24_sdwa v6, v2, s7 dst_sel:DWORD dst_unused:UNUSED_PAD src0_sel:WORD_0 src1_sel:DWORD
	v_lshrrev_b32_e32 v6, 19, v6
	v_mul_lo_u16_e32 v6, 10, v6
	v_sub_u16_e32 v2, v2, v6
	v_add_u16_e32 v5, v5, v2
	v_add_u16_e32 v6, -10, v5
	v_min_u16_e32 v2, v5, v6
	v_min_u16_e32 v5, v5, v6
.LBB648_636:
	s_or_b64 exec, exec, s[4:5]
	s_waitcnt lgkmcnt(0)
	v_lshlrev_b32_e32 v6, 2, v1
	v_or_b32_e32 v7, 0x80, v6
	ds_bpermute_b32 v5, v7, v5
	v_add_u32_e32 v3, 32, v3
	v_cmp_lt_u32_e32 vcc, v3, v4
	s_and_saveexec_b64 s[4:5], vcc
	s_cbranch_execz .LBB648_638
; %bb.637:
	s_mov_b32 s7, 0xcccd
	s_waitcnt lgkmcnt(0)
	v_mul_u32_u24_sdwa v3, v5, s7 dst_sel:DWORD dst_unused:UNUSED_PAD src0_sel:WORD_0 src1_sel:DWORD
	v_mul_u32_u24_sdwa v4, v2, s7 dst_sel:DWORD dst_unused:UNUSED_PAD src0_sel:WORD_0 src1_sel:DWORD
	v_lshrrev_b32_e32 v3, 19, v3
	v_lshrrev_b32_e32 v4, 19, v4
	v_mul_lo_u16_e32 v3, 10, v3
	v_mul_lo_u16_e32 v4, 10, v4
	v_sub_u16_e32 v3, v5, v3
	v_sub_u16_e32 v2, v2, v4
	v_add_u16_e32 v2, v3, v2
	v_add_u16_e32 v3, -10, v2
	v_min_u16_e32 v2, v2, v3
.LBB648_638:
	s_or_b64 exec, exec, s[4:5]
	v_cmp_eq_u32_e32 vcc, 0, v1
	s_and_saveexec_b64 s[4:5], vcc
; %bb.639:
	v_lshrrev_b32_e32 v3, 5, v0
	v_and_b32_e32 v3, 2, v3
	ds_write_b16 v3, v2
; %bb.640:
	s_or_b64 exec, exec, s[4:5]
	v_cmp_gt_u32_e32 vcc, 2, v0
	s_waitcnt lgkmcnt(0)
	s_barrier
	s_and_saveexec_b64 s[4:5], vcc
	s_cbranch_execz .LBB648_644
; %bb.641:
	v_lshlrev_b32_e32 v2, 1, v1
	ds_read_u16 v2, v2
	v_or_b32_e32 v4, 4, v6
	s_add_i32 s6, s6, 63
	v_and_b32_e32 v1, 1, v1
	s_lshr_b32 s6, s6, 6
	s_waitcnt lgkmcnt(0)
	v_and_b32_e32 v3, 0xffff, v2
	ds_bpermute_b32 v4, v4, v3
	v_add_u32_e32 v1, 1, v1
	v_cmp_gt_u32_e32 vcc, s6, v1
	s_and_saveexec_b64 s[6:7], vcc
	s_cbranch_execz .LBB648_643
; %bb.642:
	s_mov_b32 s8, 0xcccd
	s_waitcnt lgkmcnt(0)
	v_mul_u32_u24_sdwa v1, v4, s8 dst_sel:DWORD dst_unused:UNUSED_PAD src0_sel:WORD_0 src1_sel:DWORD
	v_mul_u32_u24_e32 v3, 0xcccd, v3
	v_lshrrev_b32_e32 v1, 19, v1
	v_lshrrev_b32_e32 v3, 19, v3
	v_mul_lo_u16_e32 v1, 10, v1
	v_mul_lo_u16_e32 v3, 10, v3
	v_sub_u16_e32 v1, v4, v1
	v_sub_u16_e32 v2, v2, v3
	v_add_u16_e32 v1, v1, v2
	v_add_u16_e32 v2, -10, v1
	v_min_u16_e32 v2, v1, v2
.LBB648_643:
	s_or_b64 exec, exec, s[6:7]
.LBB648_644:
	s_or_b64 exec, exec, s[4:5]
.LBB648_645:
	v_cmp_eq_u32_e32 vcc, 0, v0
                                        ; implicit-def: $vgpr1
	s_and_saveexec_b64 s[4:5], vcc
	s_xor_b64 s[4:5], exec, s[4:5]
	s_cbranch_execz .LBB648_649
; %bb.646:
	s_cmp_eq_u64 s[70:71], 0
	v_mov_b32_e32 v1, s33
	s_cbranch_scc1 .LBB648_648
; %bb.647:
	s_mov_b32 s6, 0xcccd
	v_mul_u32_u24_sdwa v1, v2, s6 dst_sel:DWORD dst_unused:UNUSED_PAD src0_sel:WORD_0 src1_sel:DWORD
	s_and_b32 s6, 0xffff, s33
	s_mul_i32 s6, s6, 0xcccd
	v_lshrrev_b32_e32 v1, 19, v1
	s_lshr_b32 s6, s6, 19
	v_mul_lo_u16_e32 v1, 10, v1
	s_mul_i32 s6, s6, 10
	v_sub_u16_e32 v1, v2, v1
	s_sub_i32 s6, s33, s6
	v_add_u16_e32 v1, s6, v1
	v_add_u16_e32 v2, -10, v1
	v_min_u16_e32 v1, v1, v2
.LBB648_648:
	s_or_b64 s[66:67], s[66:67], exec
.LBB648_649:
	s_or_b64 exec, exec, s[4:5]
	s_branch .LBB648_719
.LBB648_650:
	s_or_b64 exec, exec, s[18:19]
	s_and_saveexec_b64 s[16:17], s[14:15]
	s_cbranch_execz .LBB648_600
.LBB648_651:
	s_mov_b32 s14, 0xcccd
	v_mul_u32_u24_sdwa v1, v2, s14 dst_sel:DWORD dst_unused:UNUSED_PAD src0_sel:WORD_1 src1_sel:DWORD
	v_mul_u32_u24_sdwa v6, v2, s14 dst_sel:DWORD dst_unused:UNUSED_PAD src0_sel:WORD_0 src1_sel:DWORD
	v_lshrrev_b32_e32 v1, 19, v1
	v_lshrrev_b32_e32 v6, 19, v6
	v_mul_lo_u16_e32 v1, 10, v1
	v_mul_lo_u16_e32 v6, 10, v6
	v_sub_u16_sdwa v1, v2, v1 dst_sel:DWORD dst_unused:UNUSED_PAD src0_sel:WORD_1 src1_sel:DWORD
	v_sub_u16_e32 v2, v2, v6
	v_add_u16_e32 v1, v1, v2
	v_add_u16_e32 v2, -10, v1
	v_min_u16_e32 v2, v1, v2
	s_or_b64 exec, exec, s[16:17]
	s_and_saveexec_b64 s[14:15], s[12:13]
	s_cbranch_execnz .LBB648_601
.LBB648_652:
	s_or_b64 exec, exec, s[14:15]
	s_and_saveexec_b64 s[12:13], s[10:11]
	s_cbranch_execz .LBB648_602
.LBB648_653:
	s_mov_b32 s10, 0xcccd
	v_mul_u32_u24_sdwa v1, v3, s10 dst_sel:DWORD dst_unused:UNUSED_PAD src0_sel:WORD_1 src1_sel:DWORD
	v_lshrrev_b32_e32 v1, 19, v1
	v_mul_lo_u16_e32 v1, 10, v1
	v_sub_u16_sdwa v1, v3, v1 dst_sel:DWORD dst_unused:UNUSED_PAD src0_sel:WORD_1 src1_sel:DWORD
	v_mul_u32_u24_sdwa v3, v2, s10 dst_sel:DWORD dst_unused:UNUSED_PAD src0_sel:WORD_0 src1_sel:DWORD
	v_lshrrev_b32_e32 v3, 19, v3
	v_mul_lo_u16_e32 v3, 10, v3
	v_sub_u16_e32 v2, v2, v3
	v_add_u16_e32 v1, v2, v1
	v_add_u16_e32 v2, -10, v1
	v_min_u16_e32 v2, v1, v2
	s_or_b64 exec, exec, s[12:13]
	s_and_saveexec_b64 s[10:11], s[8:9]
	s_cbranch_execnz .LBB648_603
.LBB648_654:
	s_or_b64 exec, exec, s[10:11]
	s_and_saveexec_b64 s[8:9], s[6:7]
	s_cbranch_execz .LBB648_604
.LBB648_655:
	s_mov_b32 s6, 0xcccd
	v_mul_u32_u24_sdwa v1, v4, s6 dst_sel:DWORD dst_unused:UNUSED_PAD src0_sel:WORD_1 src1_sel:DWORD
	v_mul_u32_u24_sdwa v3, v2, s6 dst_sel:DWORD dst_unused:UNUSED_PAD src0_sel:WORD_0 src1_sel:DWORD
	v_lshrrev_b32_e32 v1, 19, v1
	v_lshrrev_b32_e32 v3, 19, v3
	v_mul_lo_u16_e32 v1, 10, v1
	v_mul_lo_u16_e32 v3, 10, v3
	v_sub_u16_sdwa v1, v4, v1 dst_sel:DWORD dst_unused:UNUSED_PAD src0_sel:WORD_1 src1_sel:DWORD
	v_sub_u16_e32 v2, v2, v3
	v_add_u16_e32 v1, v2, v1
	v_add_u16_e32 v2, -10, v1
	v_min_u16_e32 v2, v1, v2
	s_or_b64 exec, exec, s[8:9]
	s_and_saveexec_b64 s[6:7], s[4:5]
	s_cbranch_execnz .LBB648_605
.LBB648_656:
	s_or_b64 exec, exec, s[6:7]
	s_and_saveexec_b64 s[4:5], vcc
	s_cbranch_execz .LBB648_658
.LBB648_657:
	s_mov_b32 s6, 0xcccd
	v_mul_u32_u24_sdwa v1, v5, s6 dst_sel:DWORD dst_unused:UNUSED_PAD src0_sel:WORD_1 src1_sel:DWORD
	v_mul_u32_u24_sdwa v3, v2, s6 dst_sel:DWORD dst_unused:UNUSED_PAD src0_sel:WORD_0 src1_sel:DWORD
	v_lshrrev_b32_e32 v1, 19, v1
	v_lshrrev_b32_e32 v3, 19, v3
	v_mul_lo_u16_e32 v1, 10, v1
	v_mul_lo_u16_e32 v3, 10, v3
	v_sub_u16_sdwa v1, v5, v1 dst_sel:DWORD dst_unused:UNUSED_PAD src0_sel:WORD_1 src1_sel:DWORD
	v_sub_u16_e32 v2, v2, v3
	v_add_u16_e32 v1, v2, v1
	v_add_u16_e32 v2, -10, v1
	v_min_u16_e32 v2, v1, v2
.LBB648_658:
	s_or_b64 exec, exec, s[4:5]
	v_mbcnt_lo_u32_b32 v1, -1, 0
	v_mbcnt_hi_u32_b32 v1, -1, v1
	v_and_b32_e32 v3, 63, v1
	v_cmp_ne_u32_e32 vcc, 63, v3
	v_and_b32_e32 v5, 0xffff, v2
	s_min_u32 s6, s20, 0x80
	v_addc_co_u32_e32 v4, vcc, 0, v1, vcc
	v_lshlrev_b32_e32 v4, 2, v4
	ds_bpermute_b32 v6, v4, v5
	v_and_b32_e32 v4, 64, v0
	v_sub_u32_e64 v4, s6, v4 clamp
	v_add_u32_e32 v7, 1, v3
	v_cmp_lt_u32_e32 vcc, v7, v4
	s_and_saveexec_b64 s[4:5], vcc
	s_xor_b64 s[4:5], exec, s[4:5]
	s_cbranch_execz .LBB648_660
; %bb.659:
	s_mov_b32 s7, 0xcccd
	s_waitcnt lgkmcnt(0)
	v_mul_u32_u24_sdwa v5, v6, s7 dst_sel:DWORD dst_unused:UNUSED_PAD src0_sel:WORD_0 src1_sel:DWORD
	v_lshrrev_b32_e32 v5, 19, v5
	v_mul_lo_u16_e32 v5, 10, v5
	v_sub_u16_e32 v5, v6, v5
	v_mul_u32_u24_sdwa v6, v2, s7 dst_sel:DWORD dst_unused:UNUSED_PAD src0_sel:WORD_0 src1_sel:DWORD
	v_lshrrev_b32_e32 v6, 19, v6
	v_mul_lo_u16_e32 v6, 10, v6
	v_sub_u16_e32 v2, v2, v6
	v_add_u16_e32 v5, v5, v2
	v_add_u16_e32 v6, -10, v5
	v_min_u16_e32 v2, v5, v6
	v_min_u16_e32 v5, v5, v6
.LBB648_660:
	s_or_b64 exec, exec, s[4:5]
	v_cmp_gt_u32_e32 vcc, 62, v3
	v_add_u32_e32 v7, 2, v3
	s_waitcnt lgkmcnt(0)
	v_cndmask_b32_e64 v6, 0, 2, vcc
	v_add_lshl_u32 v6, v6, v1, 2
	ds_bpermute_b32 v6, v6, v5
	v_cmp_lt_u32_e32 vcc, v7, v4
	s_and_saveexec_b64 s[4:5], vcc
	s_cbranch_execz .LBB648_662
; %bb.661:
	s_mov_b32 s7, 0xcccd
	s_waitcnt lgkmcnt(0)
	v_mul_u32_u24_sdwa v5, v6, s7 dst_sel:DWORD dst_unused:UNUSED_PAD src0_sel:WORD_0 src1_sel:DWORD
	v_lshrrev_b32_e32 v5, 19, v5
	v_mul_lo_u16_e32 v5, 10, v5
	v_sub_u16_e32 v5, v6, v5
	v_mul_u32_u24_sdwa v6, v2, s7 dst_sel:DWORD dst_unused:UNUSED_PAD src0_sel:WORD_0 src1_sel:DWORD
	v_lshrrev_b32_e32 v6, 19, v6
	v_mul_lo_u16_e32 v6, 10, v6
	v_sub_u16_e32 v2, v2, v6
	v_add_u16_e32 v5, v5, v2
	v_add_u16_e32 v6, -10, v5
	v_min_u16_e32 v2, v5, v6
	v_min_u16_e32 v5, v5, v6
.LBB648_662:
	s_or_b64 exec, exec, s[4:5]
	v_cmp_gt_u32_e32 vcc, 60, v3
	v_add_u32_e32 v7, 4, v3
	s_waitcnt lgkmcnt(0)
	v_cndmask_b32_e64 v6, 0, 4, vcc
	v_add_lshl_u32 v6, v6, v1, 2
	ds_bpermute_b32 v6, v6, v5
	v_cmp_lt_u32_e32 vcc, v7, v4
	s_and_saveexec_b64 s[4:5], vcc
	;; [unrolled: 26-line block ×4, first 2 shown]
	s_cbranch_execz .LBB648_668
; %bb.667:
	s_mov_b32 s7, 0xcccd
	s_waitcnt lgkmcnt(0)
	v_mul_u32_u24_sdwa v5, v6, s7 dst_sel:DWORD dst_unused:UNUSED_PAD src0_sel:WORD_0 src1_sel:DWORD
	v_lshrrev_b32_e32 v5, 19, v5
	v_mul_lo_u16_e32 v5, 10, v5
	v_sub_u16_e32 v5, v6, v5
	v_mul_u32_u24_sdwa v6, v2, s7 dst_sel:DWORD dst_unused:UNUSED_PAD src0_sel:WORD_0 src1_sel:DWORD
	v_lshrrev_b32_e32 v6, 19, v6
	v_mul_lo_u16_e32 v6, 10, v6
	v_sub_u16_e32 v2, v2, v6
	v_add_u16_e32 v5, v5, v2
	v_add_u16_e32 v6, -10, v5
	v_min_u16_e32 v2, v5, v6
	v_min_u16_e32 v5, v5, v6
.LBB648_668:
	s_or_b64 exec, exec, s[4:5]
	s_waitcnt lgkmcnt(0)
	v_lshlrev_b32_e32 v6, 2, v1
	v_or_b32_e32 v7, 0x80, v6
	ds_bpermute_b32 v5, v7, v5
	v_add_u32_e32 v3, 32, v3
	v_cmp_lt_u32_e32 vcc, v3, v4
	s_and_saveexec_b64 s[4:5], vcc
	s_cbranch_execz .LBB648_670
; %bb.669:
	s_mov_b32 s7, 0xcccd
	s_waitcnt lgkmcnt(0)
	v_mul_u32_u24_sdwa v3, v5, s7 dst_sel:DWORD dst_unused:UNUSED_PAD src0_sel:WORD_0 src1_sel:DWORD
	v_mul_u32_u24_sdwa v4, v2, s7 dst_sel:DWORD dst_unused:UNUSED_PAD src0_sel:WORD_0 src1_sel:DWORD
	v_lshrrev_b32_e32 v3, 19, v3
	v_lshrrev_b32_e32 v4, 19, v4
	v_mul_lo_u16_e32 v3, 10, v3
	v_mul_lo_u16_e32 v4, 10, v4
	v_sub_u16_e32 v3, v5, v3
	v_sub_u16_e32 v2, v2, v4
	v_add_u16_e32 v2, v3, v2
	v_add_u16_e32 v3, -10, v2
	v_min_u16_e32 v2, v2, v3
.LBB648_670:
	s_or_b64 exec, exec, s[4:5]
	v_cmp_eq_u32_e32 vcc, 0, v1
	s_and_saveexec_b64 s[4:5], vcc
; %bb.671:
	v_lshrrev_b32_e32 v3, 5, v0
	v_and_b32_e32 v3, 2, v3
	ds_write_b16 v3, v2
; %bb.672:
	s_or_b64 exec, exec, s[4:5]
	v_cmp_gt_u32_e32 vcc, 2, v0
	s_waitcnt lgkmcnt(0)
	s_barrier
	s_and_saveexec_b64 s[4:5], vcc
	s_cbranch_execz .LBB648_676
; %bb.673:
	v_lshlrev_b32_e32 v2, 1, v1
	ds_read_u16 v2, v2
	v_or_b32_e32 v4, 4, v6
	s_add_i32 s6, s6, 63
	v_and_b32_e32 v1, 1, v1
	s_lshr_b32 s6, s6, 6
	s_waitcnt lgkmcnt(0)
	v_and_b32_e32 v3, 0xffff, v2
	ds_bpermute_b32 v4, v4, v3
	v_add_u32_e32 v1, 1, v1
	v_cmp_gt_u32_e32 vcc, s6, v1
	s_and_saveexec_b64 s[6:7], vcc
	s_cbranch_execz .LBB648_675
; %bb.674:
	s_mov_b32 s8, 0xcccd
	s_waitcnt lgkmcnt(0)
	v_mul_u32_u24_sdwa v1, v4, s8 dst_sel:DWORD dst_unused:UNUSED_PAD src0_sel:WORD_0 src1_sel:DWORD
	v_mul_u32_u24_e32 v3, 0xcccd, v3
	v_lshrrev_b32_e32 v1, 19, v1
	v_lshrrev_b32_e32 v3, 19, v3
	v_mul_lo_u16_e32 v1, 10, v1
	v_mul_lo_u16_e32 v3, 10, v3
	v_sub_u16_e32 v1, v4, v1
	v_sub_u16_e32 v2, v2, v3
	v_add_u16_e32 v1, v1, v2
	v_add_u16_e32 v2, -10, v1
	v_min_u16_e32 v2, v1, v2
.LBB648_675:
	s_or_b64 exec, exec, s[6:7]
.LBB648_676:
	s_or_b64 exec, exec, s[4:5]
.LBB648_677:
	v_cmp_eq_u32_e32 vcc, 0, v0
                                        ; implicit-def: $vgpr1
	s_and_saveexec_b64 s[4:5], vcc
	s_xor_b64 s[4:5], exec, s[4:5]
	s_cbranch_execz .LBB648_681
; %bb.678:
	s_cmp_eq_u64 s[70:71], 0
	v_mov_b32_e32 v1, s33
	s_cbranch_scc1 .LBB648_680
; %bb.679:
	s_mov_b32 s6, 0xcccd
	v_mul_u32_u24_sdwa v1, v2, s6 dst_sel:DWORD dst_unused:UNUSED_PAD src0_sel:WORD_0 src1_sel:DWORD
	s_and_b32 s6, 0xffff, s33
	s_mul_i32 s6, s6, 0xcccd
	v_lshrrev_b32_e32 v1, 19, v1
	s_lshr_b32 s6, s6, 19
	v_mul_lo_u16_e32 v1, 10, v1
	s_mul_i32 s6, s6, 10
	v_sub_u16_e32 v1, v2, v1
	s_sub_i32 s6, s33, s6
	v_add_u16_e32 v1, s6, v1
	v_add_u16_e32 v2, -10, v1
	v_min_u16_e32 v1, v1, v2
.LBB648_680:
	s_or_b64 s[66:67], s[66:67], exec
.LBB648_681:
	s_or_b64 exec, exec, s[4:5]
	s_branch .LBB648_719
.LBB648_682:
	s_or_b64 exec, exec, s[10:11]
	s_and_saveexec_b64 s[8:9], s[6:7]
	s_cbranch_execz .LBB648_616
.LBB648_683:
	s_mov_b32 s6, 0xcccd
	v_mul_u32_u24_sdwa v1, v2, s6 dst_sel:DWORD dst_unused:UNUSED_PAD src0_sel:WORD_1 src1_sel:DWORD
	s_waitcnt lgkmcnt(0)
	v_mul_u32_u24_sdwa v4, v2, s6 dst_sel:DWORD dst_unused:UNUSED_PAD src0_sel:WORD_0 src1_sel:DWORD
	v_lshrrev_b32_e32 v1, 19, v1
	v_lshrrev_b32_e32 v4, 19, v4
	v_mul_lo_u16_e32 v1, 10, v1
	v_mul_lo_u16_e32 v4, 10, v4
	v_sub_u16_sdwa v1, v2, v1 dst_sel:DWORD dst_unused:UNUSED_PAD src0_sel:WORD_1 src1_sel:DWORD
	v_sub_u16_e32 v2, v2, v4
	v_add_u16_e32 v1, v1, v2
	v_add_u16_e32 v2, -10, v1
	v_min_u16_e32 v2, v1, v2
	s_or_b64 exec, exec, s[8:9]
	s_and_saveexec_b64 s[6:7], s[4:5]
	s_cbranch_execnz .LBB648_617
.LBB648_684:
	s_or_b64 exec, exec, s[6:7]
	s_and_saveexec_b64 s[4:5], vcc
	s_cbranch_execz .LBB648_686
.LBB648_685:
	s_mov_b32 s6, 0xcccd
	v_mul_u32_u24_sdwa v1, v3, s6 dst_sel:DWORD dst_unused:UNUSED_PAD src0_sel:WORD_1 src1_sel:DWORD
	v_lshrrev_b32_e32 v1, 19, v1
	v_mul_lo_u16_e32 v1, 10, v1
	v_sub_u16_sdwa v1, v3, v1 dst_sel:DWORD dst_unused:UNUSED_PAD src0_sel:WORD_1 src1_sel:DWORD
	v_mul_u32_u24_sdwa v3, v2, s6 dst_sel:DWORD dst_unused:UNUSED_PAD src0_sel:WORD_0 src1_sel:DWORD
	v_lshrrev_b32_e32 v3, 19, v3
	v_mul_lo_u16_e32 v3, 10, v3
	v_sub_u16_e32 v2, v2, v3
	v_add_u16_e32 v1, v2, v1
	v_add_u16_e32 v2, -10, v1
	v_min_u16_e32 v2, v1, v2
.LBB648_686:
	s_or_b64 exec, exec, s[4:5]
	v_mbcnt_lo_u32_b32 v1, -1, 0
	v_mbcnt_hi_u32_b32 v1, -1, v1
	v_and_b32_e32 v3, 63, v1
	v_cmp_ne_u32_e32 vcc, 63, v3
	v_and_b32_e32 v5, 0xffff, v2
	s_min_u32 s6, s12, 0x80
	s_waitcnt lgkmcnt(0)
	v_addc_co_u32_e32 v4, vcc, 0, v1, vcc
	v_lshlrev_b32_e32 v4, 2, v4
	ds_bpermute_b32 v6, v4, v5
	v_and_b32_e32 v4, 64, v0
	v_sub_u32_e64 v4, s6, v4 clamp
	v_add_u32_e32 v7, 1, v3
	v_cmp_lt_u32_e32 vcc, v7, v4
	s_and_saveexec_b64 s[4:5], vcc
	s_xor_b64 s[4:5], exec, s[4:5]
	s_cbranch_execz .LBB648_688
; %bb.687:
	s_mov_b32 s7, 0xcccd
	s_waitcnt lgkmcnt(0)
	v_mul_u32_u24_sdwa v5, v6, s7 dst_sel:DWORD dst_unused:UNUSED_PAD src0_sel:WORD_0 src1_sel:DWORD
	v_lshrrev_b32_e32 v5, 19, v5
	v_mul_lo_u16_e32 v5, 10, v5
	v_sub_u16_e32 v5, v6, v5
	v_mul_u32_u24_sdwa v6, v2, s7 dst_sel:DWORD dst_unused:UNUSED_PAD src0_sel:WORD_0 src1_sel:DWORD
	v_lshrrev_b32_e32 v6, 19, v6
	v_mul_lo_u16_e32 v6, 10, v6
	v_sub_u16_e32 v2, v2, v6
	v_add_u16_e32 v5, v5, v2
	v_add_u16_e32 v6, -10, v5
	v_min_u16_e32 v2, v5, v6
	v_min_u16_e32 v5, v5, v6
.LBB648_688:
	s_or_b64 exec, exec, s[4:5]
	v_cmp_gt_u32_e32 vcc, 62, v3
	v_add_u32_e32 v7, 2, v3
	s_waitcnt lgkmcnt(0)
	v_cndmask_b32_e64 v6, 0, 2, vcc
	v_add_lshl_u32 v6, v6, v1, 2
	ds_bpermute_b32 v6, v6, v5
	v_cmp_lt_u32_e32 vcc, v7, v4
	s_and_saveexec_b64 s[4:5], vcc
	s_cbranch_execz .LBB648_690
; %bb.689:
	s_mov_b32 s7, 0xcccd
	s_waitcnt lgkmcnt(0)
	v_mul_u32_u24_sdwa v5, v6, s7 dst_sel:DWORD dst_unused:UNUSED_PAD src0_sel:WORD_0 src1_sel:DWORD
	v_lshrrev_b32_e32 v5, 19, v5
	v_mul_lo_u16_e32 v5, 10, v5
	v_sub_u16_e32 v5, v6, v5
	v_mul_u32_u24_sdwa v6, v2, s7 dst_sel:DWORD dst_unused:UNUSED_PAD src0_sel:WORD_0 src1_sel:DWORD
	v_lshrrev_b32_e32 v6, 19, v6
	v_mul_lo_u16_e32 v6, 10, v6
	v_sub_u16_e32 v2, v2, v6
	v_add_u16_e32 v5, v5, v2
	v_add_u16_e32 v6, -10, v5
	v_min_u16_e32 v2, v5, v6
	v_min_u16_e32 v5, v5, v6
.LBB648_690:
	s_or_b64 exec, exec, s[4:5]
	v_cmp_gt_u32_e32 vcc, 60, v3
	v_add_u32_e32 v7, 4, v3
	s_waitcnt lgkmcnt(0)
	v_cndmask_b32_e64 v6, 0, 4, vcc
	v_add_lshl_u32 v6, v6, v1, 2
	ds_bpermute_b32 v6, v6, v5
	v_cmp_lt_u32_e32 vcc, v7, v4
	s_and_saveexec_b64 s[4:5], vcc
	;; [unrolled: 26-line block ×4, first 2 shown]
	s_cbranch_execz .LBB648_696
; %bb.695:
	s_mov_b32 s7, 0xcccd
	s_waitcnt lgkmcnt(0)
	v_mul_u32_u24_sdwa v5, v6, s7 dst_sel:DWORD dst_unused:UNUSED_PAD src0_sel:WORD_0 src1_sel:DWORD
	v_lshrrev_b32_e32 v5, 19, v5
	v_mul_lo_u16_e32 v5, 10, v5
	v_sub_u16_e32 v5, v6, v5
	v_mul_u32_u24_sdwa v6, v2, s7 dst_sel:DWORD dst_unused:UNUSED_PAD src0_sel:WORD_0 src1_sel:DWORD
	v_lshrrev_b32_e32 v6, 19, v6
	v_mul_lo_u16_e32 v6, 10, v6
	v_sub_u16_e32 v2, v2, v6
	v_add_u16_e32 v5, v5, v2
	v_add_u16_e32 v6, -10, v5
	v_min_u16_e32 v2, v5, v6
	v_min_u16_e32 v5, v5, v6
.LBB648_696:
	s_or_b64 exec, exec, s[4:5]
	s_waitcnt lgkmcnt(0)
	v_lshlrev_b32_e32 v6, 2, v1
	v_or_b32_e32 v7, 0x80, v6
	ds_bpermute_b32 v5, v7, v5
	v_add_u32_e32 v3, 32, v3
	v_cmp_lt_u32_e32 vcc, v3, v4
	s_and_saveexec_b64 s[4:5], vcc
	s_cbranch_execz .LBB648_698
; %bb.697:
	s_mov_b32 s7, 0xcccd
	s_waitcnt lgkmcnt(0)
	v_mul_u32_u24_sdwa v3, v5, s7 dst_sel:DWORD dst_unused:UNUSED_PAD src0_sel:WORD_0 src1_sel:DWORD
	v_mul_u32_u24_sdwa v4, v2, s7 dst_sel:DWORD dst_unused:UNUSED_PAD src0_sel:WORD_0 src1_sel:DWORD
	v_lshrrev_b32_e32 v3, 19, v3
	v_lshrrev_b32_e32 v4, 19, v4
	v_mul_lo_u16_e32 v3, 10, v3
	v_mul_lo_u16_e32 v4, 10, v4
	v_sub_u16_e32 v3, v5, v3
	v_sub_u16_e32 v2, v2, v4
	v_add_u16_e32 v2, v3, v2
	v_add_u16_e32 v3, -10, v2
	v_min_u16_e32 v2, v2, v3
.LBB648_698:
	s_or_b64 exec, exec, s[4:5]
	v_cmp_eq_u32_e32 vcc, 0, v1
	s_and_saveexec_b64 s[4:5], vcc
; %bb.699:
	v_lshrrev_b32_e32 v3, 5, v0
	v_and_b32_e32 v3, 2, v3
	ds_write_b16 v3, v2
; %bb.700:
	s_or_b64 exec, exec, s[4:5]
	v_cmp_gt_u32_e32 vcc, 2, v0
	s_waitcnt lgkmcnt(0)
	s_barrier
	s_and_saveexec_b64 s[4:5], vcc
	s_cbranch_execz .LBB648_704
; %bb.701:
	v_lshlrev_b32_e32 v2, 1, v1
	ds_read_u16 v2, v2
	v_or_b32_e32 v4, 4, v6
	s_add_i32 s6, s6, 63
	v_and_b32_e32 v1, 1, v1
	s_lshr_b32 s6, s6, 6
	s_waitcnt lgkmcnt(0)
	v_and_b32_e32 v3, 0xffff, v2
	ds_bpermute_b32 v4, v4, v3
	v_add_u32_e32 v1, 1, v1
	v_cmp_gt_u32_e32 vcc, s6, v1
	s_and_saveexec_b64 s[6:7], vcc
	s_cbranch_execz .LBB648_703
; %bb.702:
	s_mov_b32 s8, 0xcccd
	s_waitcnt lgkmcnt(0)
	v_mul_u32_u24_sdwa v1, v4, s8 dst_sel:DWORD dst_unused:UNUSED_PAD src0_sel:WORD_0 src1_sel:DWORD
	v_mul_u32_u24_e32 v3, 0xcccd, v3
	v_lshrrev_b32_e32 v1, 19, v1
	v_lshrrev_b32_e32 v3, 19, v3
	v_mul_lo_u16_e32 v1, 10, v1
	v_mul_lo_u16_e32 v3, 10, v3
	v_sub_u16_e32 v1, v4, v1
	v_sub_u16_e32 v2, v2, v3
	v_add_u16_e32 v1, v1, v2
	v_add_u16_e32 v2, -10, v1
	v_min_u16_e32 v2, v1, v2
.LBB648_703:
	s_or_b64 exec, exec, s[6:7]
.LBB648_704:
	s_or_b64 exec, exec, s[4:5]
.LBB648_705:
	v_cmp_eq_u32_e32 vcc, 0, v0
                                        ; implicit-def: $vgpr1
	s_and_saveexec_b64 s[4:5], vcc
	s_xor_b64 s[4:5], exec, s[4:5]
	s_cbranch_execz .LBB648_709
; %bb.706:
	s_cmp_eq_u64 s[70:71], 0
	v_mov_b32_e32 v1, s33
	s_cbranch_scc1 .LBB648_708
; %bb.707:
	s_mov_b32 s6, 0xcccd
	v_mul_u32_u24_sdwa v1, v2, s6 dst_sel:DWORD dst_unused:UNUSED_PAD src0_sel:WORD_0 src1_sel:DWORD
	s_and_b32 s6, 0xffff, s33
	s_mul_i32 s6, s6, 0xcccd
	v_lshrrev_b32_e32 v1, 19, v1
	s_lshr_b32 s6, s6, 19
	v_mul_lo_u16_e32 v1, 10, v1
	s_mul_i32 s6, s6, 10
	v_sub_u16_e32 v1, v2, v1
	s_sub_i32 s6, s33, s6
	v_add_u16_e32 v1, s6, v1
	v_add_u16_e32 v2, -10, v1
	v_min_u16_e32 v1, v1, v2
.LBB648_708:
	s_or_b64 s[66:67], s[66:67], exec
.LBB648_709:
	s_or_b64 exec, exec, s[4:5]
.LBB648_710:
	s_branch .LBB648_719
.LBB648_711:
	s_cmp_eq_u32 s76, 1
	s_cbranch_scc0 .LBB648_718
; %bb.712:
	s_mov_b32 s5, 0
	s_lshl_b32 s4, s2, 7
	s_mov_b32 s3, s5
	s_lshr_b64 s[6:7], s[70:71], 7
	s_cmp_lg_u64 s[6:7], s[2:3]
	v_mbcnt_lo_u32_b32 v1, -1, 0
	s_cbranch_scc0 .LBB648_722
; %bb.713:
	s_lshl_b64 s[6:7], s[4:5], 1
	s_add_u32 s6, s68, s6
	s_addc_u32 s7, s69, s7
	v_lshlrev_b32_e32 v2, 1, v0
	global_load_ushort v2, v2, s[6:7]
	s_mov_b32 s6, 0xcccd
	v_mbcnt_hi_u32_b32 v3, -1, v1
	s_waitcnt lgkmcnt(0)
	v_lshlrev_b32_e32 v4, 2, v3
	v_cmp_eq_u32_e32 vcc, 0, v3
	s_waitcnt vmcnt(0)
	v_and_b32_e32 v5, 0xffff, v2
	s_nop 1
	v_mov_b32_dpp v6, v5 quad_perm:[1,0,3,2] row_mask:0xf bank_mask:0xf bound_ctrl:1
	v_mul_u32_u24_e32 v5, 0xcccd, v5
	v_lshrrev_b32_e32 v5, 19, v5
	v_mul_u32_u24_sdwa v7, v6, s6 dst_sel:DWORD dst_unused:UNUSED_PAD src0_sel:WORD_0 src1_sel:DWORD
	v_mul_lo_u16_e32 v5, 10, v5
	v_lshrrev_b32_e32 v7, 19, v7
	v_sub_u16_e32 v2, v2, v5
	v_mul_lo_u16_e32 v5, 10, v7
	v_sub_u16_e32 v5, v6, v5
	v_add_u16_e32 v2, v5, v2
	v_add_u16_e32 v5, -10, v2
	v_min_u16_e32 v2, v2, v5
	s_nop 1
	v_mov_b32_dpp v5, v2 quad_perm:[2,3,0,1] row_mask:0xf bank_mask:0xf bound_ctrl:1
	v_mul_u32_u24_sdwa v6, v5, s6 dst_sel:DWORD dst_unused:UNUSED_PAD src0_sel:WORD_0 src1_sel:DWORD
	v_lshrrev_b32_e32 v6, 19, v6
	v_mul_lo_u16_e32 v6, 10, v6
	v_sub_u16_e32 v5, v5, v6
	v_add_u16_e32 v2, v2, v5
	v_add_u16_e32 v5, -10, v2
	v_min_u16_e32 v2, v2, v5
	v_mul_u32_u24_e32 v6, 0xcccd, v2
	v_lshrrev_b32_e32 v6, 19, v6
	v_mov_b32_dpp v5, v2 row_ror:4 row_mask:0xf bank_mask:0xf bound_ctrl:1
	v_mul_u32_u24_sdwa v7, v5, s6 dst_sel:DWORD dst_unused:UNUSED_PAD src0_sel:WORD_0 src1_sel:DWORD
	v_mul_lo_u16_e32 v6, 10, v6
	v_lshrrev_b32_e32 v7, 19, v7
	v_sub_u16_e32 v2, v2, v6
	v_mul_lo_u16_e32 v6, 10, v7
	v_sub_u16_e32 v5, v5, v6
	v_add_u16_e32 v2, v2, v5
	v_add_u16_e32 v5, -10, v2
	v_min_u16_e32 v2, v2, v5
	v_mul_u32_u24_e32 v6, 0xcccd, v2
	v_lshrrev_b32_e32 v6, 19, v6
	v_mov_b32_dpp v5, v2 row_ror:8 row_mask:0xf bank_mask:0xf bound_ctrl:1
	v_mul_u32_u24_sdwa v7, v5, s6 dst_sel:DWORD dst_unused:UNUSED_PAD src0_sel:WORD_0 src1_sel:DWORD
	v_mul_lo_u16_e32 v6, 10, v6
	v_lshrrev_b32_e32 v7, 19, v7
	v_sub_u16_e32 v2, v2, v6
	v_mul_lo_u16_e32 v6, 10, v7
	v_sub_u16_e32 v5, v5, v6
	v_add_u16_e32 v2, v2, v5
	v_add_u16_e32 v5, -10, v2
	v_min_u16_e32 v2, v2, v5
	v_mul_u32_u24_e32 v6, 0xcccd, v2
	v_lshrrev_b32_e32 v6, 19, v6
	v_mov_b32_dpp v5, v2 row_bcast:15 row_mask:0xf bank_mask:0xf bound_ctrl:1
	v_mul_u32_u24_sdwa v7, v5, s6 dst_sel:DWORD dst_unused:UNUSED_PAD src0_sel:WORD_0 src1_sel:DWORD
	v_mul_lo_u16_e32 v6, 10, v6
	v_lshrrev_b32_e32 v7, 19, v7
	v_sub_u16_e32 v2, v2, v6
	v_mul_lo_u16_e32 v6, 10, v7
	v_sub_u16_e32 v5, v5, v6
	v_add_u16_e32 v2, v2, v5
	v_add_u16_e32 v5, -10, v2
	v_min_u16_e32 v2, v2, v5
	v_mul_u32_u24_e32 v6, 0xcccd, v2
	v_lshrrev_b32_e32 v6, 19, v6
	v_mov_b32_dpp v5, v2 row_bcast:31 row_mask:0xf bank_mask:0xf bound_ctrl:1
	v_mul_u32_u24_sdwa v7, v5, s6 dst_sel:DWORD dst_unused:UNUSED_PAD src0_sel:WORD_0 src1_sel:DWORD
	v_mul_lo_u16_e32 v6, 10, v6
	v_lshrrev_b32_e32 v7, 19, v7
	v_sub_u16_e32 v2, v2, v6
	v_mul_lo_u16_e32 v6, 10, v7
	v_sub_u16_e32 v5, v5, v6
	v_add_u16_e32 v2, v2, v5
	v_add_u16_e32 v5, -10, v2
	v_or_b32_e32 v6, 0xfc, v4
	v_min_u16_e32 v2, v2, v5
	ds_bpermute_b32 v2, v6, v2
	s_and_saveexec_b64 s[6:7], vcc
	s_cbranch_execz .LBB648_715
; %bb.714:
	v_lshrrev_b32_e32 v5, 5, v0
	v_and_b32_e32 v5, 2, v5
	s_waitcnt lgkmcnt(0)
	ds_write_b16 v5, v2 offset:8
.LBB648_715:
	s_or_b64 exec, exec, s[6:7]
	v_cmp_gt_u32_e32 vcc, 64, v0
	s_waitcnt lgkmcnt(0)
	s_barrier
	s_and_saveexec_b64 s[6:7], vcc
	s_cbranch_execz .LBB648_717
; %bb.716:
	v_and_b32_e32 v2, 1, v3
	v_lshlrev_b32_e32 v2, 1, v2
	ds_read_u16 v2, v2 offset:8
	v_or_b32_e32 v3, 4, v4
	s_mov_b32 s8, 0xcccd
	s_waitcnt lgkmcnt(0)
	v_and_b32_e32 v4, 0xffff, v2
	ds_bpermute_b32 v3, v3, v4
	v_mul_u32_u24_e32 v4, 0xcccd, v4
	v_lshrrev_b32_e32 v4, 19, v4
	v_mul_lo_u16_e32 v4, 10, v4
	v_sub_u16_e32 v2, v2, v4
	s_waitcnt lgkmcnt(0)
	v_mul_u32_u24_sdwa v5, v3, s8 dst_sel:DWORD dst_unused:UNUSED_PAD src0_sel:WORD_0 src1_sel:DWORD
	v_lshrrev_b32_e32 v5, 19, v5
	v_mul_lo_u16_e32 v5, 10, v5
	v_sub_u16_e32 v3, v3, v5
	v_add_u16_e32 v2, v3, v2
	v_add_u16_e32 v3, -10, v2
	v_min_u16_e32 v2, v2, v3
.LBB648_717:
	s_or_b64 exec, exec, s[6:7]
	s_branch .LBB648_744
.LBB648_718:
                                        ; implicit-def: $vgpr1
                                        ; implicit-def: $sgpr2_sgpr3
.LBB648_719:
	s_and_saveexec_b64 s[4:5], s[66:67]
	s_cbranch_execz .LBB648_721
.LBB648_720:
	s_load_dwordx2 s[0:1], s[0:1], 0x18
	s_lshl_b64 s[2:3], s[2:3], 1
	v_mov_b32_e32 v0, 0
	s_waitcnt lgkmcnt(0)
	s_add_u32 s0, s0, s2
	s_addc_u32 s1, s1, s3
	global_store_short v0, v1, s[0:1]
.LBB648_721:
	s_endpgm
.LBB648_722:
                                        ; implicit-def: $vgpr2
	s_cbranch_execz .LBB648_744
; %bb.723:
	s_sub_i32 s8, s70, s4
	v_cmp_gt_u32_e32 vcc, s8, v0
                                        ; implicit-def: $vgpr2
	s_and_saveexec_b64 s[6:7], vcc
	s_cbranch_execz .LBB648_725
; %bb.724:
	s_lshl_b64 s[4:5], s[4:5], 1
	s_add_u32 s4, s68, s4
	s_addc_u32 s5, s69, s5
	v_lshlrev_b32_e32 v2, 1, v0
	global_load_ushort v2, v2, s[4:5]
.LBB648_725:
	s_or_b64 exec, exec, s[6:7]
	v_mbcnt_hi_u32_b32 v1, -1, v1
	v_and_b32_e32 v3, 63, v1
	v_cmp_ne_u32_e32 vcc, 63, v3
	s_waitcnt vmcnt(0)
	v_and_b32_e32 v5, 0xffff, v2
	s_min_u32 s6, s8, 0x80
	s_waitcnt lgkmcnt(0)
	v_addc_co_u32_e32 v4, vcc, 0, v1, vcc
	v_lshlrev_b32_e32 v4, 2, v4
	ds_bpermute_b32 v6, v4, v5
	v_and_b32_e32 v4, 64, v0
	v_sub_u32_e64 v4, s6, v4 clamp
	v_add_u32_e32 v7, 1, v3
	v_cmp_lt_u32_e32 vcc, v7, v4
	s_and_saveexec_b64 s[4:5], vcc
	s_cbranch_execz .LBB648_727
; %bb.726:
	s_mov_b32 s7, 0xcccd
	s_waitcnt lgkmcnt(0)
	v_mul_u32_u24_sdwa v5, v6, s7 dst_sel:DWORD dst_unused:UNUSED_PAD src0_sel:WORD_0 src1_sel:DWORD
	v_lshrrev_b32_e32 v5, 19, v5
	v_mul_lo_u16_e32 v5, 10, v5
	v_sub_u16_e32 v5, v6, v5
	v_mul_u32_u24_sdwa v6, v2, s7 dst_sel:DWORD dst_unused:UNUSED_PAD src0_sel:WORD_0 src1_sel:DWORD
	v_lshrrev_b32_e32 v6, 19, v6
	v_mul_lo_u16_e32 v6, 10, v6
	v_sub_u16_e32 v2, v2, v6
	v_add_u16_e32 v5, v5, v2
	v_add_u16_e32 v6, -10, v5
	v_min_u16_e32 v2, v5, v6
	v_min_u16_e32 v5, v5, v6
.LBB648_727:
	s_or_b64 exec, exec, s[4:5]
	v_cmp_gt_u32_e32 vcc, 62, v3
	v_add_u32_e32 v7, 2, v3
	s_waitcnt lgkmcnt(0)
	v_cndmask_b32_e64 v6, 0, 2, vcc
	v_add_lshl_u32 v6, v6, v1, 2
	ds_bpermute_b32 v6, v6, v5
	v_cmp_lt_u32_e32 vcc, v7, v4
	s_and_saveexec_b64 s[4:5], vcc
	s_cbranch_execz .LBB648_729
; %bb.728:
	s_mov_b32 s7, 0xcccd
	s_waitcnt lgkmcnt(0)
	v_mul_u32_u24_sdwa v5, v6, s7 dst_sel:DWORD dst_unused:UNUSED_PAD src0_sel:WORD_0 src1_sel:DWORD
	v_lshrrev_b32_e32 v5, 19, v5
	v_mul_lo_u16_e32 v5, 10, v5
	v_sub_u16_e32 v5, v6, v5
	v_mul_u32_u24_sdwa v6, v2, s7 dst_sel:DWORD dst_unused:UNUSED_PAD src0_sel:WORD_0 src1_sel:DWORD
	v_lshrrev_b32_e32 v6, 19, v6
	v_mul_lo_u16_e32 v6, 10, v6
	v_sub_u16_e32 v2, v2, v6
	v_add_u16_e32 v5, v5, v2
	v_add_u16_e32 v6, -10, v5
	v_min_u16_e32 v2, v5, v6
	v_min_u16_e32 v5, v5, v6
.LBB648_729:
	s_or_b64 exec, exec, s[4:5]
	v_cmp_gt_u32_e32 vcc, 60, v3
	v_add_u32_e32 v7, 4, v3
	s_waitcnt lgkmcnt(0)
	v_cndmask_b32_e64 v6, 0, 4, vcc
	v_add_lshl_u32 v6, v6, v1, 2
	ds_bpermute_b32 v6, v6, v5
	;; [unrolled: 26-line block ×4, first 2 shown]
	v_cmp_lt_u32_e32 vcc, v7, v4
	s_and_saveexec_b64 s[4:5], vcc
	s_cbranch_execz .LBB648_735
; %bb.734:
	s_mov_b32 s7, 0xcccd
	s_waitcnt lgkmcnt(0)
	v_mul_u32_u24_sdwa v5, v6, s7 dst_sel:DWORD dst_unused:UNUSED_PAD src0_sel:WORD_0 src1_sel:DWORD
	v_lshrrev_b32_e32 v5, 19, v5
	v_mul_lo_u16_e32 v5, 10, v5
	v_sub_u16_e32 v5, v6, v5
	v_mul_u32_u24_sdwa v6, v2, s7 dst_sel:DWORD dst_unused:UNUSED_PAD src0_sel:WORD_0 src1_sel:DWORD
	v_lshrrev_b32_e32 v6, 19, v6
	v_mul_lo_u16_e32 v6, 10, v6
	v_sub_u16_e32 v2, v2, v6
	v_add_u16_e32 v5, v5, v2
	v_add_u16_e32 v6, -10, v5
	v_min_u16_e32 v2, v5, v6
	v_min_u16_e32 v5, v5, v6
.LBB648_735:
	s_or_b64 exec, exec, s[4:5]
	s_waitcnt lgkmcnt(0)
	v_lshlrev_b32_e32 v6, 2, v1
	v_or_b32_e32 v7, 0x80, v6
	ds_bpermute_b32 v5, v7, v5
	v_add_u32_e32 v3, 32, v3
	v_cmp_lt_u32_e32 vcc, v3, v4
	s_and_saveexec_b64 s[4:5], vcc
	s_cbranch_execz .LBB648_737
; %bb.736:
	s_mov_b32 s7, 0xcccd
	s_waitcnt lgkmcnt(0)
	v_mul_u32_u24_sdwa v3, v5, s7 dst_sel:DWORD dst_unused:UNUSED_PAD src0_sel:WORD_0 src1_sel:DWORD
	v_mul_u32_u24_sdwa v4, v2, s7 dst_sel:DWORD dst_unused:UNUSED_PAD src0_sel:WORD_0 src1_sel:DWORD
	v_lshrrev_b32_e32 v3, 19, v3
	v_lshrrev_b32_e32 v4, 19, v4
	v_mul_lo_u16_e32 v3, 10, v3
	v_mul_lo_u16_e32 v4, 10, v4
	v_sub_u16_e32 v3, v5, v3
	v_sub_u16_e32 v2, v2, v4
	v_add_u16_e32 v2, v3, v2
	v_add_u16_e32 v3, -10, v2
	v_min_u16_e32 v2, v2, v3
.LBB648_737:
	s_or_b64 exec, exec, s[4:5]
	v_cmp_eq_u32_e32 vcc, 0, v1
	s_and_saveexec_b64 s[4:5], vcc
; %bb.738:
	v_lshrrev_b32_e32 v3, 5, v0
	v_and_b32_e32 v3, 2, v3
	ds_write_b16 v3, v2
; %bb.739:
	s_or_b64 exec, exec, s[4:5]
	v_cmp_gt_u32_e32 vcc, 2, v0
	s_waitcnt lgkmcnt(0)
	s_barrier
	s_and_saveexec_b64 s[4:5], vcc
	s_cbranch_execz .LBB648_743
; %bb.740:
	v_lshlrev_b32_e32 v2, 1, v1
	ds_read_u16 v2, v2
	v_or_b32_e32 v4, 4, v6
	s_add_i32 s6, s6, 63
	v_and_b32_e32 v1, 1, v1
	s_lshr_b32 s6, s6, 6
	s_waitcnt lgkmcnt(0)
	v_and_b32_e32 v3, 0xffff, v2
	ds_bpermute_b32 v4, v4, v3
	v_add_u32_e32 v1, 1, v1
	v_cmp_gt_u32_e32 vcc, s6, v1
	s_and_saveexec_b64 s[6:7], vcc
	s_cbranch_execz .LBB648_742
; %bb.741:
	s_mov_b32 s8, 0xcccd
	s_waitcnt lgkmcnt(0)
	v_mul_u32_u24_sdwa v1, v4, s8 dst_sel:DWORD dst_unused:UNUSED_PAD src0_sel:WORD_0 src1_sel:DWORD
	v_mul_u32_u24_e32 v3, 0xcccd, v3
	v_lshrrev_b32_e32 v1, 19, v1
	v_lshrrev_b32_e32 v3, 19, v3
	v_mul_lo_u16_e32 v1, 10, v1
	v_mul_lo_u16_e32 v3, 10, v3
	v_sub_u16_e32 v1, v4, v1
	v_sub_u16_e32 v2, v2, v3
	v_add_u16_e32 v1, v1, v2
	v_add_u16_e32 v2, -10, v1
	v_min_u16_e32 v2, v1, v2
.LBB648_742:
	s_or_b64 exec, exec, s[6:7]
.LBB648_743:
	s_or_b64 exec, exec, s[4:5]
.LBB648_744:
	v_cmp_eq_u32_e32 vcc, 0, v0
                                        ; implicit-def: $vgpr1
	s_and_saveexec_b64 s[4:5], vcc
	s_cbranch_execz .LBB648_748
; %bb.745:
	s_cmp_eq_u64 s[70:71], 0
	v_mov_b32_e32 v1, s33
	s_cbranch_scc1 .LBB648_747
; %bb.746:
	s_mov_b32 s6, 0xcccd
	v_mul_u32_u24_sdwa v0, v2, s6 dst_sel:DWORD dst_unused:UNUSED_PAD src0_sel:WORD_0 src1_sel:DWORD
	s_and_b32 s6, 0xffff, s33
	s_mul_i32 s6, s6, 0xcccd
	v_lshrrev_b32_e32 v0, 19, v0
	s_lshr_b32 s6, s6, 19
	v_mul_lo_u16_e32 v0, 10, v0
	s_mul_i32 s6, s6, 10
	v_sub_u16_e32 v0, v2, v0
	s_sub_i32 s6, s33, s6
	v_add_u16_e32 v0, s6, v0
	v_add_u16_e32 v1, -10, v0
	v_min_u16_e32 v1, v0, v1
.LBB648_747:
	s_or_b64 s[66:67], s[66:67], exec
.LBB648_748:
	s_or_b64 exec, exec, s[4:5]
	s_and_saveexec_b64 s[4:5], s[66:67]
	s_cbranch_execnz .LBB648_720
	s_branch .LBB648_721
	.section	.rodata,"a",@progbits
	.p2align	6, 0x0
	.amdhsa_kernel _ZN7rocprim17ROCPRIM_400000_NS6detail17trampoline_kernelINS0_14default_configENS1_22reduce_config_selectorItEEZNS1_11reduce_implILb1ES3_N6thrust23THRUST_200600_302600_NS6detail15normal_iteratorINS8_10device_ptrItEEEEPtt11plus_mod_10ItEEE10hipError_tPvRmT1_T2_T3_mT4_P12ihipStream_tbEUlT_E1_NS1_11comp_targetILNS1_3genE0ELNS1_11target_archE4294967295ELNS1_3gpuE0ELNS1_3repE0EEENS1_30default_config_static_selectorELNS0_4arch9wavefront6targetE1EEEvSK_
		.amdhsa_group_segment_fixed_size 32
		.amdhsa_private_segment_fixed_size 0
		.amdhsa_kernarg_size 40
		.amdhsa_user_sgpr_count 2
		.amdhsa_user_sgpr_dispatch_ptr 0
		.amdhsa_user_sgpr_queue_ptr 0
		.amdhsa_user_sgpr_kernarg_segment_ptr 1
		.amdhsa_user_sgpr_dispatch_id 0
		.amdhsa_user_sgpr_kernarg_preload_length 0
		.amdhsa_user_sgpr_kernarg_preload_offset 0
		.amdhsa_user_sgpr_private_segment_size 0
		.amdhsa_uses_dynamic_stack 0
		.amdhsa_enable_private_segment 0
		.amdhsa_system_sgpr_workgroup_id_x 1
		.amdhsa_system_sgpr_workgroup_id_y 0
		.amdhsa_system_sgpr_workgroup_id_z 0
		.amdhsa_system_sgpr_workgroup_info 0
		.amdhsa_system_vgpr_workitem_id 0
		.amdhsa_next_free_vgpr 68
		.amdhsa_next_free_sgpr 100
		.amdhsa_accum_offset 68
		.amdhsa_reserve_vcc 1
		.amdhsa_float_round_mode_32 0
		.amdhsa_float_round_mode_16_64 0
		.amdhsa_float_denorm_mode_32 3
		.amdhsa_float_denorm_mode_16_64 3
		.amdhsa_dx10_clamp 1
		.amdhsa_ieee_mode 1
		.amdhsa_fp16_overflow 0
		.amdhsa_tg_split 0
		.amdhsa_exception_fp_ieee_invalid_op 0
		.amdhsa_exception_fp_denorm_src 0
		.amdhsa_exception_fp_ieee_div_zero 0
		.amdhsa_exception_fp_ieee_overflow 0
		.amdhsa_exception_fp_ieee_underflow 0
		.amdhsa_exception_fp_ieee_inexact 0
		.amdhsa_exception_int_div_zero 0
	.end_amdhsa_kernel
	.section	.text._ZN7rocprim17ROCPRIM_400000_NS6detail17trampoline_kernelINS0_14default_configENS1_22reduce_config_selectorItEEZNS1_11reduce_implILb1ES3_N6thrust23THRUST_200600_302600_NS6detail15normal_iteratorINS8_10device_ptrItEEEEPtt11plus_mod_10ItEEE10hipError_tPvRmT1_T2_T3_mT4_P12ihipStream_tbEUlT_E1_NS1_11comp_targetILNS1_3genE0ELNS1_11target_archE4294967295ELNS1_3gpuE0ELNS1_3repE0EEENS1_30default_config_static_selectorELNS0_4arch9wavefront6targetE1EEEvSK_,"axG",@progbits,_ZN7rocprim17ROCPRIM_400000_NS6detail17trampoline_kernelINS0_14default_configENS1_22reduce_config_selectorItEEZNS1_11reduce_implILb1ES3_N6thrust23THRUST_200600_302600_NS6detail15normal_iteratorINS8_10device_ptrItEEEEPtt11plus_mod_10ItEEE10hipError_tPvRmT1_T2_T3_mT4_P12ihipStream_tbEUlT_E1_NS1_11comp_targetILNS1_3genE0ELNS1_11target_archE4294967295ELNS1_3gpuE0ELNS1_3repE0EEENS1_30default_config_static_selectorELNS0_4arch9wavefront6targetE1EEEvSK_,comdat
.Lfunc_end648:
	.size	_ZN7rocprim17ROCPRIM_400000_NS6detail17trampoline_kernelINS0_14default_configENS1_22reduce_config_selectorItEEZNS1_11reduce_implILb1ES3_N6thrust23THRUST_200600_302600_NS6detail15normal_iteratorINS8_10device_ptrItEEEEPtt11plus_mod_10ItEEE10hipError_tPvRmT1_T2_T3_mT4_P12ihipStream_tbEUlT_E1_NS1_11comp_targetILNS1_3genE0ELNS1_11target_archE4294967295ELNS1_3gpuE0ELNS1_3repE0EEENS1_30default_config_static_selectorELNS0_4arch9wavefront6targetE1EEEvSK_, .Lfunc_end648-_ZN7rocprim17ROCPRIM_400000_NS6detail17trampoline_kernelINS0_14default_configENS1_22reduce_config_selectorItEEZNS1_11reduce_implILb1ES3_N6thrust23THRUST_200600_302600_NS6detail15normal_iteratorINS8_10device_ptrItEEEEPtt11plus_mod_10ItEEE10hipError_tPvRmT1_T2_T3_mT4_P12ihipStream_tbEUlT_E1_NS1_11comp_targetILNS1_3genE0ELNS1_11target_archE4294967295ELNS1_3gpuE0ELNS1_3repE0EEENS1_30default_config_static_selectorELNS0_4arch9wavefront6targetE1EEEvSK_
                                        ; -- End function
	.set _ZN7rocprim17ROCPRIM_400000_NS6detail17trampoline_kernelINS0_14default_configENS1_22reduce_config_selectorItEEZNS1_11reduce_implILb1ES3_N6thrust23THRUST_200600_302600_NS6detail15normal_iteratorINS8_10device_ptrItEEEEPtt11plus_mod_10ItEEE10hipError_tPvRmT1_T2_T3_mT4_P12ihipStream_tbEUlT_E1_NS1_11comp_targetILNS1_3genE0ELNS1_11target_archE4294967295ELNS1_3gpuE0ELNS1_3repE0EEENS1_30default_config_static_selectorELNS0_4arch9wavefront6targetE1EEEvSK_.num_vgpr, 68
	.set _ZN7rocprim17ROCPRIM_400000_NS6detail17trampoline_kernelINS0_14default_configENS1_22reduce_config_selectorItEEZNS1_11reduce_implILb1ES3_N6thrust23THRUST_200600_302600_NS6detail15normal_iteratorINS8_10device_ptrItEEEEPtt11plus_mod_10ItEEE10hipError_tPvRmT1_T2_T3_mT4_P12ihipStream_tbEUlT_E1_NS1_11comp_targetILNS1_3genE0ELNS1_11target_archE4294967295ELNS1_3gpuE0ELNS1_3repE0EEENS1_30default_config_static_selectorELNS0_4arch9wavefront6targetE1EEEvSK_.num_agpr, 0
	.set _ZN7rocprim17ROCPRIM_400000_NS6detail17trampoline_kernelINS0_14default_configENS1_22reduce_config_selectorItEEZNS1_11reduce_implILb1ES3_N6thrust23THRUST_200600_302600_NS6detail15normal_iteratorINS8_10device_ptrItEEEEPtt11plus_mod_10ItEEE10hipError_tPvRmT1_T2_T3_mT4_P12ihipStream_tbEUlT_E1_NS1_11comp_targetILNS1_3genE0ELNS1_11target_archE4294967295ELNS1_3gpuE0ELNS1_3repE0EEENS1_30default_config_static_selectorELNS0_4arch9wavefront6targetE1EEEvSK_.numbered_sgpr, 100
	.set _ZN7rocprim17ROCPRIM_400000_NS6detail17trampoline_kernelINS0_14default_configENS1_22reduce_config_selectorItEEZNS1_11reduce_implILb1ES3_N6thrust23THRUST_200600_302600_NS6detail15normal_iteratorINS8_10device_ptrItEEEEPtt11plus_mod_10ItEEE10hipError_tPvRmT1_T2_T3_mT4_P12ihipStream_tbEUlT_E1_NS1_11comp_targetILNS1_3genE0ELNS1_11target_archE4294967295ELNS1_3gpuE0ELNS1_3repE0EEENS1_30default_config_static_selectorELNS0_4arch9wavefront6targetE1EEEvSK_.num_named_barrier, 0
	.set _ZN7rocprim17ROCPRIM_400000_NS6detail17trampoline_kernelINS0_14default_configENS1_22reduce_config_selectorItEEZNS1_11reduce_implILb1ES3_N6thrust23THRUST_200600_302600_NS6detail15normal_iteratorINS8_10device_ptrItEEEEPtt11plus_mod_10ItEEE10hipError_tPvRmT1_T2_T3_mT4_P12ihipStream_tbEUlT_E1_NS1_11comp_targetILNS1_3genE0ELNS1_11target_archE4294967295ELNS1_3gpuE0ELNS1_3repE0EEENS1_30default_config_static_selectorELNS0_4arch9wavefront6targetE1EEEvSK_.private_seg_size, 0
	.set _ZN7rocprim17ROCPRIM_400000_NS6detail17trampoline_kernelINS0_14default_configENS1_22reduce_config_selectorItEEZNS1_11reduce_implILb1ES3_N6thrust23THRUST_200600_302600_NS6detail15normal_iteratorINS8_10device_ptrItEEEEPtt11plus_mod_10ItEEE10hipError_tPvRmT1_T2_T3_mT4_P12ihipStream_tbEUlT_E1_NS1_11comp_targetILNS1_3genE0ELNS1_11target_archE4294967295ELNS1_3gpuE0ELNS1_3repE0EEENS1_30default_config_static_selectorELNS0_4arch9wavefront6targetE1EEEvSK_.uses_vcc, 1
	.set _ZN7rocprim17ROCPRIM_400000_NS6detail17trampoline_kernelINS0_14default_configENS1_22reduce_config_selectorItEEZNS1_11reduce_implILb1ES3_N6thrust23THRUST_200600_302600_NS6detail15normal_iteratorINS8_10device_ptrItEEEEPtt11plus_mod_10ItEEE10hipError_tPvRmT1_T2_T3_mT4_P12ihipStream_tbEUlT_E1_NS1_11comp_targetILNS1_3genE0ELNS1_11target_archE4294967295ELNS1_3gpuE0ELNS1_3repE0EEENS1_30default_config_static_selectorELNS0_4arch9wavefront6targetE1EEEvSK_.uses_flat_scratch, 0
	.set _ZN7rocprim17ROCPRIM_400000_NS6detail17trampoline_kernelINS0_14default_configENS1_22reduce_config_selectorItEEZNS1_11reduce_implILb1ES3_N6thrust23THRUST_200600_302600_NS6detail15normal_iteratorINS8_10device_ptrItEEEEPtt11plus_mod_10ItEEE10hipError_tPvRmT1_T2_T3_mT4_P12ihipStream_tbEUlT_E1_NS1_11comp_targetILNS1_3genE0ELNS1_11target_archE4294967295ELNS1_3gpuE0ELNS1_3repE0EEENS1_30default_config_static_selectorELNS0_4arch9wavefront6targetE1EEEvSK_.has_dyn_sized_stack, 0
	.set _ZN7rocprim17ROCPRIM_400000_NS6detail17trampoline_kernelINS0_14default_configENS1_22reduce_config_selectorItEEZNS1_11reduce_implILb1ES3_N6thrust23THRUST_200600_302600_NS6detail15normal_iteratorINS8_10device_ptrItEEEEPtt11plus_mod_10ItEEE10hipError_tPvRmT1_T2_T3_mT4_P12ihipStream_tbEUlT_E1_NS1_11comp_targetILNS1_3genE0ELNS1_11target_archE4294967295ELNS1_3gpuE0ELNS1_3repE0EEENS1_30default_config_static_selectorELNS0_4arch9wavefront6targetE1EEEvSK_.has_recursion, 0
	.set _ZN7rocprim17ROCPRIM_400000_NS6detail17trampoline_kernelINS0_14default_configENS1_22reduce_config_selectorItEEZNS1_11reduce_implILb1ES3_N6thrust23THRUST_200600_302600_NS6detail15normal_iteratorINS8_10device_ptrItEEEEPtt11plus_mod_10ItEEE10hipError_tPvRmT1_T2_T3_mT4_P12ihipStream_tbEUlT_E1_NS1_11comp_targetILNS1_3genE0ELNS1_11target_archE4294967295ELNS1_3gpuE0ELNS1_3repE0EEENS1_30default_config_static_selectorELNS0_4arch9wavefront6targetE1EEEvSK_.has_indirect_call, 0
	.section	.AMDGPU.csdata,"",@progbits
; Kernel info:
; codeLenInByte = 38952
; TotalNumSgprs: 106
; NumVgprs: 68
; NumAgprs: 0
; TotalNumVgprs: 68
; ScratchSize: 0
; MemoryBound: 0
; FloatMode: 240
; IeeeMode: 1
; LDSByteSize: 32 bytes/workgroup (compile time only)
; SGPRBlocks: 13
; VGPRBlocks: 8
; NumSGPRsForWavesPerEU: 106
; NumVGPRsForWavesPerEU: 68
; AccumOffset: 68
; Occupancy: 7
; WaveLimiterHint : 1
; COMPUTE_PGM_RSRC2:SCRATCH_EN: 0
; COMPUTE_PGM_RSRC2:USER_SGPR: 2
; COMPUTE_PGM_RSRC2:TRAP_HANDLER: 0
; COMPUTE_PGM_RSRC2:TGID_X_EN: 1
; COMPUTE_PGM_RSRC2:TGID_Y_EN: 0
; COMPUTE_PGM_RSRC2:TGID_Z_EN: 0
; COMPUTE_PGM_RSRC2:TIDIG_COMP_CNT: 0
; COMPUTE_PGM_RSRC3_GFX90A:ACCUM_OFFSET: 16
; COMPUTE_PGM_RSRC3_GFX90A:TG_SPLIT: 0
	.section	.text._ZN7rocprim17ROCPRIM_400000_NS6detail17trampoline_kernelINS0_14default_configENS1_22reduce_config_selectorItEEZNS1_11reduce_implILb1ES3_N6thrust23THRUST_200600_302600_NS6detail15normal_iteratorINS8_10device_ptrItEEEEPtt11plus_mod_10ItEEE10hipError_tPvRmT1_T2_T3_mT4_P12ihipStream_tbEUlT_E1_NS1_11comp_targetILNS1_3genE5ELNS1_11target_archE942ELNS1_3gpuE9ELNS1_3repE0EEENS1_30default_config_static_selectorELNS0_4arch9wavefront6targetE1EEEvSK_,"axG",@progbits,_ZN7rocprim17ROCPRIM_400000_NS6detail17trampoline_kernelINS0_14default_configENS1_22reduce_config_selectorItEEZNS1_11reduce_implILb1ES3_N6thrust23THRUST_200600_302600_NS6detail15normal_iteratorINS8_10device_ptrItEEEEPtt11plus_mod_10ItEEE10hipError_tPvRmT1_T2_T3_mT4_P12ihipStream_tbEUlT_E1_NS1_11comp_targetILNS1_3genE5ELNS1_11target_archE942ELNS1_3gpuE9ELNS1_3repE0EEENS1_30default_config_static_selectorELNS0_4arch9wavefront6targetE1EEEvSK_,comdat
	.protected	_ZN7rocprim17ROCPRIM_400000_NS6detail17trampoline_kernelINS0_14default_configENS1_22reduce_config_selectorItEEZNS1_11reduce_implILb1ES3_N6thrust23THRUST_200600_302600_NS6detail15normal_iteratorINS8_10device_ptrItEEEEPtt11plus_mod_10ItEEE10hipError_tPvRmT1_T2_T3_mT4_P12ihipStream_tbEUlT_E1_NS1_11comp_targetILNS1_3genE5ELNS1_11target_archE942ELNS1_3gpuE9ELNS1_3repE0EEENS1_30default_config_static_selectorELNS0_4arch9wavefront6targetE1EEEvSK_ ; -- Begin function _ZN7rocprim17ROCPRIM_400000_NS6detail17trampoline_kernelINS0_14default_configENS1_22reduce_config_selectorItEEZNS1_11reduce_implILb1ES3_N6thrust23THRUST_200600_302600_NS6detail15normal_iteratorINS8_10device_ptrItEEEEPtt11plus_mod_10ItEEE10hipError_tPvRmT1_T2_T3_mT4_P12ihipStream_tbEUlT_E1_NS1_11comp_targetILNS1_3genE5ELNS1_11target_archE942ELNS1_3gpuE9ELNS1_3repE0EEENS1_30default_config_static_selectorELNS0_4arch9wavefront6targetE1EEEvSK_
	.globl	_ZN7rocprim17ROCPRIM_400000_NS6detail17trampoline_kernelINS0_14default_configENS1_22reduce_config_selectorItEEZNS1_11reduce_implILb1ES3_N6thrust23THRUST_200600_302600_NS6detail15normal_iteratorINS8_10device_ptrItEEEEPtt11plus_mod_10ItEEE10hipError_tPvRmT1_T2_T3_mT4_P12ihipStream_tbEUlT_E1_NS1_11comp_targetILNS1_3genE5ELNS1_11target_archE942ELNS1_3gpuE9ELNS1_3repE0EEENS1_30default_config_static_selectorELNS0_4arch9wavefront6targetE1EEEvSK_
	.p2align	8
	.type	_ZN7rocprim17ROCPRIM_400000_NS6detail17trampoline_kernelINS0_14default_configENS1_22reduce_config_selectorItEEZNS1_11reduce_implILb1ES3_N6thrust23THRUST_200600_302600_NS6detail15normal_iteratorINS8_10device_ptrItEEEEPtt11plus_mod_10ItEEE10hipError_tPvRmT1_T2_T3_mT4_P12ihipStream_tbEUlT_E1_NS1_11comp_targetILNS1_3genE5ELNS1_11target_archE942ELNS1_3gpuE9ELNS1_3repE0EEENS1_30default_config_static_selectorELNS0_4arch9wavefront6targetE1EEEvSK_,@function
_ZN7rocprim17ROCPRIM_400000_NS6detail17trampoline_kernelINS0_14default_configENS1_22reduce_config_selectorItEEZNS1_11reduce_implILb1ES3_N6thrust23THRUST_200600_302600_NS6detail15normal_iteratorINS8_10device_ptrItEEEEPtt11plus_mod_10ItEEE10hipError_tPvRmT1_T2_T3_mT4_P12ihipStream_tbEUlT_E1_NS1_11comp_targetILNS1_3genE5ELNS1_11target_archE942ELNS1_3gpuE9ELNS1_3repE0EEENS1_30default_config_static_selectorELNS0_4arch9wavefront6targetE1EEEvSK_: ; @_ZN7rocprim17ROCPRIM_400000_NS6detail17trampoline_kernelINS0_14default_configENS1_22reduce_config_selectorItEEZNS1_11reduce_implILb1ES3_N6thrust23THRUST_200600_302600_NS6detail15normal_iteratorINS8_10device_ptrItEEEEPtt11plus_mod_10ItEEE10hipError_tPvRmT1_T2_T3_mT4_P12ihipStream_tbEUlT_E1_NS1_11comp_targetILNS1_3genE5ELNS1_11target_archE942ELNS1_3gpuE9ELNS1_3repE0EEENS1_30default_config_static_selectorELNS0_4arch9wavefront6targetE1EEEvSK_
; %bb.0:
	.section	.rodata,"a",@progbits
	.p2align	6, 0x0
	.amdhsa_kernel _ZN7rocprim17ROCPRIM_400000_NS6detail17trampoline_kernelINS0_14default_configENS1_22reduce_config_selectorItEEZNS1_11reduce_implILb1ES3_N6thrust23THRUST_200600_302600_NS6detail15normal_iteratorINS8_10device_ptrItEEEEPtt11plus_mod_10ItEEE10hipError_tPvRmT1_T2_T3_mT4_P12ihipStream_tbEUlT_E1_NS1_11comp_targetILNS1_3genE5ELNS1_11target_archE942ELNS1_3gpuE9ELNS1_3repE0EEENS1_30default_config_static_selectorELNS0_4arch9wavefront6targetE1EEEvSK_
		.amdhsa_group_segment_fixed_size 0
		.amdhsa_private_segment_fixed_size 0
		.amdhsa_kernarg_size 40
		.amdhsa_user_sgpr_count 2
		.amdhsa_user_sgpr_dispatch_ptr 0
		.amdhsa_user_sgpr_queue_ptr 0
		.amdhsa_user_sgpr_kernarg_segment_ptr 1
		.amdhsa_user_sgpr_dispatch_id 0
		.amdhsa_user_sgpr_kernarg_preload_length 0
		.amdhsa_user_sgpr_kernarg_preload_offset 0
		.amdhsa_user_sgpr_private_segment_size 0
		.amdhsa_uses_dynamic_stack 0
		.amdhsa_enable_private_segment 0
		.amdhsa_system_sgpr_workgroup_id_x 1
		.amdhsa_system_sgpr_workgroup_id_y 0
		.amdhsa_system_sgpr_workgroup_id_z 0
		.amdhsa_system_sgpr_workgroup_info 0
		.amdhsa_system_vgpr_workitem_id 0
		.amdhsa_next_free_vgpr 1
		.amdhsa_next_free_sgpr 0
		.amdhsa_accum_offset 4
		.amdhsa_reserve_vcc 0
		.amdhsa_float_round_mode_32 0
		.amdhsa_float_round_mode_16_64 0
		.amdhsa_float_denorm_mode_32 3
		.amdhsa_float_denorm_mode_16_64 3
		.amdhsa_dx10_clamp 1
		.amdhsa_ieee_mode 1
		.amdhsa_fp16_overflow 0
		.amdhsa_tg_split 0
		.amdhsa_exception_fp_ieee_invalid_op 0
		.amdhsa_exception_fp_denorm_src 0
		.amdhsa_exception_fp_ieee_div_zero 0
		.amdhsa_exception_fp_ieee_overflow 0
		.amdhsa_exception_fp_ieee_underflow 0
		.amdhsa_exception_fp_ieee_inexact 0
		.amdhsa_exception_int_div_zero 0
	.end_amdhsa_kernel
	.section	.text._ZN7rocprim17ROCPRIM_400000_NS6detail17trampoline_kernelINS0_14default_configENS1_22reduce_config_selectorItEEZNS1_11reduce_implILb1ES3_N6thrust23THRUST_200600_302600_NS6detail15normal_iteratorINS8_10device_ptrItEEEEPtt11plus_mod_10ItEEE10hipError_tPvRmT1_T2_T3_mT4_P12ihipStream_tbEUlT_E1_NS1_11comp_targetILNS1_3genE5ELNS1_11target_archE942ELNS1_3gpuE9ELNS1_3repE0EEENS1_30default_config_static_selectorELNS0_4arch9wavefront6targetE1EEEvSK_,"axG",@progbits,_ZN7rocprim17ROCPRIM_400000_NS6detail17trampoline_kernelINS0_14default_configENS1_22reduce_config_selectorItEEZNS1_11reduce_implILb1ES3_N6thrust23THRUST_200600_302600_NS6detail15normal_iteratorINS8_10device_ptrItEEEEPtt11plus_mod_10ItEEE10hipError_tPvRmT1_T2_T3_mT4_P12ihipStream_tbEUlT_E1_NS1_11comp_targetILNS1_3genE5ELNS1_11target_archE942ELNS1_3gpuE9ELNS1_3repE0EEENS1_30default_config_static_selectorELNS0_4arch9wavefront6targetE1EEEvSK_,comdat
.Lfunc_end649:
	.size	_ZN7rocprim17ROCPRIM_400000_NS6detail17trampoline_kernelINS0_14default_configENS1_22reduce_config_selectorItEEZNS1_11reduce_implILb1ES3_N6thrust23THRUST_200600_302600_NS6detail15normal_iteratorINS8_10device_ptrItEEEEPtt11plus_mod_10ItEEE10hipError_tPvRmT1_T2_T3_mT4_P12ihipStream_tbEUlT_E1_NS1_11comp_targetILNS1_3genE5ELNS1_11target_archE942ELNS1_3gpuE9ELNS1_3repE0EEENS1_30default_config_static_selectorELNS0_4arch9wavefront6targetE1EEEvSK_, .Lfunc_end649-_ZN7rocprim17ROCPRIM_400000_NS6detail17trampoline_kernelINS0_14default_configENS1_22reduce_config_selectorItEEZNS1_11reduce_implILb1ES3_N6thrust23THRUST_200600_302600_NS6detail15normal_iteratorINS8_10device_ptrItEEEEPtt11plus_mod_10ItEEE10hipError_tPvRmT1_T2_T3_mT4_P12ihipStream_tbEUlT_E1_NS1_11comp_targetILNS1_3genE5ELNS1_11target_archE942ELNS1_3gpuE9ELNS1_3repE0EEENS1_30default_config_static_selectorELNS0_4arch9wavefront6targetE1EEEvSK_
                                        ; -- End function
	.set _ZN7rocprim17ROCPRIM_400000_NS6detail17trampoline_kernelINS0_14default_configENS1_22reduce_config_selectorItEEZNS1_11reduce_implILb1ES3_N6thrust23THRUST_200600_302600_NS6detail15normal_iteratorINS8_10device_ptrItEEEEPtt11plus_mod_10ItEEE10hipError_tPvRmT1_T2_T3_mT4_P12ihipStream_tbEUlT_E1_NS1_11comp_targetILNS1_3genE5ELNS1_11target_archE942ELNS1_3gpuE9ELNS1_3repE0EEENS1_30default_config_static_selectorELNS0_4arch9wavefront6targetE1EEEvSK_.num_vgpr, 0
	.set _ZN7rocprim17ROCPRIM_400000_NS6detail17trampoline_kernelINS0_14default_configENS1_22reduce_config_selectorItEEZNS1_11reduce_implILb1ES3_N6thrust23THRUST_200600_302600_NS6detail15normal_iteratorINS8_10device_ptrItEEEEPtt11plus_mod_10ItEEE10hipError_tPvRmT1_T2_T3_mT4_P12ihipStream_tbEUlT_E1_NS1_11comp_targetILNS1_3genE5ELNS1_11target_archE942ELNS1_3gpuE9ELNS1_3repE0EEENS1_30default_config_static_selectorELNS0_4arch9wavefront6targetE1EEEvSK_.num_agpr, 0
	.set _ZN7rocprim17ROCPRIM_400000_NS6detail17trampoline_kernelINS0_14default_configENS1_22reduce_config_selectorItEEZNS1_11reduce_implILb1ES3_N6thrust23THRUST_200600_302600_NS6detail15normal_iteratorINS8_10device_ptrItEEEEPtt11plus_mod_10ItEEE10hipError_tPvRmT1_T2_T3_mT4_P12ihipStream_tbEUlT_E1_NS1_11comp_targetILNS1_3genE5ELNS1_11target_archE942ELNS1_3gpuE9ELNS1_3repE0EEENS1_30default_config_static_selectorELNS0_4arch9wavefront6targetE1EEEvSK_.numbered_sgpr, 0
	.set _ZN7rocprim17ROCPRIM_400000_NS6detail17trampoline_kernelINS0_14default_configENS1_22reduce_config_selectorItEEZNS1_11reduce_implILb1ES3_N6thrust23THRUST_200600_302600_NS6detail15normal_iteratorINS8_10device_ptrItEEEEPtt11plus_mod_10ItEEE10hipError_tPvRmT1_T2_T3_mT4_P12ihipStream_tbEUlT_E1_NS1_11comp_targetILNS1_3genE5ELNS1_11target_archE942ELNS1_3gpuE9ELNS1_3repE0EEENS1_30default_config_static_selectorELNS0_4arch9wavefront6targetE1EEEvSK_.num_named_barrier, 0
	.set _ZN7rocprim17ROCPRIM_400000_NS6detail17trampoline_kernelINS0_14default_configENS1_22reduce_config_selectorItEEZNS1_11reduce_implILb1ES3_N6thrust23THRUST_200600_302600_NS6detail15normal_iteratorINS8_10device_ptrItEEEEPtt11plus_mod_10ItEEE10hipError_tPvRmT1_T2_T3_mT4_P12ihipStream_tbEUlT_E1_NS1_11comp_targetILNS1_3genE5ELNS1_11target_archE942ELNS1_3gpuE9ELNS1_3repE0EEENS1_30default_config_static_selectorELNS0_4arch9wavefront6targetE1EEEvSK_.private_seg_size, 0
	.set _ZN7rocprim17ROCPRIM_400000_NS6detail17trampoline_kernelINS0_14default_configENS1_22reduce_config_selectorItEEZNS1_11reduce_implILb1ES3_N6thrust23THRUST_200600_302600_NS6detail15normal_iteratorINS8_10device_ptrItEEEEPtt11plus_mod_10ItEEE10hipError_tPvRmT1_T2_T3_mT4_P12ihipStream_tbEUlT_E1_NS1_11comp_targetILNS1_3genE5ELNS1_11target_archE942ELNS1_3gpuE9ELNS1_3repE0EEENS1_30default_config_static_selectorELNS0_4arch9wavefront6targetE1EEEvSK_.uses_vcc, 0
	.set _ZN7rocprim17ROCPRIM_400000_NS6detail17trampoline_kernelINS0_14default_configENS1_22reduce_config_selectorItEEZNS1_11reduce_implILb1ES3_N6thrust23THRUST_200600_302600_NS6detail15normal_iteratorINS8_10device_ptrItEEEEPtt11plus_mod_10ItEEE10hipError_tPvRmT1_T2_T3_mT4_P12ihipStream_tbEUlT_E1_NS1_11comp_targetILNS1_3genE5ELNS1_11target_archE942ELNS1_3gpuE9ELNS1_3repE0EEENS1_30default_config_static_selectorELNS0_4arch9wavefront6targetE1EEEvSK_.uses_flat_scratch, 0
	.set _ZN7rocprim17ROCPRIM_400000_NS6detail17trampoline_kernelINS0_14default_configENS1_22reduce_config_selectorItEEZNS1_11reduce_implILb1ES3_N6thrust23THRUST_200600_302600_NS6detail15normal_iteratorINS8_10device_ptrItEEEEPtt11plus_mod_10ItEEE10hipError_tPvRmT1_T2_T3_mT4_P12ihipStream_tbEUlT_E1_NS1_11comp_targetILNS1_3genE5ELNS1_11target_archE942ELNS1_3gpuE9ELNS1_3repE0EEENS1_30default_config_static_selectorELNS0_4arch9wavefront6targetE1EEEvSK_.has_dyn_sized_stack, 0
	.set _ZN7rocprim17ROCPRIM_400000_NS6detail17trampoline_kernelINS0_14default_configENS1_22reduce_config_selectorItEEZNS1_11reduce_implILb1ES3_N6thrust23THRUST_200600_302600_NS6detail15normal_iteratorINS8_10device_ptrItEEEEPtt11plus_mod_10ItEEE10hipError_tPvRmT1_T2_T3_mT4_P12ihipStream_tbEUlT_E1_NS1_11comp_targetILNS1_3genE5ELNS1_11target_archE942ELNS1_3gpuE9ELNS1_3repE0EEENS1_30default_config_static_selectorELNS0_4arch9wavefront6targetE1EEEvSK_.has_recursion, 0
	.set _ZN7rocprim17ROCPRIM_400000_NS6detail17trampoline_kernelINS0_14default_configENS1_22reduce_config_selectorItEEZNS1_11reduce_implILb1ES3_N6thrust23THRUST_200600_302600_NS6detail15normal_iteratorINS8_10device_ptrItEEEEPtt11plus_mod_10ItEEE10hipError_tPvRmT1_T2_T3_mT4_P12ihipStream_tbEUlT_E1_NS1_11comp_targetILNS1_3genE5ELNS1_11target_archE942ELNS1_3gpuE9ELNS1_3repE0EEENS1_30default_config_static_selectorELNS0_4arch9wavefront6targetE1EEEvSK_.has_indirect_call, 0
	.section	.AMDGPU.csdata,"",@progbits
; Kernel info:
; codeLenInByte = 0
; TotalNumSgprs: 6
; NumVgprs: 0
; NumAgprs: 0
; TotalNumVgprs: 0
; ScratchSize: 0
; MemoryBound: 0
; FloatMode: 240
; IeeeMode: 1
; LDSByteSize: 0 bytes/workgroup (compile time only)
; SGPRBlocks: 0
; VGPRBlocks: 0
; NumSGPRsForWavesPerEU: 6
; NumVGPRsForWavesPerEU: 1
; AccumOffset: 4
; Occupancy: 8
; WaveLimiterHint : 0
; COMPUTE_PGM_RSRC2:SCRATCH_EN: 0
; COMPUTE_PGM_RSRC2:USER_SGPR: 2
; COMPUTE_PGM_RSRC2:TRAP_HANDLER: 0
; COMPUTE_PGM_RSRC2:TGID_X_EN: 1
; COMPUTE_PGM_RSRC2:TGID_Y_EN: 0
; COMPUTE_PGM_RSRC2:TGID_Z_EN: 0
; COMPUTE_PGM_RSRC2:TIDIG_COMP_CNT: 0
; COMPUTE_PGM_RSRC3_GFX90A:ACCUM_OFFSET: 0
; COMPUTE_PGM_RSRC3_GFX90A:TG_SPLIT: 0
	.section	.text._ZN7rocprim17ROCPRIM_400000_NS6detail17trampoline_kernelINS0_14default_configENS1_22reduce_config_selectorItEEZNS1_11reduce_implILb1ES3_N6thrust23THRUST_200600_302600_NS6detail15normal_iteratorINS8_10device_ptrItEEEEPtt11plus_mod_10ItEEE10hipError_tPvRmT1_T2_T3_mT4_P12ihipStream_tbEUlT_E1_NS1_11comp_targetILNS1_3genE4ELNS1_11target_archE910ELNS1_3gpuE8ELNS1_3repE0EEENS1_30default_config_static_selectorELNS0_4arch9wavefront6targetE1EEEvSK_,"axG",@progbits,_ZN7rocprim17ROCPRIM_400000_NS6detail17trampoline_kernelINS0_14default_configENS1_22reduce_config_selectorItEEZNS1_11reduce_implILb1ES3_N6thrust23THRUST_200600_302600_NS6detail15normal_iteratorINS8_10device_ptrItEEEEPtt11plus_mod_10ItEEE10hipError_tPvRmT1_T2_T3_mT4_P12ihipStream_tbEUlT_E1_NS1_11comp_targetILNS1_3genE4ELNS1_11target_archE910ELNS1_3gpuE8ELNS1_3repE0EEENS1_30default_config_static_selectorELNS0_4arch9wavefront6targetE1EEEvSK_,comdat
	.protected	_ZN7rocprim17ROCPRIM_400000_NS6detail17trampoline_kernelINS0_14default_configENS1_22reduce_config_selectorItEEZNS1_11reduce_implILb1ES3_N6thrust23THRUST_200600_302600_NS6detail15normal_iteratorINS8_10device_ptrItEEEEPtt11plus_mod_10ItEEE10hipError_tPvRmT1_T2_T3_mT4_P12ihipStream_tbEUlT_E1_NS1_11comp_targetILNS1_3genE4ELNS1_11target_archE910ELNS1_3gpuE8ELNS1_3repE0EEENS1_30default_config_static_selectorELNS0_4arch9wavefront6targetE1EEEvSK_ ; -- Begin function _ZN7rocprim17ROCPRIM_400000_NS6detail17trampoline_kernelINS0_14default_configENS1_22reduce_config_selectorItEEZNS1_11reduce_implILb1ES3_N6thrust23THRUST_200600_302600_NS6detail15normal_iteratorINS8_10device_ptrItEEEEPtt11plus_mod_10ItEEE10hipError_tPvRmT1_T2_T3_mT4_P12ihipStream_tbEUlT_E1_NS1_11comp_targetILNS1_3genE4ELNS1_11target_archE910ELNS1_3gpuE8ELNS1_3repE0EEENS1_30default_config_static_selectorELNS0_4arch9wavefront6targetE1EEEvSK_
	.globl	_ZN7rocprim17ROCPRIM_400000_NS6detail17trampoline_kernelINS0_14default_configENS1_22reduce_config_selectorItEEZNS1_11reduce_implILb1ES3_N6thrust23THRUST_200600_302600_NS6detail15normal_iteratorINS8_10device_ptrItEEEEPtt11plus_mod_10ItEEE10hipError_tPvRmT1_T2_T3_mT4_P12ihipStream_tbEUlT_E1_NS1_11comp_targetILNS1_3genE4ELNS1_11target_archE910ELNS1_3gpuE8ELNS1_3repE0EEENS1_30default_config_static_selectorELNS0_4arch9wavefront6targetE1EEEvSK_
	.p2align	8
	.type	_ZN7rocprim17ROCPRIM_400000_NS6detail17trampoline_kernelINS0_14default_configENS1_22reduce_config_selectorItEEZNS1_11reduce_implILb1ES3_N6thrust23THRUST_200600_302600_NS6detail15normal_iteratorINS8_10device_ptrItEEEEPtt11plus_mod_10ItEEE10hipError_tPvRmT1_T2_T3_mT4_P12ihipStream_tbEUlT_E1_NS1_11comp_targetILNS1_3genE4ELNS1_11target_archE910ELNS1_3gpuE8ELNS1_3repE0EEENS1_30default_config_static_selectorELNS0_4arch9wavefront6targetE1EEEvSK_,@function
_ZN7rocprim17ROCPRIM_400000_NS6detail17trampoline_kernelINS0_14default_configENS1_22reduce_config_selectorItEEZNS1_11reduce_implILb1ES3_N6thrust23THRUST_200600_302600_NS6detail15normal_iteratorINS8_10device_ptrItEEEEPtt11plus_mod_10ItEEE10hipError_tPvRmT1_T2_T3_mT4_P12ihipStream_tbEUlT_E1_NS1_11comp_targetILNS1_3genE4ELNS1_11target_archE910ELNS1_3gpuE8ELNS1_3repE0EEENS1_30default_config_static_selectorELNS0_4arch9wavefront6targetE1EEEvSK_: ; @_ZN7rocprim17ROCPRIM_400000_NS6detail17trampoline_kernelINS0_14default_configENS1_22reduce_config_selectorItEEZNS1_11reduce_implILb1ES3_N6thrust23THRUST_200600_302600_NS6detail15normal_iteratorINS8_10device_ptrItEEEEPtt11plus_mod_10ItEEE10hipError_tPvRmT1_T2_T3_mT4_P12ihipStream_tbEUlT_E1_NS1_11comp_targetILNS1_3genE4ELNS1_11target_archE910ELNS1_3gpuE8ELNS1_3repE0EEENS1_30default_config_static_selectorELNS0_4arch9wavefront6targetE1EEEvSK_
; %bb.0:
	.section	.rodata,"a",@progbits
	.p2align	6, 0x0
	.amdhsa_kernel _ZN7rocprim17ROCPRIM_400000_NS6detail17trampoline_kernelINS0_14default_configENS1_22reduce_config_selectorItEEZNS1_11reduce_implILb1ES3_N6thrust23THRUST_200600_302600_NS6detail15normal_iteratorINS8_10device_ptrItEEEEPtt11plus_mod_10ItEEE10hipError_tPvRmT1_T2_T3_mT4_P12ihipStream_tbEUlT_E1_NS1_11comp_targetILNS1_3genE4ELNS1_11target_archE910ELNS1_3gpuE8ELNS1_3repE0EEENS1_30default_config_static_selectorELNS0_4arch9wavefront6targetE1EEEvSK_
		.amdhsa_group_segment_fixed_size 0
		.amdhsa_private_segment_fixed_size 0
		.amdhsa_kernarg_size 40
		.amdhsa_user_sgpr_count 2
		.amdhsa_user_sgpr_dispatch_ptr 0
		.amdhsa_user_sgpr_queue_ptr 0
		.amdhsa_user_sgpr_kernarg_segment_ptr 1
		.amdhsa_user_sgpr_dispatch_id 0
		.amdhsa_user_sgpr_kernarg_preload_length 0
		.amdhsa_user_sgpr_kernarg_preload_offset 0
		.amdhsa_user_sgpr_private_segment_size 0
		.amdhsa_uses_dynamic_stack 0
		.amdhsa_enable_private_segment 0
		.amdhsa_system_sgpr_workgroup_id_x 1
		.amdhsa_system_sgpr_workgroup_id_y 0
		.amdhsa_system_sgpr_workgroup_id_z 0
		.amdhsa_system_sgpr_workgroup_info 0
		.amdhsa_system_vgpr_workitem_id 0
		.amdhsa_next_free_vgpr 1
		.amdhsa_next_free_sgpr 0
		.amdhsa_accum_offset 4
		.amdhsa_reserve_vcc 0
		.amdhsa_float_round_mode_32 0
		.amdhsa_float_round_mode_16_64 0
		.amdhsa_float_denorm_mode_32 3
		.amdhsa_float_denorm_mode_16_64 3
		.amdhsa_dx10_clamp 1
		.amdhsa_ieee_mode 1
		.amdhsa_fp16_overflow 0
		.amdhsa_tg_split 0
		.amdhsa_exception_fp_ieee_invalid_op 0
		.amdhsa_exception_fp_denorm_src 0
		.amdhsa_exception_fp_ieee_div_zero 0
		.amdhsa_exception_fp_ieee_overflow 0
		.amdhsa_exception_fp_ieee_underflow 0
		.amdhsa_exception_fp_ieee_inexact 0
		.amdhsa_exception_int_div_zero 0
	.end_amdhsa_kernel
	.section	.text._ZN7rocprim17ROCPRIM_400000_NS6detail17trampoline_kernelINS0_14default_configENS1_22reduce_config_selectorItEEZNS1_11reduce_implILb1ES3_N6thrust23THRUST_200600_302600_NS6detail15normal_iteratorINS8_10device_ptrItEEEEPtt11plus_mod_10ItEEE10hipError_tPvRmT1_T2_T3_mT4_P12ihipStream_tbEUlT_E1_NS1_11comp_targetILNS1_3genE4ELNS1_11target_archE910ELNS1_3gpuE8ELNS1_3repE0EEENS1_30default_config_static_selectorELNS0_4arch9wavefront6targetE1EEEvSK_,"axG",@progbits,_ZN7rocprim17ROCPRIM_400000_NS6detail17trampoline_kernelINS0_14default_configENS1_22reduce_config_selectorItEEZNS1_11reduce_implILb1ES3_N6thrust23THRUST_200600_302600_NS6detail15normal_iteratorINS8_10device_ptrItEEEEPtt11plus_mod_10ItEEE10hipError_tPvRmT1_T2_T3_mT4_P12ihipStream_tbEUlT_E1_NS1_11comp_targetILNS1_3genE4ELNS1_11target_archE910ELNS1_3gpuE8ELNS1_3repE0EEENS1_30default_config_static_selectorELNS0_4arch9wavefront6targetE1EEEvSK_,comdat
.Lfunc_end650:
	.size	_ZN7rocprim17ROCPRIM_400000_NS6detail17trampoline_kernelINS0_14default_configENS1_22reduce_config_selectorItEEZNS1_11reduce_implILb1ES3_N6thrust23THRUST_200600_302600_NS6detail15normal_iteratorINS8_10device_ptrItEEEEPtt11plus_mod_10ItEEE10hipError_tPvRmT1_T2_T3_mT4_P12ihipStream_tbEUlT_E1_NS1_11comp_targetILNS1_3genE4ELNS1_11target_archE910ELNS1_3gpuE8ELNS1_3repE0EEENS1_30default_config_static_selectorELNS0_4arch9wavefront6targetE1EEEvSK_, .Lfunc_end650-_ZN7rocprim17ROCPRIM_400000_NS6detail17trampoline_kernelINS0_14default_configENS1_22reduce_config_selectorItEEZNS1_11reduce_implILb1ES3_N6thrust23THRUST_200600_302600_NS6detail15normal_iteratorINS8_10device_ptrItEEEEPtt11plus_mod_10ItEEE10hipError_tPvRmT1_T2_T3_mT4_P12ihipStream_tbEUlT_E1_NS1_11comp_targetILNS1_3genE4ELNS1_11target_archE910ELNS1_3gpuE8ELNS1_3repE0EEENS1_30default_config_static_selectorELNS0_4arch9wavefront6targetE1EEEvSK_
                                        ; -- End function
	.set _ZN7rocprim17ROCPRIM_400000_NS6detail17trampoline_kernelINS0_14default_configENS1_22reduce_config_selectorItEEZNS1_11reduce_implILb1ES3_N6thrust23THRUST_200600_302600_NS6detail15normal_iteratorINS8_10device_ptrItEEEEPtt11plus_mod_10ItEEE10hipError_tPvRmT1_T2_T3_mT4_P12ihipStream_tbEUlT_E1_NS1_11comp_targetILNS1_3genE4ELNS1_11target_archE910ELNS1_3gpuE8ELNS1_3repE0EEENS1_30default_config_static_selectorELNS0_4arch9wavefront6targetE1EEEvSK_.num_vgpr, 0
	.set _ZN7rocprim17ROCPRIM_400000_NS6detail17trampoline_kernelINS0_14default_configENS1_22reduce_config_selectorItEEZNS1_11reduce_implILb1ES3_N6thrust23THRUST_200600_302600_NS6detail15normal_iteratorINS8_10device_ptrItEEEEPtt11plus_mod_10ItEEE10hipError_tPvRmT1_T2_T3_mT4_P12ihipStream_tbEUlT_E1_NS1_11comp_targetILNS1_3genE4ELNS1_11target_archE910ELNS1_3gpuE8ELNS1_3repE0EEENS1_30default_config_static_selectorELNS0_4arch9wavefront6targetE1EEEvSK_.num_agpr, 0
	.set _ZN7rocprim17ROCPRIM_400000_NS6detail17trampoline_kernelINS0_14default_configENS1_22reduce_config_selectorItEEZNS1_11reduce_implILb1ES3_N6thrust23THRUST_200600_302600_NS6detail15normal_iteratorINS8_10device_ptrItEEEEPtt11plus_mod_10ItEEE10hipError_tPvRmT1_T2_T3_mT4_P12ihipStream_tbEUlT_E1_NS1_11comp_targetILNS1_3genE4ELNS1_11target_archE910ELNS1_3gpuE8ELNS1_3repE0EEENS1_30default_config_static_selectorELNS0_4arch9wavefront6targetE1EEEvSK_.numbered_sgpr, 0
	.set _ZN7rocprim17ROCPRIM_400000_NS6detail17trampoline_kernelINS0_14default_configENS1_22reduce_config_selectorItEEZNS1_11reduce_implILb1ES3_N6thrust23THRUST_200600_302600_NS6detail15normal_iteratorINS8_10device_ptrItEEEEPtt11plus_mod_10ItEEE10hipError_tPvRmT1_T2_T3_mT4_P12ihipStream_tbEUlT_E1_NS1_11comp_targetILNS1_3genE4ELNS1_11target_archE910ELNS1_3gpuE8ELNS1_3repE0EEENS1_30default_config_static_selectorELNS0_4arch9wavefront6targetE1EEEvSK_.num_named_barrier, 0
	.set _ZN7rocprim17ROCPRIM_400000_NS6detail17trampoline_kernelINS0_14default_configENS1_22reduce_config_selectorItEEZNS1_11reduce_implILb1ES3_N6thrust23THRUST_200600_302600_NS6detail15normal_iteratorINS8_10device_ptrItEEEEPtt11plus_mod_10ItEEE10hipError_tPvRmT1_T2_T3_mT4_P12ihipStream_tbEUlT_E1_NS1_11comp_targetILNS1_3genE4ELNS1_11target_archE910ELNS1_3gpuE8ELNS1_3repE0EEENS1_30default_config_static_selectorELNS0_4arch9wavefront6targetE1EEEvSK_.private_seg_size, 0
	.set _ZN7rocprim17ROCPRIM_400000_NS6detail17trampoline_kernelINS0_14default_configENS1_22reduce_config_selectorItEEZNS1_11reduce_implILb1ES3_N6thrust23THRUST_200600_302600_NS6detail15normal_iteratorINS8_10device_ptrItEEEEPtt11plus_mod_10ItEEE10hipError_tPvRmT1_T2_T3_mT4_P12ihipStream_tbEUlT_E1_NS1_11comp_targetILNS1_3genE4ELNS1_11target_archE910ELNS1_3gpuE8ELNS1_3repE0EEENS1_30default_config_static_selectorELNS0_4arch9wavefront6targetE1EEEvSK_.uses_vcc, 0
	.set _ZN7rocprim17ROCPRIM_400000_NS6detail17trampoline_kernelINS0_14default_configENS1_22reduce_config_selectorItEEZNS1_11reduce_implILb1ES3_N6thrust23THRUST_200600_302600_NS6detail15normal_iteratorINS8_10device_ptrItEEEEPtt11plus_mod_10ItEEE10hipError_tPvRmT1_T2_T3_mT4_P12ihipStream_tbEUlT_E1_NS1_11comp_targetILNS1_3genE4ELNS1_11target_archE910ELNS1_3gpuE8ELNS1_3repE0EEENS1_30default_config_static_selectorELNS0_4arch9wavefront6targetE1EEEvSK_.uses_flat_scratch, 0
	.set _ZN7rocprim17ROCPRIM_400000_NS6detail17trampoline_kernelINS0_14default_configENS1_22reduce_config_selectorItEEZNS1_11reduce_implILb1ES3_N6thrust23THRUST_200600_302600_NS6detail15normal_iteratorINS8_10device_ptrItEEEEPtt11plus_mod_10ItEEE10hipError_tPvRmT1_T2_T3_mT4_P12ihipStream_tbEUlT_E1_NS1_11comp_targetILNS1_3genE4ELNS1_11target_archE910ELNS1_3gpuE8ELNS1_3repE0EEENS1_30default_config_static_selectorELNS0_4arch9wavefront6targetE1EEEvSK_.has_dyn_sized_stack, 0
	.set _ZN7rocprim17ROCPRIM_400000_NS6detail17trampoline_kernelINS0_14default_configENS1_22reduce_config_selectorItEEZNS1_11reduce_implILb1ES3_N6thrust23THRUST_200600_302600_NS6detail15normal_iteratorINS8_10device_ptrItEEEEPtt11plus_mod_10ItEEE10hipError_tPvRmT1_T2_T3_mT4_P12ihipStream_tbEUlT_E1_NS1_11comp_targetILNS1_3genE4ELNS1_11target_archE910ELNS1_3gpuE8ELNS1_3repE0EEENS1_30default_config_static_selectorELNS0_4arch9wavefront6targetE1EEEvSK_.has_recursion, 0
	.set _ZN7rocprim17ROCPRIM_400000_NS6detail17trampoline_kernelINS0_14default_configENS1_22reduce_config_selectorItEEZNS1_11reduce_implILb1ES3_N6thrust23THRUST_200600_302600_NS6detail15normal_iteratorINS8_10device_ptrItEEEEPtt11plus_mod_10ItEEE10hipError_tPvRmT1_T2_T3_mT4_P12ihipStream_tbEUlT_E1_NS1_11comp_targetILNS1_3genE4ELNS1_11target_archE910ELNS1_3gpuE8ELNS1_3repE0EEENS1_30default_config_static_selectorELNS0_4arch9wavefront6targetE1EEEvSK_.has_indirect_call, 0
	.section	.AMDGPU.csdata,"",@progbits
; Kernel info:
; codeLenInByte = 0
; TotalNumSgprs: 6
; NumVgprs: 0
; NumAgprs: 0
; TotalNumVgprs: 0
; ScratchSize: 0
; MemoryBound: 0
; FloatMode: 240
; IeeeMode: 1
; LDSByteSize: 0 bytes/workgroup (compile time only)
; SGPRBlocks: 0
; VGPRBlocks: 0
; NumSGPRsForWavesPerEU: 6
; NumVGPRsForWavesPerEU: 1
; AccumOffset: 4
; Occupancy: 8
; WaveLimiterHint : 0
; COMPUTE_PGM_RSRC2:SCRATCH_EN: 0
; COMPUTE_PGM_RSRC2:USER_SGPR: 2
; COMPUTE_PGM_RSRC2:TRAP_HANDLER: 0
; COMPUTE_PGM_RSRC2:TGID_X_EN: 1
; COMPUTE_PGM_RSRC2:TGID_Y_EN: 0
; COMPUTE_PGM_RSRC2:TGID_Z_EN: 0
; COMPUTE_PGM_RSRC2:TIDIG_COMP_CNT: 0
; COMPUTE_PGM_RSRC3_GFX90A:ACCUM_OFFSET: 0
; COMPUTE_PGM_RSRC3_GFX90A:TG_SPLIT: 0
	.section	.text._ZN7rocprim17ROCPRIM_400000_NS6detail17trampoline_kernelINS0_14default_configENS1_22reduce_config_selectorItEEZNS1_11reduce_implILb1ES3_N6thrust23THRUST_200600_302600_NS6detail15normal_iteratorINS8_10device_ptrItEEEEPtt11plus_mod_10ItEEE10hipError_tPvRmT1_T2_T3_mT4_P12ihipStream_tbEUlT_E1_NS1_11comp_targetILNS1_3genE3ELNS1_11target_archE908ELNS1_3gpuE7ELNS1_3repE0EEENS1_30default_config_static_selectorELNS0_4arch9wavefront6targetE1EEEvSK_,"axG",@progbits,_ZN7rocprim17ROCPRIM_400000_NS6detail17trampoline_kernelINS0_14default_configENS1_22reduce_config_selectorItEEZNS1_11reduce_implILb1ES3_N6thrust23THRUST_200600_302600_NS6detail15normal_iteratorINS8_10device_ptrItEEEEPtt11plus_mod_10ItEEE10hipError_tPvRmT1_T2_T3_mT4_P12ihipStream_tbEUlT_E1_NS1_11comp_targetILNS1_3genE3ELNS1_11target_archE908ELNS1_3gpuE7ELNS1_3repE0EEENS1_30default_config_static_selectorELNS0_4arch9wavefront6targetE1EEEvSK_,comdat
	.protected	_ZN7rocprim17ROCPRIM_400000_NS6detail17trampoline_kernelINS0_14default_configENS1_22reduce_config_selectorItEEZNS1_11reduce_implILb1ES3_N6thrust23THRUST_200600_302600_NS6detail15normal_iteratorINS8_10device_ptrItEEEEPtt11plus_mod_10ItEEE10hipError_tPvRmT1_T2_T3_mT4_P12ihipStream_tbEUlT_E1_NS1_11comp_targetILNS1_3genE3ELNS1_11target_archE908ELNS1_3gpuE7ELNS1_3repE0EEENS1_30default_config_static_selectorELNS0_4arch9wavefront6targetE1EEEvSK_ ; -- Begin function _ZN7rocprim17ROCPRIM_400000_NS6detail17trampoline_kernelINS0_14default_configENS1_22reduce_config_selectorItEEZNS1_11reduce_implILb1ES3_N6thrust23THRUST_200600_302600_NS6detail15normal_iteratorINS8_10device_ptrItEEEEPtt11plus_mod_10ItEEE10hipError_tPvRmT1_T2_T3_mT4_P12ihipStream_tbEUlT_E1_NS1_11comp_targetILNS1_3genE3ELNS1_11target_archE908ELNS1_3gpuE7ELNS1_3repE0EEENS1_30default_config_static_selectorELNS0_4arch9wavefront6targetE1EEEvSK_
	.globl	_ZN7rocprim17ROCPRIM_400000_NS6detail17trampoline_kernelINS0_14default_configENS1_22reduce_config_selectorItEEZNS1_11reduce_implILb1ES3_N6thrust23THRUST_200600_302600_NS6detail15normal_iteratorINS8_10device_ptrItEEEEPtt11plus_mod_10ItEEE10hipError_tPvRmT1_T2_T3_mT4_P12ihipStream_tbEUlT_E1_NS1_11comp_targetILNS1_3genE3ELNS1_11target_archE908ELNS1_3gpuE7ELNS1_3repE0EEENS1_30default_config_static_selectorELNS0_4arch9wavefront6targetE1EEEvSK_
	.p2align	8
	.type	_ZN7rocprim17ROCPRIM_400000_NS6detail17trampoline_kernelINS0_14default_configENS1_22reduce_config_selectorItEEZNS1_11reduce_implILb1ES3_N6thrust23THRUST_200600_302600_NS6detail15normal_iteratorINS8_10device_ptrItEEEEPtt11plus_mod_10ItEEE10hipError_tPvRmT1_T2_T3_mT4_P12ihipStream_tbEUlT_E1_NS1_11comp_targetILNS1_3genE3ELNS1_11target_archE908ELNS1_3gpuE7ELNS1_3repE0EEENS1_30default_config_static_selectorELNS0_4arch9wavefront6targetE1EEEvSK_,@function
_ZN7rocprim17ROCPRIM_400000_NS6detail17trampoline_kernelINS0_14default_configENS1_22reduce_config_selectorItEEZNS1_11reduce_implILb1ES3_N6thrust23THRUST_200600_302600_NS6detail15normal_iteratorINS8_10device_ptrItEEEEPtt11plus_mod_10ItEEE10hipError_tPvRmT1_T2_T3_mT4_P12ihipStream_tbEUlT_E1_NS1_11comp_targetILNS1_3genE3ELNS1_11target_archE908ELNS1_3gpuE7ELNS1_3repE0EEENS1_30default_config_static_selectorELNS0_4arch9wavefront6targetE1EEEvSK_: ; @_ZN7rocprim17ROCPRIM_400000_NS6detail17trampoline_kernelINS0_14default_configENS1_22reduce_config_selectorItEEZNS1_11reduce_implILb1ES3_N6thrust23THRUST_200600_302600_NS6detail15normal_iteratorINS8_10device_ptrItEEEEPtt11plus_mod_10ItEEE10hipError_tPvRmT1_T2_T3_mT4_P12ihipStream_tbEUlT_E1_NS1_11comp_targetILNS1_3genE3ELNS1_11target_archE908ELNS1_3gpuE7ELNS1_3repE0EEENS1_30default_config_static_selectorELNS0_4arch9wavefront6targetE1EEEvSK_
; %bb.0:
	.section	.rodata,"a",@progbits
	.p2align	6, 0x0
	.amdhsa_kernel _ZN7rocprim17ROCPRIM_400000_NS6detail17trampoline_kernelINS0_14default_configENS1_22reduce_config_selectorItEEZNS1_11reduce_implILb1ES3_N6thrust23THRUST_200600_302600_NS6detail15normal_iteratorINS8_10device_ptrItEEEEPtt11plus_mod_10ItEEE10hipError_tPvRmT1_T2_T3_mT4_P12ihipStream_tbEUlT_E1_NS1_11comp_targetILNS1_3genE3ELNS1_11target_archE908ELNS1_3gpuE7ELNS1_3repE0EEENS1_30default_config_static_selectorELNS0_4arch9wavefront6targetE1EEEvSK_
		.amdhsa_group_segment_fixed_size 0
		.amdhsa_private_segment_fixed_size 0
		.amdhsa_kernarg_size 40
		.amdhsa_user_sgpr_count 2
		.amdhsa_user_sgpr_dispatch_ptr 0
		.amdhsa_user_sgpr_queue_ptr 0
		.amdhsa_user_sgpr_kernarg_segment_ptr 1
		.amdhsa_user_sgpr_dispatch_id 0
		.amdhsa_user_sgpr_kernarg_preload_length 0
		.amdhsa_user_sgpr_kernarg_preload_offset 0
		.amdhsa_user_sgpr_private_segment_size 0
		.amdhsa_uses_dynamic_stack 0
		.amdhsa_enable_private_segment 0
		.amdhsa_system_sgpr_workgroup_id_x 1
		.amdhsa_system_sgpr_workgroup_id_y 0
		.amdhsa_system_sgpr_workgroup_id_z 0
		.amdhsa_system_sgpr_workgroup_info 0
		.amdhsa_system_vgpr_workitem_id 0
		.amdhsa_next_free_vgpr 1
		.amdhsa_next_free_sgpr 0
		.amdhsa_accum_offset 4
		.amdhsa_reserve_vcc 0
		.amdhsa_float_round_mode_32 0
		.amdhsa_float_round_mode_16_64 0
		.amdhsa_float_denorm_mode_32 3
		.amdhsa_float_denorm_mode_16_64 3
		.amdhsa_dx10_clamp 1
		.amdhsa_ieee_mode 1
		.amdhsa_fp16_overflow 0
		.amdhsa_tg_split 0
		.amdhsa_exception_fp_ieee_invalid_op 0
		.amdhsa_exception_fp_denorm_src 0
		.amdhsa_exception_fp_ieee_div_zero 0
		.amdhsa_exception_fp_ieee_overflow 0
		.amdhsa_exception_fp_ieee_underflow 0
		.amdhsa_exception_fp_ieee_inexact 0
		.amdhsa_exception_int_div_zero 0
	.end_amdhsa_kernel
	.section	.text._ZN7rocprim17ROCPRIM_400000_NS6detail17trampoline_kernelINS0_14default_configENS1_22reduce_config_selectorItEEZNS1_11reduce_implILb1ES3_N6thrust23THRUST_200600_302600_NS6detail15normal_iteratorINS8_10device_ptrItEEEEPtt11plus_mod_10ItEEE10hipError_tPvRmT1_T2_T3_mT4_P12ihipStream_tbEUlT_E1_NS1_11comp_targetILNS1_3genE3ELNS1_11target_archE908ELNS1_3gpuE7ELNS1_3repE0EEENS1_30default_config_static_selectorELNS0_4arch9wavefront6targetE1EEEvSK_,"axG",@progbits,_ZN7rocprim17ROCPRIM_400000_NS6detail17trampoline_kernelINS0_14default_configENS1_22reduce_config_selectorItEEZNS1_11reduce_implILb1ES3_N6thrust23THRUST_200600_302600_NS6detail15normal_iteratorINS8_10device_ptrItEEEEPtt11plus_mod_10ItEEE10hipError_tPvRmT1_T2_T3_mT4_P12ihipStream_tbEUlT_E1_NS1_11comp_targetILNS1_3genE3ELNS1_11target_archE908ELNS1_3gpuE7ELNS1_3repE0EEENS1_30default_config_static_selectorELNS0_4arch9wavefront6targetE1EEEvSK_,comdat
.Lfunc_end651:
	.size	_ZN7rocprim17ROCPRIM_400000_NS6detail17trampoline_kernelINS0_14default_configENS1_22reduce_config_selectorItEEZNS1_11reduce_implILb1ES3_N6thrust23THRUST_200600_302600_NS6detail15normal_iteratorINS8_10device_ptrItEEEEPtt11plus_mod_10ItEEE10hipError_tPvRmT1_T2_T3_mT4_P12ihipStream_tbEUlT_E1_NS1_11comp_targetILNS1_3genE3ELNS1_11target_archE908ELNS1_3gpuE7ELNS1_3repE0EEENS1_30default_config_static_selectorELNS0_4arch9wavefront6targetE1EEEvSK_, .Lfunc_end651-_ZN7rocprim17ROCPRIM_400000_NS6detail17trampoline_kernelINS0_14default_configENS1_22reduce_config_selectorItEEZNS1_11reduce_implILb1ES3_N6thrust23THRUST_200600_302600_NS6detail15normal_iteratorINS8_10device_ptrItEEEEPtt11plus_mod_10ItEEE10hipError_tPvRmT1_T2_T3_mT4_P12ihipStream_tbEUlT_E1_NS1_11comp_targetILNS1_3genE3ELNS1_11target_archE908ELNS1_3gpuE7ELNS1_3repE0EEENS1_30default_config_static_selectorELNS0_4arch9wavefront6targetE1EEEvSK_
                                        ; -- End function
	.set _ZN7rocprim17ROCPRIM_400000_NS6detail17trampoline_kernelINS0_14default_configENS1_22reduce_config_selectorItEEZNS1_11reduce_implILb1ES3_N6thrust23THRUST_200600_302600_NS6detail15normal_iteratorINS8_10device_ptrItEEEEPtt11plus_mod_10ItEEE10hipError_tPvRmT1_T2_T3_mT4_P12ihipStream_tbEUlT_E1_NS1_11comp_targetILNS1_3genE3ELNS1_11target_archE908ELNS1_3gpuE7ELNS1_3repE0EEENS1_30default_config_static_selectorELNS0_4arch9wavefront6targetE1EEEvSK_.num_vgpr, 0
	.set _ZN7rocprim17ROCPRIM_400000_NS6detail17trampoline_kernelINS0_14default_configENS1_22reduce_config_selectorItEEZNS1_11reduce_implILb1ES3_N6thrust23THRUST_200600_302600_NS6detail15normal_iteratorINS8_10device_ptrItEEEEPtt11plus_mod_10ItEEE10hipError_tPvRmT1_T2_T3_mT4_P12ihipStream_tbEUlT_E1_NS1_11comp_targetILNS1_3genE3ELNS1_11target_archE908ELNS1_3gpuE7ELNS1_3repE0EEENS1_30default_config_static_selectorELNS0_4arch9wavefront6targetE1EEEvSK_.num_agpr, 0
	.set _ZN7rocprim17ROCPRIM_400000_NS6detail17trampoline_kernelINS0_14default_configENS1_22reduce_config_selectorItEEZNS1_11reduce_implILb1ES3_N6thrust23THRUST_200600_302600_NS6detail15normal_iteratorINS8_10device_ptrItEEEEPtt11plus_mod_10ItEEE10hipError_tPvRmT1_T2_T3_mT4_P12ihipStream_tbEUlT_E1_NS1_11comp_targetILNS1_3genE3ELNS1_11target_archE908ELNS1_3gpuE7ELNS1_3repE0EEENS1_30default_config_static_selectorELNS0_4arch9wavefront6targetE1EEEvSK_.numbered_sgpr, 0
	.set _ZN7rocprim17ROCPRIM_400000_NS6detail17trampoline_kernelINS0_14default_configENS1_22reduce_config_selectorItEEZNS1_11reduce_implILb1ES3_N6thrust23THRUST_200600_302600_NS6detail15normal_iteratorINS8_10device_ptrItEEEEPtt11plus_mod_10ItEEE10hipError_tPvRmT1_T2_T3_mT4_P12ihipStream_tbEUlT_E1_NS1_11comp_targetILNS1_3genE3ELNS1_11target_archE908ELNS1_3gpuE7ELNS1_3repE0EEENS1_30default_config_static_selectorELNS0_4arch9wavefront6targetE1EEEvSK_.num_named_barrier, 0
	.set _ZN7rocprim17ROCPRIM_400000_NS6detail17trampoline_kernelINS0_14default_configENS1_22reduce_config_selectorItEEZNS1_11reduce_implILb1ES3_N6thrust23THRUST_200600_302600_NS6detail15normal_iteratorINS8_10device_ptrItEEEEPtt11plus_mod_10ItEEE10hipError_tPvRmT1_T2_T3_mT4_P12ihipStream_tbEUlT_E1_NS1_11comp_targetILNS1_3genE3ELNS1_11target_archE908ELNS1_3gpuE7ELNS1_3repE0EEENS1_30default_config_static_selectorELNS0_4arch9wavefront6targetE1EEEvSK_.private_seg_size, 0
	.set _ZN7rocprim17ROCPRIM_400000_NS6detail17trampoline_kernelINS0_14default_configENS1_22reduce_config_selectorItEEZNS1_11reduce_implILb1ES3_N6thrust23THRUST_200600_302600_NS6detail15normal_iteratorINS8_10device_ptrItEEEEPtt11plus_mod_10ItEEE10hipError_tPvRmT1_T2_T3_mT4_P12ihipStream_tbEUlT_E1_NS1_11comp_targetILNS1_3genE3ELNS1_11target_archE908ELNS1_3gpuE7ELNS1_3repE0EEENS1_30default_config_static_selectorELNS0_4arch9wavefront6targetE1EEEvSK_.uses_vcc, 0
	.set _ZN7rocprim17ROCPRIM_400000_NS6detail17trampoline_kernelINS0_14default_configENS1_22reduce_config_selectorItEEZNS1_11reduce_implILb1ES3_N6thrust23THRUST_200600_302600_NS6detail15normal_iteratorINS8_10device_ptrItEEEEPtt11plus_mod_10ItEEE10hipError_tPvRmT1_T2_T3_mT4_P12ihipStream_tbEUlT_E1_NS1_11comp_targetILNS1_3genE3ELNS1_11target_archE908ELNS1_3gpuE7ELNS1_3repE0EEENS1_30default_config_static_selectorELNS0_4arch9wavefront6targetE1EEEvSK_.uses_flat_scratch, 0
	.set _ZN7rocprim17ROCPRIM_400000_NS6detail17trampoline_kernelINS0_14default_configENS1_22reduce_config_selectorItEEZNS1_11reduce_implILb1ES3_N6thrust23THRUST_200600_302600_NS6detail15normal_iteratorINS8_10device_ptrItEEEEPtt11plus_mod_10ItEEE10hipError_tPvRmT1_T2_T3_mT4_P12ihipStream_tbEUlT_E1_NS1_11comp_targetILNS1_3genE3ELNS1_11target_archE908ELNS1_3gpuE7ELNS1_3repE0EEENS1_30default_config_static_selectorELNS0_4arch9wavefront6targetE1EEEvSK_.has_dyn_sized_stack, 0
	.set _ZN7rocprim17ROCPRIM_400000_NS6detail17trampoline_kernelINS0_14default_configENS1_22reduce_config_selectorItEEZNS1_11reduce_implILb1ES3_N6thrust23THRUST_200600_302600_NS6detail15normal_iteratorINS8_10device_ptrItEEEEPtt11plus_mod_10ItEEE10hipError_tPvRmT1_T2_T3_mT4_P12ihipStream_tbEUlT_E1_NS1_11comp_targetILNS1_3genE3ELNS1_11target_archE908ELNS1_3gpuE7ELNS1_3repE0EEENS1_30default_config_static_selectorELNS0_4arch9wavefront6targetE1EEEvSK_.has_recursion, 0
	.set _ZN7rocprim17ROCPRIM_400000_NS6detail17trampoline_kernelINS0_14default_configENS1_22reduce_config_selectorItEEZNS1_11reduce_implILb1ES3_N6thrust23THRUST_200600_302600_NS6detail15normal_iteratorINS8_10device_ptrItEEEEPtt11plus_mod_10ItEEE10hipError_tPvRmT1_T2_T3_mT4_P12ihipStream_tbEUlT_E1_NS1_11comp_targetILNS1_3genE3ELNS1_11target_archE908ELNS1_3gpuE7ELNS1_3repE0EEENS1_30default_config_static_selectorELNS0_4arch9wavefront6targetE1EEEvSK_.has_indirect_call, 0
	.section	.AMDGPU.csdata,"",@progbits
; Kernel info:
; codeLenInByte = 0
; TotalNumSgprs: 6
; NumVgprs: 0
; NumAgprs: 0
; TotalNumVgprs: 0
; ScratchSize: 0
; MemoryBound: 0
; FloatMode: 240
; IeeeMode: 1
; LDSByteSize: 0 bytes/workgroup (compile time only)
; SGPRBlocks: 0
; VGPRBlocks: 0
; NumSGPRsForWavesPerEU: 6
; NumVGPRsForWavesPerEU: 1
; AccumOffset: 4
; Occupancy: 8
; WaveLimiterHint : 0
; COMPUTE_PGM_RSRC2:SCRATCH_EN: 0
; COMPUTE_PGM_RSRC2:USER_SGPR: 2
; COMPUTE_PGM_RSRC2:TRAP_HANDLER: 0
; COMPUTE_PGM_RSRC2:TGID_X_EN: 1
; COMPUTE_PGM_RSRC2:TGID_Y_EN: 0
; COMPUTE_PGM_RSRC2:TGID_Z_EN: 0
; COMPUTE_PGM_RSRC2:TIDIG_COMP_CNT: 0
; COMPUTE_PGM_RSRC3_GFX90A:ACCUM_OFFSET: 0
; COMPUTE_PGM_RSRC3_GFX90A:TG_SPLIT: 0
	.section	.text._ZN7rocprim17ROCPRIM_400000_NS6detail17trampoline_kernelINS0_14default_configENS1_22reduce_config_selectorItEEZNS1_11reduce_implILb1ES3_N6thrust23THRUST_200600_302600_NS6detail15normal_iteratorINS8_10device_ptrItEEEEPtt11plus_mod_10ItEEE10hipError_tPvRmT1_T2_T3_mT4_P12ihipStream_tbEUlT_E1_NS1_11comp_targetILNS1_3genE2ELNS1_11target_archE906ELNS1_3gpuE6ELNS1_3repE0EEENS1_30default_config_static_selectorELNS0_4arch9wavefront6targetE1EEEvSK_,"axG",@progbits,_ZN7rocprim17ROCPRIM_400000_NS6detail17trampoline_kernelINS0_14default_configENS1_22reduce_config_selectorItEEZNS1_11reduce_implILb1ES3_N6thrust23THRUST_200600_302600_NS6detail15normal_iteratorINS8_10device_ptrItEEEEPtt11plus_mod_10ItEEE10hipError_tPvRmT1_T2_T3_mT4_P12ihipStream_tbEUlT_E1_NS1_11comp_targetILNS1_3genE2ELNS1_11target_archE906ELNS1_3gpuE6ELNS1_3repE0EEENS1_30default_config_static_selectorELNS0_4arch9wavefront6targetE1EEEvSK_,comdat
	.protected	_ZN7rocprim17ROCPRIM_400000_NS6detail17trampoline_kernelINS0_14default_configENS1_22reduce_config_selectorItEEZNS1_11reduce_implILb1ES3_N6thrust23THRUST_200600_302600_NS6detail15normal_iteratorINS8_10device_ptrItEEEEPtt11plus_mod_10ItEEE10hipError_tPvRmT1_T2_T3_mT4_P12ihipStream_tbEUlT_E1_NS1_11comp_targetILNS1_3genE2ELNS1_11target_archE906ELNS1_3gpuE6ELNS1_3repE0EEENS1_30default_config_static_selectorELNS0_4arch9wavefront6targetE1EEEvSK_ ; -- Begin function _ZN7rocprim17ROCPRIM_400000_NS6detail17trampoline_kernelINS0_14default_configENS1_22reduce_config_selectorItEEZNS1_11reduce_implILb1ES3_N6thrust23THRUST_200600_302600_NS6detail15normal_iteratorINS8_10device_ptrItEEEEPtt11plus_mod_10ItEEE10hipError_tPvRmT1_T2_T3_mT4_P12ihipStream_tbEUlT_E1_NS1_11comp_targetILNS1_3genE2ELNS1_11target_archE906ELNS1_3gpuE6ELNS1_3repE0EEENS1_30default_config_static_selectorELNS0_4arch9wavefront6targetE1EEEvSK_
	.globl	_ZN7rocprim17ROCPRIM_400000_NS6detail17trampoline_kernelINS0_14default_configENS1_22reduce_config_selectorItEEZNS1_11reduce_implILb1ES3_N6thrust23THRUST_200600_302600_NS6detail15normal_iteratorINS8_10device_ptrItEEEEPtt11plus_mod_10ItEEE10hipError_tPvRmT1_T2_T3_mT4_P12ihipStream_tbEUlT_E1_NS1_11comp_targetILNS1_3genE2ELNS1_11target_archE906ELNS1_3gpuE6ELNS1_3repE0EEENS1_30default_config_static_selectorELNS0_4arch9wavefront6targetE1EEEvSK_
	.p2align	8
	.type	_ZN7rocprim17ROCPRIM_400000_NS6detail17trampoline_kernelINS0_14default_configENS1_22reduce_config_selectorItEEZNS1_11reduce_implILb1ES3_N6thrust23THRUST_200600_302600_NS6detail15normal_iteratorINS8_10device_ptrItEEEEPtt11plus_mod_10ItEEE10hipError_tPvRmT1_T2_T3_mT4_P12ihipStream_tbEUlT_E1_NS1_11comp_targetILNS1_3genE2ELNS1_11target_archE906ELNS1_3gpuE6ELNS1_3repE0EEENS1_30default_config_static_selectorELNS0_4arch9wavefront6targetE1EEEvSK_,@function
_ZN7rocprim17ROCPRIM_400000_NS6detail17trampoline_kernelINS0_14default_configENS1_22reduce_config_selectorItEEZNS1_11reduce_implILb1ES3_N6thrust23THRUST_200600_302600_NS6detail15normal_iteratorINS8_10device_ptrItEEEEPtt11plus_mod_10ItEEE10hipError_tPvRmT1_T2_T3_mT4_P12ihipStream_tbEUlT_E1_NS1_11comp_targetILNS1_3genE2ELNS1_11target_archE906ELNS1_3gpuE6ELNS1_3repE0EEENS1_30default_config_static_selectorELNS0_4arch9wavefront6targetE1EEEvSK_: ; @_ZN7rocprim17ROCPRIM_400000_NS6detail17trampoline_kernelINS0_14default_configENS1_22reduce_config_selectorItEEZNS1_11reduce_implILb1ES3_N6thrust23THRUST_200600_302600_NS6detail15normal_iteratorINS8_10device_ptrItEEEEPtt11plus_mod_10ItEEE10hipError_tPvRmT1_T2_T3_mT4_P12ihipStream_tbEUlT_E1_NS1_11comp_targetILNS1_3genE2ELNS1_11target_archE906ELNS1_3gpuE6ELNS1_3repE0EEENS1_30default_config_static_selectorELNS0_4arch9wavefront6targetE1EEEvSK_
; %bb.0:
	.section	.rodata,"a",@progbits
	.p2align	6, 0x0
	.amdhsa_kernel _ZN7rocprim17ROCPRIM_400000_NS6detail17trampoline_kernelINS0_14default_configENS1_22reduce_config_selectorItEEZNS1_11reduce_implILb1ES3_N6thrust23THRUST_200600_302600_NS6detail15normal_iteratorINS8_10device_ptrItEEEEPtt11plus_mod_10ItEEE10hipError_tPvRmT1_T2_T3_mT4_P12ihipStream_tbEUlT_E1_NS1_11comp_targetILNS1_3genE2ELNS1_11target_archE906ELNS1_3gpuE6ELNS1_3repE0EEENS1_30default_config_static_selectorELNS0_4arch9wavefront6targetE1EEEvSK_
		.amdhsa_group_segment_fixed_size 0
		.amdhsa_private_segment_fixed_size 0
		.amdhsa_kernarg_size 40
		.amdhsa_user_sgpr_count 2
		.amdhsa_user_sgpr_dispatch_ptr 0
		.amdhsa_user_sgpr_queue_ptr 0
		.amdhsa_user_sgpr_kernarg_segment_ptr 1
		.amdhsa_user_sgpr_dispatch_id 0
		.amdhsa_user_sgpr_kernarg_preload_length 0
		.amdhsa_user_sgpr_kernarg_preload_offset 0
		.amdhsa_user_sgpr_private_segment_size 0
		.amdhsa_uses_dynamic_stack 0
		.amdhsa_enable_private_segment 0
		.amdhsa_system_sgpr_workgroup_id_x 1
		.amdhsa_system_sgpr_workgroup_id_y 0
		.amdhsa_system_sgpr_workgroup_id_z 0
		.amdhsa_system_sgpr_workgroup_info 0
		.amdhsa_system_vgpr_workitem_id 0
		.amdhsa_next_free_vgpr 1
		.amdhsa_next_free_sgpr 0
		.amdhsa_accum_offset 4
		.amdhsa_reserve_vcc 0
		.amdhsa_float_round_mode_32 0
		.amdhsa_float_round_mode_16_64 0
		.amdhsa_float_denorm_mode_32 3
		.amdhsa_float_denorm_mode_16_64 3
		.amdhsa_dx10_clamp 1
		.amdhsa_ieee_mode 1
		.amdhsa_fp16_overflow 0
		.amdhsa_tg_split 0
		.amdhsa_exception_fp_ieee_invalid_op 0
		.amdhsa_exception_fp_denorm_src 0
		.amdhsa_exception_fp_ieee_div_zero 0
		.amdhsa_exception_fp_ieee_overflow 0
		.amdhsa_exception_fp_ieee_underflow 0
		.amdhsa_exception_fp_ieee_inexact 0
		.amdhsa_exception_int_div_zero 0
	.end_amdhsa_kernel
	.section	.text._ZN7rocprim17ROCPRIM_400000_NS6detail17trampoline_kernelINS0_14default_configENS1_22reduce_config_selectorItEEZNS1_11reduce_implILb1ES3_N6thrust23THRUST_200600_302600_NS6detail15normal_iteratorINS8_10device_ptrItEEEEPtt11plus_mod_10ItEEE10hipError_tPvRmT1_T2_T3_mT4_P12ihipStream_tbEUlT_E1_NS1_11comp_targetILNS1_3genE2ELNS1_11target_archE906ELNS1_3gpuE6ELNS1_3repE0EEENS1_30default_config_static_selectorELNS0_4arch9wavefront6targetE1EEEvSK_,"axG",@progbits,_ZN7rocprim17ROCPRIM_400000_NS6detail17trampoline_kernelINS0_14default_configENS1_22reduce_config_selectorItEEZNS1_11reduce_implILb1ES3_N6thrust23THRUST_200600_302600_NS6detail15normal_iteratorINS8_10device_ptrItEEEEPtt11plus_mod_10ItEEE10hipError_tPvRmT1_T2_T3_mT4_P12ihipStream_tbEUlT_E1_NS1_11comp_targetILNS1_3genE2ELNS1_11target_archE906ELNS1_3gpuE6ELNS1_3repE0EEENS1_30default_config_static_selectorELNS0_4arch9wavefront6targetE1EEEvSK_,comdat
.Lfunc_end652:
	.size	_ZN7rocprim17ROCPRIM_400000_NS6detail17trampoline_kernelINS0_14default_configENS1_22reduce_config_selectorItEEZNS1_11reduce_implILb1ES3_N6thrust23THRUST_200600_302600_NS6detail15normal_iteratorINS8_10device_ptrItEEEEPtt11plus_mod_10ItEEE10hipError_tPvRmT1_T2_T3_mT4_P12ihipStream_tbEUlT_E1_NS1_11comp_targetILNS1_3genE2ELNS1_11target_archE906ELNS1_3gpuE6ELNS1_3repE0EEENS1_30default_config_static_selectorELNS0_4arch9wavefront6targetE1EEEvSK_, .Lfunc_end652-_ZN7rocprim17ROCPRIM_400000_NS6detail17trampoline_kernelINS0_14default_configENS1_22reduce_config_selectorItEEZNS1_11reduce_implILb1ES3_N6thrust23THRUST_200600_302600_NS6detail15normal_iteratorINS8_10device_ptrItEEEEPtt11plus_mod_10ItEEE10hipError_tPvRmT1_T2_T3_mT4_P12ihipStream_tbEUlT_E1_NS1_11comp_targetILNS1_3genE2ELNS1_11target_archE906ELNS1_3gpuE6ELNS1_3repE0EEENS1_30default_config_static_selectorELNS0_4arch9wavefront6targetE1EEEvSK_
                                        ; -- End function
	.set _ZN7rocprim17ROCPRIM_400000_NS6detail17trampoline_kernelINS0_14default_configENS1_22reduce_config_selectorItEEZNS1_11reduce_implILb1ES3_N6thrust23THRUST_200600_302600_NS6detail15normal_iteratorINS8_10device_ptrItEEEEPtt11plus_mod_10ItEEE10hipError_tPvRmT1_T2_T3_mT4_P12ihipStream_tbEUlT_E1_NS1_11comp_targetILNS1_3genE2ELNS1_11target_archE906ELNS1_3gpuE6ELNS1_3repE0EEENS1_30default_config_static_selectorELNS0_4arch9wavefront6targetE1EEEvSK_.num_vgpr, 0
	.set _ZN7rocprim17ROCPRIM_400000_NS6detail17trampoline_kernelINS0_14default_configENS1_22reduce_config_selectorItEEZNS1_11reduce_implILb1ES3_N6thrust23THRUST_200600_302600_NS6detail15normal_iteratorINS8_10device_ptrItEEEEPtt11plus_mod_10ItEEE10hipError_tPvRmT1_T2_T3_mT4_P12ihipStream_tbEUlT_E1_NS1_11comp_targetILNS1_3genE2ELNS1_11target_archE906ELNS1_3gpuE6ELNS1_3repE0EEENS1_30default_config_static_selectorELNS0_4arch9wavefront6targetE1EEEvSK_.num_agpr, 0
	.set _ZN7rocprim17ROCPRIM_400000_NS6detail17trampoline_kernelINS0_14default_configENS1_22reduce_config_selectorItEEZNS1_11reduce_implILb1ES3_N6thrust23THRUST_200600_302600_NS6detail15normal_iteratorINS8_10device_ptrItEEEEPtt11plus_mod_10ItEEE10hipError_tPvRmT1_T2_T3_mT4_P12ihipStream_tbEUlT_E1_NS1_11comp_targetILNS1_3genE2ELNS1_11target_archE906ELNS1_3gpuE6ELNS1_3repE0EEENS1_30default_config_static_selectorELNS0_4arch9wavefront6targetE1EEEvSK_.numbered_sgpr, 0
	.set _ZN7rocprim17ROCPRIM_400000_NS6detail17trampoline_kernelINS0_14default_configENS1_22reduce_config_selectorItEEZNS1_11reduce_implILb1ES3_N6thrust23THRUST_200600_302600_NS6detail15normal_iteratorINS8_10device_ptrItEEEEPtt11plus_mod_10ItEEE10hipError_tPvRmT1_T2_T3_mT4_P12ihipStream_tbEUlT_E1_NS1_11comp_targetILNS1_3genE2ELNS1_11target_archE906ELNS1_3gpuE6ELNS1_3repE0EEENS1_30default_config_static_selectorELNS0_4arch9wavefront6targetE1EEEvSK_.num_named_barrier, 0
	.set _ZN7rocprim17ROCPRIM_400000_NS6detail17trampoline_kernelINS0_14default_configENS1_22reduce_config_selectorItEEZNS1_11reduce_implILb1ES3_N6thrust23THRUST_200600_302600_NS6detail15normal_iteratorINS8_10device_ptrItEEEEPtt11plus_mod_10ItEEE10hipError_tPvRmT1_T2_T3_mT4_P12ihipStream_tbEUlT_E1_NS1_11comp_targetILNS1_3genE2ELNS1_11target_archE906ELNS1_3gpuE6ELNS1_3repE0EEENS1_30default_config_static_selectorELNS0_4arch9wavefront6targetE1EEEvSK_.private_seg_size, 0
	.set _ZN7rocprim17ROCPRIM_400000_NS6detail17trampoline_kernelINS0_14default_configENS1_22reduce_config_selectorItEEZNS1_11reduce_implILb1ES3_N6thrust23THRUST_200600_302600_NS6detail15normal_iteratorINS8_10device_ptrItEEEEPtt11plus_mod_10ItEEE10hipError_tPvRmT1_T2_T3_mT4_P12ihipStream_tbEUlT_E1_NS1_11comp_targetILNS1_3genE2ELNS1_11target_archE906ELNS1_3gpuE6ELNS1_3repE0EEENS1_30default_config_static_selectorELNS0_4arch9wavefront6targetE1EEEvSK_.uses_vcc, 0
	.set _ZN7rocprim17ROCPRIM_400000_NS6detail17trampoline_kernelINS0_14default_configENS1_22reduce_config_selectorItEEZNS1_11reduce_implILb1ES3_N6thrust23THRUST_200600_302600_NS6detail15normal_iteratorINS8_10device_ptrItEEEEPtt11plus_mod_10ItEEE10hipError_tPvRmT1_T2_T3_mT4_P12ihipStream_tbEUlT_E1_NS1_11comp_targetILNS1_3genE2ELNS1_11target_archE906ELNS1_3gpuE6ELNS1_3repE0EEENS1_30default_config_static_selectorELNS0_4arch9wavefront6targetE1EEEvSK_.uses_flat_scratch, 0
	.set _ZN7rocprim17ROCPRIM_400000_NS6detail17trampoline_kernelINS0_14default_configENS1_22reduce_config_selectorItEEZNS1_11reduce_implILb1ES3_N6thrust23THRUST_200600_302600_NS6detail15normal_iteratorINS8_10device_ptrItEEEEPtt11plus_mod_10ItEEE10hipError_tPvRmT1_T2_T3_mT4_P12ihipStream_tbEUlT_E1_NS1_11comp_targetILNS1_3genE2ELNS1_11target_archE906ELNS1_3gpuE6ELNS1_3repE0EEENS1_30default_config_static_selectorELNS0_4arch9wavefront6targetE1EEEvSK_.has_dyn_sized_stack, 0
	.set _ZN7rocprim17ROCPRIM_400000_NS6detail17trampoline_kernelINS0_14default_configENS1_22reduce_config_selectorItEEZNS1_11reduce_implILb1ES3_N6thrust23THRUST_200600_302600_NS6detail15normal_iteratorINS8_10device_ptrItEEEEPtt11plus_mod_10ItEEE10hipError_tPvRmT1_T2_T3_mT4_P12ihipStream_tbEUlT_E1_NS1_11comp_targetILNS1_3genE2ELNS1_11target_archE906ELNS1_3gpuE6ELNS1_3repE0EEENS1_30default_config_static_selectorELNS0_4arch9wavefront6targetE1EEEvSK_.has_recursion, 0
	.set _ZN7rocprim17ROCPRIM_400000_NS6detail17trampoline_kernelINS0_14default_configENS1_22reduce_config_selectorItEEZNS1_11reduce_implILb1ES3_N6thrust23THRUST_200600_302600_NS6detail15normal_iteratorINS8_10device_ptrItEEEEPtt11plus_mod_10ItEEE10hipError_tPvRmT1_T2_T3_mT4_P12ihipStream_tbEUlT_E1_NS1_11comp_targetILNS1_3genE2ELNS1_11target_archE906ELNS1_3gpuE6ELNS1_3repE0EEENS1_30default_config_static_selectorELNS0_4arch9wavefront6targetE1EEEvSK_.has_indirect_call, 0
	.section	.AMDGPU.csdata,"",@progbits
; Kernel info:
; codeLenInByte = 0
; TotalNumSgprs: 6
; NumVgprs: 0
; NumAgprs: 0
; TotalNumVgprs: 0
; ScratchSize: 0
; MemoryBound: 0
; FloatMode: 240
; IeeeMode: 1
; LDSByteSize: 0 bytes/workgroup (compile time only)
; SGPRBlocks: 0
; VGPRBlocks: 0
; NumSGPRsForWavesPerEU: 6
; NumVGPRsForWavesPerEU: 1
; AccumOffset: 4
; Occupancy: 8
; WaveLimiterHint : 0
; COMPUTE_PGM_RSRC2:SCRATCH_EN: 0
; COMPUTE_PGM_RSRC2:USER_SGPR: 2
; COMPUTE_PGM_RSRC2:TRAP_HANDLER: 0
; COMPUTE_PGM_RSRC2:TGID_X_EN: 1
; COMPUTE_PGM_RSRC2:TGID_Y_EN: 0
; COMPUTE_PGM_RSRC2:TGID_Z_EN: 0
; COMPUTE_PGM_RSRC2:TIDIG_COMP_CNT: 0
; COMPUTE_PGM_RSRC3_GFX90A:ACCUM_OFFSET: 0
; COMPUTE_PGM_RSRC3_GFX90A:TG_SPLIT: 0
	.section	.text._ZN7rocprim17ROCPRIM_400000_NS6detail17trampoline_kernelINS0_14default_configENS1_22reduce_config_selectorItEEZNS1_11reduce_implILb1ES3_N6thrust23THRUST_200600_302600_NS6detail15normal_iteratorINS8_10device_ptrItEEEEPtt11plus_mod_10ItEEE10hipError_tPvRmT1_T2_T3_mT4_P12ihipStream_tbEUlT_E1_NS1_11comp_targetILNS1_3genE10ELNS1_11target_archE1201ELNS1_3gpuE5ELNS1_3repE0EEENS1_30default_config_static_selectorELNS0_4arch9wavefront6targetE1EEEvSK_,"axG",@progbits,_ZN7rocprim17ROCPRIM_400000_NS6detail17trampoline_kernelINS0_14default_configENS1_22reduce_config_selectorItEEZNS1_11reduce_implILb1ES3_N6thrust23THRUST_200600_302600_NS6detail15normal_iteratorINS8_10device_ptrItEEEEPtt11plus_mod_10ItEEE10hipError_tPvRmT1_T2_T3_mT4_P12ihipStream_tbEUlT_E1_NS1_11comp_targetILNS1_3genE10ELNS1_11target_archE1201ELNS1_3gpuE5ELNS1_3repE0EEENS1_30default_config_static_selectorELNS0_4arch9wavefront6targetE1EEEvSK_,comdat
	.protected	_ZN7rocprim17ROCPRIM_400000_NS6detail17trampoline_kernelINS0_14default_configENS1_22reduce_config_selectorItEEZNS1_11reduce_implILb1ES3_N6thrust23THRUST_200600_302600_NS6detail15normal_iteratorINS8_10device_ptrItEEEEPtt11plus_mod_10ItEEE10hipError_tPvRmT1_T2_T3_mT4_P12ihipStream_tbEUlT_E1_NS1_11comp_targetILNS1_3genE10ELNS1_11target_archE1201ELNS1_3gpuE5ELNS1_3repE0EEENS1_30default_config_static_selectorELNS0_4arch9wavefront6targetE1EEEvSK_ ; -- Begin function _ZN7rocprim17ROCPRIM_400000_NS6detail17trampoline_kernelINS0_14default_configENS1_22reduce_config_selectorItEEZNS1_11reduce_implILb1ES3_N6thrust23THRUST_200600_302600_NS6detail15normal_iteratorINS8_10device_ptrItEEEEPtt11plus_mod_10ItEEE10hipError_tPvRmT1_T2_T3_mT4_P12ihipStream_tbEUlT_E1_NS1_11comp_targetILNS1_3genE10ELNS1_11target_archE1201ELNS1_3gpuE5ELNS1_3repE0EEENS1_30default_config_static_selectorELNS0_4arch9wavefront6targetE1EEEvSK_
	.globl	_ZN7rocprim17ROCPRIM_400000_NS6detail17trampoline_kernelINS0_14default_configENS1_22reduce_config_selectorItEEZNS1_11reduce_implILb1ES3_N6thrust23THRUST_200600_302600_NS6detail15normal_iteratorINS8_10device_ptrItEEEEPtt11plus_mod_10ItEEE10hipError_tPvRmT1_T2_T3_mT4_P12ihipStream_tbEUlT_E1_NS1_11comp_targetILNS1_3genE10ELNS1_11target_archE1201ELNS1_3gpuE5ELNS1_3repE0EEENS1_30default_config_static_selectorELNS0_4arch9wavefront6targetE1EEEvSK_
	.p2align	8
	.type	_ZN7rocprim17ROCPRIM_400000_NS6detail17trampoline_kernelINS0_14default_configENS1_22reduce_config_selectorItEEZNS1_11reduce_implILb1ES3_N6thrust23THRUST_200600_302600_NS6detail15normal_iteratorINS8_10device_ptrItEEEEPtt11plus_mod_10ItEEE10hipError_tPvRmT1_T2_T3_mT4_P12ihipStream_tbEUlT_E1_NS1_11comp_targetILNS1_3genE10ELNS1_11target_archE1201ELNS1_3gpuE5ELNS1_3repE0EEENS1_30default_config_static_selectorELNS0_4arch9wavefront6targetE1EEEvSK_,@function
_ZN7rocprim17ROCPRIM_400000_NS6detail17trampoline_kernelINS0_14default_configENS1_22reduce_config_selectorItEEZNS1_11reduce_implILb1ES3_N6thrust23THRUST_200600_302600_NS6detail15normal_iteratorINS8_10device_ptrItEEEEPtt11plus_mod_10ItEEE10hipError_tPvRmT1_T2_T3_mT4_P12ihipStream_tbEUlT_E1_NS1_11comp_targetILNS1_3genE10ELNS1_11target_archE1201ELNS1_3gpuE5ELNS1_3repE0EEENS1_30default_config_static_selectorELNS0_4arch9wavefront6targetE1EEEvSK_: ; @_ZN7rocprim17ROCPRIM_400000_NS6detail17trampoline_kernelINS0_14default_configENS1_22reduce_config_selectorItEEZNS1_11reduce_implILb1ES3_N6thrust23THRUST_200600_302600_NS6detail15normal_iteratorINS8_10device_ptrItEEEEPtt11plus_mod_10ItEEE10hipError_tPvRmT1_T2_T3_mT4_P12ihipStream_tbEUlT_E1_NS1_11comp_targetILNS1_3genE10ELNS1_11target_archE1201ELNS1_3gpuE5ELNS1_3repE0EEENS1_30default_config_static_selectorELNS0_4arch9wavefront6targetE1EEEvSK_
; %bb.0:
	.section	.rodata,"a",@progbits
	.p2align	6, 0x0
	.amdhsa_kernel _ZN7rocprim17ROCPRIM_400000_NS6detail17trampoline_kernelINS0_14default_configENS1_22reduce_config_selectorItEEZNS1_11reduce_implILb1ES3_N6thrust23THRUST_200600_302600_NS6detail15normal_iteratorINS8_10device_ptrItEEEEPtt11plus_mod_10ItEEE10hipError_tPvRmT1_T2_T3_mT4_P12ihipStream_tbEUlT_E1_NS1_11comp_targetILNS1_3genE10ELNS1_11target_archE1201ELNS1_3gpuE5ELNS1_3repE0EEENS1_30default_config_static_selectorELNS0_4arch9wavefront6targetE1EEEvSK_
		.amdhsa_group_segment_fixed_size 0
		.amdhsa_private_segment_fixed_size 0
		.amdhsa_kernarg_size 40
		.amdhsa_user_sgpr_count 2
		.amdhsa_user_sgpr_dispatch_ptr 0
		.amdhsa_user_sgpr_queue_ptr 0
		.amdhsa_user_sgpr_kernarg_segment_ptr 1
		.amdhsa_user_sgpr_dispatch_id 0
		.amdhsa_user_sgpr_kernarg_preload_length 0
		.amdhsa_user_sgpr_kernarg_preload_offset 0
		.amdhsa_user_sgpr_private_segment_size 0
		.amdhsa_uses_dynamic_stack 0
		.amdhsa_enable_private_segment 0
		.amdhsa_system_sgpr_workgroup_id_x 1
		.amdhsa_system_sgpr_workgroup_id_y 0
		.amdhsa_system_sgpr_workgroup_id_z 0
		.amdhsa_system_sgpr_workgroup_info 0
		.amdhsa_system_vgpr_workitem_id 0
		.amdhsa_next_free_vgpr 1
		.amdhsa_next_free_sgpr 0
		.amdhsa_accum_offset 4
		.amdhsa_reserve_vcc 0
		.amdhsa_float_round_mode_32 0
		.amdhsa_float_round_mode_16_64 0
		.amdhsa_float_denorm_mode_32 3
		.amdhsa_float_denorm_mode_16_64 3
		.amdhsa_dx10_clamp 1
		.amdhsa_ieee_mode 1
		.amdhsa_fp16_overflow 0
		.amdhsa_tg_split 0
		.amdhsa_exception_fp_ieee_invalid_op 0
		.amdhsa_exception_fp_denorm_src 0
		.amdhsa_exception_fp_ieee_div_zero 0
		.amdhsa_exception_fp_ieee_overflow 0
		.amdhsa_exception_fp_ieee_underflow 0
		.amdhsa_exception_fp_ieee_inexact 0
		.amdhsa_exception_int_div_zero 0
	.end_amdhsa_kernel
	.section	.text._ZN7rocprim17ROCPRIM_400000_NS6detail17trampoline_kernelINS0_14default_configENS1_22reduce_config_selectorItEEZNS1_11reduce_implILb1ES3_N6thrust23THRUST_200600_302600_NS6detail15normal_iteratorINS8_10device_ptrItEEEEPtt11plus_mod_10ItEEE10hipError_tPvRmT1_T2_T3_mT4_P12ihipStream_tbEUlT_E1_NS1_11comp_targetILNS1_3genE10ELNS1_11target_archE1201ELNS1_3gpuE5ELNS1_3repE0EEENS1_30default_config_static_selectorELNS0_4arch9wavefront6targetE1EEEvSK_,"axG",@progbits,_ZN7rocprim17ROCPRIM_400000_NS6detail17trampoline_kernelINS0_14default_configENS1_22reduce_config_selectorItEEZNS1_11reduce_implILb1ES3_N6thrust23THRUST_200600_302600_NS6detail15normal_iteratorINS8_10device_ptrItEEEEPtt11plus_mod_10ItEEE10hipError_tPvRmT1_T2_T3_mT4_P12ihipStream_tbEUlT_E1_NS1_11comp_targetILNS1_3genE10ELNS1_11target_archE1201ELNS1_3gpuE5ELNS1_3repE0EEENS1_30default_config_static_selectorELNS0_4arch9wavefront6targetE1EEEvSK_,comdat
.Lfunc_end653:
	.size	_ZN7rocprim17ROCPRIM_400000_NS6detail17trampoline_kernelINS0_14default_configENS1_22reduce_config_selectorItEEZNS1_11reduce_implILb1ES3_N6thrust23THRUST_200600_302600_NS6detail15normal_iteratorINS8_10device_ptrItEEEEPtt11plus_mod_10ItEEE10hipError_tPvRmT1_T2_T3_mT4_P12ihipStream_tbEUlT_E1_NS1_11comp_targetILNS1_3genE10ELNS1_11target_archE1201ELNS1_3gpuE5ELNS1_3repE0EEENS1_30default_config_static_selectorELNS0_4arch9wavefront6targetE1EEEvSK_, .Lfunc_end653-_ZN7rocprim17ROCPRIM_400000_NS6detail17trampoline_kernelINS0_14default_configENS1_22reduce_config_selectorItEEZNS1_11reduce_implILb1ES3_N6thrust23THRUST_200600_302600_NS6detail15normal_iteratorINS8_10device_ptrItEEEEPtt11plus_mod_10ItEEE10hipError_tPvRmT1_T2_T3_mT4_P12ihipStream_tbEUlT_E1_NS1_11comp_targetILNS1_3genE10ELNS1_11target_archE1201ELNS1_3gpuE5ELNS1_3repE0EEENS1_30default_config_static_selectorELNS0_4arch9wavefront6targetE1EEEvSK_
                                        ; -- End function
	.set _ZN7rocprim17ROCPRIM_400000_NS6detail17trampoline_kernelINS0_14default_configENS1_22reduce_config_selectorItEEZNS1_11reduce_implILb1ES3_N6thrust23THRUST_200600_302600_NS6detail15normal_iteratorINS8_10device_ptrItEEEEPtt11plus_mod_10ItEEE10hipError_tPvRmT1_T2_T3_mT4_P12ihipStream_tbEUlT_E1_NS1_11comp_targetILNS1_3genE10ELNS1_11target_archE1201ELNS1_3gpuE5ELNS1_3repE0EEENS1_30default_config_static_selectorELNS0_4arch9wavefront6targetE1EEEvSK_.num_vgpr, 0
	.set _ZN7rocprim17ROCPRIM_400000_NS6detail17trampoline_kernelINS0_14default_configENS1_22reduce_config_selectorItEEZNS1_11reduce_implILb1ES3_N6thrust23THRUST_200600_302600_NS6detail15normal_iteratorINS8_10device_ptrItEEEEPtt11plus_mod_10ItEEE10hipError_tPvRmT1_T2_T3_mT4_P12ihipStream_tbEUlT_E1_NS1_11comp_targetILNS1_3genE10ELNS1_11target_archE1201ELNS1_3gpuE5ELNS1_3repE0EEENS1_30default_config_static_selectorELNS0_4arch9wavefront6targetE1EEEvSK_.num_agpr, 0
	.set _ZN7rocprim17ROCPRIM_400000_NS6detail17trampoline_kernelINS0_14default_configENS1_22reduce_config_selectorItEEZNS1_11reduce_implILb1ES3_N6thrust23THRUST_200600_302600_NS6detail15normal_iteratorINS8_10device_ptrItEEEEPtt11plus_mod_10ItEEE10hipError_tPvRmT1_T2_T3_mT4_P12ihipStream_tbEUlT_E1_NS1_11comp_targetILNS1_3genE10ELNS1_11target_archE1201ELNS1_3gpuE5ELNS1_3repE0EEENS1_30default_config_static_selectorELNS0_4arch9wavefront6targetE1EEEvSK_.numbered_sgpr, 0
	.set _ZN7rocprim17ROCPRIM_400000_NS6detail17trampoline_kernelINS0_14default_configENS1_22reduce_config_selectorItEEZNS1_11reduce_implILb1ES3_N6thrust23THRUST_200600_302600_NS6detail15normal_iteratorINS8_10device_ptrItEEEEPtt11plus_mod_10ItEEE10hipError_tPvRmT1_T2_T3_mT4_P12ihipStream_tbEUlT_E1_NS1_11comp_targetILNS1_3genE10ELNS1_11target_archE1201ELNS1_3gpuE5ELNS1_3repE0EEENS1_30default_config_static_selectorELNS0_4arch9wavefront6targetE1EEEvSK_.num_named_barrier, 0
	.set _ZN7rocprim17ROCPRIM_400000_NS6detail17trampoline_kernelINS0_14default_configENS1_22reduce_config_selectorItEEZNS1_11reduce_implILb1ES3_N6thrust23THRUST_200600_302600_NS6detail15normal_iteratorINS8_10device_ptrItEEEEPtt11plus_mod_10ItEEE10hipError_tPvRmT1_T2_T3_mT4_P12ihipStream_tbEUlT_E1_NS1_11comp_targetILNS1_3genE10ELNS1_11target_archE1201ELNS1_3gpuE5ELNS1_3repE0EEENS1_30default_config_static_selectorELNS0_4arch9wavefront6targetE1EEEvSK_.private_seg_size, 0
	.set _ZN7rocprim17ROCPRIM_400000_NS6detail17trampoline_kernelINS0_14default_configENS1_22reduce_config_selectorItEEZNS1_11reduce_implILb1ES3_N6thrust23THRUST_200600_302600_NS6detail15normal_iteratorINS8_10device_ptrItEEEEPtt11plus_mod_10ItEEE10hipError_tPvRmT1_T2_T3_mT4_P12ihipStream_tbEUlT_E1_NS1_11comp_targetILNS1_3genE10ELNS1_11target_archE1201ELNS1_3gpuE5ELNS1_3repE0EEENS1_30default_config_static_selectorELNS0_4arch9wavefront6targetE1EEEvSK_.uses_vcc, 0
	.set _ZN7rocprim17ROCPRIM_400000_NS6detail17trampoline_kernelINS0_14default_configENS1_22reduce_config_selectorItEEZNS1_11reduce_implILb1ES3_N6thrust23THRUST_200600_302600_NS6detail15normal_iteratorINS8_10device_ptrItEEEEPtt11plus_mod_10ItEEE10hipError_tPvRmT1_T2_T3_mT4_P12ihipStream_tbEUlT_E1_NS1_11comp_targetILNS1_3genE10ELNS1_11target_archE1201ELNS1_3gpuE5ELNS1_3repE0EEENS1_30default_config_static_selectorELNS0_4arch9wavefront6targetE1EEEvSK_.uses_flat_scratch, 0
	.set _ZN7rocprim17ROCPRIM_400000_NS6detail17trampoline_kernelINS0_14default_configENS1_22reduce_config_selectorItEEZNS1_11reduce_implILb1ES3_N6thrust23THRUST_200600_302600_NS6detail15normal_iteratorINS8_10device_ptrItEEEEPtt11plus_mod_10ItEEE10hipError_tPvRmT1_T2_T3_mT4_P12ihipStream_tbEUlT_E1_NS1_11comp_targetILNS1_3genE10ELNS1_11target_archE1201ELNS1_3gpuE5ELNS1_3repE0EEENS1_30default_config_static_selectorELNS0_4arch9wavefront6targetE1EEEvSK_.has_dyn_sized_stack, 0
	.set _ZN7rocprim17ROCPRIM_400000_NS6detail17trampoline_kernelINS0_14default_configENS1_22reduce_config_selectorItEEZNS1_11reduce_implILb1ES3_N6thrust23THRUST_200600_302600_NS6detail15normal_iteratorINS8_10device_ptrItEEEEPtt11plus_mod_10ItEEE10hipError_tPvRmT1_T2_T3_mT4_P12ihipStream_tbEUlT_E1_NS1_11comp_targetILNS1_3genE10ELNS1_11target_archE1201ELNS1_3gpuE5ELNS1_3repE0EEENS1_30default_config_static_selectorELNS0_4arch9wavefront6targetE1EEEvSK_.has_recursion, 0
	.set _ZN7rocprim17ROCPRIM_400000_NS6detail17trampoline_kernelINS0_14default_configENS1_22reduce_config_selectorItEEZNS1_11reduce_implILb1ES3_N6thrust23THRUST_200600_302600_NS6detail15normal_iteratorINS8_10device_ptrItEEEEPtt11plus_mod_10ItEEE10hipError_tPvRmT1_T2_T3_mT4_P12ihipStream_tbEUlT_E1_NS1_11comp_targetILNS1_3genE10ELNS1_11target_archE1201ELNS1_3gpuE5ELNS1_3repE0EEENS1_30default_config_static_selectorELNS0_4arch9wavefront6targetE1EEEvSK_.has_indirect_call, 0
	.section	.AMDGPU.csdata,"",@progbits
; Kernel info:
; codeLenInByte = 0
; TotalNumSgprs: 6
; NumVgprs: 0
; NumAgprs: 0
; TotalNumVgprs: 0
; ScratchSize: 0
; MemoryBound: 0
; FloatMode: 240
; IeeeMode: 1
; LDSByteSize: 0 bytes/workgroup (compile time only)
; SGPRBlocks: 0
; VGPRBlocks: 0
; NumSGPRsForWavesPerEU: 6
; NumVGPRsForWavesPerEU: 1
; AccumOffset: 4
; Occupancy: 8
; WaveLimiterHint : 0
; COMPUTE_PGM_RSRC2:SCRATCH_EN: 0
; COMPUTE_PGM_RSRC2:USER_SGPR: 2
; COMPUTE_PGM_RSRC2:TRAP_HANDLER: 0
; COMPUTE_PGM_RSRC2:TGID_X_EN: 1
; COMPUTE_PGM_RSRC2:TGID_Y_EN: 0
; COMPUTE_PGM_RSRC2:TGID_Z_EN: 0
; COMPUTE_PGM_RSRC2:TIDIG_COMP_CNT: 0
; COMPUTE_PGM_RSRC3_GFX90A:ACCUM_OFFSET: 0
; COMPUTE_PGM_RSRC3_GFX90A:TG_SPLIT: 0
	.section	.text._ZN7rocprim17ROCPRIM_400000_NS6detail17trampoline_kernelINS0_14default_configENS1_22reduce_config_selectorItEEZNS1_11reduce_implILb1ES3_N6thrust23THRUST_200600_302600_NS6detail15normal_iteratorINS8_10device_ptrItEEEEPtt11plus_mod_10ItEEE10hipError_tPvRmT1_T2_T3_mT4_P12ihipStream_tbEUlT_E1_NS1_11comp_targetILNS1_3genE10ELNS1_11target_archE1200ELNS1_3gpuE4ELNS1_3repE0EEENS1_30default_config_static_selectorELNS0_4arch9wavefront6targetE1EEEvSK_,"axG",@progbits,_ZN7rocprim17ROCPRIM_400000_NS6detail17trampoline_kernelINS0_14default_configENS1_22reduce_config_selectorItEEZNS1_11reduce_implILb1ES3_N6thrust23THRUST_200600_302600_NS6detail15normal_iteratorINS8_10device_ptrItEEEEPtt11plus_mod_10ItEEE10hipError_tPvRmT1_T2_T3_mT4_P12ihipStream_tbEUlT_E1_NS1_11comp_targetILNS1_3genE10ELNS1_11target_archE1200ELNS1_3gpuE4ELNS1_3repE0EEENS1_30default_config_static_selectorELNS0_4arch9wavefront6targetE1EEEvSK_,comdat
	.protected	_ZN7rocprim17ROCPRIM_400000_NS6detail17trampoline_kernelINS0_14default_configENS1_22reduce_config_selectorItEEZNS1_11reduce_implILb1ES3_N6thrust23THRUST_200600_302600_NS6detail15normal_iteratorINS8_10device_ptrItEEEEPtt11plus_mod_10ItEEE10hipError_tPvRmT1_T2_T3_mT4_P12ihipStream_tbEUlT_E1_NS1_11comp_targetILNS1_3genE10ELNS1_11target_archE1200ELNS1_3gpuE4ELNS1_3repE0EEENS1_30default_config_static_selectorELNS0_4arch9wavefront6targetE1EEEvSK_ ; -- Begin function _ZN7rocprim17ROCPRIM_400000_NS6detail17trampoline_kernelINS0_14default_configENS1_22reduce_config_selectorItEEZNS1_11reduce_implILb1ES3_N6thrust23THRUST_200600_302600_NS6detail15normal_iteratorINS8_10device_ptrItEEEEPtt11plus_mod_10ItEEE10hipError_tPvRmT1_T2_T3_mT4_P12ihipStream_tbEUlT_E1_NS1_11comp_targetILNS1_3genE10ELNS1_11target_archE1200ELNS1_3gpuE4ELNS1_3repE0EEENS1_30default_config_static_selectorELNS0_4arch9wavefront6targetE1EEEvSK_
	.globl	_ZN7rocprim17ROCPRIM_400000_NS6detail17trampoline_kernelINS0_14default_configENS1_22reduce_config_selectorItEEZNS1_11reduce_implILb1ES3_N6thrust23THRUST_200600_302600_NS6detail15normal_iteratorINS8_10device_ptrItEEEEPtt11plus_mod_10ItEEE10hipError_tPvRmT1_T2_T3_mT4_P12ihipStream_tbEUlT_E1_NS1_11comp_targetILNS1_3genE10ELNS1_11target_archE1200ELNS1_3gpuE4ELNS1_3repE0EEENS1_30default_config_static_selectorELNS0_4arch9wavefront6targetE1EEEvSK_
	.p2align	8
	.type	_ZN7rocprim17ROCPRIM_400000_NS6detail17trampoline_kernelINS0_14default_configENS1_22reduce_config_selectorItEEZNS1_11reduce_implILb1ES3_N6thrust23THRUST_200600_302600_NS6detail15normal_iteratorINS8_10device_ptrItEEEEPtt11plus_mod_10ItEEE10hipError_tPvRmT1_T2_T3_mT4_P12ihipStream_tbEUlT_E1_NS1_11comp_targetILNS1_3genE10ELNS1_11target_archE1200ELNS1_3gpuE4ELNS1_3repE0EEENS1_30default_config_static_selectorELNS0_4arch9wavefront6targetE1EEEvSK_,@function
_ZN7rocprim17ROCPRIM_400000_NS6detail17trampoline_kernelINS0_14default_configENS1_22reduce_config_selectorItEEZNS1_11reduce_implILb1ES3_N6thrust23THRUST_200600_302600_NS6detail15normal_iteratorINS8_10device_ptrItEEEEPtt11plus_mod_10ItEEE10hipError_tPvRmT1_T2_T3_mT4_P12ihipStream_tbEUlT_E1_NS1_11comp_targetILNS1_3genE10ELNS1_11target_archE1200ELNS1_3gpuE4ELNS1_3repE0EEENS1_30default_config_static_selectorELNS0_4arch9wavefront6targetE1EEEvSK_: ; @_ZN7rocprim17ROCPRIM_400000_NS6detail17trampoline_kernelINS0_14default_configENS1_22reduce_config_selectorItEEZNS1_11reduce_implILb1ES3_N6thrust23THRUST_200600_302600_NS6detail15normal_iteratorINS8_10device_ptrItEEEEPtt11plus_mod_10ItEEE10hipError_tPvRmT1_T2_T3_mT4_P12ihipStream_tbEUlT_E1_NS1_11comp_targetILNS1_3genE10ELNS1_11target_archE1200ELNS1_3gpuE4ELNS1_3repE0EEENS1_30default_config_static_selectorELNS0_4arch9wavefront6targetE1EEEvSK_
; %bb.0:
	.section	.rodata,"a",@progbits
	.p2align	6, 0x0
	.amdhsa_kernel _ZN7rocprim17ROCPRIM_400000_NS6detail17trampoline_kernelINS0_14default_configENS1_22reduce_config_selectorItEEZNS1_11reduce_implILb1ES3_N6thrust23THRUST_200600_302600_NS6detail15normal_iteratorINS8_10device_ptrItEEEEPtt11plus_mod_10ItEEE10hipError_tPvRmT1_T2_T3_mT4_P12ihipStream_tbEUlT_E1_NS1_11comp_targetILNS1_3genE10ELNS1_11target_archE1200ELNS1_3gpuE4ELNS1_3repE0EEENS1_30default_config_static_selectorELNS0_4arch9wavefront6targetE1EEEvSK_
		.amdhsa_group_segment_fixed_size 0
		.amdhsa_private_segment_fixed_size 0
		.amdhsa_kernarg_size 40
		.amdhsa_user_sgpr_count 2
		.amdhsa_user_sgpr_dispatch_ptr 0
		.amdhsa_user_sgpr_queue_ptr 0
		.amdhsa_user_sgpr_kernarg_segment_ptr 1
		.amdhsa_user_sgpr_dispatch_id 0
		.amdhsa_user_sgpr_kernarg_preload_length 0
		.amdhsa_user_sgpr_kernarg_preload_offset 0
		.amdhsa_user_sgpr_private_segment_size 0
		.amdhsa_uses_dynamic_stack 0
		.amdhsa_enable_private_segment 0
		.amdhsa_system_sgpr_workgroup_id_x 1
		.amdhsa_system_sgpr_workgroup_id_y 0
		.amdhsa_system_sgpr_workgroup_id_z 0
		.amdhsa_system_sgpr_workgroup_info 0
		.amdhsa_system_vgpr_workitem_id 0
		.amdhsa_next_free_vgpr 1
		.amdhsa_next_free_sgpr 0
		.amdhsa_accum_offset 4
		.amdhsa_reserve_vcc 0
		.amdhsa_float_round_mode_32 0
		.amdhsa_float_round_mode_16_64 0
		.amdhsa_float_denorm_mode_32 3
		.amdhsa_float_denorm_mode_16_64 3
		.amdhsa_dx10_clamp 1
		.amdhsa_ieee_mode 1
		.amdhsa_fp16_overflow 0
		.amdhsa_tg_split 0
		.amdhsa_exception_fp_ieee_invalid_op 0
		.amdhsa_exception_fp_denorm_src 0
		.amdhsa_exception_fp_ieee_div_zero 0
		.amdhsa_exception_fp_ieee_overflow 0
		.amdhsa_exception_fp_ieee_underflow 0
		.amdhsa_exception_fp_ieee_inexact 0
		.amdhsa_exception_int_div_zero 0
	.end_amdhsa_kernel
	.section	.text._ZN7rocprim17ROCPRIM_400000_NS6detail17trampoline_kernelINS0_14default_configENS1_22reduce_config_selectorItEEZNS1_11reduce_implILb1ES3_N6thrust23THRUST_200600_302600_NS6detail15normal_iteratorINS8_10device_ptrItEEEEPtt11plus_mod_10ItEEE10hipError_tPvRmT1_T2_T3_mT4_P12ihipStream_tbEUlT_E1_NS1_11comp_targetILNS1_3genE10ELNS1_11target_archE1200ELNS1_3gpuE4ELNS1_3repE0EEENS1_30default_config_static_selectorELNS0_4arch9wavefront6targetE1EEEvSK_,"axG",@progbits,_ZN7rocprim17ROCPRIM_400000_NS6detail17trampoline_kernelINS0_14default_configENS1_22reduce_config_selectorItEEZNS1_11reduce_implILb1ES3_N6thrust23THRUST_200600_302600_NS6detail15normal_iteratorINS8_10device_ptrItEEEEPtt11plus_mod_10ItEEE10hipError_tPvRmT1_T2_T3_mT4_P12ihipStream_tbEUlT_E1_NS1_11comp_targetILNS1_3genE10ELNS1_11target_archE1200ELNS1_3gpuE4ELNS1_3repE0EEENS1_30default_config_static_selectorELNS0_4arch9wavefront6targetE1EEEvSK_,comdat
.Lfunc_end654:
	.size	_ZN7rocprim17ROCPRIM_400000_NS6detail17trampoline_kernelINS0_14default_configENS1_22reduce_config_selectorItEEZNS1_11reduce_implILb1ES3_N6thrust23THRUST_200600_302600_NS6detail15normal_iteratorINS8_10device_ptrItEEEEPtt11plus_mod_10ItEEE10hipError_tPvRmT1_T2_T3_mT4_P12ihipStream_tbEUlT_E1_NS1_11comp_targetILNS1_3genE10ELNS1_11target_archE1200ELNS1_3gpuE4ELNS1_3repE0EEENS1_30default_config_static_selectorELNS0_4arch9wavefront6targetE1EEEvSK_, .Lfunc_end654-_ZN7rocprim17ROCPRIM_400000_NS6detail17trampoline_kernelINS0_14default_configENS1_22reduce_config_selectorItEEZNS1_11reduce_implILb1ES3_N6thrust23THRUST_200600_302600_NS6detail15normal_iteratorINS8_10device_ptrItEEEEPtt11plus_mod_10ItEEE10hipError_tPvRmT1_T2_T3_mT4_P12ihipStream_tbEUlT_E1_NS1_11comp_targetILNS1_3genE10ELNS1_11target_archE1200ELNS1_3gpuE4ELNS1_3repE0EEENS1_30default_config_static_selectorELNS0_4arch9wavefront6targetE1EEEvSK_
                                        ; -- End function
	.set _ZN7rocprim17ROCPRIM_400000_NS6detail17trampoline_kernelINS0_14default_configENS1_22reduce_config_selectorItEEZNS1_11reduce_implILb1ES3_N6thrust23THRUST_200600_302600_NS6detail15normal_iteratorINS8_10device_ptrItEEEEPtt11plus_mod_10ItEEE10hipError_tPvRmT1_T2_T3_mT4_P12ihipStream_tbEUlT_E1_NS1_11comp_targetILNS1_3genE10ELNS1_11target_archE1200ELNS1_3gpuE4ELNS1_3repE0EEENS1_30default_config_static_selectorELNS0_4arch9wavefront6targetE1EEEvSK_.num_vgpr, 0
	.set _ZN7rocprim17ROCPRIM_400000_NS6detail17trampoline_kernelINS0_14default_configENS1_22reduce_config_selectorItEEZNS1_11reduce_implILb1ES3_N6thrust23THRUST_200600_302600_NS6detail15normal_iteratorINS8_10device_ptrItEEEEPtt11plus_mod_10ItEEE10hipError_tPvRmT1_T2_T3_mT4_P12ihipStream_tbEUlT_E1_NS1_11comp_targetILNS1_3genE10ELNS1_11target_archE1200ELNS1_3gpuE4ELNS1_3repE0EEENS1_30default_config_static_selectorELNS0_4arch9wavefront6targetE1EEEvSK_.num_agpr, 0
	.set _ZN7rocprim17ROCPRIM_400000_NS6detail17trampoline_kernelINS0_14default_configENS1_22reduce_config_selectorItEEZNS1_11reduce_implILb1ES3_N6thrust23THRUST_200600_302600_NS6detail15normal_iteratorINS8_10device_ptrItEEEEPtt11plus_mod_10ItEEE10hipError_tPvRmT1_T2_T3_mT4_P12ihipStream_tbEUlT_E1_NS1_11comp_targetILNS1_3genE10ELNS1_11target_archE1200ELNS1_3gpuE4ELNS1_3repE0EEENS1_30default_config_static_selectorELNS0_4arch9wavefront6targetE1EEEvSK_.numbered_sgpr, 0
	.set _ZN7rocprim17ROCPRIM_400000_NS6detail17trampoline_kernelINS0_14default_configENS1_22reduce_config_selectorItEEZNS1_11reduce_implILb1ES3_N6thrust23THRUST_200600_302600_NS6detail15normal_iteratorINS8_10device_ptrItEEEEPtt11plus_mod_10ItEEE10hipError_tPvRmT1_T2_T3_mT4_P12ihipStream_tbEUlT_E1_NS1_11comp_targetILNS1_3genE10ELNS1_11target_archE1200ELNS1_3gpuE4ELNS1_3repE0EEENS1_30default_config_static_selectorELNS0_4arch9wavefront6targetE1EEEvSK_.num_named_barrier, 0
	.set _ZN7rocprim17ROCPRIM_400000_NS6detail17trampoline_kernelINS0_14default_configENS1_22reduce_config_selectorItEEZNS1_11reduce_implILb1ES3_N6thrust23THRUST_200600_302600_NS6detail15normal_iteratorINS8_10device_ptrItEEEEPtt11plus_mod_10ItEEE10hipError_tPvRmT1_T2_T3_mT4_P12ihipStream_tbEUlT_E1_NS1_11comp_targetILNS1_3genE10ELNS1_11target_archE1200ELNS1_3gpuE4ELNS1_3repE0EEENS1_30default_config_static_selectorELNS0_4arch9wavefront6targetE1EEEvSK_.private_seg_size, 0
	.set _ZN7rocprim17ROCPRIM_400000_NS6detail17trampoline_kernelINS0_14default_configENS1_22reduce_config_selectorItEEZNS1_11reduce_implILb1ES3_N6thrust23THRUST_200600_302600_NS6detail15normal_iteratorINS8_10device_ptrItEEEEPtt11plus_mod_10ItEEE10hipError_tPvRmT1_T2_T3_mT4_P12ihipStream_tbEUlT_E1_NS1_11comp_targetILNS1_3genE10ELNS1_11target_archE1200ELNS1_3gpuE4ELNS1_3repE0EEENS1_30default_config_static_selectorELNS0_4arch9wavefront6targetE1EEEvSK_.uses_vcc, 0
	.set _ZN7rocprim17ROCPRIM_400000_NS6detail17trampoline_kernelINS0_14default_configENS1_22reduce_config_selectorItEEZNS1_11reduce_implILb1ES3_N6thrust23THRUST_200600_302600_NS6detail15normal_iteratorINS8_10device_ptrItEEEEPtt11plus_mod_10ItEEE10hipError_tPvRmT1_T2_T3_mT4_P12ihipStream_tbEUlT_E1_NS1_11comp_targetILNS1_3genE10ELNS1_11target_archE1200ELNS1_3gpuE4ELNS1_3repE0EEENS1_30default_config_static_selectorELNS0_4arch9wavefront6targetE1EEEvSK_.uses_flat_scratch, 0
	.set _ZN7rocprim17ROCPRIM_400000_NS6detail17trampoline_kernelINS0_14default_configENS1_22reduce_config_selectorItEEZNS1_11reduce_implILb1ES3_N6thrust23THRUST_200600_302600_NS6detail15normal_iteratorINS8_10device_ptrItEEEEPtt11plus_mod_10ItEEE10hipError_tPvRmT1_T2_T3_mT4_P12ihipStream_tbEUlT_E1_NS1_11comp_targetILNS1_3genE10ELNS1_11target_archE1200ELNS1_3gpuE4ELNS1_3repE0EEENS1_30default_config_static_selectorELNS0_4arch9wavefront6targetE1EEEvSK_.has_dyn_sized_stack, 0
	.set _ZN7rocprim17ROCPRIM_400000_NS6detail17trampoline_kernelINS0_14default_configENS1_22reduce_config_selectorItEEZNS1_11reduce_implILb1ES3_N6thrust23THRUST_200600_302600_NS6detail15normal_iteratorINS8_10device_ptrItEEEEPtt11plus_mod_10ItEEE10hipError_tPvRmT1_T2_T3_mT4_P12ihipStream_tbEUlT_E1_NS1_11comp_targetILNS1_3genE10ELNS1_11target_archE1200ELNS1_3gpuE4ELNS1_3repE0EEENS1_30default_config_static_selectorELNS0_4arch9wavefront6targetE1EEEvSK_.has_recursion, 0
	.set _ZN7rocprim17ROCPRIM_400000_NS6detail17trampoline_kernelINS0_14default_configENS1_22reduce_config_selectorItEEZNS1_11reduce_implILb1ES3_N6thrust23THRUST_200600_302600_NS6detail15normal_iteratorINS8_10device_ptrItEEEEPtt11plus_mod_10ItEEE10hipError_tPvRmT1_T2_T3_mT4_P12ihipStream_tbEUlT_E1_NS1_11comp_targetILNS1_3genE10ELNS1_11target_archE1200ELNS1_3gpuE4ELNS1_3repE0EEENS1_30default_config_static_selectorELNS0_4arch9wavefront6targetE1EEEvSK_.has_indirect_call, 0
	.section	.AMDGPU.csdata,"",@progbits
; Kernel info:
; codeLenInByte = 0
; TotalNumSgprs: 6
; NumVgprs: 0
; NumAgprs: 0
; TotalNumVgprs: 0
; ScratchSize: 0
; MemoryBound: 0
; FloatMode: 240
; IeeeMode: 1
; LDSByteSize: 0 bytes/workgroup (compile time only)
; SGPRBlocks: 0
; VGPRBlocks: 0
; NumSGPRsForWavesPerEU: 6
; NumVGPRsForWavesPerEU: 1
; AccumOffset: 4
; Occupancy: 8
; WaveLimiterHint : 0
; COMPUTE_PGM_RSRC2:SCRATCH_EN: 0
; COMPUTE_PGM_RSRC2:USER_SGPR: 2
; COMPUTE_PGM_RSRC2:TRAP_HANDLER: 0
; COMPUTE_PGM_RSRC2:TGID_X_EN: 1
; COMPUTE_PGM_RSRC2:TGID_Y_EN: 0
; COMPUTE_PGM_RSRC2:TGID_Z_EN: 0
; COMPUTE_PGM_RSRC2:TIDIG_COMP_CNT: 0
; COMPUTE_PGM_RSRC3_GFX90A:ACCUM_OFFSET: 0
; COMPUTE_PGM_RSRC3_GFX90A:TG_SPLIT: 0
	.section	.text._ZN7rocprim17ROCPRIM_400000_NS6detail17trampoline_kernelINS0_14default_configENS1_22reduce_config_selectorItEEZNS1_11reduce_implILb1ES3_N6thrust23THRUST_200600_302600_NS6detail15normal_iteratorINS8_10device_ptrItEEEEPtt11plus_mod_10ItEEE10hipError_tPvRmT1_T2_T3_mT4_P12ihipStream_tbEUlT_E1_NS1_11comp_targetILNS1_3genE9ELNS1_11target_archE1100ELNS1_3gpuE3ELNS1_3repE0EEENS1_30default_config_static_selectorELNS0_4arch9wavefront6targetE1EEEvSK_,"axG",@progbits,_ZN7rocprim17ROCPRIM_400000_NS6detail17trampoline_kernelINS0_14default_configENS1_22reduce_config_selectorItEEZNS1_11reduce_implILb1ES3_N6thrust23THRUST_200600_302600_NS6detail15normal_iteratorINS8_10device_ptrItEEEEPtt11plus_mod_10ItEEE10hipError_tPvRmT1_T2_T3_mT4_P12ihipStream_tbEUlT_E1_NS1_11comp_targetILNS1_3genE9ELNS1_11target_archE1100ELNS1_3gpuE3ELNS1_3repE0EEENS1_30default_config_static_selectorELNS0_4arch9wavefront6targetE1EEEvSK_,comdat
	.protected	_ZN7rocprim17ROCPRIM_400000_NS6detail17trampoline_kernelINS0_14default_configENS1_22reduce_config_selectorItEEZNS1_11reduce_implILb1ES3_N6thrust23THRUST_200600_302600_NS6detail15normal_iteratorINS8_10device_ptrItEEEEPtt11plus_mod_10ItEEE10hipError_tPvRmT1_T2_T3_mT4_P12ihipStream_tbEUlT_E1_NS1_11comp_targetILNS1_3genE9ELNS1_11target_archE1100ELNS1_3gpuE3ELNS1_3repE0EEENS1_30default_config_static_selectorELNS0_4arch9wavefront6targetE1EEEvSK_ ; -- Begin function _ZN7rocprim17ROCPRIM_400000_NS6detail17trampoline_kernelINS0_14default_configENS1_22reduce_config_selectorItEEZNS1_11reduce_implILb1ES3_N6thrust23THRUST_200600_302600_NS6detail15normal_iteratorINS8_10device_ptrItEEEEPtt11plus_mod_10ItEEE10hipError_tPvRmT1_T2_T3_mT4_P12ihipStream_tbEUlT_E1_NS1_11comp_targetILNS1_3genE9ELNS1_11target_archE1100ELNS1_3gpuE3ELNS1_3repE0EEENS1_30default_config_static_selectorELNS0_4arch9wavefront6targetE1EEEvSK_
	.globl	_ZN7rocprim17ROCPRIM_400000_NS6detail17trampoline_kernelINS0_14default_configENS1_22reduce_config_selectorItEEZNS1_11reduce_implILb1ES3_N6thrust23THRUST_200600_302600_NS6detail15normal_iteratorINS8_10device_ptrItEEEEPtt11plus_mod_10ItEEE10hipError_tPvRmT1_T2_T3_mT4_P12ihipStream_tbEUlT_E1_NS1_11comp_targetILNS1_3genE9ELNS1_11target_archE1100ELNS1_3gpuE3ELNS1_3repE0EEENS1_30default_config_static_selectorELNS0_4arch9wavefront6targetE1EEEvSK_
	.p2align	8
	.type	_ZN7rocprim17ROCPRIM_400000_NS6detail17trampoline_kernelINS0_14default_configENS1_22reduce_config_selectorItEEZNS1_11reduce_implILb1ES3_N6thrust23THRUST_200600_302600_NS6detail15normal_iteratorINS8_10device_ptrItEEEEPtt11plus_mod_10ItEEE10hipError_tPvRmT1_T2_T3_mT4_P12ihipStream_tbEUlT_E1_NS1_11comp_targetILNS1_3genE9ELNS1_11target_archE1100ELNS1_3gpuE3ELNS1_3repE0EEENS1_30default_config_static_selectorELNS0_4arch9wavefront6targetE1EEEvSK_,@function
_ZN7rocprim17ROCPRIM_400000_NS6detail17trampoline_kernelINS0_14default_configENS1_22reduce_config_selectorItEEZNS1_11reduce_implILb1ES3_N6thrust23THRUST_200600_302600_NS6detail15normal_iteratorINS8_10device_ptrItEEEEPtt11plus_mod_10ItEEE10hipError_tPvRmT1_T2_T3_mT4_P12ihipStream_tbEUlT_E1_NS1_11comp_targetILNS1_3genE9ELNS1_11target_archE1100ELNS1_3gpuE3ELNS1_3repE0EEENS1_30default_config_static_selectorELNS0_4arch9wavefront6targetE1EEEvSK_: ; @_ZN7rocprim17ROCPRIM_400000_NS6detail17trampoline_kernelINS0_14default_configENS1_22reduce_config_selectorItEEZNS1_11reduce_implILb1ES3_N6thrust23THRUST_200600_302600_NS6detail15normal_iteratorINS8_10device_ptrItEEEEPtt11plus_mod_10ItEEE10hipError_tPvRmT1_T2_T3_mT4_P12ihipStream_tbEUlT_E1_NS1_11comp_targetILNS1_3genE9ELNS1_11target_archE1100ELNS1_3gpuE3ELNS1_3repE0EEENS1_30default_config_static_selectorELNS0_4arch9wavefront6targetE1EEEvSK_
; %bb.0:
	.section	.rodata,"a",@progbits
	.p2align	6, 0x0
	.amdhsa_kernel _ZN7rocprim17ROCPRIM_400000_NS6detail17trampoline_kernelINS0_14default_configENS1_22reduce_config_selectorItEEZNS1_11reduce_implILb1ES3_N6thrust23THRUST_200600_302600_NS6detail15normal_iteratorINS8_10device_ptrItEEEEPtt11plus_mod_10ItEEE10hipError_tPvRmT1_T2_T3_mT4_P12ihipStream_tbEUlT_E1_NS1_11comp_targetILNS1_3genE9ELNS1_11target_archE1100ELNS1_3gpuE3ELNS1_3repE0EEENS1_30default_config_static_selectorELNS0_4arch9wavefront6targetE1EEEvSK_
		.amdhsa_group_segment_fixed_size 0
		.amdhsa_private_segment_fixed_size 0
		.amdhsa_kernarg_size 40
		.amdhsa_user_sgpr_count 2
		.amdhsa_user_sgpr_dispatch_ptr 0
		.amdhsa_user_sgpr_queue_ptr 0
		.amdhsa_user_sgpr_kernarg_segment_ptr 1
		.amdhsa_user_sgpr_dispatch_id 0
		.amdhsa_user_sgpr_kernarg_preload_length 0
		.amdhsa_user_sgpr_kernarg_preload_offset 0
		.amdhsa_user_sgpr_private_segment_size 0
		.amdhsa_uses_dynamic_stack 0
		.amdhsa_enable_private_segment 0
		.amdhsa_system_sgpr_workgroup_id_x 1
		.amdhsa_system_sgpr_workgroup_id_y 0
		.amdhsa_system_sgpr_workgroup_id_z 0
		.amdhsa_system_sgpr_workgroup_info 0
		.amdhsa_system_vgpr_workitem_id 0
		.amdhsa_next_free_vgpr 1
		.amdhsa_next_free_sgpr 0
		.amdhsa_accum_offset 4
		.amdhsa_reserve_vcc 0
		.amdhsa_float_round_mode_32 0
		.amdhsa_float_round_mode_16_64 0
		.amdhsa_float_denorm_mode_32 3
		.amdhsa_float_denorm_mode_16_64 3
		.amdhsa_dx10_clamp 1
		.amdhsa_ieee_mode 1
		.amdhsa_fp16_overflow 0
		.amdhsa_tg_split 0
		.amdhsa_exception_fp_ieee_invalid_op 0
		.amdhsa_exception_fp_denorm_src 0
		.amdhsa_exception_fp_ieee_div_zero 0
		.amdhsa_exception_fp_ieee_overflow 0
		.amdhsa_exception_fp_ieee_underflow 0
		.amdhsa_exception_fp_ieee_inexact 0
		.amdhsa_exception_int_div_zero 0
	.end_amdhsa_kernel
	.section	.text._ZN7rocprim17ROCPRIM_400000_NS6detail17trampoline_kernelINS0_14default_configENS1_22reduce_config_selectorItEEZNS1_11reduce_implILb1ES3_N6thrust23THRUST_200600_302600_NS6detail15normal_iteratorINS8_10device_ptrItEEEEPtt11plus_mod_10ItEEE10hipError_tPvRmT1_T2_T3_mT4_P12ihipStream_tbEUlT_E1_NS1_11comp_targetILNS1_3genE9ELNS1_11target_archE1100ELNS1_3gpuE3ELNS1_3repE0EEENS1_30default_config_static_selectorELNS0_4arch9wavefront6targetE1EEEvSK_,"axG",@progbits,_ZN7rocprim17ROCPRIM_400000_NS6detail17trampoline_kernelINS0_14default_configENS1_22reduce_config_selectorItEEZNS1_11reduce_implILb1ES3_N6thrust23THRUST_200600_302600_NS6detail15normal_iteratorINS8_10device_ptrItEEEEPtt11plus_mod_10ItEEE10hipError_tPvRmT1_T2_T3_mT4_P12ihipStream_tbEUlT_E1_NS1_11comp_targetILNS1_3genE9ELNS1_11target_archE1100ELNS1_3gpuE3ELNS1_3repE0EEENS1_30default_config_static_selectorELNS0_4arch9wavefront6targetE1EEEvSK_,comdat
.Lfunc_end655:
	.size	_ZN7rocprim17ROCPRIM_400000_NS6detail17trampoline_kernelINS0_14default_configENS1_22reduce_config_selectorItEEZNS1_11reduce_implILb1ES3_N6thrust23THRUST_200600_302600_NS6detail15normal_iteratorINS8_10device_ptrItEEEEPtt11plus_mod_10ItEEE10hipError_tPvRmT1_T2_T3_mT4_P12ihipStream_tbEUlT_E1_NS1_11comp_targetILNS1_3genE9ELNS1_11target_archE1100ELNS1_3gpuE3ELNS1_3repE0EEENS1_30default_config_static_selectorELNS0_4arch9wavefront6targetE1EEEvSK_, .Lfunc_end655-_ZN7rocprim17ROCPRIM_400000_NS6detail17trampoline_kernelINS0_14default_configENS1_22reduce_config_selectorItEEZNS1_11reduce_implILb1ES3_N6thrust23THRUST_200600_302600_NS6detail15normal_iteratorINS8_10device_ptrItEEEEPtt11plus_mod_10ItEEE10hipError_tPvRmT1_T2_T3_mT4_P12ihipStream_tbEUlT_E1_NS1_11comp_targetILNS1_3genE9ELNS1_11target_archE1100ELNS1_3gpuE3ELNS1_3repE0EEENS1_30default_config_static_selectorELNS0_4arch9wavefront6targetE1EEEvSK_
                                        ; -- End function
	.set _ZN7rocprim17ROCPRIM_400000_NS6detail17trampoline_kernelINS0_14default_configENS1_22reduce_config_selectorItEEZNS1_11reduce_implILb1ES3_N6thrust23THRUST_200600_302600_NS6detail15normal_iteratorINS8_10device_ptrItEEEEPtt11plus_mod_10ItEEE10hipError_tPvRmT1_T2_T3_mT4_P12ihipStream_tbEUlT_E1_NS1_11comp_targetILNS1_3genE9ELNS1_11target_archE1100ELNS1_3gpuE3ELNS1_3repE0EEENS1_30default_config_static_selectorELNS0_4arch9wavefront6targetE1EEEvSK_.num_vgpr, 0
	.set _ZN7rocprim17ROCPRIM_400000_NS6detail17trampoline_kernelINS0_14default_configENS1_22reduce_config_selectorItEEZNS1_11reduce_implILb1ES3_N6thrust23THRUST_200600_302600_NS6detail15normal_iteratorINS8_10device_ptrItEEEEPtt11plus_mod_10ItEEE10hipError_tPvRmT1_T2_T3_mT4_P12ihipStream_tbEUlT_E1_NS1_11comp_targetILNS1_3genE9ELNS1_11target_archE1100ELNS1_3gpuE3ELNS1_3repE0EEENS1_30default_config_static_selectorELNS0_4arch9wavefront6targetE1EEEvSK_.num_agpr, 0
	.set _ZN7rocprim17ROCPRIM_400000_NS6detail17trampoline_kernelINS0_14default_configENS1_22reduce_config_selectorItEEZNS1_11reduce_implILb1ES3_N6thrust23THRUST_200600_302600_NS6detail15normal_iteratorINS8_10device_ptrItEEEEPtt11plus_mod_10ItEEE10hipError_tPvRmT1_T2_T3_mT4_P12ihipStream_tbEUlT_E1_NS1_11comp_targetILNS1_3genE9ELNS1_11target_archE1100ELNS1_3gpuE3ELNS1_3repE0EEENS1_30default_config_static_selectorELNS0_4arch9wavefront6targetE1EEEvSK_.numbered_sgpr, 0
	.set _ZN7rocprim17ROCPRIM_400000_NS6detail17trampoline_kernelINS0_14default_configENS1_22reduce_config_selectorItEEZNS1_11reduce_implILb1ES3_N6thrust23THRUST_200600_302600_NS6detail15normal_iteratorINS8_10device_ptrItEEEEPtt11plus_mod_10ItEEE10hipError_tPvRmT1_T2_T3_mT4_P12ihipStream_tbEUlT_E1_NS1_11comp_targetILNS1_3genE9ELNS1_11target_archE1100ELNS1_3gpuE3ELNS1_3repE0EEENS1_30default_config_static_selectorELNS0_4arch9wavefront6targetE1EEEvSK_.num_named_barrier, 0
	.set _ZN7rocprim17ROCPRIM_400000_NS6detail17trampoline_kernelINS0_14default_configENS1_22reduce_config_selectorItEEZNS1_11reduce_implILb1ES3_N6thrust23THRUST_200600_302600_NS6detail15normal_iteratorINS8_10device_ptrItEEEEPtt11plus_mod_10ItEEE10hipError_tPvRmT1_T2_T3_mT4_P12ihipStream_tbEUlT_E1_NS1_11comp_targetILNS1_3genE9ELNS1_11target_archE1100ELNS1_3gpuE3ELNS1_3repE0EEENS1_30default_config_static_selectorELNS0_4arch9wavefront6targetE1EEEvSK_.private_seg_size, 0
	.set _ZN7rocprim17ROCPRIM_400000_NS6detail17trampoline_kernelINS0_14default_configENS1_22reduce_config_selectorItEEZNS1_11reduce_implILb1ES3_N6thrust23THRUST_200600_302600_NS6detail15normal_iteratorINS8_10device_ptrItEEEEPtt11plus_mod_10ItEEE10hipError_tPvRmT1_T2_T3_mT4_P12ihipStream_tbEUlT_E1_NS1_11comp_targetILNS1_3genE9ELNS1_11target_archE1100ELNS1_3gpuE3ELNS1_3repE0EEENS1_30default_config_static_selectorELNS0_4arch9wavefront6targetE1EEEvSK_.uses_vcc, 0
	.set _ZN7rocprim17ROCPRIM_400000_NS6detail17trampoline_kernelINS0_14default_configENS1_22reduce_config_selectorItEEZNS1_11reduce_implILb1ES3_N6thrust23THRUST_200600_302600_NS6detail15normal_iteratorINS8_10device_ptrItEEEEPtt11plus_mod_10ItEEE10hipError_tPvRmT1_T2_T3_mT4_P12ihipStream_tbEUlT_E1_NS1_11comp_targetILNS1_3genE9ELNS1_11target_archE1100ELNS1_3gpuE3ELNS1_3repE0EEENS1_30default_config_static_selectorELNS0_4arch9wavefront6targetE1EEEvSK_.uses_flat_scratch, 0
	.set _ZN7rocprim17ROCPRIM_400000_NS6detail17trampoline_kernelINS0_14default_configENS1_22reduce_config_selectorItEEZNS1_11reduce_implILb1ES3_N6thrust23THRUST_200600_302600_NS6detail15normal_iteratorINS8_10device_ptrItEEEEPtt11plus_mod_10ItEEE10hipError_tPvRmT1_T2_T3_mT4_P12ihipStream_tbEUlT_E1_NS1_11comp_targetILNS1_3genE9ELNS1_11target_archE1100ELNS1_3gpuE3ELNS1_3repE0EEENS1_30default_config_static_selectorELNS0_4arch9wavefront6targetE1EEEvSK_.has_dyn_sized_stack, 0
	.set _ZN7rocprim17ROCPRIM_400000_NS6detail17trampoline_kernelINS0_14default_configENS1_22reduce_config_selectorItEEZNS1_11reduce_implILb1ES3_N6thrust23THRUST_200600_302600_NS6detail15normal_iteratorINS8_10device_ptrItEEEEPtt11plus_mod_10ItEEE10hipError_tPvRmT1_T2_T3_mT4_P12ihipStream_tbEUlT_E1_NS1_11comp_targetILNS1_3genE9ELNS1_11target_archE1100ELNS1_3gpuE3ELNS1_3repE0EEENS1_30default_config_static_selectorELNS0_4arch9wavefront6targetE1EEEvSK_.has_recursion, 0
	.set _ZN7rocprim17ROCPRIM_400000_NS6detail17trampoline_kernelINS0_14default_configENS1_22reduce_config_selectorItEEZNS1_11reduce_implILb1ES3_N6thrust23THRUST_200600_302600_NS6detail15normal_iteratorINS8_10device_ptrItEEEEPtt11plus_mod_10ItEEE10hipError_tPvRmT1_T2_T3_mT4_P12ihipStream_tbEUlT_E1_NS1_11comp_targetILNS1_3genE9ELNS1_11target_archE1100ELNS1_3gpuE3ELNS1_3repE0EEENS1_30default_config_static_selectorELNS0_4arch9wavefront6targetE1EEEvSK_.has_indirect_call, 0
	.section	.AMDGPU.csdata,"",@progbits
; Kernel info:
; codeLenInByte = 0
; TotalNumSgprs: 6
; NumVgprs: 0
; NumAgprs: 0
; TotalNumVgprs: 0
; ScratchSize: 0
; MemoryBound: 0
; FloatMode: 240
; IeeeMode: 1
; LDSByteSize: 0 bytes/workgroup (compile time only)
; SGPRBlocks: 0
; VGPRBlocks: 0
; NumSGPRsForWavesPerEU: 6
; NumVGPRsForWavesPerEU: 1
; AccumOffset: 4
; Occupancy: 8
; WaveLimiterHint : 0
; COMPUTE_PGM_RSRC2:SCRATCH_EN: 0
; COMPUTE_PGM_RSRC2:USER_SGPR: 2
; COMPUTE_PGM_RSRC2:TRAP_HANDLER: 0
; COMPUTE_PGM_RSRC2:TGID_X_EN: 1
; COMPUTE_PGM_RSRC2:TGID_Y_EN: 0
; COMPUTE_PGM_RSRC2:TGID_Z_EN: 0
; COMPUTE_PGM_RSRC2:TIDIG_COMP_CNT: 0
; COMPUTE_PGM_RSRC3_GFX90A:ACCUM_OFFSET: 0
; COMPUTE_PGM_RSRC3_GFX90A:TG_SPLIT: 0
	.section	.text._ZN7rocprim17ROCPRIM_400000_NS6detail17trampoline_kernelINS0_14default_configENS1_22reduce_config_selectorItEEZNS1_11reduce_implILb1ES3_N6thrust23THRUST_200600_302600_NS6detail15normal_iteratorINS8_10device_ptrItEEEEPtt11plus_mod_10ItEEE10hipError_tPvRmT1_T2_T3_mT4_P12ihipStream_tbEUlT_E1_NS1_11comp_targetILNS1_3genE8ELNS1_11target_archE1030ELNS1_3gpuE2ELNS1_3repE0EEENS1_30default_config_static_selectorELNS0_4arch9wavefront6targetE1EEEvSK_,"axG",@progbits,_ZN7rocprim17ROCPRIM_400000_NS6detail17trampoline_kernelINS0_14default_configENS1_22reduce_config_selectorItEEZNS1_11reduce_implILb1ES3_N6thrust23THRUST_200600_302600_NS6detail15normal_iteratorINS8_10device_ptrItEEEEPtt11plus_mod_10ItEEE10hipError_tPvRmT1_T2_T3_mT4_P12ihipStream_tbEUlT_E1_NS1_11comp_targetILNS1_3genE8ELNS1_11target_archE1030ELNS1_3gpuE2ELNS1_3repE0EEENS1_30default_config_static_selectorELNS0_4arch9wavefront6targetE1EEEvSK_,comdat
	.protected	_ZN7rocprim17ROCPRIM_400000_NS6detail17trampoline_kernelINS0_14default_configENS1_22reduce_config_selectorItEEZNS1_11reduce_implILb1ES3_N6thrust23THRUST_200600_302600_NS6detail15normal_iteratorINS8_10device_ptrItEEEEPtt11plus_mod_10ItEEE10hipError_tPvRmT1_T2_T3_mT4_P12ihipStream_tbEUlT_E1_NS1_11comp_targetILNS1_3genE8ELNS1_11target_archE1030ELNS1_3gpuE2ELNS1_3repE0EEENS1_30default_config_static_selectorELNS0_4arch9wavefront6targetE1EEEvSK_ ; -- Begin function _ZN7rocprim17ROCPRIM_400000_NS6detail17trampoline_kernelINS0_14default_configENS1_22reduce_config_selectorItEEZNS1_11reduce_implILb1ES3_N6thrust23THRUST_200600_302600_NS6detail15normal_iteratorINS8_10device_ptrItEEEEPtt11plus_mod_10ItEEE10hipError_tPvRmT1_T2_T3_mT4_P12ihipStream_tbEUlT_E1_NS1_11comp_targetILNS1_3genE8ELNS1_11target_archE1030ELNS1_3gpuE2ELNS1_3repE0EEENS1_30default_config_static_selectorELNS0_4arch9wavefront6targetE1EEEvSK_
	.globl	_ZN7rocprim17ROCPRIM_400000_NS6detail17trampoline_kernelINS0_14default_configENS1_22reduce_config_selectorItEEZNS1_11reduce_implILb1ES3_N6thrust23THRUST_200600_302600_NS6detail15normal_iteratorINS8_10device_ptrItEEEEPtt11plus_mod_10ItEEE10hipError_tPvRmT1_T2_T3_mT4_P12ihipStream_tbEUlT_E1_NS1_11comp_targetILNS1_3genE8ELNS1_11target_archE1030ELNS1_3gpuE2ELNS1_3repE0EEENS1_30default_config_static_selectorELNS0_4arch9wavefront6targetE1EEEvSK_
	.p2align	8
	.type	_ZN7rocprim17ROCPRIM_400000_NS6detail17trampoline_kernelINS0_14default_configENS1_22reduce_config_selectorItEEZNS1_11reduce_implILb1ES3_N6thrust23THRUST_200600_302600_NS6detail15normal_iteratorINS8_10device_ptrItEEEEPtt11plus_mod_10ItEEE10hipError_tPvRmT1_T2_T3_mT4_P12ihipStream_tbEUlT_E1_NS1_11comp_targetILNS1_3genE8ELNS1_11target_archE1030ELNS1_3gpuE2ELNS1_3repE0EEENS1_30default_config_static_selectorELNS0_4arch9wavefront6targetE1EEEvSK_,@function
_ZN7rocprim17ROCPRIM_400000_NS6detail17trampoline_kernelINS0_14default_configENS1_22reduce_config_selectorItEEZNS1_11reduce_implILb1ES3_N6thrust23THRUST_200600_302600_NS6detail15normal_iteratorINS8_10device_ptrItEEEEPtt11plus_mod_10ItEEE10hipError_tPvRmT1_T2_T3_mT4_P12ihipStream_tbEUlT_E1_NS1_11comp_targetILNS1_3genE8ELNS1_11target_archE1030ELNS1_3gpuE2ELNS1_3repE0EEENS1_30default_config_static_selectorELNS0_4arch9wavefront6targetE1EEEvSK_: ; @_ZN7rocprim17ROCPRIM_400000_NS6detail17trampoline_kernelINS0_14default_configENS1_22reduce_config_selectorItEEZNS1_11reduce_implILb1ES3_N6thrust23THRUST_200600_302600_NS6detail15normal_iteratorINS8_10device_ptrItEEEEPtt11plus_mod_10ItEEE10hipError_tPvRmT1_T2_T3_mT4_P12ihipStream_tbEUlT_E1_NS1_11comp_targetILNS1_3genE8ELNS1_11target_archE1030ELNS1_3gpuE2ELNS1_3repE0EEENS1_30default_config_static_selectorELNS0_4arch9wavefront6targetE1EEEvSK_
; %bb.0:
	.section	.rodata,"a",@progbits
	.p2align	6, 0x0
	.amdhsa_kernel _ZN7rocprim17ROCPRIM_400000_NS6detail17trampoline_kernelINS0_14default_configENS1_22reduce_config_selectorItEEZNS1_11reduce_implILb1ES3_N6thrust23THRUST_200600_302600_NS6detail15normal_iteratorINS8_10device_ptrItEEEEPtt11plus_mod_10ItEEE10hipError_tPvRmT1_T2_T3_mT4_P12ihipStream_tbEUlT_E1_NS1_11comp_targetILNS1_3genE8ELNS1_11target_archE1030ELNS1_3gpuE2ELNS1_3repE0EEENS1_30default_config_static_selectorELNS0_4arch9wavefront6targetE1EEEvSK_
		.amdhsa_group_segment_fixed_size 0
		.amdhsa_private_segment_fixed_size 0
		.amdhsa_kernarg_size 40
		.amdhsa_user_sgpr_count 2
		.amdhsa_user_sgpr_dispatch_ptr 0
		.amdhsa_user_sgpr_queue_ptr 0
		.amdhsa_user_sgpr_kernarg_segment_ptr 1
		.amdhsa_user_sgpr_dispatch_id 0
		.amdhsa_user_sgpr_kernarg_preload_length 0
		.amdhsa_user_sgpr_kernarg_preload_offset 0
		.amdhsa_user_sgpr_private_segment_size 0
		.amdhsa_uses_dynamic_stack 0
		.amdhsa_enable_private_segment 0
		.amdhsa_system_sgpr_workgroup_id_x 1
		.amdhsa_system_sgpr_workgroup_id_y 0
		.amdhsa_system_sgpr_workgroup_id_z 0
		.amdhsa_system_sgpr_workgroup_info 0
		.amdhsa_system_vgpr_workitem_id 0
		.amdhsa_next_free_vgpr 1
		.amdhsa_next_free_sgpr 0
		.amdhsa_accum_offset 4
		.amdhsa_reserve_vcc 0
		.amdhsa_float_round_mode_32 0
		.amdhsa_float_round_mode_16_64 0
		.amdhsa_float_denorm_mode_32 3
		.amdhsa_float_denorm_mode_16_64 3
		.amdhsa_dx10_clamp 1
		.amdhsa_ieee_mode 1
		.amdhsa_fp16_overflow 0
		.amdhsa_tg_split 0
		.amdhsa_exception_fp_ieee_invalid_op 0
		.amdhsa_exception_fp_denorm_src 0
		.amdhsa_exception_fp_ieee_div_zero 0
		.amdhsa_exception_fp_ieee_overflow 0
		.amdhsa_exception_fp_ieee_underflow 0
		.amdhsa_exception_fp_ieee_inexact 0
		.amdhsa_exception_int_div_zero 0
	.end_amdhsa_kernel
	.section	.text._ZN7rocprim17ROCPRIM_400000_NS6detail17trampoline_kernelINS0_14default_configENS1_22reduce_config_selectorItEEZNS1_11reduce_implILb1ES3_N6thrust23THRUST_200600_302600_NS6detail15normal_iteratorINS8_10device_ptrItEEEEPtt11plus_mod_10ItEEE10hipError_tPvRmT1_T2_T3_mT4_P12ihipStream_tbEUlT_E1_NS1_11comp_targetILNS1_3genE8ELNS1_11target_archE1030ELNS1_3gpuE2ELNS1_3repE0EEENS1_30default_config_static_selectorELNS0_4arch9wavefront6targetE1EEEvSK_,"axG",@progbits,_ZN7rocprim17ROCPRIM_400000_NS6detail17trampoline_kernelINS0_14default_configENS1_22reduce_config_selectorItEEZNS1_11reduce_implILb1ES3_N6thrust23THRUST_200600_302600_NS6detail15normal_iteratorINS8_10device_ptrItEEEEPtt11plus_mod_10ItEEE10hipError_tPvRmT1_T2_T3_mT4_P12ihipStream_tbEUlT_E1_NS1_11comp_targetILNS1_3genE8ELNS1_11target_archE1030ELNS1_3gpuE2ELNS1_3repE0EEENS1_30default_config_static_selectorELNS0_4arch9wavefront6targetE1EEEvSK_,comdat
.Lfunc_end656:
	.size	_ZN7rocprim17ROCPRIM_400000_NS6detail17trampoline_kernelINS0_14default_configENS1_22reduce_config_selectorItEEZNS1_11reduce_implILb1ES3_N6thrust23THRUST_200600_302600_NS6detail15normal_iteratorINS8_10device_ptrItEEEEPtt11plus_mod_10ItEEE10hipError_tPvRmT1_T2_T3_mT4_P12ihipStream_tbEUlT_E1_NS1_11comp_targetILNS1_3genE8ELNS1_11target_archE1030ELNS1_3gpuE2ELNS1_3repE0EEENS1_30default_config_static_selectorELNS0_4arch9wavefront6targetE1EEEvSK_, .Lfunc_end656-_ZN7rocprim17ROCPRIM_400000_NS6detail17trampoline_kernelINS0_14default_configENS1_22reduce_config_selectorItEEZNS1_11reduce_implILb1ES3_N6thrust23THRUST_200600_302600_NS6detail15normal_iteratorINS8_10device_ptrItEEEEPtt11plus_mod_10ItEEE10hipError_tPvRmT1_T2_T3_mT4_P12ihipStream_tbEUlT_E1_NS1_11comp_targetILNS1_3genE8ELNS1_11target_archE1030ELNS1_3gpuE2ELNS1_3repE0EEENS1_30default_config_static_selectorELNS0_4arch9wavefront6targetE1EEEvSK_
                                        ; -- End function
	.set _ZN7rocprim17ROCPRIM_400000_NS6detail17trampoline_kernelINS0_14default_configENS1_22reduce_config_selectorItEEZNS1_11reduce_implILb1ES3_N6thrust23THRUST_200600_302600_NS6detail15normal_iteratorINS8_10device_ptrItEEEEPtt11plus_mod_10ItEEE10hipError_tPvRmT1_T2_T3_mT4_P12ihipStream_tbEUlT_E1_NS1_11comp_targetILNS1_3genE8ELNS1_11target_archE1030ELNS1_3gpuE2ELNS1_3repE0EEENS1_30default_config_static_selectorELNS0_4arch9wavefront6targetE1EEEvSK_.num_vgpr, 0
	.set _ZN7rocprim17ROCPRIM_400000_NS6detail17trampoline_kernelINS0_14default_configENS1_22reduce_config_selectorItEEZNS1_11reduce_implILb1ES3_N6thrust23THRUST_200600_302600_NS6detail15normal_iteratorINS8_10device_ptrItEEEEPtt11plus_mod_10ItEEE10hipError_tPvRmT1_T2_T3_mT4_P12ihipStream_tbEUlT_E1_NS1_11comp_targetILNS1_3genE8ELNS1_11target_archE1030ELNS1_3gpuE2ELNS1_3repE0EEENS1_30default_config_static_selectorELNS0_4arch9wavefront6targetE1EEEvSK_.num_agpr, 0
	.set _ZN7rocprim17ROCPRIM_400000_NS6detail17trampoline_kernelINS0_14default_configENS1_22reduce_config_selectorItEEZNS1_11reduce_implILb1ES3_N6thrust23THRUST_200600_302600_NS6detail15normal_iteratorINS8_10device_ptrItEEEEPtt11plus_mod_10ItEEE10hipError_tPvRmT1_T2_T3_mT4_P12ihipStream_tbEUlT_E1_NS1_11comp_targetILNS1_3genE8ELNS1_11target_archE1030ELNS1_3gpuE2ELNS1_3repE0EEENS1_30default_config_static_selectorELNS0_4arch9wavefront6targetE1EEEvSK_.numbered_sgpr, 0
	.set _ZN7rocprim17ROCPRIM_400000_NS6detail17trampoline_kernelINS0_14default_configENS1_22reduce_config_selectorItEEZNS1_11reduce_implILb1ES3_N6thrust23THRUST_200600_302600_NS6detail15normal_iteratorINS8_10device_ptrItEEEEPtt11plus_mod_10ItEEE10hipError_tPvRmT1_T2_T3_mT4_P12ihipStream_tbEUlT_E1_NS1_11comp_targetILNS1_3genE8ELNS1_11target_archE1030ELNS1_3gpuE2ELNS1_3repE0EEENS1_30default_config_static_selectorELNS0_4arch9wavefront6targetE1EEEvSK_.num_named_barrier, 0
	.set _ZN7rocprim17ROCPRIM_400000_NS6detail17trampoline_kernelINS0_14default_configENS1_22reduce_config_selectorItEEZNS1_11reduce_implILb1ES3_N6thrust23THRUST_200600_302600_NS6detail15normal_iteratorINS8_10device_ptrItEEEEPtt11plus_mod_10ItEEE10hipError_tPvRmT1_T2_T3_mT4_P12ihipStream_tbEUlT_E1_NS1_11comp_targetILNS1_3genE8ELNS1_11target_archE1030ELNS1_3gpuE2ELNS1_3repE0EEENS1_30default_config_static_selectorELNS0_4arch9wavefront6targetE1EEEvSK_.private_seg_size, 0
	.set _ZN7rocprim17ROCPRIM_400000_NS6detail17trampoline_kernelINS0_14default_configENS1_22reduce_config_selectorItEEZNS1_11reduce_implILb1ES3_N6thrust23THRUST_200600_302600_NS6detail15normal_iteratorINS8_10device_ptrItEEEEPtt11plus_mod_10ItEEE10hipError_tPvRmT1_T2_T3_mT4_P12ihipStream_tbEUlT_E1_NS1_11comp_targetILNS1_3genE8ELNS1_11target_archE1030ELNS1_3gpuE2ELNS1_3repE0EEENS1_30default_config_static_selectorELNS0_4arch9wavefront6targetE1EEEvSK_.uses_vcc, 0
	.set _ZN7rocprim17ROCPRIM_400000_NS6detail17trampoline_kernelINS0_14default_configENS1_22reduce_config_selectorItEEZNS1_11reduce_implILb1ES3_N6thrust23THRUST_200600_302600_NS6detail15normal_iteratorINS8_10device_ptrItEEEEPtt11plus_mod_10ItEEE10hipError_tPvRmT1_T2_T3_mT4_P12ihipStream_tbEUlT_E1_NS1_11comp_targetILNS1_3genE8ELNS1_11target_archE1030ELNS1_3gpuE2ELNS1_3repE0EEENS1_30default_config_static_selectorELNS0_4arch9wavefront6targetE1EEEvSK_.uses_flat_scratch, 0
	.set _ZN7rocprim17ROCPRIM_400000_NS6detail17trampoline_kernelINS0_14default_configENS1_22reduce_config_selectorItEEZNS1_11reduce_implILb1ES3_N6thrust23THRUST_200600_302600_NS6detail15normal_iteratorINS8_10device_ptrItEEEEPtt11plus_mod_10ItEEE10hipError_tPvRmT1_T2_T3_mT4_P12ihipStream_tbEUlT_E1_NS1_11comp_targetILNS1_3genE8ELNS1_11target_archE1030ELNS1_3gpuE2ELNS1_3repE0EEENS1_30default_config_static_selectorELNS0_4arch9wavefront6targetE1EEEvSK_.has_dyn_sized_stack, 0
	.set _ZN7rocprim17ROCPRIM_400000_NS6detail17trampoline_kernelINS0_14default_configENS1_22reduce_config_selectorItEEZNS1_11reduce_implILb1ES3_N6thrust23THRUST_200600_302600_NS6detail15normal_iteratorINS8_10device_ptrItEEEEPtt11plus_mod_10ItEEE10hipError_tPvRmT1_T2_T3_mT4_P12ihipStream_tbEUlT_E1_NS1_11comp_targetILNS1_3genE8ELNS1_11target_archE1030ELNS1_3gpuE2ELNS1_3repE0EEENS1_30default_config_static_selectorELNS0_4arch9wavefront6targetE1EEEvSK_.has_recursion, 0
	.set _ZN7rocprim17ROCPRIM_400000_NS6detail17trampoline_kernelINS0_14default_configENS1_22reduce_config_selectorItEEZNS1_11reduce_implILb1ES3_N6thrust23THRUST_200600_302600_NS6detail15normal_iteratorINS8_10device_ptrItEEEEPtt11plus_mod_10ItEEE10hipError_tPvRmT1_T2_T3_mT4_P12ihipStream_tbEUlT_E1_NS1_11comp_targetILNS1_3genE8ELNS1_11target_archE1030ELNS1_3gpuE2ELNS1_3repE0EEENS1_30default_config_static_selectorELNS0_4arch9wavefront6targetE1EEEvSK_.has_indirect_call, 0
	.section	.AMDGPU.csdata,"",@progbits
; Kernel info:
; codeLenInByte = 0
; TotalNumSgprs: 6
; NumVgprs: 0
; NumAgprs: 0
; TotalNumVgprs: 0
; ScratchSize: 0
; MemoryBound: 0
; FloatMode: 240
; IeeeMode: 1
; LDSByteSize: 0 bytes/workgroup (compile time only)
; SGPRBlocks: 0
; VGPRBlocks: 0
; NumSGPRsForWavesPerEU: 6
; NumVGPRsForWavesPerEU: 1
; AccumOffset: 4
; Occupancy: 8
; WaveLimiterHint : 0
; COMPUTE_PGM_RSRC2:SCRATCH_EN: 0
; COMPUTE_PGM_RSRC2:USER_SGPR: 2
; COMPUTE_PGM_RSRC2:TRAP_HANDLER: 0
; COMPUTE_PGM_RSRC2:TGID_X_EN: 1
; COMPUTE_PGM_RSRC2:TGID_Y_EN: 0
; COMPUTE_PGM_RSRC2:TGID_Z_EN: 0
; COMPUTE_PGM_RSRC2:TIDIG_COMP_CNT: 0
; COMPUTE_PGM_RSRC3_GFX90A:ACCUM_OFFSET: 0
; COMPUTE_PGM_RSRC3_GFX90A:TG_SPLIT: 0
	.section	.text._ZN7rocprim17ROCPRIM_400000_NS6detail17trampoline_kernelINS0_14default_configENS1_22reduce_config_selectorIhEEZNS1_11reduce_implILb1ES3_PhS7_h11plus_mod_10IhEEE10hipError_tPvRmT1_T2_T3_mT4_P12ihipStream_tbEUlT_E0_NS1_11comp_targetILNS1_3genE0ELNS1_11target_archE4294967295ELNS1_3gpuE0ELNS1_3repE0EEENS1_30default_config_static_selectorELNS0_4arch9wavefront6targetE1EEEvSD_,"axG",@progbits,_ZN7rocprim17ROCPRIM_400000_NS6detail17trampoline_kernelINS0_14default_configENS1_22reduce_config_selectorIhEEZNS1_11reduce_implILb1ES3_PhS7_h11plus_mod_10IhEEE10hipError_tPvRmT1_T2_T3_mT4_P12ihipStream_tbEUlT_E0_NS1_11comp_targetILNS1_3genE0ELNS1_11target_archE4294967295ELNS1_3gpuE0ELNS1_3repE0EEENS1_30default_config_static_selectorELNS0_4arch9wavefront6targetE1EEEvSD_,comdat
	.protected	_ZN7rocprim17ROCPRIM_400000_NS6detail17trampoline_kernelINS0_14default_configENS1_22reduce_config_selectorIhEEZNS1_11reduce_implILb1ES3_PhS7_h11plus_mod_10IhEEE10hipError_tPvRmT1_T2_T3_mT4_P12ihipStream_tbEUlT_E0_NS1_11comp_targetILNS1_3genE0ELNS1_11target_archE4294967295ELNS1_3gpuE0ELNS1_3repE0EEENS1_30default_config_static_selectorELNS0_4arch9wavefront6targetE1EEEvSD_ ; -- Begin function _ZN7rocprim17ROCPRIM_400000_NS6detail17trampoline_kernelINS0_14default_configENS1_22reduce_config_selectorIhEEZNS1_11reduce_implILb1ES3_PhS7_h11plus_mod_10IhEEE10hipError_tPvRmT1_T2_T3_mT4_P12ihipStream_tbEUlT_E0_NS1_11comp_targetILNS1_3genE0ELNS1_11target_archE4294967295ELNS1_3gpuE0ELNS1_3repE0EEENS1_30default_config_static_selectorELNS0_4arch9wavefront6targetE1EEEvSD_
	.globl	_ZN7rocprim17ROCPRIM_400000_NS6detail17trampoline_kernelINS0_14default_configENS1_22reduce_config_selectorIhEEZNS1_11reduce_implILb1ES3_PhS7_h11plus_mod_10IhEEE10hipError_tPvRmT1_T2_T3_mT4_P12ihipStream_tbEUlT_E0_NS1_11comp_targetILNS1_3genE0ELNS1_11target_archE4294967295ELNS1_3gpuE0ELNS1_3repE0EEENS1_30default_config_static_selectorELNS0_4arch9wavefront6targetE1EEEvSD_
	.p2align	8
	.type	_ZN7rocprim17ROCPRIM_400000_NS6detail17trampoline_kernelINS0_14default_configENS1_22reduce_config_selectorIhEEZNS1_11reduce_implILb1ES3_PhS7_h11plus_mod_10IhEEE10hipError_tPvRmT1_T2_T3_mT4_P12ihipStream_tbEUlT_E0_NS1_11comp_targetILNS1_3genE0ELNS1_11target_archE4294967295ELNS1_3gpuE0ELNS1_3repE0EEENS1_30default_config_static_selectorELNS0_4arch9wavefront6targetE1EEEvSD_,@function
_ZN7rocprim17ROCPRIM_400000_NS6detail17trampoline_kernelINS0_14default_configENS1_22reduce_config_selectorIhEEZNS1_11reduce_implILb1ES3_PhS7_h11plus_mod_10IhEEE10hipError_tPvRmT1_T2_T3_mT4_P12ihipStream_tbEUlT_E0_NS1_11comp_targetILNS1_3genE0ELNS1_11target_archE4294967295ELNS1_3gpuE0ELNS1_3repE0EEENS1_30default_config_static_selectorELNS0_4arch9wavefront6targetE1EEEvSD_: ; @_ZN7rocprim17ROCPRIM_400000_NS6detail17trampoline_kernelINS0_14default_configENS1_22reduce_config_selectorIhEEZNS1_11reduce_implILb1ES3_PhS7_h11plus_mod_10IhEEE10hipError_tPvRmT1_T2_T3_mT4_P12ihipStream_tbEUlT_E0_NS1_11comp_targetILNS1_3genE0ELNS1_11target_archE4294967295ELNS1_3gpuE0ELNS1_3repE0EEENS1_30default_config_static_selectorELNS0_4arch9wavefront6targetE1EEEvSD_
; %bb.0:
	s_load_dwordx8 s[36:43], s[0:1], 0x0
	s_load_dwordx4 s[44:47], s[0:1], 0x20
	s_mov_b32 s3, 0
	v_mbcnt_lo_u32_b32 v1, -1, 0
	s_waitcnt lgkmcnt(0)
	s_add_u32 s7, s36, s38
	s_addc_u32 s8, s37, s39
	s_lshl_b32 s6, s2, 12
	s_lshr_b64 s[4:5], s[40:41], 12
	s_add_u32 s30, s7, s6
	s_addc_u32 s31, s8, 0
	s_cmp_lg_u64 s[4:5], s[2:3]
	s_cbranch_scc0 .LBB657_6
; %bb.1:
	global_load_ubyte v3, v0, s[30:31] offset:256
	global_load_ubyte v4, v0, s[30:31]
	global_load_ubyte v5, v0, s[30:31] offset:512
	global_load_ubyte v6, v0, s[30:31] offset:768
	;; [unrolled: 1-line block ×14, first 2 shown]
	s_movk_i32 s3, 0xcd
	v_mbcnt_hi_u32_b32 v2, -1, v1
	v_cmp_eq_u32_e32 vcc, 0, v2
	s_waitcnt vmcnt(15)
	v_mul_lo_u16_e32 v19, 0xcd, v3
	s_waitcnt vmcnt(14)
	v_mul_lo_u16_e32 v20, 0xcd, v4
	v_lshrrev_b16_e32 v19, 11, v19
	v_lshrrev_b16_e32 v20, 11, v20
	v_mul_lo_u16_e32 v19, 10, v19
	v_mul_lo_u16_e32 v20, 10, v20
	v_sub_u16_e32 v3, v3, v19
	v_sub_u16_e32 v4, v4, v20
	v_add_u16_e32 v3, v3, v4
	v_add_u16_e32 v4, -10, v3
	v_min_u16_sdwa v3, v3, v4 dst_sel:DWORD dst_unused:UNUSED_PAD src0_sel:BYTE_0 src1_sel:BYTE_0
	s_waitcnt vmcnt(13)
	v_mul_lo_u16_e32 v21, 0xcd, v5
	v_mul_lo_u16_e32 v4, 0xcd, v3
	v_lshrrev_b16_e32 v21, 11, v21
	v_lshrrev_b16_e32 v4, 11, v4
	v_mul_lo_u16_e32 v21, 10, v21
	v_mul_lo_u16_e32 v4, 10, v4
	v_sub_u16_e32 v5, v5, v21
	v_sub_u16_e32 v3, v3, v4
	v_add_u16_e32 v3, v3, v5
	v_add_u16_e32 v4, -10, v3
	v_min_u16_sdwa v3, v3, v4 dst_sel:DWORD dst_unused:UNUSED_PAD src0_sel:BYTE_0 src1_sel:BYTE_0
	s_waitcnt vmcnt(12)
	v_mul_lo_u16_e32 v22, 0xcd, v6
	;; [unrolled: 12-line block ×14, first 2 shown]
	v_mul_lo_u16_e32 v4, 0xcd, v3
	v_lshrrev_b16_e32 v34, 11, v34
	v_lshrrev_b16_e32 v4, 11, v4
	v_mul_lo_u16_e32 v34, 10, v34
	v_mul_lo_u16_e32 v4, 10, v4
	v_sub_u16_e32 v18, v18, v34
	v_sub_u16_e32 v3, v3, v4
	v_add_u16_e32 v3, v3, v18
	v_add_u16_e32 v4, -10, v3
	v_min_u16_sdwa v3, v3, v4 dst_sel:DWORD dst_unused:UNUSED_PAD src0_sel:BYTE_0 src1_sel:BYTE_0
	v_mul_lo_u16_e32 v5, 0xcd, v3
	v_lshrrev_b16_e32 v5, 11, v5
	v_mov_b32_dpp v4, v3 quad_perm:[1,0,3,2] row_mask:0xf bank_mask:0xf bound_ctrl:1
	v_mul_lo_u16_sdwa v6, v4, s3 dst_sel:DWORD dst_unused:UNUSED_PAD src0_sel:BYTE_0 src1_sel:DWORD
	v_mul_lo_u16_e32 v5, 10, v5
	v_sub_u16_e32 v3, v3, v5
	v_lshrrev_b16_e32 v5, 11, v6
	v_mul_lo_u16_e32 v5, 10, v5
	v_sub_u16_e32 v4, v4, v5
	v_add_u16_e32 v3, v3, v4
	v_add_u16_e32 v4, -10, v3
	v_min_u16_sdwa v3, v3, v4 dst_sel:DWORD dst_unused:UNUSED_PAD src0_sel:BYTE_0 src1_sel:BYTE_0
	s_nop 1
	v_mov_b32_dpp v4, v3 quad_perm:[2,3,0,1] row_mask:0xf bank_mask:0xf bound_ctrl:1
	v_mul_lo_u16_sdwa v5, v4, s3 dst_sel:DWORD dst_unused:UNUSED_PAD src0_sel:BYTE_0 src1_sel:DWORD
	v_lshrrev_b16_e32 v5, 11, v5
	v_mul_lo_u16_e32 v5, 10, v5
	v_sub_u16_e32 v4, v4, v5
	v_add_u16_e32 v3, v3, v4
	v_add_u16_e32 v4, -10, v3
	v_min_u16_sdwa v3, v3, v4 dst_sel:DWORD dst_unused:UNUSED_PAD src0_sel:BYTE_0 src1_sel:BYTE_0
	v_mul_lo_u16_e32 v5, 0xcd, v3
	v_lshrrev_b16_e32 v5, 11, v5
	v_mov_b32_dpp v4, v3 row_ror:4 row_mask:0xf bank_mask:0xf bound_ctrl:1
	v_mul_lo_u16_e32 v5, 10, v5
	v_sub_u16_e32 v3, v3, v5
	v_mul_lo_u16_sdwa v5, v4, s3 dst_sel:DWORD dst_unused:UNUSED_PAD src0_sel:BYTE_0 src1_sel:DWORD
	v_lshrrev_b16_e32 v5, 11, v5
	v_mul_lo_u16_e32 v5, 10, v5
	v_sub_u16_e32 v4, v4, v5
	v_add_u16_e32 v3, v3, v4
	v_add_u16_e32 v4, -10, v3
	v_min_u16_sdwa v3, v3, v4 dst_sel:DWORD dst_unused:UNUSED_PAD src0_sel:BYTE_0 src1_sel:BYTE_0
	v_mul_lo_u16_e32 v5, 0xcd, v3
	v_lshrrev_b16_e32 v5, 11, v5
	v_mov_b32_dpp v4, v3 row_ror:8 row_mask:0xf bank_mask:0xf bound_ctrl:1
	v_mul_lo_u16_e32 v5, 10, v5
	v_sub_u16_e32 v3, v3, v5
	v_mul_lo_u16_sdwa v5, v4, s3 dst_sel:DWORD dst_unused:UNUSED_PAD src0_sel:BYTE_0 src1_sel:DWORD
	v_lshrrev_b16_e32 v5, 11, v5
	v_mul_lo_u16_e32 v5, 10, v5
	v_sub_u16_e32 v4, v4, v5
	v_add_u16_e32 v3, v3, v4
	v_add_u16_e32 v4, -10, v3
	v_min_u16_sdwa v3, v3, v4 dst_sel:DWORD dst_unused:UNUSED_PAD src0_sel:BYTE_0 src1_sel:BYTE_0
	v_mul_lo_u16_e32 v5, 0xcd, v3
	v_lshrrev_b16_e32 v5, 11, v5
	v_mov_b32_dpp v4, v3 row_bcast:15 row_mask:0xf bank_mask:0xf bound_ctrl:1
	v_mul_lo_u16_e32 v5, 10, v5
	v_sub_u16_e32 v3, v3, v5
	v_mul_lo_u16_sdwa v5, v4, s3 dst_sel:DWORD dst_unused:UNUSED_PAD src0_sel:BYTE_0 src1_sel:DWORD
	v_lshrrev_b16_e32 v5, 11, v5
	v_mul_lo_u16_e32 v5, 10, v5
	v_sub_u16_e32 v4, v4, v5
	v_add_u16_e32 v3, v3, v4
	v_add_u16_e32 v4, -10, v3
	v_min_u16_sdwa v3, v3, v4 dst_sel:DWORD dst_unused:UNUSED_PAD src0_sel:BYTE_0 src1_sel:BYTE_0
	v_mul_lo_u16_e32 v5, 0xcd, v3
	v_lshrrev_b16_e32 v5, 11, v5
	v_mov_b32_dpp v4, v3 row_bcast:31 row_mask:0xf bank_mask:0xf bound_ctrl:1
	v_mul_lo_u16_e32 v5, 10, v5
	v_sub_u16_e32 v3, v3, v5
	v_mul_lo_u16_sdwa v5, v4, s3 dst_sel:DWORD dst_unused:UNUSED_PAD src0_sel:BYTE_0 src1_sel:DWORD
	v_lshrrev_b16_e32 v5, 11, v5
	v_mul_lo_u16_e32 v5, 10, v5
	v_sub_u16_e32 v4, v4, v5
	v_add_u16_e32 v4, v3, v4
	v_add_u16_e32 v5, -10, v4
	v_lshlrev_b32_e32 v3, 2, v2
	v_or_b32_e32 v6, 0xfc, v3
	v_min_u16_sdwa v4, v4, v5 dst_sel:DWORD dst_unused:UNUSED_PAD src0_sel:BYTE_0 src1_sel:BYTE_0
	ds_bpermute_b32 v6, v6, v4
	s_and_saveexec_b64 s[4:5], vcc
	s_cbranch_execz .LBB657_3
; %bb.2:
	v_lshrrev_b32_e32 v4, 6, v0
	s_waitcnt lgkmcnt(0)
	ds_write_b8 v4, v6 offset:4
.LBB657_3:
	s_or_b64 exec, exec, s[4:5]
	v_cmp_gt_u32_e32 vcc, 64, v0
	s_waitcnt lgkmcnt(0)
	s_barrier
	s_and_saveexec_b64 s[4:5], vcc
	s_cbranch_execz .LBB657_5
; %bb.4:
	v_and_b32_e32 v4, 3, v2
	ds_read_u8 v5, v4 offset:4
	v_cmp_ne_u32_e32 vcc, 3, v4
	v_or_b32_e32 v3, 8, v3
	s_waitcnt lgkmcnt(0)
	v_and_b32_e32 v4, 0xffff, v5
	v_addc_co_u32_e32 v2, vcc, 0, v2, vcc
	v_lshlrev_b32_e32 v2, 2, v2
	ds_bpermute_b32 v2, v2, v4
	v_mul_lo_u16_e32 v4, 0xcd, v5
	v_lshrrev_b16_e32 v4, 11, v4
	v_mul_lo_u16_e32 v4, 10, v4
	v_sub_u16_e32 v4, v5, v4
	s_waitcnt lgkmcnt(0)
	v_mul_lo_u16_sdwa v6, v2, s3 dst_sel:DWORD dst_unused:UNUSED_PAD src0_sel:BYTE_0 src1_sel:DWORD
	v_lshrrev_b16_e32 v6, 11, v6
	v_mul_lo_u16_e32 v6, 10, v6
	v_sub_u16_e32 v2, v2, v6
	v_add_u16_e32 v2, v2, v4
	v_add_u16_e32 v4, -10, v2
	v_min_u16_sdwa v2, v2, v4 dst_sel:DWORD dst_unused:UNUSED_PAD src0_sel:BYTE_0 src1_sel:BYTE_0
	ds_bpermute_b32 v3, v3, v2
	s_waitcnt lgkmcnt(0)
	v_mul_lo_u16_sdwa v4, v3, s3 dst_sel:DWORD dst_unused:UNUSED_PAD src0_sel:BYTE_0 src1_sel:DWORD
	v_lshrrev_b16_e32 v4, 11, v4
	v_mul_lo_u16_e32 v4, 10, v4
	v_sub_u16_e32 v3, v3, v4
	v_add_u16_e32 v2, v2, v3
	v_add_u16_e32 v3, -10, v2
	v_min_u16_sdwa v6, v2, v3 dst_sel:DWORD dst_unused:UNUSED_PAD src0_sel:BYTE_0 src1_sel:BYTE_0
.LBB657_5:
	s_or_b64 exec, exec, s[4:5]
	s_load_dword s3, s[0:1], 0x30
	s_branch .LBB657_75
.LBB657_6:
                                        ; implicit-def: $vgpr6
	s_load_dword s3, s[0:1], 0x30
	s_cbranch_execz .LBB657_75
; %bb.7:
	s_sub_i32 s33, s40, s6
	v_mov_b32_e32 v2, 0
	v_cmp_gt_u32_e32 vcc, s33, v0
	s_mov_b32 s4, 0
	v_mov_b32_e32 v3, v2
	v_mov_b32_e32 v4, v2
	;; [unrolled: 1-line block ×3, first 2 shown]
	s_and_saveexec_b64 s[0:1], vcc
	s_cbranch_execz .LBB657_9
; %bb.8:
	global_load_ubyte v3, v0, s[30:31]
	v_mov_b32_e32 v5, s4
	v_mov_b32_e32 v6, v2
	;; [unrolled: 1-line block ×3, first 2 shown]
	s_waitcnt vmcnt(0)
	v_and_b32_e32 v4, 0xffff, v3
	v_mov_b64_e32 v[2:3], v[4:5]
	v_mov_b64_e32 v[4:5], v[6:7]
.LBB657_9:
	s_or_b64 exec, exec, s[0:1]
	v_or_b32_e32 v6, 0x100, v0
	v_cmp_gt_u32_e64 s[28:29], s33, v6
	s_and_saveexec_b64 s[0:1], s[28:29]
	s_cbranch_execz .LBB657_11
; %bb.10:
	global_load_ubyte v6, v0, s[30:31] offset:256
	s_mov_b32 s4, 0x7060004
	s_waitcnt vmcnt(0)
	v_perm_b32 v2, v2, v6, s4
.LBB657_11:
	s_or_b64 exec, exec, s[0:1]
	v_or_b32_e32 v6, 0x200, v0
	v_cmp_gt_u32_e64 s[26:27], s33, v6
	s_and_saveexec_b64 s[0:1], s[26:27]
	s_cbranch_execz .LBB657_13
; %bb.12:
	global_load_ubyte v6, v0, s[30:31] offset:512
	s_mov_b32 s4, 0x7000504
	s_waitcnt vmcnt(0)
	v_perm_b32 v2, v2, v6, s4
.LBB657_13:
	;; [unrolled: 11-line block ×14, first 2 shown]
	s_or_b64 exec, exec, s[34:35]
	v_or_b32_e32 v6, 0xf00, v0
	v_cmp_gt_u32_e32 vcc, s33, v6
	s_and_saveexec_b64 s[34:35], vcc
	s_cbranch_execnz .LBB657_78
; %bb.38:
	s_or_b64 exec, exec, s[34:35]
	v_mov_b32_e32 v6, v2
	s_and_saveexec_b64 s[30:31], s[28:29]
	s_cbranch_execnz .LBB657_79
.LBB657_39:
	s_or_b64 exec, exec, s[30:31]
	s_and_saveexec_b64 s[28:29], s[26:27]
	s_cbranch_execnz .LBB657_80
.LBB657_40:
	s_or_b64 exec, exec, s[28:29]
	s_and_saveexec_b64 s[26:27], s[24:25]
	s_cbranch_execnz .LBB657_81
.LBB657_41:
	s_or_b64 exec, exec, s[26:27]
	s_and_saveexec_b64 s[24:25], s[22:23]
	s_cbranch_execnz .LBB657_82
.LBB657_42:
	s_or_b64 exec, exec, s[24:25]
	s_and_saveexec_b64 s[22:23], s[20:21]
	s_cbranch_execnz .LBB657_83
.LBB657_43:
	s_or_b64 exec, exec, s[22:23]
	s_and_saveexec_b64 s[20:21], s[18:19]
	s_cbranch_execnz .LBB657_84
.LBB657_44:
	s_or_b64 exec, exec, s[20:21]
	s_and_saveexec_b64 s[18:19], s[16:17]
	s_cbranch_execnz .LBB657_85
.LBB657_45:
	s_or_b64 exec, exec, s[18:19]
	s_and_saveexec_b64 s[16:17], s[14:15]
	s_cbranch_execnz .LBB657_86
.LBB657_46:
	s_or_b64 exec, exec, s[16:17]
	s_and_saveexec_b64 s[14:15], s[12:13]
	s_cbranch_execnz .LBB657_87
.LBB657_47:
	s_or_b64 exec, exec, s[14:15]
	s_and_saveexec_b64 s[12:13], s[10:11]
	s_cbranch_execnz .LBB657_88
.LBB657_48:
	s_or_b64 exec, exec, s[12:13]
	s_and_saveexec_b64 s[10:11], s[8:9]
	s_cbranch_execnz .LBB657_89
.LBB657_49:
	s_or_b64 exec, exec, s[10:11]
	s_and_saveexec_b64 s[8:9], s[6:7]
	s_cbranch_execnz .LBB657_90
.LBB657_50:
	s_or_b64 exec, exec, s[8:9]
	s_and_saveexec_b64 s[6:7], s[4:5]
	s_cbranch_execnz .LBB657_91
.LBB657_51:
	s_or_b64 exec, exec, s[6:7]
	s_and_saveexec_b64 s[4:5], s[0:1]
	s_cbranch_execnz .LBB657_92
.LBB657_52:
	s_or_b64 exec, exec, s[4:5]
	s_and_saveexec_b64 s[0:1], vcc
	s_cbranch_execz .LBB657_54
.LBB657_53:
	s_movk_i32 s4, 0xcd
	v_mul_lo_u16_sdwa v2, v5, s4 dst_sel:DWORD dst_unused:UNUSED_PAD src0_sel:BYTE_3 src1_sel:DWORD
	v_mul_lo_u16_sdwa v3, v6, s4 dst_sel:DWORD dst_unused:UNUSED_PAD src0_sel:BYTE_0 src1_sel:DWORD
	v_lshrrev_b16_e32 v2, 11, v2
	v_lshrrev_b16_e32 v3, 11, v3
	v_mul_lo_u16_e32 v2, 10, v2
	v_mul_lo_u16_e32 v3, 10, v3
	v_sub_u16_sdwa v2, v5, v2 dst_sel:DWORD dst_unused:UNUSED_PAD src0_sel:BYTE_3 src1_sel:DWORD
	v_sub_u16_e32 v3, v6, v3
	v_add_u16_e32 v2, v3, v2
	v_add_u16_e32 v3, -10, v2
	v_min_u16_sdwa v6, v2, v3 dst_sel:DWORD dst_unused:UNUSED_PAD src0_sel:BYTE_0 src1_sel:BYTE_0
.LBB657_54:
	s_or_b64 exec, exec, s[0:1]
	v_mbcnt_hi_u32_b32 v1, -1, v1
	v_and_b32_e32 v2, 63, v1
	v_cmp_ne_u32_e32 vcc, 63, v2
	v_and_b32_e32 v4, 0xff, v6
	s_min_u32 s4, s33, 0x100
	v_addc_co_u32_e32 v3, vcc, 0, v1, vcc
	v_lshlrev_b32_e32 v3, 2, v3
	ds_bpermute_b32 v5, v3, v4
	v_and_b32_e32 v3, 0xc0, v0
	v_sub_u32_e64 v3, s4, v3 clamp
	v_add_u32_e32 v7, 1, v2
	v_cmp_lt_u32_e32 vcc, v7, v3
	s_and_saveexec_b64 s[0:1], vcc
	s_xor_b64 s[0:1], exec, s[0:1]
	s_cbranch_execz .LBB657_56
; %bb.55:
	s_movk_i32 s5, 0xcd
	s_waitcnt lgkmcnt(0)
	v_mul_lo_u16_sdwa v4, v5, s5 dst_sel:DWORD dst_unused:UNUSED_PAD src0_sel:BYTE_0 src1_sel:DWORD
	v_lshrrev_b16_e32 v4, 11, v4
	v_mul_lo_u16_e32 v4, 10, v4
	v_sub_u16_e32 v4, v5, v4
	v_mul_lo_u16_sdwa v5, v6, s5 dst_sel:DWORD dst_unused:UNUSED_PAD src0_sel:BYTE_0 src1_sel:DWORD
	v_lshrrev_b16_e32 v5, 11, v5
	v_mul_lo_u16_e32 v5, 10, v5
	v_sub_u16_e32 v5, v6, v5
	v_add_u16_e32 v4, v4, v5
	v_add_u16_e32 v5, -10, v4
	v_min_u16_sdwa v6, v4, v5 dst_sel:DWORD dst_unused:UNUSED_PAD src0_sel:BYTE_0 src1_sel:BYTE_0
	v_min_u16_sdwa v4, v4, v5 dst_sel:DWORD dst_unused:UNUSED_PAD src0_sel:BYTE_0 src1_sel:BYTE_0
.LBB657_56:
	s_or_b64 exec, exec, s[0:1]
	v_cmp_gt_u32_e32 vcc, 62, v2
	v_add_u32_e32 v7, 2, v2
	s_waitcnt lgkmcnt(0)
	v_cndmask_b32_e64 v5, 0, 2, vcc
	v_add_lshl_u32 v5, v5, v1, 2
	ds_bpermute_b32 v5, v5, v4
	v_cmp_lt_u32_e32 vcc, v7, v3
	s_and_saveexec_b64 s[0:1], vcc
	s_cbranch_execz .LBB657_58
; %bb.57:
	s_movk_i32 s5, 0xcd
	s_waitcnt lgkmcnt(0)
	v_mul_lo_u16_sdwa v4, v5, s5 dst_sel:DWORD dst_unused:UNUSED_PAD src0_sel:BYTE_0 src1_sel:DWORD
	v_lshrrev_b16_e32 v4, 11, v4
	v_mul_lo_u16_e32 v4, 10, v4
	v_sub_u16_e32 v4, v5, v4
	v_mul_lo_u16_sdwa v5, v6, s5 dst_sel:DWORD dst_unused:UNUSED_PAD src0_sel:BYTE_0 src1_sel:DWORD
	v_lshrrev_b16_e32 v5, 11, v5
	v_mul_lo_u16_e32 v5, 10, v5
	v_sub_u16_e32 v5, v6, v5
	v_add_u16_e32 v4, v4, v5
	v_add_u16_e32 v5, -10, v4
	v_min_u16_sdwa v6, v4, v5 dst_sel:DWORD dst_unused:UNUSED_PAD src0_sel:BYTE_0 src1_sel:BYTE_0
	v_min_u16_sdwa v4, v4, v5 dst_sel:DWORD dst_unused:UNUSED_PAD src0_sel:BYTE_0 src1_sel:BYTE_0
.LBB657_58:
	s_or_b64 exec, exec, s[0:1]
	v_cmp_gt_u32_e32 vcc, 60, v2
	v_add_u32_e32 v7, 4, v2
	s_waitcnt lgkmcnt(0)
	v_cndmask_b32_e64 v5, 0, 4, vcc
	v_add_lshl_u32 v5, v5, v1, 2
	ds_bpermute_b32 v5, v5, v4
	v_cmp_lt_u32_e32 vcc, v7, v3
	s_and_saveexec_b64 s[0:1], vcc
	;; [unrolled: 26-line block ×4, first 2 shown]
	s_cbranch_execz .LBB657_64
; %bb.63:
	s_movk_i32 s5, 0xcd
	s_waitcnt lgkmcnt(0)
	v_mul_lo_u16_sdwa v4, v5, s5 dst_sel:DWORD dst_unused:UNUSED_PAD src0_sel:BYTE_0 src1_sel:DWORD
	v_lshrrev_b16_e32 v4, 11, v4
	v_mul_lo_u16_e32 v4, 10, v4
	v_sub_u16_e32 v4, v5, v4
	v_mul_lo_u16_sdwa v5, v6, s5 dst_sel:DWORD dst_unused:UNUSED_PAD src0_sel:BYTE_0 src1_sel:DWORD
	v_lshrrev_b16_e32 v5, 11, v5
	v_mul_lo_u16_e32 v5, 10, v5
	v_sub_u16_e32 v5, v6, v5
	v_add_u16_e32 v4, v4, v5
	v_add_u16_e32 v5, -10, v4
	v_min_u16_sdwa v6, v4, v5 dst_sel:DWORD dst_unused:UNUSED_PAD src0_sel:BYTE_0 src1_sel:BYTE_0
	v_min_u16_sdwa v4, v4, v5 dst_sel:DWORD dst_unused:UNUSED_PAD src0_sel:BYTE_0 src1_sel:BYTE_0
.LBB657_64:
	s_or_b64 exec, exec, s[0:1]
	s_waitcnt lgkmcnt(0)
	v_lshlrev_b32_e32 v5, 2, v1
	v_or_b32_e32 v7, 0x80, v5
	ds_bpermute_b32 v4, v7, v4
	v_add_u32_e32 v2, 32, v2
	v_cmp_lt_u32_e32 vcc, v2, v3
	s_and_saveexec_b64 s[0:1], vcc
	s_cbranch_execz .LBB657_66
; %bb.65:
	s_movk_i32 s5, 0xcd
	s_waitcnt lgkmcnt(0)
	v_mul_lo_u16_sdwa v2, v4, s5 dst_sel:DWORD dst_unused:UNUSED_PAD src0_sel:BYTE_0 src1_sel:DWORD
	v_mul_lo_u16_sdwa v3, v6, s5 dst_sel:DWORD dst_unused:UNUSED_PAD src0_sel:BYTE_0 src1_sel:DWORD
	v_lshrrev_b16_e32 v2, 11, v2
	v_lshrrev_b16_e32 v3, 11, v3
	v_mul_lo_u16_e32 v2, 10, v2
	v_mul_lo_u16_e32 v3, 10, v3
	v_sub_u16_e32 v2, v4, v2
	v_sub_u16_e32 v3, v6, v3
	v_add_u16_e32 v2, v2, v3
	v_add_u16_e32 v3, -10, v2
	v_min_u16_sdwa v6, v2, v3 dst_sel:DWORD dst_unused:UNUSED_PAD src0_sel:BYTE_0 src1_sel:BYTE_0
.LBB657_66:
	s_or_b64 exec, exec, s[0:1]
	v_cmp_eq_u32_e32 vcc, 0, v1
	s_and_saveexec_b64 s[0:1], vcc
; %bb.67:
	v_lshrrev_b32_e32 v2, 6, v0
	ds_write_b8 v2, v6
; %bb.68:
	s_or_b64 exec, exec, s[0:1]
	v_cmp_gt_u32_e32 vcc, 4, v0
	s_waitcnt lgkmcnt(0)
	s_barrier
	s_and_saveexec_b64 s[0:1], vcc
	s_cbranch_execz .LBB657_74
; %bb.69:
	ds_read_u8 v6, v1
	v_and_b32_e32 v2, 3, v1
	v_cmp_ne_u32_e32 vcc, 3, v2
	s_add_i32 s4, s4, 63
	s_lshr_b32 s6, s4, 6
	v_addc_co_u32_e32 v1, vcc, 0, v1, vcc
	v_lshlrev_b32_e32 v3, 2, v1
	s_waitcnt lgkmcnt(0)
	v_and_b32_e32 v1, 0xff, v6
	ds_bpermute_b32 v3, v3, v1
	v_add_u32_e32 v4, 1, v2
	v_cmp_gt_u32_e32 vcc, s6, v4
	s_and_saveexec_b64 s[4:5], vcc
	s_cbranch_execz .LBB657_71
; %bb.70:
	s_movk_i32 s7, 0xcd
	s_waitcnt lgkmcnt(0)
	v_mul_lo_u16_sdwa v1, v3, s7 dst_sel:DWORD dst_unused:UNUSED_PAD src0_sel:BYTE_0 src1_sel:DWORD
	v_lshrrev_b16_e32 v1, 11, v1
	v_mul_lo_u16_e32 v1, 10, v1
	v_sub_u16_e32 v1, v3, v1
	v_mul_lo_u16_sdwa v3, v6, s7 dst_sel:DWORD dst_unused:UNUSED_PAD src0_sel:BYTE_0 src1_sel:DWORD
	v_lshrrev_b16_e32 v3, 11, v3
	v_mul_lo_u16_e32 v3, 10, v3
	v_sub_u16_e32 v3, v6, v3
	v_add_u16_e32 v1, v1, v3
	v_add_u16_e32 v3, -10, v1
	v_min_u16_sdwa v6, v1, v3 dst_sel:DWORD dst_unused:UNUSED_PAD src0_sel:BYTE_0 src1_sel:BYTE_0
	v_min_u16_sdwa v1, v1, v3 dst_sel:DWORD dst_unused:UNUSED_PAD src0_sel:BYTE_0 src1_sel:BYTE_0
.LBB657_71:
	s_or_b64 exec, exec, s[4:5]
	s_waitcnt lgkmcnt(0)
	v_or_b32_e32 v3, 8, v5
	ds_bpermute_b32 v1, v3, v1
	v_add_u32_e32 v2, 2, v2
	v_cmp_gt_u32_e32 vcc, s6, v2
	s_and_saveexec_b64 s[4:5], vcc
	s_cbranch_execz .LBB657_73
; %bb.72:
	s_movk_i32 s6, 0xcd
	s_waitcnt lgkmcnt(0)
	v_mul_lo_u16_sdwa v2, v1, s6 dst_sel:DWORD dst_unused:UNUSED_PAD src0_sel:BYTE_0 src1_sel:DWORD
	v_lshrrev_b16_e32 v2, 11, v2
	v_mul_lo_u16_e32 v2, 10, v2
	v_sub_u16_e32 v1, v1, v2
	v_mul_lo_u16_sdwa v2, v6, s6 dst_sel:DWORD dst_unused:UNUSED_PAD src0_sel:BYTE_0 src1_sel:DWORD
	v_lshrrev_b16_e32 v2, 11, v2
	v_mul_lo_u16_e32 v2, 10, v2
	v_sub_u16_e32 v2, v6, v2
	v_add_u16_e32 v1, v1, v2
	v_add_u16_e32 v2, -10, v1
	v_min_u16_sdwa v6, v1, v2 dst_sel:DWORD dst_unused:UNUSED_PAD src0_sel:BYTE_0 src1_sel:BYTE_0
.LBB657_73:
	s_or_b64 exec, exec, s[4:5]
.LBB657_74:
	s_or_b64 exec, exec, s[0:1]
.LBB657_75:
	v_cmp_eq_u32_e32 vcc, 0, v0
	s_and_saveexec_b64 s[0:1], vcc
	s_cbranch_execnz .LBB657_77
; %bb.76:
	s_endpgm
.LBB657_77:
	s_mul_i32 s0, s46, s45
	s_mul_hi_u32 s1, s46, s44
	s_add_i32 s0, s1, s0
	s_mul_i32 s1, s47, s44
	s_add_i32 s0, s0, s1
	s_mul_i32 s1, s46, s44
	s_add_u32 s1, s42, s1
	s_addc_u32 s4, s43, s0
	s_cmp_eq_u64 s[40:41], 0
	s_waitcnt lgkmcnt(0)
	v_mov_b32_e32 v0, s3
	s_cselect_b64 vcc, -1, 0
	s_add_u32 s0, s1, s2
	v_cndmask_b32_e32 v0, v6, v0, vcc
	s_addc_u32 s1, s4, 0
	v_mov_b32_e32 v1, 0
	global_store_byte v1, v0, s[0:1]
	s_endpgm
.LBB657_78:
	global_load_ubyte v6, v0, s[30:31] offset:3840
	s_mov_b32 s30, 0x60504
	s_waitcnt vmcnt(0)
	v_perm_b32 v5, v5, v6, s30
	s_or_b64 exec, exec, s[34:35]
	v_mov_b32_e32 v6, v2
	s_and_saveexec_b64 s[30:31], s[28:29]
	s_cbranch_execz .LBB657_39
.LBB657_79:
	v_lshrrev_b32_e32 v6, 8, v2
	s_movk_i32 s28, 0xcd
	v_mul_lo_u16_sdwa v7, v6, s28 dst_sel:DWORD dst_unused:UNUSED_PAD src0_sel:BYTE_0 src1_sel:DWORD
	v_lshrrev_b16_e32 v7, 11, v7
	v_mul_lo_u16_e32 v7, 10, v7
	v_sub_u16_e32 v6, v6, v7
	v_mul_lo_u16_sdwa v7, v2, s28 dst_sel:DWORD dst_unused:UNUSED_PAD src0_sel:BYTE_0 src1_sel:DWORD
	v_lshrrev_b16_e32 v7, 11, v7
	v_mul_lo_u16_e32 v7, 10, v7
	v_sub_u16_e32 v7, v2, v7
	v_add_u16_e32 v6, v6, v7
	v_add_u16_e32 v7, -10, v6
	v_min_u16_sdwa v6, v6, v7 dst_sel:DWORD dst_unused:UNUSED_PAD src0_sel:BYTE_0 src1_sel:BYTE_0
	s_or_b64 exec, exec, s[30:31]
	s_and_saveexec_b64 s[28:29], s[26:27]
	s_cbranch_execz .LBB657_40
.LBB657_80:
	s_movk_i32 s26, 0xff
	v_and_b32_sdwa v7, v2, s26 dst_sel:DWORD dst_unused:UNUSED_PAD src0_sel:WORD_1 src1_sel:DWORD
	s_movk_i32 s26, 0xcd
	v_mul_lo_u16_e32 v7, 0xcd, v7
	v_mul_lo_u16_sdwa v8, v6, s26 dst_sel:DWORD dst_unused:UNUSED_PAD src0_sel:BYTE_0 src1_sel:DWORD
	v_lshrrev_b16_e32 v7, 11, v7
	v_lshrrev_b16_e32 v8, 11, v8
	v_mul_lo_u16_e32 v7, 10, v7
	v_mul_lo_u16_e32 v8, 10, v8
	v_sub_u16_sdwa v7, v2, v7 dst_sel:DWORD dst_unused:UNUSED_PAD src0_sel:WORD_1 src1_sel:DWORD
	v_sub_u16_e32 v6, v6, v8
	v_add_u16_e32 v6, v6, v7
	v_add_u16_e32 v7, -10, v6
	v_min_u16_sdwa v6, v6, v7 dst_sel:DWORD dst_unused:UNUSED_PAD src0_sel:BYTE_0 src1_sel:BYTE_0
	s_or_b64 exec, exec, s[28:29]
	s_and_saveexec_b64 s[26:27], s[24:25]
	s_cbranch_execz .LBB657_41
.LBB657_81:
	v_lshrrev_b64 v[8:9], 24, v[2:3]
	s_movk_i32 s24, 0xcd
	v_mul_lo_u16_sdwa v2, v8, s24 dst_sel:DWORD dst_unused:UNUSED_PAD src0_sel:BYTE_0 src1_sel:DWORD
	v_mul_lo_u16_sdwa v7, v6, s24 dst_sel:DWORD dst_unused:UNUSED_PAD src0_sel:BYTE_0 src1_sel:DWORD
	v_lshrrev_b16_e32 v2, 11, v2
	v_lshrrev_b16_e32 v7, 11, v7
	v_mul_lo_u16_e32 v2, 10, v2
	v_mul_lo_u16_e32 v7, 10, v7
	v_sub_u16_e32 v2, v8, v2
	v_sub_u16_e32 v6, v6, v7
	v_add_u16_e32 v2, v6, v2
	v_add_u16_e32 v6, -10, v2
	v_min_u16_sdwa v6, v2, v6 dst_sel:DWORD dst_unused:UNUSED_PAD src0_sel:BYTE_0 src1_sel:BYTE_0
	s_or_b64 exec, exec, s[26:27]
	s_and_saveexec_b64 s[24:25], s[22:23]
	s_cbranch_execz .LBB657_42
.LBB657_82:
	s_movk_i32 s22, 0xcd
	v_mul_lo_u16_sdwa v2, v3, s22 dst_sel:DWORD dst_unused:UNUSED_PAD src0_sel:BYTE_0 src1_sel:DWORD
	v_mul_lo_u16_sdwa v7, v6, s22 dst_sel:DWORD dst_unused:UNUSED_PAD src0_sel:BYTE_0 src1_sel:DWORD
	v_lshrrev_b16_e32 v2, 11, v2
	v_lshrrev_b16_e32 v7, 11, v7
	v_mul_lo_u16_e32 v2, 10, v2
	v_mul_lo_u16_e32 v7, 10, v7
	v_sub_u16_e32 v2, v3, v2
	v_sub_u16_e32 v6, v6, v7
	v_add_u16_e32 v2, v6, v2
	v_add_u16_e32 v6, -10, v2
	v_min_u16_sdwa v6, v2, v6 dst_sel:DWORD dst_unused:UNUSED_PAD src0_sel:BYTE_0 src1_sel:BYTE_0
	s_or_b64 exec, exec, s[24:25]
	s_and_saveexec_b64 s[22:23], s[20:21]
	s_cbranch_execz .LBB657_43
.LBB657_83:
	v_lshrrev_b32_e32 v2, 8, v3
	s_movk_i32 s20, 0xcd
	v_mul_lo_u16_sdwa v7, v2, s20 dst_sel:DWORD dst_unused:UNUSED_PAD src0_sel:BYTE_0 src1_sel:DWORD
	v_lshrrev_b16_e32 v7, 11, v7
	v_mul_lo_u16_e32 v7, 10, v7
	v_sub_u16_e32 v2, v2, v7
	v_mul_lo_u16_sdwa v7, v6, s20 dst_sel:DWORD dst_unused:UNUSED_PAD src0_sel:BYTE_0 src1_sel:DWORD
	v_lshrrev_b16_e32 v7, 11, v7
	v_mul_lo_u16_e32 v7, 10, v7
	v_sub_u16_e32 v6, v6, v7
	v_add_u16_e32 v2, v6, v2
	v_add_u16_e32 v6, -10, v2
	v_min_u16_sdwa v6, v2, v6 dst_sel:DWORD dst_unused:UNUSED_PAD src0_sel:BYTE_0 src1_sel:BYTE_0
	s_or_b64 exec, exec, s[22:23]
	s_and_saveexec_b64 s[20:21], s[18:19]
	s_cbranch_execz .LBB657_44
.LBB657_84:
	s_movk_i32 s18, 0xff
	v_and_b32_sdwa v2, v3, s18 dst_sel:DWORD dst_unused:UNUSED_PAD src0_sel:WORD_1 src1_sel:DWORD
	s_movk_i32 s18, 0xcd
	v_mul_lo_u16_e32 v2, 0xcd, v2
	v_mul_lo_u16_sdwa v7, v6, s18 dst_sel:DWORD dst_unused:UNUSED_PAD src0_sel:BYTE_0 src1_sel:DWORD
	v_lshrrev_b16_e32 v2, 11, v2
	v_lshrrev_b16_e32 v7, 11, v7
	v_mul_lo_u16_e32 v2, 10, v2
	v_mul_lo_u16_e32 v7, 10, v7
	v_sub_u16_sdwa v2, v3, v2 dst_sel:DWORD dst_unused:UNUSED_PAD src0_sel:WORD_1 src1_sel:DWORD
	v_sub_u16_e32 v6, v6, v7
	v_add_u16_e32 v2, v6, v2
	v_add_u16_e32 v6, -10, v2
	v_min_u16_sdwa v6, v2, v6 dst_sel:DWORD dst_unused:UNUSED_PAD src0_sel:BYTE_0 src1_sel:BYTE_0
	s_or_b64 exec, exec, s[20:21]
	s_and_saveexec_b64 s[18:19], s[16:17]
	s_cbranch_execz .LBB657_45
.LBB657_85:
	s_movk_i32 s16, 0xcd
	v_mul_lo_u16_sdwa v2, v3, s16 dst_sel:DWORD dst_unused:UNUSED_PAD src0_sel:BYTE_3 src1_sel:DWORD
	v_lshrrev_b16_e32 v2, 11, v2
	v_mul_lo_u16_e32 v2, 10, v2
	v_sub_u16_sdwa v2, v3, v2 dst_sel:DWORD dst_unused:UNUSED_PAD src0_sel:BYTE_3 src1_sel:DWORD
	v_mul_lo_u16_sdwa v3, v6, s16 dst_sel:DWORD dst_unused:UNUSED_PAD src0_sel:BYTE_0 src1_sel:DWORD
	v_lshrrev_b16_e32 v3, 11, v3
	v_mul_lo_u16_e32 v3, 10, v3
	v_sub_u16_e32 v3, v6, v3
	v_add_u16_e32 v2, v3, v2
	v_add_u16_e32 v3, -10, v2
	v_min_u16_sdwa v6, v2, v3 dst_sel:DWORD dst_unused:UNUSED_PAD src0_sel:BYTE_0 src1_sel:BYTE_0
	s_or_b64 exec, exec, s[18:19]
	s_and_saveexec_b64 s[16:17], s[14:15]
	s_cbranch_execz .LBB657_46
.LBB657_86:
	s_movk_i32 s14, 0xcd
	v_mul_lo_u16_sdwa v2, v4, s14 dst_sel:DWORD dst_unused:UNUSED_PAD src0_sel:BYTE_0 src1_sel:DWORD
	v_mul_lo_u16_sdwa v3, v6, s14 dst_sel:DWORD dst_unused:UNUSED_PAD src0_sel:BYTE_0 src1_sel:DWORD
	v_lshrrev_b16_e32 v2, 11, v2
	v_lshrrev_b16_e32 v3, 11, v3
	v_mul_lo_u16_e32 v2, 10, v2
	v_mul_lo_u16_e32 v3, 10, v3
	v_sub_u16_e32 v2, v4, v2
	v_sub_u16_e32 v3, v6, v3
	v_add_u16_e32 v2, v3, v2
	v_add_u16_e32 v3, -10, v2
	v_min_u16_sdwa v6, v2, v3 dst_sel:DWORD dst_unused:UNUSED_PAD src0_sel:BYTE_0 src1_sel:BYTE_0
	s_or_b64 exec, exec, s[16:17]
	s_and_saveexec_b64 s[14:15], s[12:13]
	s_cbranch_execz .LBB657_47
.LBB657_87:
	v_lshrrev_b32_e32 v2, 8, v4
	s_movk_i32 s12, 0xcd
	v_mul_lo_u16_sdwa v3, v2, s12 dst_sel:DWORD dst_unused:UNUSED_PAD src0_sel:BYTE_0 src1_sel:DWORD
	v_lshrrev_b16_e32 v3, 11, v3
	v_mul_lo_u16_e32 v3, 10, v3
	v_sub_u16_e32 v2, v2, v3
	v_mul_lo_u16_sdwa v3, v6, s12 dst_sel:DWORD dst_unused:UNUSED_PAD src0_sel:BYTE_0 src1_sel:DWORD
	v_lshrrev_b16_e32 v3, 11, v3
	v_mul_lo_u16_e32 v3, 10, v3
	v_sub_u16_e32 v3, v6, v3
	v_add_u16_e32 v2, v3, v2
	v_add_u16_e32 v3, -10, v2
	v_min_u16_sdwa v6, v2, v3 dst_sel:DWORD dst_unused:UNUSED_PAD src0_sel:BYTE_0 src1_sel:BYTE_0
	s_or_b64 exec, exec, s[14:15]
	s_and_saveexec_b64 s[12:13], s[10:11]
	s_cbranch_execz .LBB657_48
.LBB657_88:
	s_movk_i32 s10, 0xff
	v_and_b32_sdwa v2, v4, s10 dst_sel:DWORD dst_unused:UNUSED_PAD src0_sel:WORD_1 src1_sel:DWORD
	s_movk_i32 s10, 0xcd
	v_mul_lo_u16_e32 v2, 0xcd, v2
	v_mul_lo_u16_sdwa v3, v6, s10 dst_sel:DWORD dst_unused:UNUSED_PAD src0_sel:BYTE_0 src1_sel:DWORD
	v_lshrrev_b16_e32 v2, 11, v2
	v_lshrrev_b16_e32 v3, 11, v3
	v_mul_lo_u16_e32 v2, 10, v2
	v_mul_lo_u16_e32 v3, 10, v3
	v_sub_u16_sdwa v2, v4, v2 dst_sel:DWORD dst_unused:UNUSED_PAD src0_sel:WORD_1 src1_sel:DWORD
	v_sub_u16_e32 v3, v6, v3
	v_add_u16_e32 v2, v3, v2
	v_add_u16_e32 v3, -10, v2
	v_min_u16_sdwa v6, v2, v3 dst_sel:DWORD dst_unused:UNUSED_PAD src0_sel:BYTE_0 src1_sel:BYTE_0
	s_or_b64 exec, exec, s[12:13]
	s_and_saveexec_b64 s[10:11], s[8:9]
	s_cbranch_execz .LBB657_49
.LBB657_89:
	v_lshrrev_b64 v[2:3], 24, v[4:5]
	s_movk_i32 s8, 0xcd
	v_mul_lo_u16_sdwa v3, v2, s8 dst_sel:DWORD dst_unused:UNUSED_PAD src0_sel:BYTE_0 src1_sel:DWORD
	v_lshrrev_b16_e32 v3, 11, v3
	v_mul_lo_u16_e32 v3, 10, v3
	v_sub_u16_e32 v2, v2, v3
	v_mul_lo_u16_sdwa v3, v6, s8 dst_sel:DWORD dst_unused:UNUSED_PAD src0_sel:BYTE_0 src1_sel:DWORD
	v_lshrrev_b16_e32 v3, 11, v3
	v_mul_lo_u16_e32 v3, 10, v3
	v_sub_u16_e32 v3, v6, v3
	v_add_u16_e32 v2, v3, v2
	v_add_u16_e32 v3, -10, v2
	v_min_u16_sdwa v6, v2, v3 dst_sel:DWORD dst_unused:UNUSED_PAD src0_sel:BYTE_0 src1_sel:BYTE_0
	s_or_b64 exec, exec, s[10:11]
	s_and_saveexec_b64 s[8:9], s[6:7]
	s_cbranch_execz .LBB657_50
.LBB657_90:
	s_movk_i32 s6, 0xcd
	v_mul_lo_u16_sdwa v2, v5, s6 dst_sel:DWORD dst_unused:UNUSED_PAD src0_sel:BYTE_0 src1_sel:DWORD
	v_mul_lo_u16_sdwa v3, v6, s6 dst_sel:DWORD dst_unused:UNUSED_PAD src0_sel:BYTE_0 src1_sel:DWORD
	v_lshrrev_b16_e32 v2, 11, v2
	v_lshrrev_b16_e32 v3, 11, v3
	v_mul_lo_u16_e32 v2, 10, v2
	v_mul_lo_u16_e32 v3, 10, v3
	v_sub_u16_e32 v2, v5, v2
	v_sub_u16_e32 v3, v6, v3
	v_add_u16_e32 v2, v3, v2
	v_add_u16_e32 v3, -10, v2
	v_min_u16_sdwa v6, v2, v3 dst_sel:DWORD dst_unused:UNUSED_PAD src0_sel:BYTE_0 src1_sel:BYTE_0
	s_or_b64 exec, exec, s[8:9]
	s_and_saveexec_b64 s[6:7], s[4:5]
	s_cbranch_execz .LBB657_51
.LBB657_91:
	v_lshrrev_b32_e32 v2, 8, v5
	s_movk_i32 s4, 0xcd
	v_mul_lo_u16_sdwa v3, v2, s4 dst_sel:DWORD dst_unused:UNUSED_PAD src0_sel:BYTE_0 src1_sel:DWORD
	v_lshrrev_b16_e32 v3, 11, v3
	v_mul_lo_u16_e32 v3, 10, v3
	v_sub_u16_e32 v2, v2, v3
	v_mul_lo_u16_sdwa v3, v6, s4 dst_sel:DWORD dst_unused:UNUSED_PAD src0_sel:BYTE_0 src1_sel:DWORD
	v_lshrrev_b16_e32 v3, 11, v3
	v_mul_lo_u16_e32 v3, 10, v3
	v_sub_u16_e32 v3, v6, v3
	v_add_u16_e32 v2, v3, v2
	v_add_u16_e32 v3, -10, v2
	v_min_u16_sdwa v6, v2, v3 dst_sel:DWORD dst_unused:UNUSED_PAD src0_sel:BYTE_0 src1_sel:BYTE_0
	s_or_b64 exec, exec, s[6:7]
	s_and_saveexec_b64 s[4:5], s[0:1]
	s_cbranch_execz .LBB657_52
.LBB657_92:
	s_movk_i32 s0, 0xff
	v_and_b32_sdwa v2, v5, s0 dst_sel:DWORD dst_unused:UNUSED_PAD src0_sel:WORD_1 src1_sel:DWORD
	s_movk_i32 s0, 0xcd
	v_mul_lo_u16_e32 v2, 0xcd, v2
	v_mul_lo_u16_sdwa v3, v6, s0 dst_sel:DWORD dst_unused:UNUSED_PAD src0_sel:BYTE_0 src1_sel:DWORD
	v_lshrrev_b16_e32 v2, 11, v2
	v_lshrrev_b16_e32 v3, 11, v3
	v_mul_lo_u16_e32 v2, 10, v2
	v_mul_lo_u16_e32 v3, 10, v3
	v_sub_u16_sdwa v2, v5, v2 dst_sel:DWORD dst_unused:UNUSED_PAD src0_sel:WORD_1 src1_sel:DWORD
	v_sub_u16_e32 v3, v6, v3
	v_add_u16_e32 v2, v3, v2
	v_add_u16_e32 v3, -10, v2
	v_min_u16_sdwa v6, v2, v3 dst_sel:DWORD dst_unused:UNUSED_PAD src0_sel:BYTE_0 src1_sel:BYTE_0
	s_or_b64 exec, exec, s[4:5]
	s_and_saveexec_b64 s[0:1], vcc
	s_cbranch_execnz .LBB657_53
	s_branch .LBB657_54
	.section	.rodata,"a",@progbits
	.p2align	6, 0x0
	.amdhsa_kernel _ZN7rocprim17ROCPRIM_400000_NS6detail17trampoline_kernelINS0_14default_configENS1_22reduce_config_selectorIhEEZNS1_11reduce_implILb1ES3_PhS7_h11plus_mod_10IhEEE10hipError_tPvRmT1_T2_T3_mT4_P12ihipStream_tbEUlT_E0_NS1_11comp_targetILNS1_3genE0ELNS1_11target_archE4294967295ELNS1_3gpuE0ELNS1_3repE0EEENS1_30default_config_static_selectorELNS0_4arch9wavefront6targetE1EEEvSD_
		.amdhsa_group_segment_fixed_size 8
		.amdhsa_private_segment_fixed_size 0
		.amdhsa_kernarg_size 56
		.amdhsa_user_sgpr_count 2
		.amdhsa_user_sgpr_dispatch_ptr 0
		.amdhsa_user_sgpr_queue_ptr 0
		.amdhsa_user_sgpr_kernarg_segment_ptr 1
		.amdhsa_user_sgpr_dispatch_id 0
		.amdhsa_user_sgpr_kernarg_preload_length 0
		.amdhsa_user_sgpr_kernarg_preload_offset 0
		.amdhsa_user_sgpr_private_segment_size 0
		.amdhsa_uses_dynamic_stack 0
		.amdhsa_enable_private_segment 0
		.amdhsa_system_sgpr_workgroup_id_x 1
		.amdhsa_system_sgpr_workgroup_id_y 0
		.amdhsa_system_sgpr_workgroup_id_z 0
		.amdhsa_system_sgpr_workgroup_info 0
		.amdhsa_system_vgpr_workitem_id 0
		.amdhsa_next_free_vgpr 35
		.amdhsa_next_free_sgpr 48
		.amdhsa_accum_offset 36
		.amdhsa_reserve_vcc 1
		.amdhsa_float_round_mode_32 0
		.amdhsa_float_round_mode_16_64 0
		.amdhsa_float_denorm_mode_32 3
		.amdhsa_float_denorm_mode_16_64 3
		.amdhsa_dx10_clamp 1
		.amdhsa_ieee_mode 1
		.amdhsa_fp16_overflow 0
		.amdhsa_tg_split 0
		.amdhsa_exception_fp_ieee_invalid_op 0
		.amdhsa_exception_fp_denorm_src 0
		.amdhsa_exception_fp_ieee_div_zero 0
		.amdhsa_exception_fp_ieee_overflow 0
		.amdhsa_exception_fp_ieee_underflow 0
		.amdhsa_exception_fp_ieee_inexact 0
		.amdhsa_exception_int_div_zero 0
	.end_amdhsa_kernel
	.section	.text._ZN7rocprim17ROCPRIM_400000_NS6detail17trampoline_kernelINS0_14default_configENS1_22reduce_config_selectorIhEEZNS1_11reduce_implILb1ES3_PhS7_h11plus_mod_10IhEEE10hipError_tPvRmT1_T2_T3_mT4_P12ihipStream_tbEUlT_E0_NS1_11comp_targetILNS1_3genE0ELNS1_11target_archE4294967295ELNS1_3gpuE0ELNS1_3repE0EEENS1_30default_config_static_selectorELNS0_4arch9wavefront6targetE1EEEvSD_,"axG",@progbits,_ZN7rocprim17ROCPRIM_400000_NS6detail17trampoline_kernelINS0_14default_configENS1_22reduce_config_selectorIhEEZNS1_11reduce_implILb1ES3_PhS7_h11plus_mod_10IhEEE10hipError_tPvRmT1_T2_T3_mT4_P12ihipStream_tbEUlT_E0_NS1_11comp_targetILNS1_3genE0ELNS1_11target_archE4294967295ELNS1_3gpuE0ELNS1_3repE0EEENS1_30default_config_static_selectorELNS0_4arch9wavefront6targetE1EEEvSD_,comdat
.Lfunc_end657:
	.size	_ZN7rocprim17ROCPRIM_400000_NS6detail17trampoline_kernelINS0_14default_configENS1_22reduce_config_selectorIhEEZNS1_11reduce_implILb1ES3_PhS7_h11plus_mod_10IhEEE10hipError_tPvRmT1_T2_T3_mT4_P12ihipStream_tbEUlT_E0_NS1_11comp_targetILNS1_3genE0ELNS1_11target_archE4294967295ELNS1_3gpuE0ELNS1_3repE0EEENS1_30default_config_static_selectorELNS0_4arch9wavefront6targetE1EEEvSD_, .Lfunc_end657-_ZN7rocprim17ROCPRIM_400000_NS6detail17trampoline_kernelINS0_14default_configENS1_22reduce_config_selectorIhEEZNS1_11reduce_implILb1ES3_PhS7_h11plus_mod_10IhEEE10hipError_tPvRmT1_T2_T3_mT4_P12ihipStream_tbEUlT_E0_NS1_11comp_targetILNS1_3genE0ELNS1_11target_archE4294967295ELNS1_3gpuE0ELNS1_3repE0EEENS1_30default_config_static_selectorELNS0_4arch9wavefront6targetE1EEEvSD_
                                        ; -- End function
	.set _ZN7rocprim17ROCPRIM_400000_NS6detail17trampoline_kernelINS0_14default_configENS1_22reduce_config_selectorIhEEZNS1_11reduce_implILb1ES3_PhS7_h11plus_mod_10IhEEE10hipError_tPvRmT1_T2_T3_mT4_P12ihipStream_tbEUlT_E0_NS1_11comp_targetILNS1_3genE0ELNS1_11target_archE4294967295ELNS1_3gpuE0ELNS1_3repE0EEENS1_30default_config_static_selectorELNS0_4arch9wavefront6targetE1EEEvSD_.num_vgpr, 35
	.set _ZN7rocprim17ROCPRIM_400000_NS6detail17trampoline_kernelINS0_14default_configENS1_22reduce_config_selectorIhEEZNS1_11reduce_implILb1ES3_PhS7_h11plus_mod_10IhEEE10hipError_tPvRmT1_T2_T3_mT4_P12ihipStream_tbEUlT_E0_NS1_11comp_targetILNS1_3genE0ELNS1_11target_archE4294967295ELNS1_3gpuE0ELNS1_3repE0EEENS1_30default_config_static_selectorELNS0_4arch9wavefront6targetE1EEEvSD_.num_agpr, 0
	.set _ZN7rocprim17ROCPRIM_400000_NS6detail17trampoline_kernelINS0_14default_configENS1_22reduce_config_selectorIhEEZNS1_11reduce_implILb1ES3_PhS7_h11plus_mod_10IhEEE10hipError_tPvRmT1_T2_T3_mT4_P12ihipStream_tbEUlT_E0_NS1_11comp_targetILNS1_3genE0ELNS1_11target_archE4294967295ELNS1_3gpuE0ELNS1_3repE0EEENS1_30default_config_static_selectorELNS0_4arch9wavefront6targetE1EEEvSD_.numbered_sgpr, 48
	.set _ZN7rocprim17ROCPRIM_400000_NS6detail17trampoline_kernelINS0_14default_configENS1_22reduce_config_selectorIhEEZNS1_11reduce_implILb1ES3_PhS7_h11plus_mod_10IhEEE10hipError_tPvRmT1_T2_T3_mT4_P12ihipStream_tbEUlT_E0_NS1_11comp_targetILNS1_3genE0ELNS1_11target_archE4294967295ELNS1_3gpuE0ELNS1_3repE0EEENS1_30default_config_static_selectorELNS0_4arch9wavefront6targetE1EEEvSD_.num_named_barrier, 0
	.set _ZN7rocprim17ROCPRIM_400000_NS6detail17trampoline_kernelINS0_14default_configENS1_22reduce_config_selectorIhEEZNS1_11reduce_implILb1ES3_PhS7_h11plus_mod_10IhEEE10hipError_tPvRmT1_T2_T3_mT4_P12ihipStream_tbEUlT_E0_NS1_11comp_targetILNS1_3genE0ELNS1_11target_archE4294967295ELNS1_3gpuE0ELNS1_3repE0EEENS1_30default_config_static_selectorELNS0_4arch9wavefront6targetE1EEEvSD_.private_seg_size, 0
	.set _ZN7rocprim17ROCPRIM_400000_NS6detail17trampoline_kernelINS0_14default_configENS1_22reduce_config_selectorIhEEZNS1_11reduce_implILb1ES3_PhS7_h11plus_mod_10IhEEE10hipError_tPvRmT1_T2_T3_mT4_P12ihipStream_tbEUlT_E0_NS1_11comp_targetILNS1_3genE0ELNS1_11target_archE4294967295ELNS1_3gpuE0ELNS1_3repE0EEENS1_30default_config_static_selectorELNS0_4arch9wavefront6targetE1EEEvSD_.uses_vcc, 1
	.set _ZN7rocprim17ROCPRIM_400000_NS6detail17trampoline_kernelINS0_14default_configENS1_22reduce_config_selectorIhEEZNS1_11reduce_implILb1ES3_PhS7_h11plus_mod_10IhEEE10hipError_tPvRmT1_T2_T3_mT4_P12ihipStream_tbEUlT_E0_NS1_11comp_targetILNS1_3genE0ELNS1_11target_archE4294967295ELNS1_3gpuE0ELNS1_3repE0EEENS1_30default_config_static_selectorELNS0_4arch9wavefront6targetE1EEEvSD_.uses_flat_scratch, 0
	.set _ZN7rocprim17ROCPRIM_400000_NS6detail17trampoline_kernelINS0_14default_configENS1_22reduce_config_selectorIhEEZNS1_11reduce_implILb1ES3_PhS7_h11plus_mod_10IhEEE10hipError_tPvRmT1_T2_T3_mT4_P12ihipStream_tbEUlT_E0_NS1_11comp_targetILNS1_3genE0ELNS1_11target_archE4294967295ELNS1_3gpuE0ELNS1_3repE0EEENS1_30default_config_static_selectorELNS0_4arch9wavefront6targetE1EEEvSD_.has_dyn_sized_stack, 0
	.set _ZN7rocprim17ROCPRIM_400000_NS6detail17trampoline_kernelINS0_14default_configENS1_22reduce_config_selectorIhEEZNS1_11reduce_implILb1ES3_PhS7_h11plus_mod_10IhEEE10hipError_tPvRmT1_T2_T3_mT4_P12ihipStream_tbEUlT_E0_NS1_11comp_targetILNS1_3genE0ELNS1_11target_archE4294967295ELNS1_3gpuE0ELNS1_3repE0EEENS1_30default_config_static_selectorELNS0_4arch9wavefront6targetE1EEEvSD_.has_recursion, 0
	.set _ZN7rocprim17ROCPRIM_400000_NS6detail17trampoline_kernelINS0_14default_configENS1_22reduce_config_selectorIhEEZNS1_11reduce_implILb1ES3_PhS7_h11plus_mod_10IhEEE10hipError_tPvRmT1_T2_T3_mT4_P12ihipStream_tbEUlT_E0_NS1_11comp_targetILNS1_3genE0ELNS1_11target_archE4294967295ELNS1_3gpuE0ELNS1_3repE0EEENS1_30default_config_static_selectorELNS0_4arch9wavefront6targetE1EEEvSD_.has_indirect_call, 0
	.section	.AMDGPU.csdata,"",@progbits
; Kernel info:
; codeLenInByte = 5172
; TotalNumSgprs: 54
; NumVgprs: 35
; NumAgprs: 0
; TotalNumVgprs: 35
; ScratchSize: 0
; MemoryBound: 0
; FloatMode: 240
; IeeeMode: 1
; LDSByteSize: 8 bytes/workgroup (compile time only)
; SGPRBlocks: 6
; VGPRBlocks: 4
; NumSGPRsForWavesPerEU: 54
; NumVGPRsForWavesPerEU: 35
; AccumOffset: 36
; Occupancy: 8
; WaveLimiterHint : 1
; COMPUTE_PGM_RSRC2:SCRATCH_EN: 0
; COMPUTE_PGM_RSRC2:USER_SGPR: 2
; COMPUTE_PGM_RSRC2:TRAP_HANDLER: 0
; COMPUTE_PGM_RSRC2:TGID_X_EN: 1
; COMPUTE_PGM_RSRC2:TGID_Y_EN: 0
; COMPUTE_PGM_RSRC2:TGID_Z_EN: 0
; COMPUTE_PGM_RSRC2:TIDIG_COMP_CNT: 0
; COMPUTE_PGM_RSRC3_GFX90A:ACCUM_OFFSET: 8
; COMPUTE_PGM_RSRC3_GFX90A:TG_SPLIT: 0
	.section	.text._ZN7rocprim17ROCPRIM_400000_NS6detail17trampoline_kernelINS0_14default_configENS1_22reduce_config_selectorIhEEZNS1_11reduce_implILb1ES3_PhS7_h11plus_mod_10IhEEE10hipError_tPvRmT1_T2_T3_mT4_P12ihipStream_tbEUlT_E0_NS1_11comp_targetILNS1_3genE5ELNS1_11target_archE942ELNS1_3gpuE9ELNS1_3repE0EEENS1_30default_config_static_selectorELNS0_4arch9wavefront6targetE1EEEvSD_,"axG",@progbits,_ZN7rocprim17ROCPRIM_400000_NS6detail17trampoline_kernelINS0_14default_configENS1_22reduce_config_selectorIhEEZNS1_11reduce_implILb1ES3_PhS7_h11plus_mod_10IhEEE10hipError_tPvRmT1_T2_T3_mT4_P12ihipStream_tbEUlT_E0_NS1_11comp_targetILNS1_3genE5ELNS1_11target_archE942ELNS1_3gpuE9ELNS1_3repE0EEENS1_30default_config_static_selectorELNS0_4arch9wavefront6targetE1EEEvSD_,comdat
	.protected	_ZN7rocprim17ROCPRIM_400000_NS6detail17trampoline_kernelINS0_14default_configENS1_22reduce_config_selectorIhEEZNS1_11reduce_implILb1ES3_PhS7_h11plus_mod_10IhEEE10hipError_tPvRmT1_T2_T3_mT4_P12ihipStream_tbEUlT_E0_NS1_11comp_targetILNS1_3genE5ELNS1_11target_archE942ELNS1_3gpuE9ELNS1_3repE0EEENS1_30default_config_static_selectorELNS0_4arch9wavefront6targetE1EEEvSD_ ; -- Begin function _ZN7rocprim17ROCPRIM_400000_NS6detail17trampoline_kernelINS0_14default_configENS1_22reduce_config_selectorIhEEZNS1_11reduce_implILb1ES3_PhS7_h11plus_mod_10IhEEE10hipError_tPvRmT1_T2_T3_mT4_P12ihipStream_tbEUlT_E0_NS1_11comp_targetILNS1_3genE5ELNS1_11target_archE942ELNS1_3gpuE9ELNS1_3repE0EEENS1_30default_config_static_selectorELNS0_4arch9wavefront6targetE1EEEvSD_
	.globl	_ZN7rocprim17ROCPRIM_400000_NS6detail17trampoline_kernelINS0_14default_configENS1_22reduce_config_selectorIhEEZNS1_11reduce_implILb1ES3_PhS7_h11plus_mod_10IhEEE10hipError_tPvRmT1_T2_T3_mT4_P12ihipStream_tbEUlT_E0_NS1_11comp_targetILNS1_3genE5ELNS1_11target_archE942ELNS1_3gpuE9ELNS1_3repE0EEENS1_30default_config_static_selectorELNS0_4arch9wavefront6targetE1EEEvSD_
	.p2align	8
	.type	_ZN7rocprim17ROCPRIM_400000_NS6detail17trampoline_kernelINS0_14default_configENS1_22reduce_config_selectorIhEEZNS1_11reduce_implILb1ES3_PhS7_h11plus_mod_10IhEEE10hipError_tPvRmT1_T2_T3_mT4_P12ihipStream_tbEUlT_E0_NS1_11comp_targetILNS1_3genE5ELNS1_11target_archE942ELNS1_3gpuE9ELNS1_3repE0EEENS1_30default_config_static_selectorELNS0_4arch9wavefront6targetE1EEEvSD_,@function
_ZN7rocprim17ROCPRIM_400000_NS6detail17trampoline_kernelINS0_14default_configENS1_22reduce_config_selectorIhEEZNS1_11reduce_implILb1ES3_PhS7_h11plus_mod_10IhEEE10hipError_tPvRmT1_T2_T3_mT4_P12ihipStream_tbEUlT_E0_NS1_11comp_targetILNS1_3genE5ELNS1_11target_archE942ELNS1_3gpuE9ELNS1_3repE0EEENS1_30default_config_static_selectorELNS0_4arch9wavefront6targetE1EEEvSD_: ; @_ZN7rocprim17ROCPRIM_400000_NS6detail17trampoline_kernelINS0_14default_configENS1_22reduce_config_selectorIhEEZNS1_11reduce_implILb1ES3_PhS7_h11plus_mod_10IhEEE10hipError_tPvRmT1_T2_T3_mT4_P12ihipStream_tbEUlT_E0_NS1_11comp_targetILNS1_3genE5ELNS1_11target_archE942ELNS1_3gpuE9ELNS1_3repE0EEENS1_30default_config_static_selectorELNS0_4arch9wavefront6targetE1EEEvSD_
; %bb.0:
	.section	.rodata,"a",@progbits
	.p2align	6, 0x0
	.amdhsa_kernel _ZN7rocprim17ROCPRIM_400000_NS6detail17trampoline_kernelINS0_14default_configENS1_22reduce_config_selectorIhEEZNS1_11reduce_implILb1ES3_PhS7_h11plus_mod_10IhEEE10hipError_tPvRmT1_T2_T3_mT4_P12ihipStream_tbEUlT_E0_NS1_11comp_targetILNS1_3genE5ELNS1_11target_archE942ELNS1_3gpuE9ELNS1_3repE0EEENS1_30default_config_static_selectorELNS0_4arch9wavefront6targetE1EEEvSD_
		.amdhsa_group_segment_fixed_size 0
		.amdhsa_private_segment_fixed_size 0
		.amdhsa_kernarg_size 56
		.amdhsa_user_sgpr_count 2
		.amdhsa_user_sgpr_dispatch_ptr 0
		.amdhsa_user_sgpr_queue_ptr 0
		.amdhsa_user_sgpr_kernarg_segment_ptr 1
		.amdhsa_user_sgpr_dispatch_id 0
		.amdhsa_user_sgpr_kernarg_preload_length 0
		.amdhsa_user_sgpr_kernarg_preload_offset 0
		.amdhsa_user_sgpr_private_segment_size 0
		.amdhsa_uses_dynamic_stack 0
		.amdhsa_enable_private_segment 0
		.amdhsa_system_sgpr_workgroup_id_x 1
		.amdhsa_system_sgpr_workgroup_id_y 0
		.amdhsa_system_sgpr_workgroup_id_z 0
		.amdhsa_system_sgpr_workgroup_info 0
		.amdhsa_system_vgpr_workitem_id 0
		.amdhsa_next_free_vgpr 1
		.amdhsa_next_free_sgpr 0
		.amdhsa_accum_offset 4
		.amdhsa_reserve_vcc 0
		.amdhsa_float_round_mode_32 0
		.amdhsa_float_round_mode_16_64 0
		.amdhsa_float_denorm_mode_32 3
		.amdhsa_float_denorm_mode_16_64 3
		.amdhsa_dx10_clamp 1
		.amdhsa_ieee_mode 1
		.amdhsa_fp16_overflow 0
		.amdhsa_tg_split 0
		.amdhsa_exception_fp_ieee_invalid_op 0
		.amdhsa_exception_fp_denorm_src 0
		.amdhsa_exception_fp_ieee_div_zero 0
		.amdhsa_exception_fp_ieee_overflow 0
		.amdhsa_exception_fp_ieee_underflow 0
		.amdhsa_exception_fp_ieee_inexact 0
		.amdhsa_exception_int_div_zero 0
	.end_amdhsa_kernel
	.section	.text._ZN7rocprim17ROCPRIM_400000_NS6detail17trampoline_kernelINS0_14default_configENS1_22reduce_config_selectorIhEEZNS1_11reduce_implILb1ES3_PhS7_h11plus_mod_10IhEEE10hipError_tPvRmT1_T2_T3_mT4_P12ihipStream_tbEUlT_E0_NS1_11comp_targetILNS1_3genE5ELNS1_11target_archE942ELNS1_3gpuE9ELNS1_3repE0EEENS1_30default_config_static_selectorELNS0_4arch9wavefront6targetE1EEEvSD_,"axG",@progbits,_ZN7rocprim17ROCPRIM_400000_NS6detail17trampoline_kernelINS0_14default_configENS1_22reduce_config_selectorIhEEZNS1_11reduce_implILb1ES3_PhS7_h11plus_mod_10IhEEE10hipError_tPvRmT1_T2_T3_mT4_P12ihipStream_tbEUlT_E0_NS1_11comp_targetILNS1_3genE5ELNS1_11target_archE942ELNS1_3gpuE9ELNS1_3repE0EEENS1_30default_config_static_selectorELNS0_4arch9wavefront6targetE1EEEvSD_,comdat
.Lfunc_end658:
	.size	_ZN7rocprim17ROCPRIM_400000_NS6detail17trampoline_kernelINS0_14default_configENS1_22reduce_config_selectorIhEEZNS1_11reduce_implILb1ES3_PhS7_h11plus_mod_10IhEEE10hipError_tPvRmT1_T2_T3_mT4_P12ihipStream_tbEUlT_E0_NS1_11comp_targetILNS1_3genE5ELNS1_11target_archE942ELNS1_3gpuE9ELNS1_3repE0EEENS1_30default_config_static_selectorELNS0_4arch9wavefront6targetE1EEEvSD_, .Lfunc_end658-_ZN7rocprim17ROCPRIM_400000_NS6detail17trampoline_kernelINS0_14default_configENS1_22reduce_config_selectorIhEEZNS1_11reduce_implILb1ES3_PhS7_h11plus_mod_10IhEEE10hipError_tPvRmT1_T2_T3_mT4_P12ihipStream_tbEUlT_E0_NS1_11comp_targetILNS1_3genE5ELNS1_11target_archE942ELNS1_3gpuE9ELNS1_3repE0EEENS1_30default_config_static_selectorELNS0_4arch9wavefront6targetE1EEEvSD_
                                        ; -- End function
	.set _ZN7rocprim17ROCPRIM_400000_NS6detail17trampoline_kernelINS0_14default_configENS1_22reduce_config_selectorIhEEZNS1_11reduce_implILb1ES3_PhS7_h11plus_mod_10IhEEE10hipError_tPvRmT1_T2_T3_mT4_P12ihipStream_tbEUlT_E0_NS1_11comp_targetILNS1_3genE5ELNS1_11target_archE942ELNS1_3gpuE9ELNS1_3repE0EEENS1_30default_config_static_selectorELNS0_4arch9wavefront6targetE1EEEvSD_.num_vgpr, 0
	.set _ZN7rocprim17ROCPRIM_400000_NS6detail17trampoline_kernelINS0_14default_configENS1_22reduce_config_selectorIhEEZNS1_11reduce_implILb1ES3_PhS7_h11plus_mod_10IhEEE10hipError_tPvRmT1_T2_T3_mT4_P12ihipStream_tbEUlT_E0_NS1_11comp_targetILNS1_3genE5ELNS1_11target_archE942ELNS1_3gpuE9ELNS1_3repE0EEENS1_30default_config_static_selectorELNS0_4arch9wavefront6targetE1EEEvSD_.num_agpr, 0
	.set _ZN7rocprim17ROCPRIM_400000_NS6detail17trampoline_kernelINS0_14default_configENS1_22reduce_config_selectorIhEEZNS1_11reduce_implILb1ES3_PhS7_h11plus_mod_10IhEEE10hipError_tPvRmT1_T2_T3_mT4_P12ihipStream_tbEUlT_E0_NS1_11comp_targetILNS1_3genE5ELNS1_11target_archE942ELNS1_3gpuE9ELNS1_3repE0EEENS1_30default_config_static_selectorELNS0_4arch9wavefront6targetE1EEEvSD_.numbered_sgpr, 0
	.set _ZN7rocprim17ROCPRIM_400000_NS6detail17trampoline_kernelINS0_14default_configENS1_22reduce_config_selectorIhEEZNS1_11reduce_implILb1ES3_PhS7_h11plus_mod_10IhEEE10hipError_tPvRmT1_T2_T3_mT4_P12ihipStream_tbEUlT_E0_NS1_11comp_targetILNS1_3genE5ELNS1_11target_archE942ELNS1_3gpuE9ELNS1_3repE0EEENS1_30default_config_static_selectorELNS0_4arch9wavefront6targetE1EEEvSD_.num_named_barrier, 0
	.set _ZN7rocprim17ROCPRIM_400000_NS6detail17trampoline_kernelINS0_14default_configENS1_22reduce_config_selectorIhEEZNS1_11reduce_implILb1ES3_PhS7_h11plus_mod_10IhEEE10hipError_tPvRmT1_T2_T3_mT4_P12ihipStream_tbEUlT_E0_NS1_11comp_targetILNS1_3genE5ELNS1_11target_archE942ELNS1_3gpuE9ELNS1_3repE0EEENS1_30default_config_static_selectorELNS0_4arch9wavefront6targetE1EEEvSD_.private_seg_size, 0
	.set _ZN7rocprim17ROCPRIM_400000_NS6detail17trampoline_kernelINS0_14default_configENS1_22reduce_config_selectorIhEEZNS1_11reduce_implILb1ES3_PhS7_h11plus_mod_10IhEEE10hipError_tPvRmT1_T2_T3_mT4_P12ihipStream_tbEUlT_E0_NS1_11comp_targetILNS1_3genE5ELNS1_11target_archE942ELNS1_3gpuE9ELNS1_3repE0EEENS1_30default_config_static_selectorELNS0_4arch9wavefront6targetE1EEEvSD_.uses_vcc, 0
	.set _ZN7rocprim17ROCPRIM_400000_NS6detail17trampoline_kernelINS0_14default_configENS1_22reduce_config_selectorIhEEZNS1_11reduce_implILb1ES3_PhS7_h11plus_mod_10IhEEE10hipError_tPvRmT1_T2_T3_mT4_P12ihipStream_tbEUlT_E0_NS1_11comp_targetILNS1_3genE5ELNS1_11target_archE942ELNS1_3gpuE9ELNS1_3repE0EEENS1_30default_config_static_selectorELNS0_4arch9wavefront6targetE1EEEvSD_.uses_flat_scratch, 0
	.set _ZN7rocprim17ROCPRIM_400000_NS6detail17trampoline_kernelINS0_14default_configENS1_22reduce_config_selectorIhEEZNS1_11reduce_implILb1ES3_PhS7_h11plus_mod_10IhEEE10hipError_tPvRmT1_T2_T3_mT4_P12ihipStream_tbEUlT_E0_NS1_11comp_targetILNS1_3genE5ELNS1_11target_archE942ELNS1_3gpuE9ELNS1_3repE0EEENS1_30default_config_static_selectorELNS0_4arch9wavefront6targetE1EEEvSD_.has_dyn_sized_stack, 0
	.set _ZN7rocprim17ROCPRIM_400000_NS6detail17trampoline_kernelINS0_14default_configENS1_22reduce_config_selectorIhEEZNS1_11reduce_implILb1ES3_PhS7_h11plus_mod_10IhEEE10hipError_tPvRmT1_T2_T3_mT4_P12ihipStream_tbEUlT_E0_NS1_11comp_targetILNS1_3genE5ELNS1_11target_archE942ELNS1_3gpuE9ELNS1_3repE0EEENS1_30default_config_static_selectorELNS0_4arch9wavefront6targetE1EEEvSD_.has_recursion, 0
	.set _ZN7rocprim17ROCPRIM_400000_NS6detail17trampoline_kernelINS0_14default_configENS1_22reduce_config_selectorIhEEZNS1_11reduce_implILb1ES3_PhS7_h11plus_mod_10IhEEE10hipError_tPvRmT1_T2_T3_mT4_P12ihipStream_tbEUlT_E0_NS1_11comp_targetILNS1_3genE5ELNS1_11target_archE942ELNS1_3gpuE9ELNS1_3repE0EEENS1_30default_config_static_selectorELNS0_4arch9wavefront6targetE1EEEvSD_.has_indirect_call, 0
	.section	.AMDGPU.csdata,"",@progbits
; Kernel info:
; codeLenInByte = 0
; TotalNumSgprs: 6
; NumVgprs: 0
; NumAgprs: 0
; TotalNumVgprs: 0
; ScratchSize: 0
; MemoryBound: 0
; FloatMode: 240
; IeeeMode: 1
; LDSByteSize: 0 bytes/workgroup (compile time only)
; SGPRBlocks: 0
; VGPRBlocks: 0
; NumSGPRsForWavesPerEU: 6
; NumVGPRsForWavesPerEU: 1
; AccumOffset: 4
; Occupancy: 8
; WaveLimiterHint : 0
; COMPUTE_PGM_RSRC2:SCRATCH_EN: 0
; COMPUTE_PGM_RSRC2:USER_SGPR: 2
; COMPUTE_PGM_RSRC2:TRAP_HANDLER: 0
; COMPUTE_PGM_RSRC2:TGID_X_EN: 1
; COMPUTE_PGM_RSRC2:TGID_Y_EN: 0
; COMPUTE_PGM_RSRC2:TGID_Z_EN: 0
; COMPUTE_PGM_RSRC2:TIDIG_COMP_CNT: 0
; COMPUTE_PGM_RSRC3_GFX90A:ACCUM_OFFSET: 0
; COMPUTE_PGM_RSRC3_GFX90A:TG_SPLIT: 0
	.section	.text._ZN7rocprim17ROCPRIM_400000_NS6detail17trampoline_kernelINS0_14default_configENS1_22reduce_config_selectorIhEEZNS1_11reduce_implILb1ES3_PhS7_h11plus_mod_10IhEEE10hipError_tPvRmT1_T2_T3_mT4_P12ihipStream_tbEUlT_E0_NS1_11comp_targetILNS1_3genE4ELNS1_11target_archE910ELNS1_3gpuE8ELNS1_3repE0EEENS1_30default_config_static_selectorELNS0_4arch9wavefront6targetE1EEEvSD_,"axG",@progbits,_ZN7rocprim17ROCPRIM_400000_NS6detail17trampoline_kernelINS0_14default_configENS1_22reduce_config_selectorIhEEZNS1_11reduce_implILb1ES3_PhS7_h11plus_mod_10IhEEE10hipError_tPvRmT1_T2_T3_mT4_P12ihipStream_tbEUlT_E0_NS1_11comp_targetILNS1_3genE4ELNS1_11target_archE910ELNS1_3gpuE8ELNS1_3repE0EEENS1_30default_config_static_selectorELNS0_4arch9wavefront6targetE1EEEvSD_,comdat
	.protected	_ZN7rocprim17ROCPRIM_400000_NS6detail17trampoline_kernelINS0_14default_configENS1_22reduce_config_selectorIhEEZNS1_11reduce_implILb1ES3_PhS7_h11plus_mod_10IhEEE10hipError_tPvRmT1_T2_T3_mT4_P12ihipStream_tbEUlT_E0_NS1_11comp_targetILNS1_3genE4ELNS1_11target_archE910ELNS1_3gpuE8ELNS1_3repE0EEENS1_30default_config_static_selectorELNS0_4arch9wavefront6targetE1EEEvSD_ ; -- Begin function _ZN7rocprim17ROCPRIM_400000_NS6detail17trampoline_kernelINS0_14default_configENS1_22reduce_config_selectorIhEEZNS1_11reduce_implILb1ES3_PhS7_h11plus_mod_10IhEEE10hipError_tPvRmT1_T2_T3_mT4_P12ihipStream_tbEUlT_E0_NS1_11comp_targetILNS1_3genE4ELNS1_11target_archE910ELNS1_3gpuE8ELNS1_3repE0EEENS1_30default_config_static_selectorELNS0_4arch9wavefront6targetE1EEEvSD_
	.globl	_ZN7rocprim17ROCPRIM_400000_NS6detail17trampoline_kernelINS0_14default_configENS1_22reduce_config_selectorIhEEZNS1_11reduce_implILb1ES3_PhS7_h11plus_mod_10IhEEE10hipError_tPvRmT1_T2_T3_mT4_P12ihipStream_tbEUlT_E0_NS1_11comp_targetILNS1_3genE4ELNS1_11target_archE910ELNS1_3gpuE8ELNS1_3repE0EEENS1_30default_config_static_selectorELNS0_4arch9wavefront6targetE1EEEvSD_
	.p2align	8
	.type	_ZN7rocprim17ROCPRIM_400000_NS6detail17trampoline_kernelINS0_14default_configENS1_22reduce_config_selectorIhEEZNS1_11reduce_implILb1ES3_PhS7_h11plus_mod_10IhEEE10hipError_tPvRmT1_T2_T3_mT4_P12ihipStream_tbEUlT_E0_NS1_11comp_targetILNS1_3genE4ELNS1_11target_archE910ELNS1_3gpuE8ELNS1_3repE0EEENS1_30default_config_static_selectorELNS0_4arch9wavefront6targetE1EEEvSD_,@function
_ZN7rocprim17ROCPRIM_400000_NS6detail17trampoline_kernelINS0_14default_configENS1_22reduce_config_selectorIhEEZNS1_11reduce_implILb1ES3_PhS7_h11plus_mod_10IhEEE10hipError_tPvRmT1_T2_T3_mT4_P12ihipStream_tbEUlT_E0_NS1_11comp_targetILNS1_3genE4ELNS1_11target_archE910ELNS1_3gpuE8ELNS1_3repE0EEENS1_30default_config_static_selectorELNS0_4arch9wavefront6targetE1EEEvSD_: ; @_ZN7rocprim17ROCPRIM_400000_NS6detail17trampoline_kernelINS0_14default_configENS1_22reduce_config_selectorIhEEZNS1_11reduce_implILb1ES3_PhS7_h11plus_mod_10IhEEE10hipError_tPvRmT1_T2_T3_mT4_P12ihipStream_tbEUlT_E0_NS1_11comp_targetILNS1_3genE4ELNS1_11target_archE910ELNS1_3gpuE8ELNS1_3repE0EEENS1_30default_config_static_selectorELNS0_4arch9wavefront6targetE1EEEvSD_
; %bb.0:
	.section	.rodata,"a",@progbits
	.p2align	6, 0x0
	.amdhsa_kernel _ZN7rocprim17ROCPRIM_400000_NS6detail17trampoline_kernelINS0_14default_configENS1_22reduce_config_selectorIhEEZNS1_11reduce_implILb1ES3_PhS7_h11plus_mod_10IhEEE10hipError_tPvRmT1_T2_T3_mT4_P12ihipStream_tbEUlT_E0_NS1_11comp_targetILNS1_3genE4ELNS1_11target_archE910ELNS1_3gpuE8ELNS1_3repE0EEENS1_30default_config_static_selectorELNS0_4arch9wavefront6targetE1EEEvSD_
		.amdhsa_group_segment_fixed_size 0
		.amdhsa_private_segment_fixed_size 0
		.amdhsa_kernarg_size 56
		.amdhsa_user_sgpr_count 2
		.amdhsa_user_sgpr_dispatch_ptr 0
		.amdhsa_user_sgpr_queue_ptr 0
		.amdhsa_user_sgpr_kernarg_segment_ptr 1
		.amdhsa_user_sgpr_dispatch_id 0
		.amdhsa_user_sgpr_kernarg_preload_length 0
		.amdhsa_user_sgpr_kernarg_preload_offset 0
		.amdhsa_user_sgpr_private_segment_size 0
		.amdhsa_uses_dynamic_stack 0
		.amdhsa_enable_private_segment 0
		.amdhsa_system_sgpr_workgroup_id_x 1
		.amdhsa_system_sgpr_workgroup_id_y 0
		.amdhsa_system_sgpr_workgroup_id_z 0
		.amdhsa_system_sgpr_workgroup_info 0
		.amdhsa_system_vgpr_workitem_id 0
		.amdhsa_next_free_vgpr 1
		.amdhsa_next_free_sgpr 0
		.amdhsa_accum_offset 4
		.amdhsa_reserve_vcc 0
		.amdhsa_float_round_mode_32 0
		.amdhsa_float_round_mode_16_64 0
		.amdhsa_float_denorm_mode_32 3
		.amdhsa_float_denorm_mode_16_64 3
		.amdhsa_dx10_clamp 1
		.amdhsa_ieee_mode 1
		.amdhsa_fp16_overflow 0
		.amdhsa_tg_split 0
		.amdhsa_exception_fp_ieee_invalid_op 0
		.amdhsa_exception_fp_denorm_src 0
		.amdhsa_exception_fp_ieee_div_zero 0
		.amdhsa_exception_fp_ieee_overflow 0
		.amdhsa_exception_fp_ieee_underflow 0
		.amdhsa_exception_fp_ieee_inexact 0
		.amdhsa_exception_int_div_zero 0
	.end_amdhsa_kernel
	.section	.text._ZN7rocprim17ROCPRIM_400000_NS6detail17trampoline_kernelINS0_14default_configENS1_22reduce_config_selectorIhEEZNS1_11reduce_implILb1ES3_PhS7_h11plus_mod_10IhEEE10hipError_tPvRmT1_T2_T3_mT4_P12ihipStream_tbEUlT_E0_NS1_11comp_targetILNS1_3genE4ELNS1_11target_archE910ELNS1_3gpuE8ELNS1_3repE0EEENS1_30default_config_static_selectorELNS0_4arch9wavefront6targetE1EEEvSD_,"axG",@progbits,_ZN7rocprim17ROCPRIM_400000_NS6detail17trampoline_kernelINS0_14default_configENS1_22reduce_config_selectorIhEEZNS1_11reduce_implILb1ES3_PhS7_h11plus_mod_10IhEEE10hipError_tPvRmT1_T2_T3_mT4_P12ihipStream_tbEUlT_E0_NS1_11comp_targetILNS1_3genE4ELNS1_11target_archE910ELNS1_3gpuE8ELNS1_3repE0EEENS1_30default_config_static_selectorELNS0_4arch9wavefront6targetE1EEEvSD_,comdat
.Lfunc_end659:
	.size	_ZN7rocprim17ROCPRIM_400000_NS6detail17trampoline_kernelINS0_14default_configENS1_22reduce_config_selectorIhEEZNS1_11reduce_implILb1ES3_PhS7_h11plus_mod_10IhEEE10hipError_tPvRmT1_T2_T3_mT4_P12ihipStream_tbEUlT_E0_NS1_11comp_targetILNS1_3genE4ELNS1_11target_archE910ELNS1_3gpuE8ELNS1_3repE0EEENS1_30default_config_static_selectorELNS0_4arch9wavefront6targetE1EEEvSD_, .Lfunc_end659-_ZN7rocprim17ROCPRIM_400000_NS6detail17trampoline_kernelINS0_14default_configENS1_22reduce_config_selectorIhEEZNS1_11reduce_implILb1ES3_PhS7_h11plus_mod_10IhEEE10hipError_tPvRmT1_T2_T3_mT4_P12ihipStream_tbEUlT_E0_NS1_11comp_targetILNS1_3genE4ELNS1_11target_archE910ELNS1_3gpuE8ELNS1_3repE0EEENS1_30default_config_static_selectorELNS0_4arch9wavefront6targetE1EEEvSD_
                                        ; -- End function
	.set _ZN7rocprim17ROCPRIM_400000_NS6detail17trampoline_kernelINS0_14default_configENS1_22reduce_config_selectorIhEEZNS1_11reduce_implILb1ES3_PhS7_h11plus_mod_10IhEEE10hipError_tPvRmT1_T2_T3_mT4_P12ihipStream_tbEUlT_E0_NS1_11comp_targetILNS1_3genE4ELNS1_11target_archE910ELNS1_3gpuE8ELNS1_3repE0EEENS1_30default_config_static_selectorELNS0_4arch9wavefront6targetE1EEEvSD_.num_vgpr, 0
	.set _ZN7rocprim17ROCPRIM_400000_NS6detail17trampoline_kernelINS0_14default_configENS1_22reduce_config_selectorIhEEZNS1_11reduce_implILb1ES3_PhS7_h11plus_mod_10IhEEE10hipError_tPvRmT1_T2_T3_mT4_P12ihipStream_tbEUlT_E0_NS1_11comp_targetILNS1_3genE4ELNS1_11target_archE910ELNS1_3gpuE8ELNS1_3repE0EEENS1_30default_config_static_selectorELNS0_4arch9wavefront6targetE1EEEvSD_.num_agpr, 0
	.set _ZN7rocprim17ROCPRIM_400000_NS6detail17trampoline_kernelINS0_14default_configENS1_22reduce_config_selectorIhEEZNS1_11reduce_implILb1ES3_PhS7_h11plus_mod_10IhEEE10hipError_tPvRmT1_T2_T3_mT4_P12ihipStream_tbEUlT_E0_NS1_11comp_targetILNS1_3genE4ELNS1_11target_archE910ELNS1_3gpuE8ELNS1_3repE0EEENS1_30default_config_static_selectorELNS0_4arch9wavefront6targetE1EEEvSD_.numbered_sgpr, 0
	.set _ZN7rocprim17ROCPRIM_400000_NS6detail17trampoline_kernelINS0_14default_configENS1_22reduce_config_selectorIhEEZNS1_11reduce_implILb1ES3_PhS7_h11plus_mod_10IhEEE10hipError_tPvRmT1_T2_T3_mT4_P12ihipStream_tbEUlT_E0_NS1_11comp_targetILNS1_3genE4ELNS1_11target_archE910ELNS1_3gpuE8ELNS1_3repE0EEENS1_30default_config_static_selectorELNS0_4arch9wavefront6targetE1EEEvSD_.num_named_barrier, 0
	.set _ZN7rocprim17ROCPRIM_400000_NS6detail17trampoline_kernelINS0_14default_configENS1_22reduce_config_selectorIhEEZNS1_11reduce_implILb1ES3_PhS7_h11plus_mod_10IhEEE10hipError_tPvRmT1_T2_T3_mT4_P12ihipStream_tbEUlT_E0_NS1_11comp_targetILNS1_3genE4ELNS1_11target_archE910ELNS1_3gpuE8ELNS1_3repE0EEENS1_30default_config_static_selectorELNS0_4arch9wavefront6targetE1EEEvSD_.private_seg_size, 0
	.set _ZN7rocprim17ROCPRIM_400000_NS6detail17trampoline_kernelINS0_14default_configENS1_22reduce_config_selectorIhEEZNS1_11reduce_implILb1ES3_PhS7_h11plus_mod_10IhEEE10hipError_tPvRmT1_T2_T3_mT4_P12ihipStream_tbEUlT_E0_NS1_11comp_targetILNS1_3genE4ELNS1_11target_archE910ELNS1_3gpuE8ELNS1_3repE0EEENS1_30default_config_static_selectorELNS0_4arch9wavefront6targetE1EEEvSD_.uses_vcc, 0
	.set _ZN7rocprim17ROCPRIM_400000_NS6detail17trampoline_kernelINS0_14default_configENS1_22reduce_config_selectorIhEEZNS1_11reduce_implILb1ES3_PhS7_h11plus_mod_10IhEEE10hipError_tPvRmT1_T2_T3_mT4_P12ihipStream_tbEUlT_E0_NS1_11comp_targetILNS1_3genE4ELNS1_11target_archE910ELNS1_3gpuE8ELNS1_3repE0EEENS1_30default_config_static_selectorELNS0_4arch9wavefront6targetE1EEEvSD_.uses_flat_scratch, 0
	.set _ZN7rocprim17ROCPRIM_400000_NS6detail17trampoline_kernelINS0_14default_configENS1_22reduce_config_selectorIhEEZNS1_11reduce_implILb1ES3_PhS7_h11plus_mod_10IhEEE10hipError_tPvRmT1_T2_T3_mT4_P12ihipStream_tbEUlT_E0_NS1_11comp_targetILNS1_3genE4ELNS1_11target_archE910ELNS1_3gpuE8ELNS1_3repE0EEENS1_30default_config_static_selectorELNS0_4arch9wavefront6targetE1EEEvSD_.has_dyn_sized_stack, 0
	.set _ZN7rocprim17ROCPRIM_400000_NS6detail17trampoline_kernelINS0_14default_configENS1_22reduce_config_selectorIhEEZNS1_11reduce_implILb1ES3_PhS7_h11plus_mod_10IhEEE10hipError_tPvRmT1_T2_T3_mT4_P12ihipStream_tbEUlT_E0_NS1_11comp_targetILNS1_3genE4ELNS1_11target_archE910ELNS1_3gpuE8ELNS1_3repE0EEENS1_30default_config_static_selectorELNS0_4arch9wavefront6targetE1EEEvSD_.has_recursion, 0
	.set _ZN7rocprim17ROCPRIM_400000_NS6detail17trampoline_kernelINS0_14default_configENS1_22reduce_config_selectorIhEEZNS1_11reduce_implILb1ES3_PhS7_h11plus_mod_10IhEEE10hipError_tPvRmT1_T2_T3_mT4_P12ihipStream_tbEUlT_E0_NS1_11comp_targetILNS1_3genE4ELNS1_11target_archE910ELNS1_3gpuE8ELNS1_3repE0EEENS1_30default_config_static_selectorELNS0_4arch9wavefront6targetE1EEEvSD_.has_indirect_call, 0
	.section	.AMDGPU.csdata,"",@progbits
; Kernel info:
; codeLenInByte = 0
; TotalNumSgprs: 6
; NumVgprs: 0
; NumAgprs: 0
; TotalNumVgprs: 0
; ScratchSize: 0
; MemoryBound: 0
; FloatMode: 240
; IeeeMode: 1
; LDSByteSize: 0 bytes/workgroup (compile time only)
; SGPRBlocks: 0
; VGPRBlocks: 0
; NumSGPRsForWavesPerEU: 6
; NumVGPRsForWavesPerEU: 1
; AccumOffset: 4
; Occupancy: 8
; WaveLimiterHint : 0
; COMPUTE_PGM_RSRC2:SCRATCH_EN: 0
; COMPUTE_PGM_RSRC2:USER_SGPR: 2
; COMPUTE_PGM_RSRC2:TRAP_HANDLER: 0
; COMPUTE_PGM_RSRC2:TGID_X_EN: 1
; COMPUTE_PGM_RSRC2:TGID_Y_EN: 0
; COMPUTE_PGM_RSRC2:TGID_Z_EN: 0
; COMPUTE_PGM_RSRC2:TIDIG_COMP_CNT: 0
; COMPUTE_PGM_RSRC3_GFX90A:ACCUM_OFFSET: 0
; COMPUTE_PGM_RSRC3_GFX90A:TG_SPLIT: 0
	.section	.text._ZN7rocprim17ROCPRIM_400000_NS6detail17trampoline_kernelINS0_14default_configENS1_22reduce_config_selectorIhEEZNS1_11reduce_implILb1ES3_PhS7_h11plus_mod_10IhEEE10hipError_tPvRmT1_T2_T3_mT4_P12ihipStream_tbEUlT_E0_NS1_11comp_targetILNS1_3genE3ELNS1_11target_archE908ELNS1_3gpuE7ELNS1_3repE0EEENS1_30default_config_static_selectorELNS0_4arch9wavefront6targetE1EEEvSD_,"axG",@progbits,_ZN7rocprim17ROCPRIM_400000_NS6detail17trampoline_kernelINS0_14default_configENS1_22reduce_config_selectorIhEEZNS1_11reduce_implILb1ES3_PhS7_h11plus_mod_10IhEEE10hipError_tPvRmT1_T2_T3_mT4_P12ihipStream_tbEUlT_E0_NS1_11comp_targetILNS1_3genE3ELNS1_11target_archE908ELNS1_3gpuE7ELNS1_3repE0EEENS1_30default_config_static_selectorELNS0_4arch9wavefront6targetE1EEEvSD_,comdat
	.protected	_ZN7rocprim17ROCPRIM_400000_NS6detail17trampoline_kernelINS0_14default_configENS1_22reduce_config_selectorIhEEZNS1_11reduce_implILb1ES3_PhS7_h11plus_mod_10IhEEE10hipError_tPvRmT1_T2_T3_mT4_P12ihipStream_tbEUlT_E0_NS1_11comp_targetILNS1_3genE3ELNS1_11target_archE908ELNS1_3gpuE7ELNS1_3repE0EEENS1_30default_config_static_selectorELNS0_4arch9wavefront6targetE1EEEvSD_ ; -- Begin function _ZN7rocprim17ROCPRIM_400000_NS6detail17trampoline_kernelINS0_14default_configENS1_22reduce_config_selectorIhEEZNS1_11reduce_implILb1ES3_PhS7_h11plus_mod_10IhEEE10hipError_tPvRmT1_T2_T3_mT4_P12ihipStream_tbEUlT_E0_NS1_11comp_targetILNS1_3genE3ELNS1_11target_archE908ELNS1_3gpuE7ELNS1_3repE0EEENS1_30default_config_static_selectorELNS0_4arch9wavefront6targetE1EEEvSD_
	.globl	_ZN7rocprim17ROCPRIM_400000_NS6detail17trampoline_kernelINS0_14default_configENS1_22reduce_config_selectorIhEEZNS1_11reduce_implILb1ES3_PhS7_h11plus_mod_10IhEEE10hipError_tPvRmT1_T2_T3_mT4_P12ihipStream_tbEUlT_E0_NS1_11comp_targetILNS1_3genE3ELNS1_11target_archE908ELNS1_3gpuE7ELNS1_3repE0EEENS1_30default_config_static_selectorELNS0_4arch9wavefront6targetE1EEEvSD_
	.p2align	8
	.type	_ZN7rocprim17ROCPRIM_400000_NS6detail17trampoline_kernelINS0_14default_configENS1_22reduce_config_selectorIhEEZNS1_11reduce_implILb1ES3_PhS7_h11plus_mod_10IhEEE10hipError_tPvRmT1_T2_T3_mT4_P12ihipStream_tbEUlT_E0_NS1_11comp_targetILNS1_3genE3ELNS1_11target_archE908ELNS1_3gpuE7ELNS1_3repE0EEENS1_30default_config_static_selectorELNS0_4arch9wavefront6targetE1EEEvSD_,@function
_ZN7rocprim17ROCPRIM_400000_NS6detail17trampoline_kernelINS0_14default_configENS1_22reduce_config_selectorIhEEZNS1_11reduce_implILb1ES3_PhS7_h11plus_mod_10IhEEE10hipError_tPvRmT1_T2_T3_mT4_P12ihipStream_tbEUlT_E0_NS1_11comp_targetILNS1_3genE3ELNS1_11target_archE908ELNS1_3gpuE7ELNS1_3repE0EEENS1_30default_config_static_selectorELNS0_4arch9wavefront6targetE1EEEvSD_: ; @_ZN7rocprim17ROCPRIM_400000_NS6detail17trampoline_kernelINS0_14default_configENS1_22reduce_config_selectorIhEEZNS1_11reduce_implILb1ES3_PhS7_h11plus_mod_10IhEEE10hipError_tPvRmT1_T2_T3_mT4_P12ihipStream_tbEUlT_E0_NS1_11comp_targetILNS1_3genE3ELNS1_11target_archE908ELNS1_3gpuE7ELNS1_3repE0EEENS1_30default_config_static_selectorELNS0_4arch9wavefront6targetE1EEEvSD_
; %bb.0:
	.section	.rodata,"a",@progbits
	.p2align	6, 0x0
	.amdhsa_kernel _ZN7rocprim17ROCPRIM_400000_NS6detail17trampoline_kernelINS0_14default_configENS1_22reduce_config_selectorIhEEZNS1_11reduce_implILb1ES3_PhS7_h11plus_mod_10IhEEE10hipError_tPvRmT1_T2_T3_mT4_P12ihipStream_tbEUlT_E0_NS1_11comp_targetILNS1_3genE3ELNS1_11target_archE908ELNS1_3gpuE7ELNS1_3repE0EEENS1_30default_config_static_selectorELNS0_4arch9wavefront6targetE1EEEvSD_
		.amdhsa_group_segment_fixed_size 0
		.amdhsa_private_segment_fixed_size 0
		.amdhsa_kernarg_size 56
		.amdhsa_user_sgpr_count 2
		.amdhsa_user_sgpr_dispatch_ptr 0
		.amdhsa_user_sgpr_queue_ptr 0
		.amdhsa_user_sgpr_kernarg_segment_ptr 1
		.amdhsa_user_sgpr_dispatch_id 0
		.amdhsa_user_sgpr_kernarg_preload_length 0
		.amdhsa_user_sgpr_kernarg_preload_offset 0
		.amdhsa_user_sgpr_private_segment_size 0
		.amdhsa_uses_dynamic_stack 0
		.amdhsa_enable_private_segment 0
		.amdhsa_system_sgpr_workgroup_id_x 1
		.amdhsa_system_sgpr_workgroup_id_y 0
		.amdhsa_system_sgpr_workgroup_id_z 0
		.amdhsa_system_sgpr_workgroup_info 0
		.amdhsa_system_vgpr_workitem_id 0
		.amdhsa_next_free_vgpr 1
		.amdhsa_next_free_sgpr 0
		.amdhsa_accum_offset 4
		.amdhsa_reserve_vcc 0
		.amdhsa_float_round_mode_32 0
		.amdhsa_float_round_mode_16_64 0
		.amdhsa_float_denorm_mode_32 3
		.amdhsa_float_denorm_mode_16_64 3
		.amdhsa_dx10_clamp 1
		.amdhsa_ieee_mode 1
		.amdhsa_fp16_overflow 0
		.amdhsa_tg_split 0
		.amdhsa_exception_fp_ieee_invalid_op 0
		.amdhsa_exception_fp_denorm_src 0
		.amdhsa_exception_fp_ieee_div_zero 0
		.amdhsa_exception_fp_ieee_overflow 0
		.amdhsa_exception_fp_ieee_underflow 0
		.amdhsa_exception_fp_ieee_inexact 0
		.amdhsa_exception_int_div_zero 0
	.end_amdhsa_kernel
	.section	.text._ZN7rocprim17ROCPRIM_400000_NS6detail17trampoline_kernelINS0_14default_configENS1_22reduce_config_selectorIhEEZNS1_11reduce_implILb1ES3_PhS7_h11plus_mod_10IhEEE10hipError_tPvRmT1_T2_T3_mT4_P12ihipStream_tbEUlT_E0_NS1_11comp_targetILNS1_3genE3ELNS1_11target_archE908ELNS1_3gpuE7ELNS1_3repE0EEENS1_30default_config_static_selectorELNS0_4arch9wavefront6targetE1EEEvSD_,"axG",@progbits,_ZN7rocprim17ROCPRIM_400000_NS6detail17trampoline_kernelINS0_14default_configENS1_22reduce_config_selectorIhEEZNS1_11reduce_implILb1ES3_PhS7_h11plus_mod_10IhEEE10hipError_tPvRmT1_T2_T3_mT4_P12ihipStream_tbEUlT_E0_NS1_11comp_targetILNS1_3genE3ELNS1_11target_archE908ELNS1_3gpuE7ELNS1_3repE0EEENS1_30default_config_static_selectorELNS0_4arch9wavefront6targetE1EEEvSD_,comdat
.Lfunc_end660:
	.size	_ZN7rocprim17ROCPRIM_400000_NS6detail17trampoline_kernelINS0_14default_configENS1_22reduce_config_selectorIhEEZNS1_11reduce_implILb1ES3_PhS7_h11plus_mod_10IhEEE10hipError_tPvRmT1_T2_T3_mT4_P12ihipStream_tbEUlT_E0_NS1_11comp_targetILNS1_3genE3ELNS1_11target_archE908ELNS1_3gpuE7ELNS1_3repE0EEENS1_30default_config_static_selectorELNS0_4arch9wavefront6targetE1EEEvSD_, .Lfunc_end660-_ZN7rocprim17ROCPRIM_400000_NS6detail17trampoline_kernelINS0_14default_configENS1_22reduce_config_selectorIhEEZNS1_11reduce_implILb1ES3_PhS7_h11plus_mod_10IhEEE10hipError_tPvRmT1_T2_T3_mT4_P12ihipStream_tbEUlT_E0_NS1_11comp_targetILNS1_3genE3ELNS1_11target_archE908ELNS1_3gpuE7ELNS1_3repE0EEENS1_30default_config_static_selectorELNS0_4arch9wavefront6targetE1EEEvSD_
                                        ; -- End function
	.set _ZN7rocprim17ROCPRIM_400000_NS6detail17trampoline_kernelINS0_14default_configENS1_22reduce_config_selectorIhEEZNS1_11reduce_implILb1ES3_PhS7_h11plus_mod_10IhEEE10hipError_tPvRmT1_T2_T3_mT4_P12ihipStream_tbEUlT_E0_NS1_11comp_targetILNS1_3genE3ELNS1_11target_archE908ELNS1_3gpuE7ELNS1_3repE0EEENS1_30default_config_static_selectorELNS0_4arch9wavefront6targetE1EEEvSD_.num_vgpr, 0
	.set _ZN7rocprim17ROCPRIM_400000_NS6detail17trampoline_kernelINS0_14default_configENS1_22reduce_config_selectorIhEEZNS1_11reduce_implILb1ES3_PhS7_h11plus_mod_10IhEEE10hipError_tPvRmT1_T2_T3_mT4_P12ihipStream_tbEUlT_E0_NS1_11comp_targetILNS1_3genE3ELNS1_11target_archE908ELNS1_3gpuE7ELNS1_3repE0EEENS1_30default_config_static_selectorELNS0_4arch9wavefront6targetE1EEEvSD_.num_agpr, 0
	.set _ZN7rocprim17ROCPRIM_400000_NS6detail17trampoline_kernelINS0_14default_configENS1_22reduce_config_selectorIhEEZNS1_11reduce_implILb1ES3_PhS7_h11plus_mod_10IhEEE10hipError_tPvRmT1_T2_T3_mT4_P12ihipStream_tbEUlT_E0_NS1_11comp_targetILNS1_3genE3ELNS1_11target_archE908ELNS1_3gpuE7ELNS1_3repE0EEENS1_30default_config_static_selectorELNS0_4arch9wavefront6targetE1EEEvSD_.numbered_sgpr, 0
	.set _ZN7rocprim17ROCPRIM_400000_NS6detail17trampoline_kernelINS0_14default_configENS1_22reduce_config_selectorIhEEZNS1_11reduce_implILb1ES3_PhS7_h11plus_mod_10IhEEE10hipError_tPvRmT1_T2_T3_mT4_P12ihipStream_tbEUlT_E0_NS1_11comp_targetILNS1_3genE3ELNS1_11target_archE908ELNS1_3gpuE7ELNS1_3repE0EEENS1_30default_config_static_selectorELNS0_4arch9wavefront6targetE1EEEvSD_.num_named_barrier, 0
	.set _ZN7rocprim17ROCPRIM_400000_NS6detail17trampoline_kernelINS0_14default_configENS1_22reduce_config_selectorIhEEZNS1_11reduce_implILb1ES3_PhS7_h11plus_mod_10IhEEE10hipError_tPvRmT1_T2_T3_mT4_P12ihipStream_tbEUlT_E0_NS1_11comp_targetILNS1_3genE3ELNS1_11target_archE908ELNS1_3gpuE7ELNS1_3repE0EEENS1_30default_config_static_selectorELNS0_4arch9wavefront6targetE1EEEvSD_.private_seg_size, 0
	.set _ZN7rocprim17ROCPRIM_400000_NS6detail17trampoline_kernelINS0_14default_configENS1_22reduce_config_selectorIhEEZNS1_11reduce_implILb1ES3_PhS7_h11plus_mod_10IhEEE10hipError_tPvRmT1_T2_T3_mT4_P12ihipStream_tbEUlT_E0_NS1_11comp_targetILNS1_3genE3ELNS1_11target_archE908ELNS1_3gpuE7ELNS1_3repE0EEENS1_30default_config_static_selectorELNS0_4arch9wavefront6targetE1EEEvSD_.uses_vcc, 0
	.set _ZN7rocprim17ROCPRIM_400000_NS6detail17trampoline_kernelINS0_14default_configENS1_22reduce_config_selectorIhEEZNS1_11reduce_implILb1ES3_PhS7_h11plus_mod_10IhEEE10hipError_tPvRmT1_T2_T3_mT4_P12ihipStream_tbEUlT_E0_NS1_11comp_targetILNS1_3genE3ELNS1_11target_archE908ELNS1_3gpuE7ELNS1_3repE0EEENS1_30default_config_static_selectorELNS0_4arch9wavefront6targetE1EEEvSD_.uses_flat_scratch, 0
	.set _ZN7rocprim17ROCPRIM_400000_NS6detail17trampoline_kernelINS0_14default_configENS1_22reduce_config_selectorIhEEZNS1_11reduce_implILb1ES3_PhS7_h11plus_mod_10IhEEE10hipError_tPvRmT1_T2_T3_mT4_P12ihipStream_tbEUlT_E0_NS1_11comp_targetILNS1_3genE3ELNS1_11target_archE908ELNS1_3gpuE7ELNS1_3repE0EEENS1_30default_config_static_selectorELNS0_4arch9wavefront6targetE1EEEvSD_.has_dyn_sized_stack, 0
	.set _ZN7rocprim17ROCPRIM_400000_NS6detail17trampoline_kernelINS0_14default_configENS1_22reduce_config_selectorIhEEZNS1_11reduce_implILb1ES3_PhS7_h11plus_mod_10IhEEE10hipError_tPvRmT1_T2_T3_mT4_P12ihipStream_tbEUlT_E0_NS1_11comp_targetILNS1_3genE3ELNS1_11target_archE908ELNS1_3gpuE7ELNS1_3repE0EEENS1_30default_config_static_selectorELNS0_4arch9wavefront6targetE1EEEvSD_.has_recursion, 0
	.set _ZN7rocprim17ROCPRIM_400000_NS6detail17trampoline_kernelINS0_14default_configENS1_22reduce_config_selectorIhEEZNS1_11reduce_implILb1ES3_PhS7_h11plus_mod_10IhEEE10hipError_tPvRmT1_T2_T3_mT4_P12ihipStream_tbEUlT_E0_NS1_11comp_targetILNS1_3genE3ELNS1_11target_archE908ELNS1_3gpuE7ELNS1_3repE0EEENS1_30default_config_static_selectorELNS0_4arch9wavefront6targetE1EEEvSD_.has_indirect_call, 0
	.section	.AMDGPU.csdata,"",@progbits
; Kernel info:
; codeLenInByte = 0
; TotalNumSgprs: 6
; NumVgprs: 0
; NumAgprs: 0
; TotalNumVgprs: 0
; ScratchSize: 0
; MemoryBound: 0
; FloatMode: 240
; IeeeMode: 1
; LDSByteSize: 0 bytes/workgroup (compile time only)
; SGPRBlocks: 0
; VGPRBlocks: 0
; NumSGPRsForWavesPerEU: 6
; NumVGPRsForWavesPerEU: 1
; AccumOffset: 4
; Occupancy: 8
; WaveLimiterHint : 0
; COMPUTE_PGM_RSRC2:SCRATCH_EN: 0
; COMPUTE_PGM_RSRC2:USER_SGPR: 2
; COMPUTE_PGM_RSRC2:TRAP_HANDLER: 0
; COMPUTE_PGM_RSRC2:TGID_X_EN: 1
; COMPUTE_PGM_RSRC2:TGID_Y_EN: 0
; COMPUTE_PGM_RSRC2:TGID_Z_EN: 0
; COMPUTE_PGM_RSRC2:TIDIG_COMP_CNT: 0
; COMPUTE_PGM_RSRC3_GFX90A:ACCUM_OFFSET: 0
; COMPUTE_PGM_RSRC3_GFX90A:TG_SPLIT: 0
	.section	.text._ZN7rocprim17ROCPRIM_400000_NS6detail17trampoline_kernelINS0_14default_configENS1_22reduce_config_selectorIhEEZNS1_11reduce_implILb1ES3_PhS7_h11plus_mod_10IhEEE10hipError_tPvRmT1_T2_T3_mT4_P12ihipStream_tbEUlT_E0_NS1_11comp_targetILNS1_3genE2ELNS1_11target_archE906ELNS1_3gpuE6ELNS1_3repE0EEENS1_30default_config_static_selectorELNS0_4arch9wavefront6targetE1EEEvSD_,"axG",@progbits,_ZN7rocprim17ROCPRIM_400000_NS6detail17trampoline_kernelINS0_14default_configENS1_22reduce_config_selectorIhEEZNS1_11reduce_implILb1ES3_PhS7_h11plus_mod_10IhEEE10hipError_tPvRmT1_T2_T3_mT4_P12ihipStream_tbEUlT_E0_NS1_11comp_targetILNS1_3genE2ELNS1_11target_archE906ELNS1_3gpuE6ELNS1_3repE0EEENS1_30default_config_static_selectorELNS0_4arch9wavefront6targetE1EEEvSD_,comdat
	.protected	_ZN7rocprim17ROCPRIM_400000_NS6detail17trampoline_kernelINS0_14default_configENS1_22reduce_config_selectorIhEEZNS1_11reduce_implILb1ES3_PhS7_h11plus_mod_10IhEEE10hipError_tPvRmT1_T2_T3_mT4_P12ihipStream_tbEUlT_E0_NS1_11comp_targetILNS1_3genE2ELNS1_11target_archE906ELNS1_3gpuE6ELNS1_3repE0EEENS1_30default_config_static_selectorELNS0_4arch9wavefront6targetE1EEEvSD_ ; -- Begin function _ZN7rocprim17ROCPRIM_400000_NS6detail17trampoline_kernelINS0_14default_configENS1_22reduce_config_selectorIhEEZNS1_11reduce_implILb1ES3_PhS7_h11plus_mod_10IhEEE10hipError_tPvRmT1_T2_T3_mT4_P12ihipStream_tbEUlT_E0_NS1_11comp_targetILNS1_3genE2ELNS1_11target_archE906ELNS1_3gpuE6ELNS1_3repE0EEENS1_30default_config_static_selectorELNS0_4arch9wavefront6targetE1EEEvSD_
	.globl	_ZN7rocprim17ROCPRIM_400000_NS6detail17trampoline_kernelINS0_14default_configENS1_22reduce_config_selectorIhEEZNS1_11reduce_implILb1ES3_PhS7_h11plus_mod_10IhEEE10hipError_tPvRmT1_T2_T3_mT4_P12ihipStream_tbEUlT_E0_NS1_11comp_targetILNS1_3genE2ELNS1_11target_archE906ELNS1_3gpuE6ELNS1_3repE0EEENS1_30default_config_static_selectorELNS0_4arch9wavefront6targetE1EEEvSD_
	.p2align	8
	.type	_ZN7rocprim17ROCPRIM_400000_NS6detail17trampoline_kernelINS0_14default_configENS1_22reduce_config_selectorIhEEZNS1_11reduce_implILb1ES3_PhS7_h11plus_mod_10IhEEE10hipError_tPvRmT1_T2_T3_mT4_P12ihipStream_tbEUlT_E0_NS1_11comp_targetILNS1_3genE2ELNS1_11target_archE906ELNS1_3gpuE6ELNS1_3repE0EEENS1_30default_config_static_selectorELNS0_4arch9wavefront6targetE1EEEvSD_,@function
_ZN7rocprim17ROCPRIM_400000_NS6detail17trampoline_kernelINS0_14default_configENS1_22reduce_config_selectorIhEEZNS1_11reduce_implILb1ES3_PhS7_h11plus_mod_10IhEEE10hipError_tPvRmT1_T2_T3_mT4_P12ihipStream_tbEUlT_E0_NS1_11comp_targetILNS1_3genE2ELNS1_11target_archE906ELNS1_3gpuE6ELNS1_3repE0EEENS1_30default_config_static_selectorELNS0_4arch9wavefront6targetE1EEEvSD_: ; @_ZN7rocprim17ROCPRIM_400000_NS6detail17trampoline_kernelINS0_14default_configENS1_22reduce_config_selectorIhEEZNS1_11reduce_implILb1ES3_PhS7_h11plus_mod_10IhEEE10hipError_tPvRmT1_T2_T3_mT4_P12ihipStream_tbEUlT_E0_NS1_11comp_targetILNS1_3genE2ELNS1_11target_archE906ELNS1_3gpuE6ELNS1_3repE0EEENS1_30default_config_static_selectorELNS0_4arch9wavefront6targetE1EEEvSD_
; %bb.0:
	.section	.rodata,"a",@progbits
	.p2align	6, 0x0
	.amdhsa_kernel _ZN7rocprim17ROCPRIM_400000_NS6detail17trampoline_kernelINS0_14default_configENS1_22reduce_config_selectorIhEEZNS1_11reduce_implILb1ES3_PhS7_h11plus_mod_10IhEEE10hipError_tPvRmT1_T2_T3_mT4_P12ihipStream_tbEUlT_E0_NS1_11comp_targetILNS1_3genE2ELNS1_11target_archE906ELNS1_3gpuE6ELNS1_3repE0EEENS1_30default_config_static_selectorELNS0_4arch9wavefront6targetE1EEEvSD_
		.amdhsa_group_segment_fixed_size 0
		.amdhsa_private_segment_fixed_size 0
		.amdhsa_kernarg_size 56
		.amdhsa_user_sgpr_count 2
		.amdhsa_user_sgpr_dispatch_ptr 0
		.amdhsa_user_sgpr_queue_ptr 0
		.amdhsa_user_sgpr_kernarg_segment_ptr 1
		.amdhsa_user_sgpr_dispatch_id 0
		.amdhsa_user_sgpr_kernarg_preload_length 0
		.amdhsa_user_sgpr_kernarg_preload_offset 0
		.amdhsa_user_sgpr_private_segment_size 0
		.amdhsa_uses_dynamic_stack 0
		.amdhsa_enable_private_segment 0
		.amdhsa_system_sgpr_workgroup_id_x 1
		.amdhsa_system_sgpr_workgroup_id_y 0
		.amdhsa_system_sgpr_workgroup_id_z 0
		.amdhsa_system_sgpr_workgroup_info 0
		.amdhsa_system_vgpr_workitem_id 0
		.amdhsa_next_free_vgpr 1
		.amdhsa_next_free_sgpr 0
		.amdhsa_accum_offset 4
		.amdhsa_reserve_vcc 0
		.amdhsa_float_round_mode_32 0
		.amdhsa_float_round_mode_16_64 0
		.amdhsa_float_denorm_mode_32 3
		.amdhsa_float_denorm_mode_16_64 3
		.amdhsa_dx10_clamp 1
		.amdhsa_ieee_mode 1
		.amdhsa_fp16_overflow 0
		.amdhsa_tg_split 0
		.amdhsa_exception_fp_ieee_invalid_op 0
		.amdhsa_exception_fp_denorm_src 0
		.amdhsa_exception_fp_ieee_div_zero 0
		.amdhsa_exception_fp_ieee_overflow 0
		.amdhsa_exception_fp_ieee_underflow 0
		.amdhsa_exception_fp_ieee_inexact 0
		.amdhsa_exception_int_div_zero 0
	.end_amdhsa_kernel
	.section	.text._ZN7rocprim17ROCPRIM_400000_NS6detail17trampoline_kernelINS0_14default_configENS1_22reduce_config_selectorIhEEZNS1_11reduce_implILb1ES3_PhS7_h11plus_mod_10IhEEE10hipError_tPvRmT1_T2_T3_mT4_P12ihipStream_tbEUlT_E0_NS1_11comp_targetILNS1_3genE2ELNS1_11target_archE906ELNS1_3gpuE6ELNS1_3repE0EEENS1_30default_config_static_selectorELNS0_4arch9wavefront6targetE1EEEvSD_,"axG",@progbits,_ZN7rocprim17ROCPRIM_400000_NS6detail17trampoline_kernelINS0_14default_configENS1_22reduce_config_selectorIhEEZNS1_11reduce_implILb1ES3_PhS7_h11plus_mod_10IhEEE10hipError_tPvRmT1_T2_T3_mT4_P12ihipStream_tbEUlT_E0_NS1_11comp_targetILNS1_3genE2ELNS1_11target_archE906ELNS1_3gpuE6ELNS1_3repE0EEENS1_30default_config_static_selectorELNS0_4arch9wavefront6targetE1EEEvSD_,comdat
.Lfunc_end661:
	.size	_ZN7rocprim17ROCPRIM_400000_NS6detail17trampoline_kernelINS0_14default_configENS1_22reduce_config_selectorIhEEZNS1_11reduce_implILb1ES3_PhS7_h11plus_mod_10IhEEE10hipError_tPvRmT1_T2_T3_mT4_P12ihipStream_tbEUlT_E0_NS1_11comp_targetILNS1_3genE2ELNS1_11target_archE906ELNS1_3gpuE6ELNS1_3repE0EEENS1_30default_config_static_selectorELNS0_4arch9wavefront6targetE1EEEvSD_, .Lfunc_end661-_ZN7rocprim17ROCPRIM_400000_NS6detail17trampoline_kernelINS0_14default_configENS1_22reduce_config_selectorIhEEZNS1_11reduce_implILb1ES3_PhS7_h11plus_mod_10IhEEE10hipError_tPvRmT1_T2_T3_mT4_P12ihipStream_tbEUlT_E0_NS1_11comp_targetILNS1_3genE2ELNS1_11target_archE906ELNS1_3gpuE6ELNS1_3repE0EEENS1_30default_config_static_selectorELNS0_4arch9wavefront6targetE1EEEvSD_
                                        ; -- End function
	.set _ZN7rocprim17ROCPRIM_400000_NS6detail17trampoline_kernelINS0_14default_configENS1_22reduce_config_selectorIhEEZNS1_11reduce_implILb1ES3_PhS7_h11plus_mod_10IhEEE10hipError_tPvRmT1_T2_T3_mT4_P12ihipStream_tbEUlT_E0_NS1_11comp_targetILNS1_3genE2ELNS1_11target_archE906ELNS1_3gpuE6ELNS1_3repE0EEENS1_30default_config_static_selectorELNS0_4arch9wavefront6targetE1EEEvSD_.num_vgpr, 0
	.set _ZN7rocprim17ROCPRIM_400000_NS6detail17trampoline_kernelINS0_14default_configENS1_22reduce_config_selectorIhEEZNS1_11reduce_implILb1ES3_PhS7_h11plus_mod_10IhEEE10hipError_tPvRmT1_T2_T3_mT4_P12ihipStream_tbEUlT_E0_NS1_11comp_targetILNS1_3genE2ELNS1_11target_archE906ELNS1_3gpuE6ELNS1_3repE0EEENS1_30default_config_static_selectorELNS0_4arch9wavefront6targetE1EEEvSD_.num_agpr, 0
	.set _ZN7rocprim17ROCPRIM_400000_NS6detail17trampoline_kernelINS0_14default_configENS1_22reduce_config_selectorIhEEZNS1_11reduce_implILb1ES3_PhS7_h11plus_mod_10IhEEE10hipError_tPvRmT1_T2_T3_mT4_P12ihipStream_tbEUlT_E0_NS1_11comp_targetILNS1_3genE2ELNS1_11target_archE906ELNS1_3gpuE6ELNS1_3repE0EEENS1_30default_config_static_selectorELNS0_4arch9wavefront6targetE1EEEvSD_.numbered_sgpr, 0
	.set _ZN7rocprim17ROCPRIM_400000_NS6detail17trampoline_kernelINS0_14default_configENS1_22reduce_config_selectorIhEEZNS1_11reduce_implILb1ES3_PhS7_h11plus_mod_10IhEEE10hipError_tPvRmT1_T2_T3_mT4_P12ihipStream_tbEUlT_E0_NS1_11comp_targetILNS1_3genE2ELNS1_11target_archE906ELNS1_3gpuE6ELNS1_3repE0EEENS1_30default_config_static_selectorELNS0_4arch9wavefront6targetE1EEEvSD_.num_named_barrier, 0
	.set _ZN7rocprim17ROCPRIM_400000_NS6detail17trampoline_kernelINS0_14default_configENS1_22reduce_config_selectorIhEEZNS1_11reduce_implILb1ES3_PhS7_h11plus_mod_10IhEEE10hipError_tPvRmT1_T2_T3_mT4_P12ihipStream_tbEUlT_E0_NS1_11comp_targetILNS1_3genE2ELNS1_11target_archE906ELNS1_3gpuE6ELNS1_3repE0EEENS1_30default_config_static_selectorELNS0_4arch9wavefront6targetE1EEEvSD_.private_seg_size, 0
	.set _ZN7rocprim17ROCPRIM_400000_NS6detail17trampoline_kernelINS0_14default_configENS1_22reduce_config_selectorIhEEZNS1_11reduce_implILb1ES3_PhS7_h11plus_mod_10IhEEE10hipError_tPvRmT1_T2_T3_mT4_P12ihipStream_tbEUlT_E0_NS1_11comp_targetILNS1_3genE2ELNS1_11target_archE906ELNS1_3gpuE6ELNS1_3repE0EEENS1_30default_config_static_selectorELNS0_4arch9wavefront6targetE1EEEvSD_.uses_vcc, 0
	.set _ZN7rocprim17ROCPRIM_400000_NS6detail17trampoline_kernelINS0_14default_configENS1_22reduce_config_selectorIhEEZNS1_11reduce_implILb1ES3_PhS7_h11plus_mod_10IhEEE10hipError_tPvRmT1_T2_T3_mT4_P12ihipStream_tbEUlT_E0_NS1_11comp_targetILNS1_3genE2ELNS1_11target_archE906ELNS1_3gpuE6ELNS1_3repE0EEENS1_30default_config_static_selectorELNS0_4arch9wavefront6targetE1EEEvSD_.uses_flat_scratch, 0
	.set _ZN7rocprim17ROCPRIM_400000_NS6detail17trampoline_kernelINS0_14default_configENS1_22reduce_config_selectorIhEEZNS1_11reduce_implILb1ES3_PhS7_h11plus_mod_10IhEEE10hipError_tPvRmT1_T2_T3_mT4_P12ihipStream_tbEUlT_E0_NS1_11comp_targetILNS1_3genE2ELNS1_11target_archE906ELNS1_3gpuE6ELNS1_3repE0EEENS1_30default_config_static_selectorELNS0_4arch9wavefront6targetE1EEEvSD_.has_dyn_sized_stack, 0
	.set _ZN7rocprim17ROCPRIM_400000_NS6detail17trampoline_kernelINS0_14default_configENS1_22reduce_config_selectorIhEEZNS1_11reduce_implILb1ES3_PhS7_h11plus_mod_10IhEEE10hipError_tPvRmT1_T2_T3_mT4_P12ihipStream_tbEUlT_E0_NS1_11comp_targetILNS1_3genE2ELNS1_11target_archE906ELNS1_3gpuE6ELNS1_3repE0EEENS1_30default_config_static_selectorELNS0_4arch9wavefront6targetE1EEEvSD_.has_recursion, 0
	.set _ZN7rocprim17ROCPRIM_400000_NS6detail17trampoline_kernelINS0_14default_configENS1_22reduce_config_selectorIhEEZNS1_11reduce_implILb1ES3_PhS7_h11plus_mod_10IhEEE10hipError_tPvRmT1_T2_T3_mT4_P12ihipStream_tbEUlT_E0_NS1_11comp_targetILNS1_3genE2ELNS1_11target_archE906ELNS1_3gpuE6ELNS1_3repE0EEENS1_30default_config_static_selectorELNS0_4arch9wavefront6targetE1EEEvSD_.has_indirect_call, 0
	.section	.AMDGPU.csdata,"",@progbits
; Kernel info:
; codeLenInByte = 0
; TotalNumSgprs: 6
; NumVgprs: 0
; NumAgprs: 0
; TotalNumVgprs: 0
; ScratchSize: 0
; MemoryBound: 0
; FloatMode: 240
; IeeeMode: 1
; LDSByteSize: 0 bytes/workgroup (compile time only)
; SGPRBlocks: 0
; VGPRBlocks: 0
; NumSGPRsForWavesPerEU: 6
; NumVGPRsForWavesPerEU: 1
; AccumOffset: 4
; Occupancy: 8
; WaveLimiterHint : 0
; COMPUTE_PGM_RSRC2:SCRATCH_EN: 0
; COMPUTE_PGM_RSRC2:USER_SGPR: 2
; COMPUTE_PGM_RSRC2:TRAP_HANDLER: 0
; COMPUTE_PGM_RSRC2:TGID_X_EN: 1
; COMPUTE_PGM_RSRC2:TGID_Y_EN: 0
; COMPUTE_PGM_RSRC2:TGID_Z_EN: 0
; COMPUTE_PGM_RSRC2:TIDIG_COMP_CNT: 0
; COMPUTE_PGM_RSRC3_GFX90A:ACCUM_OFFSET: 0
; COMPUTE_PGM_RSRC3_GFX90A:TG_SPLIT: 0
	.section	.text._ZN7rocprim17ROCPRIM_400000_NS6detail17trampoline_kernelINS0_14default_configENS1_22reduce_config_selectorIhEEZNS1_11reduce_implILb1ES3_PhS7_h11plus_mod_10IhEEE10hipError_tPvRmT1_T2_T3_mT4_P12ihipStream_tbEUlT_E0_NS1_11comp_targetILNS1_3genE10ELNS1_11target_archE1201ELNS1_3gpuE5ELNS1_3repE0EEENS1_30default_config_static_selectorELNS0_4arch9wavefront6targetE1EEEvSD_,"axG",@progbits,_ZN7rocprim17ROCPRIM_400000_NS6detail17trampoline_kernelINS0_14default_configENS1_22reduce_config_selectorIhEEZNS1_11reduce_implILb1ES3_PhS7_h11plus_mod_10IhEEE10hipError_tPvRmT1_T2_T3_mT4_P12ihipStream_tbEUlT_E0_NS1_11comp_targetILNS1_3genE10ELNS1_11target_archE1201ELNS1_3gpuE5ELNS1_3repE0EEENS1_30default_config_static_selectorELNS0_4arch9wavefront6targetE1EEEvSD_,comdat
	.protected	_ZN7rocprim17ROCPRIM_400000_NS6detail17trampoline_kernelINS0_14default_configENS1_22reduce_config_selectorIhEEZNS1_11reduce_implILb1ES3_PhS7_h11plus_mod_10IhEEE10hipError_tPvRmT1_T2_T3_mT4_P12ihipStream_tbEUlT_E0_NS1_11comp_targetILNS1_3genE10ELNS1_11target_archE1201ELNS1_3gpuE5ELNS1_3repE0EEENS1_30default_config_static_selectorELNS0_4arch9wavefront6targetE1EEEvSD_ ; -- Begin function _ZN7rocprim17ROCPRIM_400000_NS6detail17trampoline_kernelINS0_14default_configENS1_22reduce_config_selectorIhEEZNS1_11reduce_implILb1ES3_PhS7_h11plus_mod_10IhEEE10hipError_tPvRmT1_T2_T3_mT4_P12ihipStream_tbEUlT_E0_NS1_11comp_targetILNS1_3genE10ELNS1_11target_archE1201ELNS1_3gpuE5ELNS1_3repE0EEENS1_30default_config_static_selectorELNS0_4arch9wavefront6targetE1EEEvSD_
	.globl	_ZN7rocprim17ROCPRIM_400000_NS6detail17trampoline_kernelINS0_14default_configENS1_22reduce_config_selectorIhEEZNS1_11reduce_implILb1ES3_PhS7_h11plus_mod_10IhEEE10hipError_tPvRmT1_T2_T3_mT4_P12ihipStream_tbEUlT_E0_NS1_11comp_targetILNS1_3genE10ELNS1_11target_archE1201ELNS1_3gpuE5ELNS1_3repE0EEENS1_30default_config_static_selectorELNS0_4arch9wavefront6targetE1EEEvSD_
	.p2align	8
	.type	_ZN7rocprim17ROCPRIM_400000_NS6detail17trampoline_kernelINS0_14default_configENS1_22reduce_config_selectorIhEEZNS1_11reduce_implILb1ES3_PhS7_h11plus_mod_10IhEEE10hipError_tPvRmT1_T2_T3_mT4_P12ihipStream_tbEUlT_E0_NS1_11comp_targetILNS1_3genE10ELNS1_11target_archE1201ELNS1_3gpuE5ELNS1_3repE0EEENS1_30default_config_static_selectorELNS0_4arch9wavefront6targetE1EEEvSD_,@function
_ZN7rocprim17ROCPRIM_400000_NS6detail17trampoline_kernelINS0_14default_configENS1_22reduce_config_selectorIhEEZNS1_11reduce_implILb1ES3_PhS7_h11plus_mod_10IhEEE10hipError_tPvRmT1_T2_T3_mT4_P12ihipStream_tbEUlT_E0_NS1_11comp_targetILNS1_3genE10ELNS1_11target_archE1201ELNS1_3gpuE5ELNS1_3repE0EEENS1_30default_config_static_selectorELNS0_4arch9wavefront6targetE1EEEvSD_: ; @_ZN7rocprim17ROCPRIM_400000_NS6detail17trampoline_kernelINS0_14default_configENS1_22reduce_config_selectorIhEEZNS1_11reduce_implILb1ES3_PhS7_h11plus_mod_10IhEEE10hipError_tPvRmT1_T2_T3_mT4_P12ihipStream_tbEUlT_E0_NS1_11comp_targetILNS1_3genE10ELNS1_11target_archE1201ELNS1_3gpuE5ELNS1_3repE0EEENS1_30default_config_static_selectorELNS0_4arch9wavefront6targetE1EEEvSD_
; %bb.0:
	.section	.rodata,"a",@progbits
	.p2align	6, 0x0
	.amdhsa_kernel _ZN7rocprim17ROCPRIM_400000_NS6detail17trampoline_kernelINS0_14default_configENS1_22reduce_config_selectorIhEEZNS1_11reduce_implILb1ES3_PhS7_h11plus_mod_10IhEEE10hipError_tPvRmT1_T2_T3_mT4_P12ihipStream_tbEUlT_E0_NS1_11comp_targetILNS1_3genE10ELNS1_11target_archE1201ELNS1_3gpuE5ELNS1_3repE0EEENS1_30default_config_static_selectorELNS0_4arch9wavefront6targetE1EEEvSD_
		.amdhsa_group_segment_fixed_size 0
		.amdhsa_private_segment_fixed_size 0
		.amdhsa_kernarg_size 56
		.amdhsa_user_sgpr_count 2
		.amdhsa_user_sgpr_dispatch_ptr 0
		.amdhsa_user_sgpr_queue_ptr 0
		.amdhsa_user_sgpr_kernarg_segment_ptr 1
		.amdhsa_user_sgpr_dispatch_id 0
		.amdhsa_user_sgpr_kernarg_preload_length 0
		.amdhsa_user_sgpr_kernarg_preload_offset 0
		.amdhsa_user_sgpr_private_segment_size 0
		.amdhsa_uses_dynamic_stack 0
		.amdhsa_enable_private_segment 0
		.amdhsa_system_sgpr_workgroup_id_x 1
		.amdhsa_system_sgpr_workgroup_id_y 0
		.amdhsa_system_sgpr_workgroup_id_z 0
		.amdhsa_system_sgpr_workgroup_info 0
		.amdhsa_system_vgpr_workitem_id 0
		.amdhsa_next_free_vgpr 1
		.amdhsa_next_free_sgpr 0
		.amdhsa_accum_offset 4
		.amdhsa_reserve_vcc 0
		.amdhsa_float_round_mode_32 0
		.amdhsa_float_round_mode_16_64 0
		.amdhsa_float_denorm_mode_32 3
		.amdhsa_float_denorm_mode_16_64 3
		.amdhsa_dx10_clamp 1
		.amdhsa_ieee_mode 1
		.amdhsa_fp16_overflow 0
		.amdhsa_tg_split 0
		.amdhsa_exception_fp_ieee_invalid_op 0
		.amdhsa_exception_fp_denorm_src 0
		.amdhsa_exception_fp_ieee_div_zero 0
		.amdhsa_exception_fp_ieee_overflow 0
		.amdhsa_exception_fp_ieee_underflow 0
		.amdhsa_exception_fp_ieee_inexact 0
		.amdhsa_exception_int_div_zero 0
	.end_amdhsa_kernel
	.section	.text._ZN7rocprim17ROCPRIM_400000_NS6detail17trampoline_kernelINS0_14default_configENS1_22reduce_config_selectorIhEEZNS1_11reduce_implILb1ES3_PhS7_h11plus_mod_10IhEEE10hipError_tPvRmT1_T2_T3_mT4_P12ihipStream_tbEUlT_E0_NS1_11comp_targetILNS1_3genE10ELNS1_11target_archE1201ELNS1_3gpuE5ELNS1_3repE0EEENS1_30default_config_static_selectorELNS0_4arch9wavefront6targetE1EEEvSD_,"axG",@progbits,_ZN7rocprim17ROCPRIM_400000_NS6detail17trampoline_kernelINS0_14default_configENS1_22reduce_config_selectorIhEEZNS1_11reduce_implILb1ES3_PhS7_h11plus_mod_10IhEEE10hipError_tPvRmT1_T2_T3_mT4_P12ihipStream_tbEUlT_E0_NS1_11comp_targetILNS1_3genE10ELNS1_11target_archE1201ELNS1_3gpuE5ELNS1_3repE0EEENS1_30default_config_static_selectorELNS0_4arch9wavefront6targetE1EEEvSD_,comdat
.Lfunc_end662:
	.size	_ZN7rocprim17ROCPRIM_400000_NS6detail17trampoline_kernelINS0_14default_configENS1_22reduce_config_selectorIhEEZNS1_11reduce_implILb1ES3_PhS7_h11plus_mod_10IhEEE10hipError_tPvRmT1_T2_T3_mT4_P12ihipStream_tbEUlT_E0_NS1_11comp_targetILNS1_3genE10ELNS1_11target_archE1201ELNS1_3gpuE5ELNS1_3repE0EEENS1_30default_config_static_selectorELNS0_4arch9wavefront6targetE1EEEvSD_, .Lfunc_end662-_ZN7rocprim17ROCPRIM_400000_NS6detail17trampoline_kernelINS0_14default_configENS1_22reduce_config_selectorIhEEZNS1_11reduce_implILb1ES3_PhS7_h11plus_mod_10IhEEE10hipError_tPvRmT1_T2_T3_mT4_P12ihipStream_tbEUlT_E0_NS1_11comp_targetILNS1_3genE10ELNS1_11target_archE1201ELNS1_3gpuE5ELNS1_3repE0EEENS1_30default_config_static_selectorELNS0_4arch9wavefront6targetE1EEEvSD_
                                        ; -- End function
	.set _ZN7rocprim17ROCPRIM_400000_NS6detail17trampoline_kernelINS0_14default_configENS1_22reduce_config_selectorIhEEZNS1_11reduce_implILb1ES3_PhS7_h11plus_mod_10IhEEE10hipError_tPvRmT1_T2_T3_mT4_P12ihipStream_tbEUlT_E0_NS1_11comp_targetILNS1_3genE10ELNS1_11target_archE1201ELNS1_3gpuE5ELNS1_3repE0EEENS1_30default_config_static_selectorELNS0_4arch9wavefront6targetE1EEEvSD_.num_vgpr, 0
	.set _ZN7rocprim17ROCPRIM_400000_NS6detail17trampoline_kernelINS0_14default_configENS1_22reduce_config_selectorIhEEZNS1_11reduce_implILb1ES3_PhS7_h11plus_mod_10IhEEE10hipError_tPvRmT1_T2_T3_mT4_P12ihipStream_tbEUlT_E0_NS1_11comp_targetILNS1_3genE10ELNS1_11target_archE1201ELNS1_3gpuE5ELNS1_3repE0EEENS1_30default_config_static_selectorELNS0_4arch9wavefront6targetE1EEEvSD_.num_agpr, 0
	.set _ZN7rocprim17ROCPRIM_400000_NS6detail17trampoline_kernelINS0_14default_configENS1_22reduce_config_selectorIhEEZNS1_11reduce_implILb1ES3_PhS7_h11plus_mod_10IhEEE10hipError_tPvRmT1_T2_T3_mT4_P12ihipStream_tbEUlT_E0_NS1_11comp_targetILNS1_3genE10ELNS1_11target_archE1201ELNS1_3gpuE5ELNS1_3repE0EEENS1_30default_config_static_selectorELNS0_4arch9wavefront6targetE1EEEvSD_.numbered_sgpr, 0
	.set _ZN7rocprim17ROCPRIM_400000_NS6detail17trampoline_kernelINS0_14default_configENS1_22reduce_config_selectorIhEEZNS1_11reduce_implILb1ES3_PhS7_h11plus_mod_10IhEEE10hipError_tPvRmT1_T2_T3_mT4_P12ihipStream_tbEUlT_E0_NS1_11comp_targetILNS1_3genE10ELNS1_11target_archE1201ELNS1_3gpuE5ELNS1_3repE0EEENS1_30default_config_static_selectorELNS0_4arch9wavefront6targetE1EEEvSD_.num_named_barrier, 0
	.set _ZN7rocprim17ROCPRIM_400000_NS6detail17trampoline_kernelINS0_14default_configENS1_22reduce_config_selectorIhEEZNS1_11reduce_implILb1ES3_PhS7_h11plus_mod_10IhEEE10hipError_tPvRmT1_T2_T3_mT4_P12ihipStream_tbEUlT_E0_NS1_11comp_targetILNS1_3genE10ELNS1_11target_archE1201ELNS1_3gpuE5ELNS1_3repE0EEENS1_30default_config_static_selectorELNS0_4arch9wavefront6targetE1EEEvSD_.private_seg_size, 0
	.set _ZN7rocprim17ROCPRIM_400000_NS6detail17trampoline_kernelINS0_14default_configENS1_22reduce_config_selectorIhEEZNS1_11reduce_implILb1ES3_PhS7_h11plus_mod_10IhEEE10hipError_tPvRmT1_T2_T3_mT4_P12ihipStream_tbEUlT_E0_NS1_11comp_targetILNS1_3genE10ELNS1_11target_archE1201ELNS1_3gpuE5ELNS1_3repE0EEENS1_30default_config_static_selectorELNS0_4arch9wavefront6targetE1EEEvSD_.uses_vcc, 0
	.set _ZN7rocprim17ROCPRIM_400000_NS6detail17trampoline_kernelINS0_14default_configENS1_22reduce_config_selectorIhEEZNS1_11reduce_implILb1ES3_PhS7_h11plus_mod_10IhEEE10hipError_tPvRmT1_T2_T3_mT4_P12ihipStream_tbEUlT_E0_NS1_11comp_targetILNS1_3genE10ELNS1_11target_archE1201ELNS1_3gpuE5ELNS1_3repE0EEENS1_30default_config_static_selectorELNS0_4arch9wavefront6targetE1EEEvSD_.uses_flat_scratch, 0
	.set _ZN7rocprim17ROCPRIM_400000_NS6detail17trampoline_kernelINS0_14default_configENS1_22reduce_config_selectorIhEEZNS1_11reduce_implILb1ES3_PhS7_h11plus_mod_10IhEEE10hipError_tPvRmT1_T2_T3_mT4_P12ihipStream_tbEUlT_E0_NS1_11comp_targetILNS1_3genE10ELNS1_11target_archE1201ELNS1_3gpuE5ELNS1_3repE0EEENS1_30default_config_static_selectorELNS0_4arch9wavefront6targetE1EEEvSD_.has_dyn_sized_stack, 0
	.set _ZN7rocprim17ROCPRIM_400000_NS6detail17trampoline_kernelINS0_14default_configENS1_22reduce_config_selectorIhEEZNS1_11reduce_implILb1ES3_PhS7_h11plus_mod_10IhEEE10hipError_tPvRmT1_T2_T3_mT4_P12ihipStream_tbEUlT_E0_NS1_11comp_targetILNS1_3genE10ELNS1_11target_archE1201ELNS1_3gpuE5ELNS1_3repE0EEENS1_30default_config_static_selectorELNS0_4arch9wavefront6targetE1EEEvSD_.has_recursion, 0
	.set _ZN7rocprim17ROCPRIM_400000_NS6detail17trampoline_kernelINS0_14default_configENS1_22reduce_config_selectorIhEEZNS1_11reduce_implILb1ES3_PhS7_h11plus_mod_10IhEEE10hipError_tPvRmT1_T2_T3_mT4_P12ihipStream_tbEUlT_E0_NS1_11comp_targetILNS1_3genE10ELNS1_11target_archE1201ELNS1_3gpuE5ELNS1_3repE0EEENS1_30default_config_static_selectorELNS0_4arch9wavefront6targetE1EEEvSD_.has_indirect_call, 0
	.section	.AMDGPU.csdata,"",@progbits
; Kernel info:
; codeLenInByte = 0
; TotalNumSgprs: 6
; NumVgprs: 0
; NumAgprs: 0
; TotalNumVgprs: 0
; ScratchSize: 0
; MemoryBound: 0
; FloatMode: 240
; IeeeMode: 1
; LDSByteSize: 0 bytes/workgroup (compile time only)
; SGPRBlocks: 0
; VGPRBlocks: 0
; NumSGPRsForWavesPerEU: 6
; NumVGPRsForWavesPerEU: 1
; AccumOffset: 4
; Occupancy: 8
; WaveLimiterHint : 0
; COMPUTE_PGM_RSRC2:SCRATCH_EN: 0
; COMPUTE_PGM_RSRC2:USER_SGPR: 2
; COMPUTE_PGM_RSRC2:TRAP_HANDLER: 0
; COMPUTE_PGM_RSRC2:TGID_X_EN: 1
; COMPUTE_PGM_RSRC2:TGID_Y_EN: 0
; COMPUTE_PGM_RSRC2:TGID_Z_EN: 0
; COMPUTE_PGM_RSRC2:TIDIG_COMP_CNT: 0
; COMPUTE_PGM_RSRC3_GFX90A:ACCUM_OFFSET: 0
; COMPUTE_PGM_RSRC3_GFX90A:TG_SPLIT: 0
	.section	.text._ZN7rocprim17ROCPRIM_400000_NS6detail17trampoline_kernelINS0_14default_configENS1_22reduce_config_selectorIhEEZNS1_11reduce_implILb1ES3_PhS7_h11plus_mod_10IhEEE10hipError_tPvRmT1_T2_T3_mT4_P12ihipStream_tbEUlT_E0_NS1_11comp_targetILNS1_3genE10ELNS1_11target_archE1200ELNS1_3gpuE4ELNS1_3repE0EEENS1_30default_config_static_selectorELNS0_4arch9wavefront6targetE1EEEvSD_,"axG",@progbits,_ZN7rocprim17ROCPRIM_400000_NS6detail17trampoline_kernelINS0_14default_configENS1_22reduce_config_selectorIhEEZNS1_11reduce_implILb1ES3_PhS7_h11plus_mod_10IhEEE10hipError_tPvRmT1_T2_T3_mT4_P12ihipStream_tbEUlT_E0_NS1_11comp_targetILNS1_3genE10ELNS1_11target_archE1200ELNS1_3gpuE4ELNS1_3repE0EEENS1_30default_config_static_selectorELNS0_4arch9wavefront6targetE1EEEvSD_,comdat
	.protected	_ZN7rocprim17ROCPRIM_400000_NS6detail17trampoline_kernelINS0_14default_configENS1_22reduce_config_selectorIhEEZNS1_11reduce_implILb1ES3_PhS7_h11plus_mod_10IhEEE10hipError_tPvRmT1_T2_T3_mT4_P12ihipStream_tbEUlT_E0_NS1_11comp_targetILNS1_3genE10ELNS1_11target_archE1200ELNS1_3gpuE4ELNS1_3repE0EEENS1_30default_config_static_selectorELNS0_4arch9wavefront6targetE1EEEvSD_ ; -- Begin function _ZN7rocprim17ROCPRIM_400000_NS6detail17trampoline_kernelINS0_14default_configENS1_22reduce_config_selectorIhEEZNS1_11reduce_implILb1ES3_PhS7_h11plus_mod_10IhEEE10hipError_tPvRmT1_T2_T3_mT4_P12ihipStream_tbEUlT_E0_NS1_11comp_targetILNS1_3genE10ELNS1_11target_archE1200ELNS1_3gpuE4ELNS1_3repE0EEENS1_30default_config_static_selectorELNS0_4arch9wavefront6targetE1EEEvSD_
	.globl	_ZN7rocprim17ROCPRIM_400000_NS6detail17trampoline_kernelINS0_14default_configENS1_22reduce_config_selectorIhEEZNS1_11reduce_implILb1ES3_PhS7_h11plus_mod_10IhEEE10hipError_tPvRmT1_T2_T3_mT4_P12ihipStream_tbEUlT_E0_NS1_11comp_targetILNS1_3genE10ELNS1_11target_archE1200ELNS1_3gpuE4ELNS1_3repE0EEENS1_30default_config_static_selectorELNS0_4arch9wavefront6targetE1EEEvSD_
	.p2align	8
	.type	_ZN7rocprim17ROCPRIM_400000_NS6detail17trampoline_kernelINS0_14default_configENS1_22reduce_config_selectorIhEEZNS1_11reduce_implILb1ES3_PhS7_h11plus_mod_10IhEEE10hipError_tPvRmT1_T2_T3_mT4_P12ihipStream_tbEUlT_E0_NS1_11comp_targetILNS1_3genE10ELNS1_11target_archE1200ELNS1_3gpuE4ELNS1_3repE0EEENS1_30default_config_static_selectorELNS0_4arch9wavefront6targetE1EEEvSD_,@function
_ZN7rocprim17ROCPRIM_400000_NS6detail17trampoline_kernelINS0_14default_configENS1_22reduce_config_selectorIhEEZNS1_11reduce_implILb1ES3_PhS7_h11plus_mod_10IhEEE10hipError_tPvRmT1_T2_T3_mT4_P12ihipStream_tbEUlT_E0_NS1_11comp_targetILNS1_3genE10ELNS1_11target_archE1200ELNS1_3gpuE4ELNS1_3repE0EEENS1_30default_config_static_selectorELNS0_4arch9wavefront6targetE1EEEvSD_: ; @_ZN7rocprim17ROCPRIM_400000_NS6detail17trampoline_kernelINS0_14default_configENS1_22reduce_config_selectorIhEEZNS1_11reduce_implILb1ES3_PhS7_h11plus_mod_10IhEEE10hipError_tPvRmT1_T2_T3_mT4_P12ihipStream_tbEUlT_E0_NS1_11comp_targetILNS1_3genE10ELNS1_11target_archE1200ELNS1_3gpuE4ELNS1_3repE0EEENS1_30default_config_static_selectorELNS0_4arch9wavefront6targetE1EEEvSD_
; %bb.0:
	.section	.rodata,"a",@progbits
	.p2align	6, 0x0
	.amdhsa_kernel _ZN7rocprim17ROCPRIM_400000_NS6detail17trampoline_kernelINS0_14default_configENS1_22reduce_config_selectorIhEEZNS1_11reduce_implILb1ES3_PhS7_h11plus_mod_10IhEEE10hipError_tPvRmT1_T2_T3_mT4_P12ihipStream_tbEUlT_E0_NS1_11comp_targetILNS1_3genE10ELNS1_11target_archE1200ELNS1_3gpuE4ELNS1_3repE0EEENS1_30default_config_static_selectorELNS0_4arch9wavefront6targetE1EEEvSD_
		.amdhsa_group_segment_fixed_size 0
		.amdhsa_private_segment_fixed_size 0
		.amdhsa_kernarg_size 56
		.amdhsa_user_sgpr_count 2
		.amdhsa_user_sgpr_dispatch_ptr 0
		.amdhsa_user_sgpr_queue_ptr 0
		.amdhsa_user_sgpr_kernarg_segment_ptr 1
		.amdhsa_user_sgpr_dispatch_id 0
		.amdhsa_user_sgpr_kernarg_preload_length 0
		.amdhsa_user_sgpr_kernarg_preload_offset 0
		.amdhsa_user_sgpr_private_segment_size 0
		.amdhsa_uses_dynamic_stack 0
		.amdhsa_enable_private_segment 0
		.amdhsa_system_sgpr_workgroup_id_x 1
		.amdhsa_system_sgpr_workgroup_id_y 0
		.amdhsa_system_sgpr_workgroup_id_z 0
		.amdhsa_system_sgpr_workgroup_info 0
		.amdhsa_system_vgpr_workitem_id 0
		.amdhsa_next_free_vgpr 1
		.amdhsa_next_free_sgpr 0
		.amdhsa_accum_offset 4
		.amdhsa_reserve_vcc 0
		.amdhsa_float_round_mode_32 0
		.amdhsa_float_round_mode_16_64 0
		.amdhsa_float_denorm_mode_32 3
		.amdhsa_float_denorm_mode_16_64 3
		.amdhsa_dx10_clamp 1
		.amdhsa_ieee_mode 1
		.amdhsa_fp16_overflow 0
		.amdhsa_tg_split 0
		.amdhsa_exception_fp_ieee_invalid_op 0
		.amdhsa_exception_fp_denorm_src 0
		.amdhsa_exception_fp_ieee_div_zero 0
		.amdhsa_exception_fp_ieee_overflow 0
		.amdhsa_exception_fp_ieee_underflow 0
		.amdhsa_exception_fp_ieee_inexact 0
		.amdhsa_exception_int_div_zero 0
	.end_amdhsa_kernel
	.section	.text._ZN7rocprim17ROCPRIM_400000_NS6detail17trampoline_kernelINS0_14default_configENS1_22reduce_config_selectorIhEEZNS1_11reduce_implILb1ES3_PhS7_h11plus_mod_10IhEEE10hipError_tPvRmT1_T2_T3_mT4_P12ihipStream_tbEUlT_E0_NS1_11comp_targetILNS1_3genE10ELNS1_11target_archE1200ELNS1_3gpuE4ELNS1_3repE0EEENS1_30default_config_static_selectorELNS0_4arch9wavefront6targetE1EEEvSD_,"axG",@progbits,_ZN7rocprim17ROCPRIM_400000_NS6detail17trampoline_kernelINS0_14default_configENS1_22reduce_config_selectorIhEEZNS1_11reduce_implILb1ES3_PhS7_h11plus_mod_10IhEEE10hipError_tPvRmT1_T2_T3_mT4_P12ihipStream_tbEUlT_E0_NS1_11comp_targetILNS1_3genE10ELNS1_11target_archE1200ELNS1_3gpuE4ELNS1_3repE0EEENS1_30default_config_static_selectorELNS0_4arch9wavefront6targetE1EEEvSD_,comdat
.Lfunc_end663:
	.size	_ZN7rocprim17ROCPRIM_400000_NS6detail17trampoline_kernelINS0_14default_configENS1_22reduce_config_selectorIhEEZNS1_11reduce_implILb1ES3_PhS7_h11plus_mod_10IhEEE10hipError_tPvRmT1_T2_T3_mT4_P12ihipStream_tbEUlT_E0_NS1_11comp_targetILNS1_3genE10ELNS1_11target_archE1200ELNS1_3gpuE4ELNS1_3repE0EEENS1_30default_config_static_selectorELNS0_4arch9wavefront6targetE1EEEvSD_, .Lfunc_end663-_ZN7rocprim17ROCPRIM_400000_NS6detail17trampoline_kernelINS0_14default_configENS1_22reduce_config_selectorIhEEZNS1_11reduce_implILb1ES3_PhS7_h11plus_mod_10IhEEE10hipError_tPvRmT1_T2_T3_mT4_P12ihipStream_tbEUlT_E0_NS1_11comp_targetILNS1_3genE10ELNS1_11target_archE1200ELNS1_3gpuE4ELNS1_3repE0EEENS1_30default_config_static_selectorELNS0_4arch9wavefront6targetE1EEEvSD_
                                        ; -- End function
	.set _ZN7rocprim17ROCPRIM_400000_NS6detail17trampoline_kernelINS0_14default_configENS1_22reduce_config_selectorIhEEZNS1_11reduce_implILb1ES3_PhS7_h11plus_mod_10IhEEE10hipError_tPvRmT1_T2_T3_mT4_P12ihipStream_tbEUlT_E0_NS1_11comp_targetILNS1_3genE10ELNS1_11target_archE1200ELNS1_3gpuE4ELNS1_3repE0EEENS1_30default_config_static_selectorELNS0_4arch9wavefront6targetE1EEEvSD_.num_vgpr, 0
	.set _ZN7rocprim17ROCPRIM_400000_NS6detail17trampoline_kernelINS0_14default_configENS1_22reduce_config_selectorIhEEZNS1_11reduce_implILb1ES3_PhS7_h11plus_mod_10IhEEE10hipError_tPvRmT1_T2_T3_mT4_P12ihipStream_tbEUlT_E0_NS1_11comp_targetILNS1_3genE10ELNS1_11target_archE1200ELNS1_3gpuE4ELNS1_3repE0EEENS1_30default_config_static_selectorELNS0_4arch9wavefront6targetE1EEEvSD_.num_agpr, 0
	.set _ZN7rocprim17ROCPRIM_400000_NS6detail17trampoline_kernelINS0_14default_configENS1_22reduce_config_selectorIhEEZNS1_11reduce_implILb1ES3_PhS7_h11plus_mod_10IhEEE10hipError_tPvRmT1_T2_T3_mT4_P12ihipStream_tbEUlT_E0_NS1_11comp_targetILNS1_3genE10ELNS1_11target_archE1200ELNS1_3gpuE4ELNS1_3repE0EEENS1_30default_config_static_selectorELNS0_4arch9wavefront6targetE1EEEvSD_.numbered_sgpr, 0
	.set _ZN7rocprim17ROCPRIM_400000_NS6detail17trampoline_kernelINS0_14default_configENS1_22reduce_config_selectorIhEEZNS1_11reduce_implILb1ES3_PhS7_h11plus_mod_10IhEEE10hipError_tPvRmT1_T2_T3_mT4_P12ihipStream_tbEUlT_E0_NS1_11comp_targetILNS1_3genE10ELNS1_11target_archE1200ELNS1_3gpuE4ELNS1_3repE0EEENS1_30default_config_static_selectorELNS0_4arch9wavefront6targetE1EEEvSD_.num_named_barrier, 0
	.set _ZN7rocprim17ROCPRIM_400000_NS6detail17trampoline_kernelINS0_14default_configENS1_22reduce_config_selectorIhEEZNS1_11reduce_implILb1ES3_PhS7_h11plus_mod_10IhEEE10hipError_tPvRmT1_T2_T3_mT4_P12ihipStream_tbEUlT_E0_NS1_11comp_targetILNS1_3genE10ELNS1_11target_archE1200ELNS1_3gpuE4ELNS1_3repE0EEENS1_30default_config_static_selectorELNS0_4arch9wavefront6targetE1EEEvSD_.private_seg_size, 0
	.set _ZN7rocprim17ROCPRIM_400000_NS6detail17trampoline_kernelINS0_14default_configENS1_22reduce_config_selectorIhEEZNS1_11reduce_implILb1ES3_PhS7_h11plus_mod_10IhEEE10hipError_tPvRmT1_T2_T3_mT4_P12ihipStream_tbEUlT_E0_NS1_11comp_targetILNS1_3genE10ELNS1_11target_archE1200ELNS1_3gpuE4ELNS1_3repE0EEENS1_30default_config_static_selectorELNS0_4arch9wavefront6targetE1EEEvSD_.uses_vcc, 0
	.set _ZN7rocprim17ROCPRIM_400000_NS6detail17trampoline_kernelINS0_14default_configENS1_22reduce_config_selectorIhEEZNS1_11reduce_implILb1ES3_PhS7_h11plus_mod_10IhEEE10hipError_tPvRmT1_T2_T3_mT4_P12ihipStream_tbEUlT_E0_NS1_11comp_targetILNS1_3genE10ELNS1_11target_archE1200ELNS1_3gpuE4ELNS1_3repE0EEENS1_30default_config_static_selectorELNS0_4arch9wavefront6targetE1EEEvSD_.uses_flat_scratch, 0
	.set _ZN7rocprim17ROCPRIM_400000_NS6detail17trampoline_kernelINS0_14default_configENS1_22reduce_config_selectorIhEEZNS1_11reduce_implILb1ES3_PhS7_h11plus_mod_10IhEEE10hipError_tPvRmT1_T2_T3_mT4_P12ihipStream_tbEUlT_E0_NS1_11comp_targetILNS1_3genE10ELNS1_11target_archE1200ELNS1_3gpuE4ELNS1_3repE0EEENS1_30default_config_static_selectorELNS0_4arch9wavefront6targetE1EEEvSD_.has_dyn_sized_stack, 0
	.set _ZN7rocprim17ROCPRIM_400000_NS6detail17trampoline_kernelINS0_14default_configENS1_22reduce_config_selectorIhEEZNS1_11reduce_implILb1ES3_PhS7_h11plus_mod_10IhEEE10hipError_tPvRmT1_T2_T3_mT4_P12ihipStream_tbEUlT_E0_NS1_11comp_targetILNS1_3genE10ELNS1_11target_archE1200ELNS1_3gpuE4ELNS1_3repE0EEENS1_30default_config_static_selectorELNS0_4arch9wavefront6targetE1EEEvSD_.has_recursion, 0
	.set _ZN7rocprim17ROCPRIM_400000_NS6detail17trampoline_kernelINS0_14default_configENS1_22reduce_config_selectorIhEEZNS1_11reduce_implILb1ES3_PhS7_h11plus_mod_10IhEEE10hipError_tPvRmT1_T2_T3_mT4_P12ihipStream_tbEUlT_E0_NS1_11comp_targetILNS1_3genE10ELNS1_11target_archE1200ELNS1_3gpuE4ELNS1_3repE0EEENS1_30default_config_static_selectorELNS0_4arch9wavefront6targetE1EEEvSD_.has_indirect_call, 0
	.section	.AMDGPU.csdata,"",@progbits
; Kernel info:
; codeLenInByte = 0
; TotalNumSgprs: 6
; NumVgprs: 0
; NumAgprs: 0
; TotalNumVgprs: 0
; ScratchSize: 0
; MemoryBound: 0
; FloatMode: 240
; IeeeMode: 1
; LDSByteSize: 0 bytes/workgroup (compile time only)
; SGPRBlocks: 0
; VGPRBlocks: 0
; NumSGPRsForWavesPerEU: 6
; NumVGPRsForWavesPerEU: 1
; AccumOffset: 4
; Occupancy: 8
; WaveLimiterHint : 0
; COMPUTE_PGM_RSRC2:SCRATCH_EN: 0
; COMPUTE_PGM_RSRC2:USER_SGPR: 2
; COMPUTE_PGM_RSRC2:TRAP_HANDLER: 0
; COMPUTE_PGM_RSRC2:TGID_X_EN: 1
; COMPUTE_PGM_RSRC2:TGID_Y_EN: 0
; COMPUTE_PGM_RSRC2:TGID_Z_EN: 0
; COMPUTE_PGM_RSRC2:TIDIG_COMP_CNT: 0
; COMPUTE_PGM_RSRC3_GFX90A:ACCUM_OFFSET: 0
; COMPUTE_PGM_RSRC3_GFX90A:TG_SPLIT: 0
	.section	.text._ZN7rocprim17ROCPRIM_400000_NS6detail17trampoline_kernelINS0_14default_configENS1_22reduce_config_selectorIhEEZNS1_11reduce_implILb1ES3_PhS7_h11plus_mod_10IhEEE10hipError_tPvRmT1_T2_T3_mT4_P12ihipStream_tbEUlT_E0_NS1_11comp_targetILNS1_3genE9ELNS1_11target_archE1100ELNS1_3gpuE3ELNS1_3repE0EEENS1_30default_config_static_selectorELNS0_4arch9wavefront6targetE1EEEvSD_,"axG",@progbits,_ZN7rocprim17ROCPRIM_400000_NS6detail17trampoline_kernelINS0_14default_configENS1_22reduce_config_selectorIhEEZNS1_11reduce_implILb1ES3_PhS7_h11plus_mod_10IhEEE10hipError_tPvRmT1_T2_T3_mT4_P12ihipStream_tbEUlT_E0_NS1_11comp_targetILNS1_3genE9ELNS1_11target_archE1100ELNS1_3gpuE3ELNS1_3repE0EEENS1_30default_config_static_selectorELNS0_4arch9wavefront6targetE1EEEvSD_,comdat
	.protected	_ZN7rocprim17ROCPRIM_400000_NS6detail17trampoline_kernelINS0_14default_configENS1_22reduce_config_selectorIhEEZNS1_11reduce_implILb1ES3_PhS7_h11plus_mod_10IhEEE10hipError_tPvRmT1_T2_T3_mT4_P12ihipStream_tbEUlT_E0_NS1_11comp_targetILNS1_3genE9ELNS1_11target_archE1100ELNS1_3gpuE3ELNS1_3repE0EEENS1_30default_config_static_selectorELNS0_4arch9wavefront6targetE1EEEvSD_ ; -- Begin function _ZN7rocprim17ROCPRIM_400000_NS6detail17trampoline_kernelINS0_14default_configENS1_22reduce_config_selectorIhEEZNS1_11reduce_implILb1ES3_PhS7_h11plus_mod_10IhEEE10hipError_tPvRmT1_T2_T3_mT4_P12ihipStream_tbEUlT_E0_NS1_11comp_targetILNS1_3genE9ELNS1_11target_archE1100ELNS1_3gpuE3ELNS1_3repE0EEENS1_30default_config_static_selectorELNS0_4arch9wavefront6targetE1EEEvSD_
	.globl	_ZN7rocprim17ROCPRIM_400000_NS6detail17trampoline_kernelINS0_14default_configENS1_22reduce_config_selectorIhEEZNS1_11reduce_implILb1ES3_PhS7_h11plus_mod_10IhEEE10hipError_tPvRmT1_T2_T3_mT4_P12ihipStream_tbEUlT_E0_NS1_11comp_targetILNS1_3genE9ELNS1_11target_archE1100ELNS1_3gpuE3ELNS1_3repE0EEENS1_30default_config_static_selectorELNS0_4arch9wavefront6targetE1EEEvSD_
	.p2align	8
	.type	_ZN7rocprim17ROCPRIM_400000_NS6detail17trampoline_kernelINS0_14default_configENS1_22reduce_config_selectorIhEEZNS1_11reduce_implILb1ES3_PhS7_h11plus_mod_10IhEEE10hipError_tPvRmT1_T2_T3_mT4_P12ihipStream_tbEUlT_E0_NS1_11comp_targetILNS1_3genE9ELNS1_11target_archE1100ELNS1_3gpuE3ELNS1_3repE0EEENS1_30default_config_static_selectorELNS0_4arch9wavefront6targetE1EEEvSD_,@function
_ZN7rocprim17ROCPRIM_400000_NS6detail17trampoline_kernelINS0_14default_configENS1_22reduce_config_selectorIhEEZNS1_11reduce_implILb1ES3_PhS7_h11plus_mod_10IhEEE10hipError_tPvRmT1_T2_T3_mT4_P12ihipStream_tbEUlT_E0_NS1_11comp_targetILNS1_3genE9ELNS1_11target_archE1100ELNS1_3gpuE3ELNS1_3repE0EEENS1_30default_config_static_selectorELNS0_4arch9wavefront6targetE1EEEvSD_: ; @_ZN7rocprim17ROCPRIM_400000_NS6detail17trampoline_kernelINS0_14default_configENS1_22reduce_config_selectorIhEEZNS1_11reduce_implILb1ES3_PhS7_h11plus_mod_10IhEEE10hipError_tPvRmT1_T2_T3_mT4_P12ihipStream_tbEUlT_E0_NS1_11comp_targetILNS1_3genE9ELNS1_11target_archE1100ELNS1_3gpuE3ELNS1_3repE0EEENS1_30default_config_static_selectorELNS0_4arch9wavefront6targetE1EEEvSD_
; %bb.0:
	.section	.rodata,"a",@progbits
	.p2align	6, 0x0
	.amdhsa_kernel _ZN7rocprim17ROCPRIM_400000_NS6detail17trampoline_kernelINS0_14default_configENS1_22reduce_config_selectorIhEEZNS1_11reduce_implILb1ES3_PhS7_h11plus_mod_10IhEEE10hipError_tPvRmT1_T2_T3_mT4_P12ihipStream_tbEUlT_E0_NS1_11comp_targetILNS1_3genE9ELNS1_11target_archE1100ELNS1_3gpuE3ELNS1_3repE0EEENS1_30default_config_static_selectorELNS0_4arch9wavefront6targetE1EEEvSD_
		.amdhsa_group_segment_fixed_size 0
		.amdhsa_private_segment_fixed_size 0
		.amdhsa_kernarg_size 56
		.amdhsa_user_sgpr_count 2
		.amdhsa_user_sgpr_dispatch_ptr 0
		.amdhsa_user_sgpr_queue_ptr 0
		.amdhsa_user_sgpr_kernarg_segment_ptr 1
		.amdhsa_user_sgpr_dispatch_id 0
		.amdhsa_user_sgpr_kernarg_preload_length 0
		.amdhsa_user_sgpr_kernarg_preload_offset 0
		.amdhsa_user_sgpr_private_segment_size 0
		.amdhsa_uses_dynamic_stack 0
		.amdhsa_enable_private_segment 0
		.amdhsa_system_sgpr_workgroup_id_x 1
		.amdhsa_system_sgpr_workgroup_id_y 0
		.amdhsa_system_sgpr_workgroup_id_z 0
		.amdhsa_system_sgpr_workgroup_info 0
		.amdhsa_system_vgpr_workitem_id 0
		.amdhsa_next_free_vgpr 1
		.amdhsa_next_free_sgpr 0
		.amdhsa_accum_offset 4
		.amdhsa_reserve_vcc 0
		.amdhsa_float_round_mode_32 0
		.amdhsa_float_round_mode_16_64 0
		.amdhsa_float_denorm_mode_32 3
		.amdhsa_float_denorm_mode_16_64 3
		.amdhsa_dx10_clamp 1
		.amdhsa_ieee_mode 1
		.amdhsa_fp16_overflow 0
		.amdhsa_tg_split 0
		.amdhsa_exception_fp_ieee_invalid_op 0
		.amdhsa_exception_fp_denorm_src 0
		.amdhsa_exception_fp_ieee_div_zero 0
		.amdhsa_exception_fp_ieee_overflow 0
		.amdhsa_exception_fp_ieee_underflow 0
		.amdhsa_exception_fp_ieee_inexact 0
		.amdhsa_exception_int_div_zero 0
	.end_amdhsa_kernel
	.section	.text._ZN7rocprim17ROCPRIM_400000_NS6detail17trampoline_kernelINS0_14default_configENS1_22reduce_config_selectorIhEEZNS1_11reduce_implILb1ES3_PhS7_h11plus_mod_10IhEEE10hipError_tPvRmT1_T2_T3_mT4_P12ihipStream_tbEUlT_E0_NS1_11comp_targetILNS1_3genE9ELNS1_11target_archE1100ELNS1_3gpuE3ELNS1_3repE0EEENS1_30default_config_static_selectorELNS0_4arch9wavefront6targetE1EEEvSD_,"axG",@progbits,_ZN7rocprim17ROCPRIM_400000_NS6detail17trampoline_kernelINS0_14default_configENS1_22reduce_config_selectorIhEEZNS1_11reduce_implILb1ES3_PhS7_h11plus_mod_10IhEEE10hipError_tPvRmT1_T2_T3_mT4_P12ihipStream_tbEUlT_E0_NS1_11comp_targetILNS1_3genE9ELNS1_11target_archE1100ELNS1_3gpuE3ELNS1_3repE0EEENS1_30default_config_static_selectorELNS0_4arch9wavefront6targetE1EEEvSD_,comdat
.Lfunc_end664:
	.size	_ZN7rocprim17ROCPRIM_400000_NS6detail17trampoline_kernelINS0_14default_configENS1_22reduce_config_selectorIhEEZNS1_11reduce_implILb1ES3_PhS7_h11plus_mod_10IhEEE10hipError_tPvRmT1_T2_T3_mT4_P12ihipStream_tbEUlT_E0_NS1_11comp_targetILNS1_3genE9ELNS1_11target_archE1100ELNS1_3gpuE3ELNS1_3repE0EEENS1_30default_config_static_selectorELNS0_4arch9wavefront6targetE1EEEvSD_, .Lfunc_end664-_ZN7rocprim17ROCPRIM_400000_NS6detail17trampoline_kernelINS0_14default_configENS1_22reduce_config_selectorIhEEZNS1_11reduce_implILb1ES3_PhS7_h11plus_mod_10IhEEE10hipError_tPvRmT1_T2_T3_mT4_P12ihipStream_tbEUlT_E0_NS1_11comp_targetILNS1_3genE9ELNS1_11target_archE1100ELNS1_3gpuE3ELNS1_3repE0EEENS1_30default_config_static_selectorELNS0_4arch9wavefront6targetE1EEEvSD_
                                        ; -- End function
	.set _ZN7rocprim17ROCPRIM_400000_NS6detail17trampoline_kernelINS0_14default_configENS1_22reduce_config_selectorIhEEZNS1_11reduce_implILb1ES3_PhS7_h11plus_mod_10IhEEE10hipError_tPvRmT1_T2_T3_mT4_P12ihipStream_tbEUlT_E0_NS1_11comp_targetILNS1_3genE9ELNS1_11target_archE1100ELNS1_3gpuE3ELNS1_3repE0EEENS1_30default_config_static_selectorELNS0_4arch9wavefront6targetE1EEEvSD_.num_vgpr, 0
	.set _ZN7rocprim17ROCPRIM_400000_NS6detail17trampoline_kernelINS0_14default_configENS1_22reduce_config_selectorIhEEZNS1_11reduce_implILb1ES3_PhS7_h11plus_mod_10IhEEE10hipError_tPvRmT1_T2_T3_mT4_P12ihipStream_tbEUlT_E0_NS1_11comp_targetILNS1_3genE9ELNS1_11target_archE1100ELNS1_3gpuE3ELNS1_3repE0EEENS1_30default_config_static_selectorELNS0_4arch9wavefront6targetE1EEEvSD_.num_agpr, 0
	.set _ZN7rocprim17ROCPRIM_400000_NS6detail17trampoline_kernelINS0_14default_configENS1_22reduce_config_selectorIhEEZNS1_11reduce_implILb1ES3_PhS7_h11plus_mod_10IhEEE10hipError_tPvRmT1_T2_T3_mT4_P12ihipStream_tbEUlT_E0_NS1_11comp_targetILNS1_3genE9ELNS1_11target_archE1100ELNS1_3gpuE3ELNS1_3repE0EEENS1_30default_config_static_selectorELNS0_4arch9wavefront6targetE1EEEvSD_.numbered_sgpr, 0
	.set _ZN7rocprim17ROCPRIM_400000_NS6detail17trampoline_kernelINS0_14default_configENS1_22reduce_config_selectorIhEEZNS1_11reduce_implILb1ES3_PhS7_h11plus_mod_10IhEEE10hipError_tPvRmT1_T2_T3_mT4_P12ihipStream_tbEUlT_E0_NS1_11comp_targetILNS1_3genE9ELNS1_11target_archE1100ELNS1_3gpuE3ELNS1_3repE0EEENS1_30default_config_static_selectorELNS0_4arch9wavefront6targetE1EEEvSD_.num_named_barrier, 0
	.set _ZN7rocprim17ROCPRIM_400000_NS6detail17trampoline_kernelINS0_14default_configENS1_22reduce_config_selectorIhEEZNS1_11reduce_implILb1ES3_PhS7_h11plus_mod_10IhEEE10hipError_tPvRmT1_T2_T3_mT4_P12ihipStream_tbEUlT_E0_NS1_11comp_targetILNS1_3genE9ELNS1_11target_archE1100ELNS1_3gpuE3ELNS1_3repE0EEENS1_30default_config_static_selectorELNS0_4arch9wavefront6targetE1EEEvSD_.private_seg_size, 0
	.set _ZN7rocprim17ROCPRIM_400000_NS6detail17trampoline_kernelINS0_14default_configENS1_22reduce_config_selectorIhEEZNS1_11reduce_implILb1ES3_PhS7_h11plus_mod_10IhEEE10hipError_tPvRmT1_T2_T3_mT4_P12ihipStream_tbEUlT_E0_NS1_11comp_targetILNS1_3genE9ELNS1_11target_archE1100ELNS1_3gpuE3ELNS1_3repE0EEENS1_30default_config_static_selectorELNS0_4arch9wavefront6targetE1EEEvSD_.uses_vcc, 0
	.set _ZN7rocprim17ROCPRIM_400000_NS6detail17trampoline_kernelINS0_14default_configENS1_22reduce_config_selectorIhEEZNS1_11reduce_implILb1ES3_PhS7_h11plus_mod_10IhEEE10hipError_tPvRmT1_T2_T3_mT4_P12ihipStream_tbEUlT_E0_NS1_11comp_targetILNS1_3genE9ELNS1_11target_archE1100ELNS1_3gpuE3ELNS1_3repE0EEENS1_30default_config_static_selectorELNS0_4arch9wavefront6targetE1EEEvSD_.uses_flat_scratch, 0
	.set _ZN7rocprim17ROCPRIM_400000_NS6detail17trampoline_kernelINS0_14default_configENS1_22reduce_config_selectorIhEEZNS1_11reduce_implILb1ES3_PhS7_h11plus_mod_10IhEEE10hipError_tPvRmT1_T2_T3_mT4_P12ihipStream_tbEUlT_E0_NS1_11comp_targetILNS1_3genE9ELNS1_11target_archE1100ELNS1_3gpuE3ELNS1_3repE0EEENS1_30default_config_static_selectorELNS0_4arch9wavefront6targetE1EEEvSD_.has_dyn_sized_stack, 0
	.set _ZN7rocprim17ROCPRIM_400000_NS6detail17trampoline_kernelINS0_14default_configENS1_22reduce_config_selectorIhEEZNS1_11reduce_implILb1ES3_PhS7_h11plus_mod_10IhEEE10hipError_tPvRmT1_T2_T3_mT4_P12ihipStream_tbEUlT_E0_NS1_11comp_targetILNS1_3genE9ELNS1_11target_archE1100ELNS1_3gpuE3ELNS1_3repE0EEENS1_30default_config_static_selectorELNS0_4arch9wavefront6targetE1EEEvSD_.has_recursion, 0
	.set _ZN7rocprim17ROCPRIM_400000_NS6detail17trampoline_kernelINS0_14default_configENS1_22reduce_config_selectorIhEEZNS1_11reduce_implILb1ES3_PhS7_h11plus_mod_10IhEEE10hipError_tPvRmT1_T2_T3_mT4_P12ihipStream_tbEUlT_E0_NS1_11comp_targetILNS1_3genE9ELNS1_11target_archE1100ELNS1_3gpuE3ELNS1_3repE0EEENS1_30default_config_static_selectorELNS0_4arch9wavefront6targetE1EEEvSD_.has_indirect_call, 0
	.section	.AMDGPU.csdata,"",@progbits
; Kernel info:
; codeLenInByte = 0
; TotalNumSgprs: 6
; NumVgprs: 0
; NumAgprs: 0
; TotalNumVgprs: 0
; ScratchSize: 0
; MemoryBound: 0
; FloatMode: 240
; IeeeMode: 1
; LDSByteSize: 0 bytes/workgroup (compile time only)
; SGPRBlocks: 0
; VGPRBlocks: 0
; NumSGPRsForWavesPerEU: 6
; NumVGPRsForWavesPerEU: 1
; AccumOffset: 4
; Occupancy: 8
; WaveLimiterHint : 0
; COMPUTE_PGM_RSRC2:SCRATCH_EN: 0
; COMPUTE_PGM_RSRC2:USER_SGPR: 2
; COMPUTE_PGM_RSRC2:TRAP_HANDLER: 0
; COMPUTE_PGM_RSRC2:TGID_X_EN: 1
; COMPUTE_PGM_RSRC2:TGID_Y_EN: 0
; COMPUTE_PGM_RSRC2:TGID_Z_EN: 0
; COMPUTE_PGM_RSRC2:TIDIG_COMP_CNT: 0
; COMPUTE_PGM_RSRC3_GFX90A:ACCUM_OFFSET: 0
; COMPUTE_PGM_RSRC3_GFX90A:TG_SPLIT: 0
	.section	.text._ZN7rocprim17ROCPRIM_400000_NS6detail17trampoline_kernelINS0_14default_configENS1_22reduce_config_selectorIhEEZNS1_11reduce_implILb1ES3_PhS7_h11plus_mod_10IhEEE10hipError_tPvRmT1_T2_T3_mT4_P12ihipStream_tbEUlT_E0_NS1_11comp_targetILNS1_3genE8ELNS1_11target_archE1030ELNS1_3gpuE2ELNS1_3repE0EEENS1_30default_config_static_selectorELNS0_4arch9wavefront6targetE1EEEvSD_,"axG",@progbits,_ZN7rocprim17ROCPRIM_400000_NS6detail17trampoline_kernelINS0_14default_configENS1_22reduce_config_selectorIhEEZNS1_11reduce_implILb1ES3_PhS7_h11plus_mod_10IhEEE10hipError_tPvRmT1_T2_T3_mT4_P12ihipStream_tbEUlT_E0_NS1_11comp_targetILNS1_3genE8ELNS1_11target_archE1030ELNS1_3gpuE2ELNS1_3repE0EEENS1_30default_config_static_selectorELNS0_4arch9wavefront6targetE1EEEvSD_,comdat
	.protected	_ZN7rocprim17ROCPRIM_400000_NS6detail17trampoline_kernelINS0_14default_configENS1_22reduce_config_selectorIhEEZNS1_11reduce_implILb1ES3_PhS7_h11plus_mod_10IhEEE10hipError_tPvRmT1_T2_T3_mT4_P12ihipStream_tbEUlT_E0_NS1_11comp_targetILNS1_3genE8ELNS1_11target_archE1030ELNS1_3gpuE2ELNS1_3repE0EEENS1_30default_config_static_selectorELNS0_4arch9wavefront6targetE1EEEvSD_ ; -- Begin function _ZN7rocprim17ROCPRIM_400000_NS6detail17trampoline_kernelINS0_14default_configENS1_22reduce_config_selectorIhEEZNS1_11reduce_implILb1ES3_PhS7_h11plus_mod_10IhEEE10hipError_tPvRmT1_T2_T3_mT4_P12ihipStream_tbEUlT_E0_NS1_11comp_targetILNS1_3genE8ELNS1_11target_archE1030ELNS1_3gpuE2ELNS1_3repE0EEENS1_30default_config_static_selectorELNS0_4arch9wavefront6targetE1EEEvSD_
	.globl	_ZN7rocprim17ROCPRIM_400000_NS6detail17trampoline_kernelINS0_14default_configENS1_22reduce_config_selectorIhEEZNS1_11reduce_implILb1ES3_PhS7_h11plus_mod_10IhEEE10hipError_tPvRmT1_T2_T3_mT4_P12ihipStream_tbEUlT_E0_NS1_11comp_targetILNS1_3genE8ELNS1_11target_archE1030ELNS1_3gpuE2ELNS1_3repE0EEENS1_30default_config_static_selectorELNS0_4arch9wavefront6targetE1EEEvSD_
	.p2align	8
	.type	_ZN7rocprim17ROCPRIM_400000_NS6detail17trampoline_kernelINS0_14default_configENS1_22reduce_config_selectorIhEEZNS1_11reduce_implILb1ES3_PhS7_h11plus_mod_10IhEEE10hipError_tPvRmT1_T2_T3_mT4_P12ihipStream_tbEUlT_E0_NS1_11comp_targetILNS1_3genE8ELNS1_11target_archE1030ELNS1_3gpuE2ELNS1_3repE0EEENS1_30default_config_static_selectorELNS0_4arch9wavefront6targetE1EEEvSD_,@function
_ZN7rocprim17ROCPRIM_400000_NS6detail17trampoline_kernelINS0_14default_configENS1_22reduce_config_selectorIhEEZNS1_11reduce_implILb1ES3_PhS7_h11plus_mod_10IhEEE10hipError_tPvRmT1_T2_T3_mT4_P12ihipStream_tbEUlT_E0_NS1_11comp_targetILNS1_3genE8ELNS1_11target_archE1030ELNS1_3gpuE2ELNS1_3repE0EEENS1_30default_config_static_selectorELNS0_4arch9wavefront6targetE1EEEvSD_: ; @_ZN7rocprim17ROCPRIM_400000_NS6detail17trampoline_kernelINS0_14default_configENS1_22reduce_config_selectorIhEEZNS1_11reduce_implILb1ES3_PhS7_h11plus_mod_10IhEEE10hipError_tPvRmT1_T2_T3_mT4_P12ihipStream_tbEUlT_E0_NS1_11comp_targetILNS1_3genE8ELNS1_11target_archE1030ELNS1_3gpuE2ELNS1_3repE0EEENS1_30default_config_static_selectorELNS0_4arch9wavefront6targetE1EEEvSD_
; %bb.0:
	.section	.rodata,"a",@progbits
	.p2align	6, 0x0
	.amdhsa_kernel _ZN7rocprim17ROCPRIM_400000_NS6detail17trampoline_kernelINS0_14default_configENS1_22reduce_config_selectorIhEEZNS1_11reduce_implILb1ES3_PhS7_h11plus_mod_10IhEEE10hipError_tPvRmT1_T2_T3_mT4_P12ihipStream_tbEUlT_E0_NS1_11comp_targetILNS1_3genE8ELNS1_11target_archE1030ELNS1_3gpuE2ELNS1_3repE0EEENS1_30default_config_static_selectorELNS0_4arch9wavefront6targetE1EEEvSD_
		.amdhsa_group_segment_fixed_size 0
		.amdhsa_private_segment_fixed_size 0
		.amdhsa_kernarg_size 56
		.amdhsa_user_sgpr_count 2
		.amdhsa_user_sgpr_dispatch_ptr 0
		.amdhsa_user_sgpr_queue_ptr 0
		.amdhsa_user_sgpr_kernarg_segment_ptr 1
		.amdhsa_user_sgpr_dispatch_id 0
		.amdhsa_user_sgpr_kernarg_preload_length 0
		.amdhsa_user_sgpr_kernarg_preload_offset 0
		.amdhsa_user_sgpr_private_segment_size 0
		.amdhsa_uses_dynamic_stack 0
		.amdhsa_enable_private_segment 0
		.amdhsa_system_sgpr_workgroup_id_x 1
		.amdhsa_system_sgpr_workgroup_id_y 0
		.amdhsa_system_sgpr_workgroup_id_z 0
		.amdhsa_system_sgpr_workgroup_info 0
		.amdhsa_system_vgpr_workitem_id 0
		.amdhsa_next_free_vgpr 1
		.amdhsa_next_free_sgpr 0
		.amdhsa_accum_offset 4
		.amdhsa_reserve_vcc 0
		.amdhsa_float_round_mode_32 0
		.amdhsa_float_round_mode_16_64 0
		.amdhsa_float_denorm_mode_32 3
		.amdhsa_float_denorm_mode_16_64 3
		.amdhsa_dx10_clamp 1
		.amdhsa_ieee_mode 1
		.amdhsa_fp16_overflow 0
		.amdhsa_tg_split 0
		.amdhsa_exception_fp_ieee_invalid_op 0
		.amdhsa_exception_fp_denorm_src 0
		.amdhsa_exception_fp_ieee_div_zero 0
		.amdhsa_exception_fp_ieee_overflow 0
		.amdhsa_exception_fp_ieee_underflow 0
		.amdhsa_exception_fp_ieee_inexact 0
		.amdhsa_exception_int_div_zero 0
	.end_amdhsa_kernel
	.section	.text._ZN7rocprim17ROCPRIM_400000_NS6detail17trampoline_kernelINS0_14default_configENS1_22reduce_config_selectorIhEEZNS1_11reduce_implILb1ES3_PhS7_h11plus_mod_10IhEEE10hipError_tPvRmT1_T2_T3_mT4_P12ihipStream_tbEUlT_E0_NS1_11comp_targetILNS1_3genE8ELNS1_11target_archE1030ELNS1_3gpuE2ELNS1_3repE0EEENS1_30default_config_static_selectorELNS0_4arch9wavefront6targetE1EEEvSD_,"axG",@progbits,_ZN7rocprim17ROCPRIM_400000_NS6detail17trampoline_kernelINS0_14default_configENS1_22reduce_config_selectorIhEEZNS1_11reduce_implILb1ES3_PhS7_h11plus_mod_10IhEEE10hipError_tPvRmT1_T2_T3_mT4_P12ihipStream_tbEUlT_E0_NS1_11comp_targetILNS1_3genE8ELNS1_11target_archE1030ELNS1_3gpuE2ELNS1_3repE0EEENS1_30default_config_static_selectorELNS0_4arch9wavefront6targetE1EEEvSD_,comdat
.Lfunc_end665:
	.size	_ZN7rocprim17ROCPRIM_400000_NS6detail17trampoline_kernelINS0_14default_configENS1_22reduce_config_selectorIhEEZNS1_11reduce_implILb1ES3_PhS7_h11plus_mod_10IhEEE10hipError_tPvRmT1_T2_T3_mT4_P12ihipStream_tbEUlT_E0_NS1_11comp_targetILNS1_3genE8ELNS1_11target_archE1030ELNS1_3gpuE2ELNS1_3repE0EEENS1_30default_config_static_selectorELNS0_4arch9wavefront6targetE1EEEvSD_, .Lfunc_end665-_ZN7rocprim17ROCPRIM_400000_NS6detail17trampoline_kernelINS0_14default_configENS1_22reduce_config_selectorIhEEZNS1_11reduce_implILb1ES3_PhS7_h11plus_mod_10IhEEE10hipError_tPvRmT1_T2_T3_mT4_P12ihipStream_tbEUlT_E0_NS1_11comp_targetILNS1_3genE8ELNS1_11target_archE1030ELNS1_3gpuE2ELNS1_3repE0EEENS1_30default_config_static_selectorELNS0_4arch9wavefront6targetE1EEEvSD_
                                        ; -- End function
	.set _ZN7rocprim17ROCPRIM_400000_NS6detail17trampoline_kernelINS0_14default_configENS1_22reduce_config_selectorIhEEZNS1_11reduce_implILb1ES3_PhS7_h11plus_mod_10IhEEE10hipError_tPvRmT1_T2_T3_mT4_P12ihipStream_tbEUlT_E0_NS1_11comp_targetILNS1_3genE8ELNS1_11target_archE1030ELNS1_3gpuE2ELNS1_3repE0EEENS1_30default_config_static_selectorELNS0_4arch9wavefront6targetE1EEEvSD_.num_vgpr, 0
	.set _ZN7rocprim17ROCPRIM_400000_NS6detail17trampoline_kernelINS0_14default_configENS1_22reduce_config_selectorIhEEZNS1_11reduce_implILb1ES3_PhS7_h11plus_mod_10IhEEE10hipError_tPvRmT1_T2_T3_mT4_P12ihipStream_tbEUlT_E0_NS1_11comp_targetILNS1_3genE8ELNS1_11target_archE1030ELNS1_3gpuE2ELNS1_3repE0EEENS1_30default_config_static_selectorELNS0_4arch9wavefront6targetE1EEEvSD_.num_agpr, 0
	.set _ZN7rocprim17ROCPRIM_400000_NS6detail17trampoline_kernelINS0_14default_configENS1_22reduce_config_selectorIhEEZNS1_11reduce_implILb1ES3_PhS7_h11plus_mod_10IhEEE10hipError_tPvRmT1_T2_T3_mT4_P12ihipStream_tbEUlT_E0_NS1_11comp_targetILNS1_3genE8ELNS1_11target_archE1030ELNS1_3gpuE2ELNS1_3repE0EEENS1_30default_config_static_selectorELNS0_4arch9wavefront6targetE1EEEvSD_.numbered_sgpr, 0
	.set _ZN7rocprim17ROCPRIM_400000_NS6detail17trampoline_kernelINS0_14default_configENS1_22reduce_config_selectorIhEEZNS1_11reduce_implILb1ES3_PhS7_h11plus_mod_10IhEEE10hipError_tPvRmT1_T2_T3_mT4_P12ihipStream_tbEUlT_E0_NS1_11comp_targetILNS1_3genE8ELNS1_11target_archE1030ELNS1_3gpuE2ELNS1_3repE0EEENS1_30default_config_static_selectorELNS0_4arch9wavefront6targetE1EEEvSD_.num_named_barrier, 0
	.set _ZN7rocprim17ROCPRIM_400000_NS6detail17trampoline_kernelINS0_14default_configENS1_22reduce_config_selectorIhEEZNS1_11reduce_implILb1ES3_PhS7_h11plus_mod_10IhEEE10hipError_tPvRmT1_T2_T3_mT4_P12ihipStream_tbEUlT_E0_NS1_11comp_targetILNS1_3genE8ELNS1_11target_archE1030ELNS1_3gpuE2ELNS1_3repE0EEENS1_30default_config_static_selectorELNS0_4arch9wavefront6targetE1EEEvSD_.private_seg_size, 0
	.set _ZN7rocprim17ROCPRIM_400000_NS6detail17trampoline_kernelINS0_14default_configENS1_22reduce_config_selectorIhEEZNS1_11reduce_implILb1ES3_PhS7_h11plus_mod_10IhEEE10hipError_tPvRmT1_T2_T3_mT4_P12ihipStream_tbEUlT_E0_NS1_11comp_targetILNS1_3genE8ELNS1_11target_archE1030ELNS1_3gpuE2ELNS1_3repE0EEENS1_30default_config_static_selectorELNS0_4arch9wavefront6targetE1EEEvSD_.uses_vcc, 0
	.set _ZN7rocprim17ROCPRIM_400000_NS6detail17trampoline_kernelINS0_14default_configENS1_22reduce_config_selectorIhEEZNS1_11reduce_implILb1ES3_PhS7_h11plus_mod_10IhEEE10hipError_tPvRmT1_T2_T3_mT4_P12ihipStream_tbEUlT_E0_NS1_11comp_targetILNS1_3genE8ELNS1_11target_archE1030ELNS1_3gpuE2ELNS1_3repE0EEENS1_30default_config_static_selectorELNS0_4arch9wavefront6targetE1EEEvSD_.uses_flat_scratch, 0
	.set _ZN7rocprim17ROCPRIM_400000_NS6detail17trampoline_kernelINS0_14default_configENS1_22reduce_config_selectorIhEEZNS1_11reduce_implILb1ES3_PhS7_h11plus_mod_10IhEEE10hipError_tPvRmT1_T2_T3_mT4_P12ihipStream_tbEUlT_E0_NS1_11comp_targetILNS1_3genE8ELNS1_11target_archE1030ELNS1_3gpuE2ELNS1_3repE0EEENS1_30default_config_static_selectorELNS0_4arch9wavefront6targetE1EEEvSD_.has_dyn_sized_stack, 0
	.set _ZN7rocprim17ROCPRIM_400000_NS6detail17trampoline_kernelINS0_14default_configENS1_22reduce_config_selectorIhEEZNS1_11reduce_implILb1ES3_PhS7_h11plus_mod_10IhEEE10hipError_tPvRmT1_T2_T3_mT4_P12ihipStream_tbEUlT_E0_NS1_11comp_targetILNS1_3genE8ELNS1_11target_archE1030ELNS1_3gpuE2ELNS1_3repE0EEENS1_30default_config_static_selectorELNS0_4arch9wavefront6targetE1EEEvSD_.has_recursion, 0
	.set _ZN7rocprim17ROCPRIM_400000_NS6detail17trampoline_kernelINS0_14default_configENS1_22reduce_config_selectorIhEEZNS1_11reduce_implILb1ES3_PhS7_h11plus_mod_10IhEEE10hipError_tPvRmT1_T2_T3_mT4_P12ihipStream_tbEUlT_E0_NS1_11comp_targetILNS1_3genE8ELNS1_11target_archE1030ELNS1_3gpuE2ELNS1_3repE0EEENS1_30default_config_static_selectorELNS0_4arch9wavefront6targetE1EEEvSD_.has_indirect_call, 0
	.section	.AMDGPU.csdata,"",@progbits
; Kernel info:
; codeLenInByte = 0
; TotalNumSgprs: 6
; NumVgprs: 0
; NumAgprs: 0
; TotalNumVgprs: 0
; ScratchSize: 0
; MemoryBound: 0
; FloatMode: 240
; IeeeMode: 1
; LDSByteSize: 0 bytes/workgroup (compile time only)
; SGPRBlocks: 0
; VGPRBlocks: 0
; NumSGPRsForWavesPerEU: 6
; NumVGPRsForWavesPerEU: 1
; AccumOffset: 4
; Occupancy: 8
; WaveLimiterHint : 0
; COMPUTE_PGM_RSRC2:SCRATCH_EN: 0
; COMPUTE_PGM_RSRC2:USER_SGPR: 2
; COMPUTE_PGM_RSRC2:TRAP_HANDLER: 0
; COMPUTE_PGM_RSRC2:TGID_X_EN: 1
; COMPUTE_PGM_RSRC2:TGID_Y_EN: 0
; COMPUTE_PGM_RSRC2:TGID_Z_EN: 0
; COMPUTE_PGM_RSRC2:TIDIG_COMP_CNT: 0
; COMPUTE_PGM_RSRC3_GFX90A:ACCUM_OFFSET: 0
; COMPUTE_PGM_RSRC3_GFX90A:TG_SPLIT: 0
	.text
	.p2align	2                               ; -- Begin function _ZN7rocprim17ROCPRIM_400000_NS6detail18constexpr_for_implIZZNS1_11reduce_implILb1ENS0_14default_configEPhS5_h11plus_mod_10IhEEE10hipError_tPvRmT1_T2_T3_mT4_P12ihipStream_tbENUlT_E1_clINS1_13target_configIS4_NS1_22reduce_config_selectorIhEENS1_11comp_targetILNS1_3genE0ELNS1_11target_archE4294967295ELNS1_3gpuE0ELNS1_3repE0EEELNS0_4arch9wavefront6targetE1EEEEEDaSH_EUlSH_E_TnDaLi0ETnDaLi1EJLm0ELm1ELm2ELm3ELm4ELm5ELm6ELm7EEEEvOSH_St16integer_sequenceImJXspT2_EEE
	.type	_ZN7rocprim17ROCPRIM_400000_NS6detail18constexpr_for_implIZZNS1_11reduce_implILb1ENS0_14default_configEPhS5_h11plus_mod_10IhEEE10hipError_tPvRmT1_T2_T3_mT4_P12ihipStream_tbENUlT_E1_clINS1_13target_configIS4_NS1_22reduce_config_selectorIhEENS1_11comp_targetILNS1_3genE0ELNS1_11target_archE4294967295ELNS1_3gpuE0ELNS1_3repE0EEELNS0_4arch9wavefront6targetE1EEEEEDaSH_EUlSH_E_TnDaLi0ETnDaLi1EJLm0ELm1ELm2ELm3ELm4ELm5ELm6ELm7EEEEvOSH_St16integer_sequenceImJXspT2_EEE,@function
_ZN7rocprim17ROCPRIM_400000_NS6detail18constexpr_for_implIZZNS1_11reduce_implILb1ENS0_14default_configEPhS5_h11plus_mod_10IhEEE10hipError_tPvRmT1_T2_T3_mT4_P12ihipStream_tbENUlT_E1_clINS1_13target_configIS4_NS1_22reduce_config_selectorIhEENS1_11comp_targetILNS1_3genE0ELNS1_11target_archE4294967295ELNS1_3gpuE0ELNS1_3repE0EEELNS0_4arch9wavefront6targetE1EEEEEDaSH_EUlSH_E_TnDaLi0ETnDaLi1EJLm0ELm1ELm2ELm3ELm4ELm5ELm6ELm7EEEEvOSH_St16integer_sequenceImJXspT2_EEE: ; @_ZN7rocprim17ROCPRIM_400000_NS6detail18constexpr_for_implIZZNS1_11reduce_implILb1ENS0_14default_configEPhS5_h11plus_mod_10IhEEE10hipError_tPvRmT1_T2_T3_mT4_P12ihipStream_tbENUlT_E1_clINS1_13target_configIS4_NS1_22reduce_config_selectorIhEENS1_11comp_targetILNS1_3genE0ELNS1_11target_archE4294967295ELNS1_3gpuE0ELNS1_3repE0EEELNS0_4arch9wavefront6targetE1EEEEEDaSH_EUlSH_E_TnDaLi0ETnDaLi1EJLm0ELm1ELm2ELm3ELm4ELm5ELm6ELm7EEEEvOSH_St16integer_sequenceImJXspT2_EEE
; %bb.0:
	s_waitcnt vmcnt(0) expcnt(0) lgkmcnt(0)
	s_or_saveexec_b64 s[0:1], -1
	scratch_store_dword off, v40, s32       ; 4-byte Folded Spill
	scratch_store_dword off, v41, s32 offset:4 ; 4-byte Folded Spill
	scratch_store_dword off, v42, s32 offset:8 ; 4-byte Folded Spill
	;; [unrolled: 1-line block ×3, first 2 shown]
	s_mov_b64 exec, s[0:1]
	v_writelane_b32 v40, s30, 0
	s_nop 1
	v_writelane_b32 v40, s31, 1
	flat_load_dwordx2 v[2:3], v[0:1]
	s_waitcnt vmcnt(0) lgkmcnt(0)
	flat_load_dword v2, v[2:3]
	s_waitcnt vmcnt(0) lgkmcnt(0)
	v_cmp_eq_u32_e32 vcc, 1, v2
	s_and_saveexec_b64 s[0:1], vcc
	s_cbranch_execz .LBB666_35
; %bb.1:
	flat_load_dwordx4 v[12:15], v[0:1] offset:8
	flat_load_dwordx4 v[16:19], v[0:1] offset:24
	s_mov_b32 s5, 0
	s_mov_b32 s13, s5
	v_and_b32_e32 v6, 0x3ff, v31
	s_lshl_b32 s4, s12, 8
                                        ; implicit-def: $vgpr7
	s_waitcnt vmcnt(0) lgkmcnt(0)
	flat_load_dwordx2 v[8:9], v[12:13]
	flat_load_dwordx2 v[4:5], v[14:15]
	;; [unrolled: 1-line block ×3, first 2 shown]
	flat_load_ubyte v10, v[18:19]
	s_waitcnt vmcnt(0) lgkmcnt(0)
	v_lshrrev_b64 v[12:13], 8, v[4:5]
	v_cmp_ne_u64_e32 vcc, s[12:13], v[12:13]
	s_and_saveexec_b64 s[2:3], vcc
	s_xor_b64 s[2:3], exec, s[2:3]
	s_cbranch_execnz .LBB666_4
; %bb.2:
	s_andn2_saveexec_b64 s[2:3], s[2:3]
	s_cbranch_execnz .LBB666_9
.LBB666_3:
	s_or_b64 exec, exec, s[2:3]
	v_cmp_eq_u32_e32 vcc, 0, v6
	s_and_b64 exec, exec, vcc
	s_cbranch_execnz .LBB666_32
	s_branch .LBB666_35
.LBB666_4:
	v_lshl_add_u64 v[8:9], v[8:9], 0, s[4:5]
	v_mov_b32_e32 v7, 0
	v_lshl_add_u64 v[8:9], v[8:9], 0, v[6:7]
	flat_load_ubyte v7, v[8:9]
	s_movk_i32 s6, 0xcd
	v_mbcnt_lo_u32_b32 v8, -1, 0
	v_mbcnt_hi_u32_b32 v8, -1, v8
	v_lshlrev_b32_e32 v9, 2, v8
	v_cmp_eq_u32_e32 vcc, 0, v8
	s_waitcnt vmcnt(0) lgkmcnt(0)
	v_and_b32_e32 v11, 0xffff, v7
	v_mul_lo_u16_e32 v12, 0xcd, v7
	s_nop 0
	v_mov_b32_dpp v11, v11 quad_perm:[1,0,3,2] row_mask:0xf bank_mask:0xf bound_ctrl:1
	v_lshrrev_b16_e32 v12, 11, v12
	v_mul_lo_u16_e32 v12, 10, v12
	v_mul_lo_u16_sdwa v13, v11, s6 dst_sel:DWORD dst_unused:UNUSED_PAD src0_sel:BYTE_0 src1_sel:DWORD
	v_sub_u16_e32 v7, v7, v12
	v_lshrrev_b16_e32 v12, 11, v13
	v_mul_lo_u16_e32 v12, 10, v12
	v_sub_u16_e32 v11, v11, v12
	v_add_u16_e32 v7, v11, v7
	v_add_u16_e32 v11, -10, v7
	v_min_u16_sdwa v7, v7, v11 dst_sel:DWORD dst_unused:UNUSED_PAD src0_sel:BYTE_0 src1_sel:BYTE_0
	s_nop 1
	v_mov_b32_dpp v11, v7 quad_perm:[2,3,0,1] row_mask:0xf bank_mask:0xf bound_ctrl:1
	v_mul_lo_u16_sdwa v12, v11, s6 dst_sel:DWORD dst_unused:UNUSED_PAD src0_sel:BYTE_0 src1_sel:DWORD
	v_lshrrev_b16_e32 v12, 11, v12
	v_mul_lo_u16_e32 v12, 10, v12
	v_sub_u16_e32 v11, v11, v12
	v_add_u16_e32 v7, v7, v11
	v_add_u16_e32 v11, -10, v7
	v_min_u16_sdwa v7, v7, v11 dst_sel:DWORD dst_unused:UNUSED_PAD src0_sel:BYTE_0 src1_sel:BYTE_0
	v_mul_lo_u16_e32 v12, 0xcd, v7
	v_lshrrev_b16_e32 v12, 11, v12
	v_mov_b32_dpp v11, v7 row_ror:4 row_mask:0xf bank_mask:0xf bound_ctrl:1
	v_mul_lo_u16_sdwa v13, v11, s6 dst_sel:DWORD dst_unused:UNUSED_PAD src0_sel:BYTE_0 src1_sel:DWORD
	v_mul_lo_u16_e32 v12, 10, v12
	v_lshrrev_b16_e32 v13, 11, v13
	v_sub_u16_e32 v7, v7, v12
	v_mul_lo_u16_e32 v12, 10, v13
	v_sub_u16_e32 v11, v11, v12
	v_add_u16_e32 v7, v7, v11
	v_add_u16_e32 v11, -10, v7
	v_min_u16_sdwa v7, v7, v11 dst_sel:DWORD dst_unused:UNUSED_PAD src0_sel:BYTE_0 src1_sel:BYTE_0
	v_mul_lo_u16_e32 v12, 0xcd, v7
	v_lshrrev_b16_e32 v12, 11, v12
	v_mov_b32_dpp v11, v7 row_ror:8 row_mask:0xf bank_mask:0xf bound_ctrl:1
	v_mul_lo_u16_sdwa v13, v11, s6 dst_sel:DWORD dst_unused:UNUSED_PAD src0_sel:BYTE_0 src1_sel:DWORD
	v_mul_lo_u16_e32 v12, 10, v12
	v_lshrrev_b16_e32 v13, 11, v13
	v_sub_u16_e32 v7, v7, v12
	v_mul_lo_u16_e32 v12, 10, v13
	v_sub_u16_e32 v11, v11, v12
	v_add_u16_e32 v7, v7, v11
	v_add_u16_e32 v11, -10, v7
	v_min_u16_sdwa v7, v7, v11 dst_sel:DWORD dst_unused:UNUSED_PAD src0_sel:BYTE_0 src1_sel:BYTE_0
	v_mul_lo_u16_e32 v12, 0xcd, v7
	v_lshrrev_b16_e32 v12, 11, v12
	v_mov_b32_dpp v11, v7 row_bcast:15 row_mask:0xf bank_mask:0xf bound_ctrl:1
	v_mul_lo_u16_sdwa v13, v11, s6 dst_sel:DWORD dst_unused:UNUSED_PAD src0_sel:BYTE_0 src1_sel:DWORD
	v_mul_lo_u16_e32 v12, 10, v12
	v_lshrrev_b16_e32 v13, 11, v13
	v_sub_u16_e32 v7, v7, v12
	v_mul_lo_u16_e32 v12, 10, v13
	v_sub_u16_e32 v11, v11, v12
	v_add_u16_e32 v7, v7, v11
	v_add_u16_e32 v11, -10, v7
	v_min_u16_sdwa v7, v7, v11 dst_sel:DWORD dst_unused:UNUSED_PAD src0_sel:BYTE_0 src1_sel:BYTE_0
	v_mul_lo_u16_e32 v12, 0xcd, v7
	v_lshrrev_b16_e32 v12, 11, v12
	v_mov_b32_dpp v11, v7 row_bcast:31 row_mask:0xf bank_mask:0xf bound_ctrl:1
	v_mul_lo_u16_sdwa v13, v11, s6 dst_sel:DWORD dst_unused:UNUSED_PAD src0_sel:BYTE_0 src1_sel:DWORD
	v_mul_lo_u16_e32 v12, 10, v12
	v_lshrrev_b16_e32 v13, 11, v13
	v_sub_u16_e32 v7, v7, v12
	v_mul_lo_u16_e32 v12, 10, v13
	v_sub_u16_e32 v11, v11, v12
	v_add_u16_e32 v7, v7, v11
	v_add_u16_e32 v11, -10, v7
	v_or_b32_e32 v12, 0xfc, v9
	v_min_u16_sdwa v7, v7, v11 dst_sel:DWORD dst_unused:UNUSED_PAD src0_sel:BYTE_0 src1_sel:BYTE_0
	ds_bpermute_b32 v7, v12, v7
	s_and_saveexec_b64 s[6:7], vcc
	s_cbranch_execz .LBB666_6
; %bb.5:
	v_lshrrev_b32_e32 v11, 6, v6
	s_waitcnt lgkmcnt(0)
	ds_write_b8 v11, v7 offset:12
.LBB666_6:
	s_or_b64 exec, exec, s[6:7]
	v_cmp_gt_u32_e32 vcc, 64, v6
	s_waitcnt lgkmcnt(0)
	s_barrier
	s_and_saveexec_b64 s[6:7], vcc
	s_cbranch_execz .LBB666_8
; %bb.7:
	v_and_b32_e32 v7, 3, v8
	ds_read_u8 v11, v7 offset:12
	v_cmp_ne_u32_e32 vcc, 3, v7
	s_movk_i32 s8, 0xcd
	s_nop 0
	v_addc_co_u32_e32 v7, vcc, 0, v8, vcc
	v_lshlrev_b32_e32 v7, 2, v7
	s_waitcnt lgkmcnt(0)
	v_and_b32_e32 v8, 0xffff, v11
	ds_bpermute_b32 v7, v7, v8
	v_mul_lo_u16_e32 v8, 0xcd, v11
	v_lshrrev_b16_e32 v8, 11, v8
	v_mul_lo_u16_e32 v8, 10, v8
	v_sub_u16_e32 v8, v11, v8
	s_waitcnt lgkmcnt(0)
	v_mul_lo_u16_sdwa v12, v7, s8 dst_sel:DWORD dst_unused:UNUSED_PAD src0_sel:BYTE_0 src1_sel:DWORD
	v_lshrrev_b16_e32 v12, 11, v12
	v_mul_lo_u16_e32 v12, 10, v12
	v_sub_u16_e32 v7, v7, v12
	v_add_u16_e32 v7, v7, v8
	v_add_u16_e32 v8, -10, v7
	v_min_u16_sdwa v7, v7, v8 dst_sel:DWORD dst_unused:UNUSED_PAD src0_sel:BYTE_0 src1_sel:BYTE_0
	v_or_b32_e32 v8, 8, v9
	ds_bpermute_b32 v8, v8, v7
	s_waitcnt lgkmcnt(0)
	v_mul_lo_u16_sdwa v9, v8, s8 dst_sel:DWORD dst_unused:UNUSED_PAD src0_sel:BYTE_0 src1_sel:DWORD
	v_lshrrev_b16_e32 v9, 11, v9
	v_mul_lo_u16_e32 v9, 10, v9
	v_sub_u16_e32 v8, v8, v9
	v_add_u16_e32 v7, v7, v8
	v_add_u16_e32 v8, -10, v7
	v_min_u16_sdwa v7, v7, v8 dst_sel:DWORD dst_unused:UNUSED_PAD src0_sel:BYTE_0 src1_sel:BYTE_0
.LBB666_8:
	s_or_b64 exec, exec, s[6:7]
                                        ; implicit-def: $vgpr8_vgpr9
	s_andn2_saveexec_b64 s[2:3], s[2:3]
	s_cbranch_execz .LBB666_3
.LBB666_9:
	v_subrev_u32_e32 v11, s4, v4
	v_cmp_lt_u32_e32 vcc, v6, v11
                                        ; implicit-def: $vgpr7
	s_and_saveexec_b64 s[6:7], vcc
	s_cbranch_execz .LBB666_11
; %bb.10:
	v_lshl_add_u64 v[8:9], v[8:9], 0, s[4:5]
	v_mov_b32_e32 v7, 0
	v_lshl_add_u64 v[8:9], v[8:9], 0, v[6:7]
	flat_load_ubyte v7, v[8:9]
.LBB666_11:
	s_or_b64 exec, exec, s[6:7]
	v_mbcnt_lo_u32_b32 v9, -1, 0
	v_mbcnt_hi_u32_b32 v9, -1, v9
	v_min_u32_e32 v8, 0x100, v11
	v_and_b32_e32 v11, 63, v9
	v_cmp_ne_u32_e32 vcc, 63, v11
	s_waitcnt vmcnt(0) lgkmcnt(0)
	v_and_b32_e32 v13, 0xff, v7
	v_add_u32_e32 v15, 1, v11
	v_addc_co_u32_e32 v12, vcc, 0, v9, vcc
	v_lshlrev_b32_e32 v12, 2, v12
	ds_bpermute_b32 v14, v12, v13
	v_and_b32_e32 v12, 0x3c0, v6
	v_sub_u32_e64 v12, v8, v12 clamp
	v_cmp_lt_u32_e32 vcc, v15, v12
	s_and_saveexec_b64 s[4:5], vcc
	s_cbranch_execz .LBB666_13
; %bb.12:
	s_movk_i32 s6, 0xcd
	s_waitcnt lgkmcnt(0)
	v_mul_lo_u16_sdwa v13, v14, s6 dst_sel:DWORD dst_unused:UNUSED_PAD src0_sel:BYTE_0 src1_sel:DWORD
	v_lshrrev_b16_e32 v13, 11, v13
	v_mul_lo_u16_e32 v13, 10, v13
	v_sub_u16_e32 v13, v14, v13
	v_mul_lo_u16_sdwa v14, v7, s6 dst_sel:DWORD dst_unused:UNUSED_PAD src0_sel:BYTE_0 src1_sel:DWORD
	v_lshrrev_b16_e32 v14, 11, v14
	v_mul_lo_u16_e32 v14, 10, v14
	v_sub_u16_e32 v7, v7, v14
	v_add_u16_e32 v13, v13, v7
	v_add_u16_e32 v14, -10, v13
	v_min_u16_sdwa v7, v13, v14 dst_sel:DWORD dst_unused:UNUSED_PAD src0_sel:BYTE_0 src1_sel:BYTE_0
	v_min_u16_sdwa v13, v13, v14 dst_sel:DWORD dst_unused:UNUSED_PAD src0_sel:BYTE_0 src1_sel:BYTE_0
.LBB666_13:
	s_or_b64 exec, exec, s[4:5]
	v_cmp_gt_u32_e32 vcc, 62, v11
	v_add_u32_e32 v15, 2, v11
	s_waitcnt lgkmcnt(0)
	v_cndmask_b32_e64 v14, 0, 2, vcc
	v_add_lshl_u32 v14, v14, v9, 2
	ds_bpermute_b32 v14, v14, v13
	v_cmp_lt_u32_e32 vcc, v15, v12
	s_and_saveexec_b64 s[4:5], vcc
	s_cbranch_execz .LBB666_15
; %bb.14:
	s_movk_i32 s6, 0xcd
	s_waitcnt lgkmcnt(0)
	v_mul_lo_u16_sdwa v13, v14, s6 dst_sel:DWORD dst_unused:UNUSED_PAD src0_sel:BYTE_0 src1_sel:DWORD
	v_lshrrev_b16_e32 v13, 11, v13
	v_mul_lo_u16_e32 v13, 10, v13
	v_sub_u16_e32 v13, v14, v13
	v_mul_lo_u16_sdwa v14, v7, s6 dst_sel:DWORD dst_unused:UNUSED_PAD src0_sel:BYTE_0 src1_sel:DWORD
	v_lshrrev_b16_e32 v14, 11, v14
	v_mul_lo_u16_e32 v14, 10, v14
	v_sub_u16_e32 v7, v7, v14
	v_add_u16_e32 v13, v13, v7
	v_add_u16_e32 v14, -10, v13
	v_min_u16_sdwa v7, v13, v14 dst_sel:DWORD dst_unused:UNUSED_PAD src0_sel:BYTE_0 src1_sel:BYTE_0
	v_min_u16_sdwa v13, v13, v14 dst_sel:DWORD dst_unused:UNUSED_PAD src0_sel:BYTE_0 src1_sel:BYTE_0
.LBB666_15:
	s_or_b64 exec, exec, s[4:5]
	v_cmp_gt_u32_e32 vcc, 60, v11
	v_add_u32_e32 v15, 4, v11
	s_waitcnt lgkmcnt(0)
	v_cndmask_b32_e64 v14, 0, 4, vcc
	v_add_lshl_u32 v14, v14, v9, 2
	ds_bpermute_b32 v14, v14, v13
	;; [unrolled: 26-line block ×4, first 2 shown]
	v_cmp_lt_u32_e32 vcc, v15, v12
	s_and_saveexec_b64 s[4:5], vcc
	s_cbranch_execz .LBB666_21
; %bb.20:
	s_movk_i32 s6, 0xcd
	s_waitcnt lgkmcnt(0)
	v_mul_lo_u16_sdwa v13, v14, s6 dst_sel:DWORD dst_unused:UNUSED_PAD src0_sel:BYTE_0 src1_sel:DWORD
	v_lshrrev_b16_e32 v13, 11, v13
	v_mul_lo_u16_e32 v13, 10, v13
	v_sub_u16_e32 v13, v14, v13
	v_mul_lo_u16_sdwa v14, v7, s6 dst_sel:DWORD dst_unused:UNUSED_PAD src0_sel:BYTE_0 src1_sel:DWORD
	v_lshrrev_b16_e32 v14, 11, v14
	v_mul_lo_u16_e32 v14, 10, v14
	v_sub_u16_e32 v7, v7, v14
	v_add_u16_e32 v13, v13, v7
	v_add_u16_e32 v14, -10, v13
	v_min_u16_sdwa v7, v13, v14 dst_sel:DWORD dst_unused:UNUSED_PAD src0_sel:BYTE_0 src1_sel:BYTE_0
	v_min_u16_sdwa v13, v13, v14 dst_sel:DWORD dst_unused:UNUSED_PAD src0_sel:BYTE_0 src1_sel:BYTE_0
.LBB666_21:
	s_or_b64 exec, exec, s[4:5]
	s_waitcnt lgkmcnt(0)
	v_lshlrev_b32_e32 v14, 2, v9
	v_or_b32_e32 v15, 0x80, v14
	ds_bpermute_b32 v13, v15, v13
	v_add_u32_e32 v11, 32, v11
	v_cmp_lt_u32_e32 vcc, v11, v12
	s_and_saveexec_b64 s[4:5], vcc
	s_cbranch_execz .LBB666_23
; %bb.22:
	s_movk_i32 s6, 0xcd
	s_waitcnt lgkmcnt(0)
	v_mul_lo_u16_sdwa v11, v13, s6 dst_sel:DWORD dst_unused:UNUSED_PAD src0_sel:BYTE_0 src1_sel:DWORD
	v_mul_lo_u16_sdwa v12, v7, s6 dst_sel:DWORD dst_unused:UNUSED_PAD src0_sel:BYTE_0 src1_sel:DWORD
	v_lshrrev_b16_e32 v11, 11, v11
	v_lshrrev_b16_e32 v12, 11, v12
	v_mul_lo_u16_e32 v11, 10, v11
	v_mul_lo_u16_e32 v12, 10, v12
	v_sub_u16_e32 v11, v13, v11
	v_sub_u16_e32 v7, v7, v12
	v_add_u16_e32 v7, v11, v7
	v_add_u16_e32 v11, -10, v7
	v_min_u16_sdwa v7, v7, v11 dst_sel:DWORD dst_unused:UNUSED_PAD src0_sel:BYTE_0 src1_sel:BYTE_0
.LBB666_23:
	s_or_b64 exec, exec, s[4:5]
	v_cmp_eq_u32_e32 vcc, 0, v9
	s_and_saveexec_b64 s[4:5], vcc
; %bb.24:
	v_lshrrev_b32_e32 v11, 6, v6
	ds_write_b8 v11, v7
; %bb.25:
	s_or_b64 exec, exec, s[4:5]
	v_cmp_gt_u32_e32 vcc, 4, v6
	s_waitcnt lgkmcnt(0)
	s_barrier
	s_and_saveexec_b64 s[4:5], vcc
	s_cbranch_execz .LBB666_31
; %bb.26:
	ds_read_u8 v7, v9
	v_and_b32_e32 v11, 3, v9
	v_cmp_ne_u32_e32 vcc, 3, v11
	v_add_u32_e32 v8, 63, v8
	v_lshrrev_b32_e32 v8, 6, v8
	v_addc_co_u32_e32 v9, vcc, 0, v9, vcc
	v_lshlrev_b32_e32 v12, 2, v9
	s_waitcnt lgkmcnt(0)
	v_and_b32_e32 v9, 0xff, v7
	ds_bpermute_b32 v12, v12, v9
	v_add_u32_e32 v13, 1, v11
	v_cmp_lt_u32_e32 vcc, v13, v8
	s_and_saveexec_b64 s[6:7], vcc
	s_cbranch_execz .LBB666_28
; %bb.27:
	s_movk_i32 s8, 0xcd
	s_waitcnt lgkmcnt(0)
	v_mul_lo_u16_sdwa v9, v12, s8 dst_sel:DWORD dst_unused:UNUSED_PAD src0_sel:BYTE_0 src1_sel:DWORD
	v_lshrrev_b16_e32 v9, 11, v9
	v_mul_lo_u16_e32 v9, 10, v9
	v_sub_u16_e32 v9, v12, v9
	v_mul_lo_u16_sdwa v12, v7, s8 dst_sel:DWORD dst_unused:UNUSED_PAD src0_sel:BYTE_0 src1_sel:DWORD
	v_lshrrev_b16_e32 v12, 11, v12
	v_mul_lo_u16_e32 v12, 10, v12
	v_sub_u16_e32 v7, v7, v12
	v_add_u16_e32 v9, v9, v7
	v_add_u16_e32 v12, -10, v9
	v_min_u16_sdwa v7, v9, v12 dst_sel:DWORD dst_unused:UNUSED_PAD src0_sel:BYTE_0 src1_sel:BYTE_0
	v_min_u16_sdwa v9, v9, v12 dst_sel:DWORD dst_unused:UNUSED_PAD src0_sel:BYTE_0 src1_sel:BYTE_0
.LBB666_28:
	s_or_b64 exec, exec, s[6:7]
	s_waitcnt lgkmcnt(0)
	v_or_b32_e32 v12, 8, v14
	ds_bpermute_b32 v9, v12, v9
	v_add_u32_e32 v11, 2, v11
	v_cmp_lt_u32_e32 vcc, v11, v8
	s_and_saveexec_b64 s[6:7], vcc
	s_cbranch_execz .LBB666_30
; %bb.29:
	s_movk_i32 s8, 0xcd
	s_waitcnt lgkmcnt(0)
	v_mul_lo_u16_sdwa v8, v9, s8 dst_sel:DWORD dst_unused:UNUSED_PAD src0_sel:BYTE_0 src1_sel:DWORD
	v_lshrrev_b16_e32 v8, 11, v8
	v_mul_lo_u16_e32 v8, 10, v8
	v_sub_u16_e32 v8, v9, v8
	v_mul_lo_u16_sdwa v9, v7, s8 dst_sel:DWORD dst_unused:UNUSED_PAD src0_sel:BYTE_0 src1_sel:DWORD
	v_lshrrev_b16_e32 v9, 11, v9
	v_mul_lo_u16_e32 v9, 10, v9
	v_sub_u16_e32 v7, v7, v9
	v_add_u16_e32 v7, v8, v7
	v_add_u16_e32 v8, -10, v7
	v_min_u16_sdwa v7, v7, v8 dst_sel:DWORD dst_unused:UNUSED_PAD src0_sel:BYTE_0 src1_sel:BYTE_0
.LBB666_30:
	s_or_b64 exec, exec, s[6:7]
.LBB666_31:
	s_or_b64 exec, exec, s[4:5]
	s_or_b64 exec, exec, s[2:3]
	v_cmp_eq_u32_e32 vcc, 0, v6
	s_and_b64 exec, exec, vcc
	s_cbranch_execz .LBB666_35
.LBB666_32:
	v_cmp_ne_u64_e32 vcc, 0, v[4:5]
	s_and_saveexec_b64 s[2:3], vcc
	s_cbranch_execz .LBB666_34
; %bb.33:
	s_movk_i32 s4, 0xcd
	v_mul_lo_u16_sdwa v4, v7, s4 dst_sel:DWORD dst_unused:UNUSED_PAD src0_sel:BYTE_0 src1_sel:DWORD
	v_mul_lo_u16_sdwa v5, v10, s4 dst_sel:DWORD dst_unused:UNUSED_PAD src0_sel:BYTE_0 src1_sel:DWORD
	v_lshrrev_b16_e32 v4, 11, v4
	v_lshrrev_b16_e32 v5, 11, v5
	v_mul_lo_u16_e32 v4, 10, v4
	v_mul_lo_u16_e32 v5, 10, v5
	v_sub_u16_e32 v4, v7, v4
	v_sub_u16_e32 v5, v10, v5
	v_add_u16_e32 v4, v4, v5
	v_add_u16_e32 v5, -10, v4
	v_min_u16_sdwa v10, v4, v5 dst_sel:DWORD dst_unused:UNUSED_PAD src0_sel:BYTE_0 src1_sel:BYTE_0
.LBB666_34:
	s_or_b64 exec, exec, s[2:3]
	v_lshl_add_u64 v[2:3], v[2:3], 0, s[12:13]
	flat_store_byte v[2:3], v10
.LBB666_35:
	s_or_b64 exec, exec, s[0:1]
	flat_load_dwordx2 v[2:3], v[0:1]
	s_waitcnt vmcnt(0) lgkmcnt(0)
	flat_load_dword v2, v[2:3]
	s_waitcnt vmcnt(0) lgkmcnt(0)
	v_cmp_eq_u32_e32 vcc, 2, v2
	s_and_saveexec_b64 s[0:1], vcc
	s_cbranch_execz .LBB666_74
; %bb.36:
	flat_load_dwordx4 v[6:9], v[0:1] offset:8
	flat_load_dwordx4 v[12:15], v[0:1] offset:24
	s_mov_b32 s5, 0
	s_lshl_b32 s4, s12, 9
	s_mov_b32 s13, s5
                                        ; implicit-def: $vgpr11
	s_waitcnt vmcnt(0) lgkmcnt(0)
	flat_load_dwordx2 v[4:5], v[8:9]
	flat_load_dwordx2 v[16:17], v[6:7]
	flat_load_dwordx2 v[2:3], v[12:13]
	flat_load_ubyte v10, v[14:15]
	v_and_b32_e32 v6, 0x3ff, v31
	s_waitcnt vmcnt(0) lgkmcnt(0)
	v_lshrrev_b64 v[8:9], 9, v[4:5]
	v_cmp_ne_u64_e32 vcc, s[12:13], v[8:9]
	v_lshl_add_u64 v[8:9], v[16:17], 0, s[4:5]
	s_and_saveexec_b64 s[2:3], vcc
	s_xor_b64 s[2:3], exec, s[2:3]
	s_cbranch_execnz .LBB666_39
; %bb.37:
	s_andn2_saveexec_b64 s[2:3], s[2:3]
	s_cbranch_execnz .LBB666_44
.LBB666_38:
	s_or_b64 exec, exec, s[2:3]
	v_cmp_eq_u32_e32 vcc, 0, v6
	s_and_b64 exec, exec, vcc
	s_cbranch_execnz .LBB666_71
	s_branch .LBB666_74
.LBB666_39:
	v_mov_b32_e32 v7, 0
	v_lshl_add_u64 v[8:9], v[8:9], 0, v[6:7]
	flat_load_ubyte v11, v[8:9] offset:256
	flat_load_ubyte v12, v[8:9]
	s_movk_i32 s5, 0xcd
	v_mbcnt_lo_u32_b32 v7, -1, 0
	v_mbcnt_hi_u32_b32 v7, -1, v7
	v_lshlrev_b32_e32 v8, 2, v7
	v_cmp_eq_u32_e32 vcc, 0, v7
	s_waitcnt vmcnt(0) lgkmcnt(0)
	v_mul_lo_u16_e32 v9, 0xcd, v11
	v_mul_lo_u16_e32 v13, 0xcd, v12
	v_lshrrev_b16_e32 v9, 11, v9
	v_lshrrev_b16_e32 v13, 11, v13
	v_mul_lo_u16_e32 v9, 10, v9
	v_mul_lo_u16_e32 v13, 10, v13
	v_sub_u16_e32 v9, v11, v9
	v_sub_u16_e32 v11, v12, v13
	v_add_u16_e32 v9, v9, v11
	v_add_u16_e32 v11, -10, v9
	v_min_u16_sdwa v9, v9, v11 dst_sel:DWORD dst_unused:UNUSED_PAD src0_sel:BYTE_0 src1_sel:BYTE_0
	v_mul_lo_u16_e32 v12, 0xcd, v9
	v_lshrrev_b16_e32 v12, 11, v12
	v_mov_b32_dpp v11, v9 quad_perm:[1,0,3,2] row_mask:0xf bank_mask:0xf bound_ctrl:1
	v_mul_lo_u16_sdwa v13, v11, s5 dst_sel:DWORD dst_unused:UNUSED_PAD src0_sel:BYTE_0 src1_sel:DWORD
	v_mul_lo_u16_e32 v12, 10, v12
	v_lshrrev_b16_e32 v13, 11, v13
	v_sub_u16_e32 v9, v9, v12
	v_mul_lo_u16_e32 v12, 10, v13
	v_sub_u16_e32 v11, v11, v12
	v_add_u16_e32 v9, v11, v9
	v_add_u16_e32 v11, -10, v9
	v_min_u16_sdwa v9, v9, v11 dst_sel:DWORD dst_unused:UNUSED_PAD src0_sel:BYTE_0 src1_sel:BYTE_0
	s_nop 1
	v_mov_b32_dpp v11, v9 quad_perm:[2,3,0,1] row_mask:0xf bank_mask:0xf bound_ctrl:1
	v_mul_lo_u16_sdwa v12, v11, s5 dst_sel:DWORD dst_unused:UNUSED_PAD src0_sel:BYTE_0 src1_sel:DWORD
	v_lshrrev_b16_e32 v12, 11, v12
	v_mul_lo_u16_e32 v12, 10, v12
	v_sub_u16_e32 v11, v11, v12
	v_add_u16_e32 v9, v9, v11
	v_add_u16_e32 v11, -10, v9
	v_min_u16_sdwa v9, v9, v11 dst_sel:DWORD dst_unused:UNUSED_PAD src0_sel:BYTE_0 src1_sel:BYTE_0
	v_mul_lo_u16_e32 v12, 0xcd, v9
	v_lshrrev_b16_e32 v12, 11, v12
	v_mov_b32_dpp v11, v9 row_ror:4 row_mask:0xf bank_mask:0xf bound_ctrl:1
	v_mul_lo_u16_sdwa v13, v11, s5 dst_sel:DWORD dst_unused:UNUSED_PAD src0_sel:BYTE_0 src1_sel:DWORD
	v_mul_lo_u16_e32 v12, 10, v12
	v_lshrrev_b16_e32 v13, 11, v13
	v_sub_u16_e32 v9, v9, v12
	v_mul_lo_u16_e32 v12, 10, v13
	v_sub_u16_e32 v11, v11, v12
	v_add_u16_e32 v9, v9, v11
	v_add_u16_e32 v11, -10, v9
	v_min_u16_sdwa v9, v9, v11 dst_sel:DWORD dst_unused:UNUSED_PAD src0_sel:BYTE_0 src1_sel:BYTE_0
	v_mul_lo_u16_e32 v12, 0xcd, v9
	v_lshrrev_b16_e32 v12, 11, v12
	v_mov_b32_dpp v11, v9 row_ror:8 row_mask:0xf bank_mask:0xf bound_ctrl:1
	v_mul_lo_u16_sdwa v13, v11, s5 dst_sel:DWORD dst_unused:UNUSED_PAD src0_sel:BYTE_0 src1_sel:DWORD
	v_mul_lo_u16_e32 v12, 10, v12
	v_lshrrev_b16_e32 v13, 11, v13
	v_sub_u16_e32 v9, v9, v12
	v_mul_lo_u16_e32 v12, 10, v13
	v_sub_u16_e32 v11, v11, v12
	v_add_u16_e32 v9, v9, v11
	v_add_u16_e32 v11, -10, v9
	v_min_u16_sdwa v9, v9, v11 dst_sel:DWORD dst_unused:UNUSED_PAD src0_sel:BYTE_0 src1_sel:BYTE_0
	v_mul_lo_u16_e32 v12, 0xcd, v9
	v_lshrrev_b16_e32 v12, 11, v12
	v_mov_b32_dpp v11, v9 row_bcast:15 row_mask:0xf bank_mask:0xf bound_ctrl:1
	v_mul_lo_u16_sdwa v13, v11, s5 dst_sel:DWORD dst_unused:UNUSED_PAD src0_sel:BYTE_0 src1_sel:DWORD
	v_mul_lo_u16_e32 v12, 10, v12
	v_lshrrev_b16_e32 v13, 11, v13
	v_sub_u16_e32 v9, v9, v12
	v_mul_lo_u16_e32 v12, 10, v13
	v_sub_u16_e32 v11, v11, v12
	v_add_u16_e32 v9, v9, v11
	v_add_u16_e32 v11, -10, v9
	v_min_u16_sdwa v9, v9, v11 dst_sel:DWORD dst_unused:UNUSED_PAD src0_sel:BYTE_0 src1_sel:BYTE_0
	v_mul_lo_u16_e32 v12, 0xcd, v9
	v_lshrrev_b16_e32 v12, 11, v12
	v_mov_b32_dpp v11, v9 row_bcast:31 row_mask:0xf bank_mask:0xf bound_ctrl:1
	v_mul_lo_u16_sdwa v13, v11, s5 dst_sel:DWORD dst_unused:UNUSED_PAD src0_sel:BYTE_0 src1_sel:DWORD
	v_mul_lo_u16_e32 v12, 10, v12
	v_lshrrev_b16_e32 v13, 11, v13
	v_sub_u16_e32 v9, v9, v12
	v_mul_lo_u16_e32 v12, 10, v13
	v_sub_u16_e32 v11, v11, v12
	v_add_u16_e32 v9, v9, v11
	v_add_u16_e32 v11, -10, v9
	v_or_b32_e32 v12, 0xfc, v8
	v_min_u16_sdwa v9, v9, v11 dst_sel:DWORD dst_unused:UNUSED_PAD src0_sel:BYTE_0 src1_sel:BYTE_0
	ds_bpermute_b32 v11, v12, v9
	s_and_saveexec_b64 s[6:7], vcc
	s_cbranch_execz .LBB666_41
; %bb.40:
	v_lshrrev_b32_e32 v9, 6, v6
	s_waitcnt lgkmcnt(0)
	ds_write_b8 v9, v11 offset:16
.LBB666_41:
	s_or_b64 exec, exec, s[6:7]
	v_cmp_gt_u32_e32 vcc, 64, v6
	s_waitcnt lgkmcnt(0)
	s_barrier
	s_and_saveexec_b64 s[6:7], vcc
	s_cbranch_execz .LBB666_43
; %bb.42:
	v_and_b32_e32 v9, 3, v7
	ds_read_u8 v11, v9 offset:16
	v_cmp_ne_u32_e32 vcc, 3, v9
	v_or_b32_e32 v8, 8, v8
	s_waitcnt lgkmcnt(0)
	v_and_b32_e32 v9, 0xffff, v11
	v_addc_co_u32_e32 v7, vcc, 0, v7, vcc
	v_lshlrev_b32_e32 v7, 2, v7
	ds_bpermute_b32 v7, v7, v9
	v_mul_lo_u16_e32 v9, 0xcd, v11
	v_lshrrev_b16_e32 v9, 11, v9
	v_mul_lo_u16_e32 v9, 10, v9
	v_sub_u16_e32 v9, v11, v9
	s_waitcnt lgkmcnt(0)
	v_mul_lo_u16_sdwa v12, v7, s5 dst_sel:DWORD dst_unused:UNUSED_PAD src0_sel:BYTE_0 src1_sel:DWORD
	v_lshrrev_b16_e32 v12, 11, v12
	v_mul_lo_u16_e32 v12, 10, v12
	v_sub_u16_e32 v7, v7, v12
	v_add_u16_e32 v7, v7, v9
	v_add_u16_e32 v9, -10, v7
	v_min_u16_sdwa v7, v7, v9 dst_sel:DWORD dst_unused:UNUSED_PAD src0_sel:BYTE_0 src1_sel:BYTE_0
	ds_bpermute_b32 v8, v8, v7
	s_waitcnt lgkmcnt(0)
	v_mul_lo_u16_sdwa v9, v8, s5 dst_sel:DWORD dst_unused:UNUSED_PAD src0_sel:BYTE_0 src1_sel:DWORD
	v_lshrrev_b16_e32 v9, 11, v9
	v_mul_lo_u16_e32 v9, 10, v9
	v_sub_u16_e32 v8, v8, v9
	v_add_u16_e32 v7, v7, v8
	v_add_u16_e32 v8, -10, v7
	v_min_u16_sdwa v11, v7, v8 dst_sel:DWORD dst_unused:UNUSED_PAD src0_sel:BYTE_0 src1_sel:BYTE_0
.LBB666_43:
	s_or_b64 exec, exec, s[6:7]
                                        ; implicit-def: $vgpr8_vgpr9
	s_andn2_saveexec_b64 s[2:3], s[2:3]
	s_cbranch_execz .LBB666_38
.LBB666_44:
	v_subrev_u32_e32 v12, s4, v4
	v_cmp_lt_u32_e32 vcc, v6, v12
	v_mov_b32_e32 v11, 0
	s_and_saveexec_b64 s[4:5], vcc
	s_cbranch_execz .LBB666_46
; %bb.45:
	v_mov_b32_e32 v7, 0
	v_lshl_add_u64 v[14:15], v[8:9], 0, v[6:7]
	flat_load_ubyte v11, v[14:15]
.LBB666_46:
	s_or_b64 exec, exec, s[4:5]
	v_add_u32_e32 v7, 0x100, v6
	v_cmp_lt_u32_e32 vcc, v7, v12
	s_and_saveexec_b64 s[4:5], vcc
	s_cbranch_execz .LBB666_48
; %bb.47:
	v_mov_b32_e32 v7, 0
	v_lshl_add_u64 v[8:9], v[8:9], 0, v[6:7]
	flat_load_ubyte v7, v[8:9] offset:256
	s_waitcnt vmcnt(0) lgkmcnt(0)
	v_lshlrev_b16_e32 v7, 8, v7
	v_or_b32_e32 v7, v11, v7
	v_and_b32_e32 v11, 0xffff, v7
.LBB666_48:
	s_or_b64 exec, exec, s[4:5]
	s_and_saveexec_b64 s[4:5], vcc
	s_cbranch_execz .LBB666_50
; %bb.49:
	s_movk_i32 s6, 0xcd
	s_waitcnt vmcnt(0) lgkmcnt(0)
	v_mul_lo_u16_sdwa v7, v11, s6 dst_sel:DWORD dst_unused:UNUSED_PAD src0_sel:BYTE_1 src1_sel:DWORD
	v_mul_lo_u16_sdwa v8, v11, s6 dst_sel:DWORD dst_unused:UNUSED_PAD src0_sel:BYTE_0 src1_sel:DWORD
	v_lshrrev_b16_e32 v7, 11, v7
	v_lshrrev_b16_e32 v8, 11, v8
	v_mul_lo_u16_e32 v7, 10, v7
	v_mul_lo_u16_e32 v8, 10, v8
	v_sub_u16_sdwa v7, v11, v7 dst_sel:DWORD dst_unused:UNUSED_PAD src0_sel:BYTE_1 src1_sel:DWORD
	v_sub_u16_e32 v8, v11, v8
	v_add_u16_e32 v7, v8, v7
	v_add_u16_e32 v8, -10, v7
	v_min_u16_sdwa v11, v7, v8 dst_sel:DWORD dst_unused:UNUSED_PAD src0_sel:BYTE_0 src1_sel:BYTE_0
.LBB666_50:
	s_or_b64 exec, exec, s[4:5]
	v_mbcnt_lo_u32_b32 v8, -1, 0
	v_mbcnt_hi_u32_b32 v8, -1, v8
	v_and_b32_e32 v9, 63, v8
	v_cmp_ne_u32_e32 vcc, 63, v9
	v_min_u32_e32 v7, 0x100, v12
	s_waitcnt vmcnt(0) lgkmcnt(0)
	v_and_b32_e32 v13, 0xff, v11
	v_addc_co_u32_e32 v12, vcc, 0, v8, vcc
	v_lshlrev_b32_e32 v12, 2, v12
	ds_bpermute_b32 v14, v12, v13
	v_and_b32_e32 v12, 0x3c0, v6
	v_sub_u32_e64 v12, v7, v12 clamp
	v_add_u32_e32 v15, 1, v9
	v_cmp_lt_u32_e32 vcc, v15, v12
	s_and_saveexec_b64 s[4:5], vcc
	s_xor_b64 s[4:5], exec, s[4:5]
	s_cbranch_execz .LBB666_52
; %bb.51:
	s_movk_i32 s6, 0xcd
	s_waitcnt lgkmcnt(0)
	v_mul_lo_u16_sdwa v13, v14, s6 dst_sel:DWORD dst_unused:UNUSED_PAD src0_sel:BYTE_0 src1_sel:DWORD
	v_lshrrev_b16_e32 v13, 11, v13
	v_mul_lo_u16_e32 v13, 10, v13
	v_sub_u16_e32 v13, v14, v13
	v_mul_lo_u16_sdwa v14, v11, s6 dst_sel:DWORD dst_unused:UNUSED_PAD src0_sel:BYTE_0 src1_sel:DWORD
	v_lshrrev_b16_e32 v14, 11, v14
	v_mul_lo_u16_e32 v14, 10, v14
	v_sub_u16_e32 v11, v11, v14
	v_add_u16_e32 v13, v13, v11
	v_add_u16_e32 v14, -10, v13
	v_min_u16_sdwa v11, v13, v14 dst_sel:DWORD dst_unused:UNUSED_PAD src0_sel:BYTE_0 src1_sel:BYTE_0
	v_min_u16_sdwa v13, v13, v14 dst_sel:DWORD dst_unused:UNUSED_PAD src0_sel:BYTE_0 src1_sel:BYTE_0
.LBB666_52:
	s_or_b64 exec, exec, s[4:5]
	v_cmp_gt_u32_e32 vcc, 62, v9
	v_add_u32_e32 v15, 2, v9
	s_waitcnt lgkmcnt(0)
	v_cndmask_b32_e64 v14, 0, 2, vcc
	v_add_lshl_u32 v14, v14, v8, 2
	ds_bpermute_b32 v14, v14, v13
	v_cmp_lt_u32_e32 vcc, v15, v12
	s_and_saveexec_b64 s[4:5], vcc
	s_cbranch_execz .LBB666_54
; %bb.53:
	s_movk_i32 s6, 0xcd
	s_waitcnt lgkmcnt(0)
	v_mul_lo_u16_sdwa v13, v14, s6 dst_sel:DWORD dst_unused:UNUSED_PAD src0_sel:BYTE_0 src1_sel:DWORD
	v_lshrrev_b16_e32 v13, 11, v13
	v_mul_lo_u16_e32 v13, 10, v13
	v_sub_u16_e32 v13, v14, v13
	v_mul_lo_u16_sdwa v14, v11, s6 dst_sel:DWORD dst_unused:UNUSED_PAD src0_sel:BYTE_0 src1_sel:DWORD
	v_lshrrev_b16_e32 v14, 11, v14
	v_mul_lo_u16_e32 v14, 10, v14
	v_sub_u16_e32 v11, v11, v14
	v_add_u16_e32 v13, v13, v11
	v_add_u16_e32 v14, -10, v13
	v_min_u16_sdwa v11, v13, v14 dst_sel:DWORD dst_unused:UNUSED_PAD src0_sel:BYTE_0 src1_sel:BYTE_0
	v_min_u16_sdwa v13, v13, v14 dst_sel:DWORD dst_unused:UNUSED_PAD src0_sel:BYTE_0 src1_sel:BYTE_0
.LBB666_54:
	s_or_b64 exec, exec, s[4:5]
	v_cmp_gt_u32_e32 vcc, 60, v9
	v_add_u32_e32 v15, 4, v9
	s_waitcnt lgkmcnt(0)
	v_cndmask_b32_e64 v14, 0, 4, vcc
	v_add_lshl_u32 v14, v14, v8, 2
	ds_bpermute_b32 v14, v14, v13
	v_cmp_lt_u32_e32 vcc, v15, v12
	s_and_saveexec_b64 s[4:5], vcc
	;; [unrolled: 26-line block ×4, first 2 shown]
	s_cbranch_execz .LBB666_60
; %bb.59:
	s_movk_i32 s6, 0xcd
	s_waitcnt lgkmcnt(0)
	v_mul_lo_u16_sdwa v13, v14, s6 dst_sel:DWORD dst_unused:UNUSED_PAD src0_sel:BYTE_0 src1_sel:DWORD
	v_lshrrev_b16_e32 v13, 11, v13
	v_mul_lo_u16_e32 v13, 10, v13
	v_sub_u16_e32 v13, v14, v13
	v_mul_lo_u16_sdwa v14, v11, s6 dst_sel:DWORD dst_unused:UNUSED_PAD src0_sel:BYTE_0 src1_sel:DWORD
	v_lshrrev_b16_e32 v14, 11, v14
	v_mul_lo_u16_e32 v14, 10, v14
	v_sub_u16_e32 v11, v11, v14
	v_add_u16_e32 v13, v13, v11
	v_add_u16_e32 v14, -10, v13
	v_min_u16_sdwa v11, v13, v14 dst_sel:DWORD dst_unused:UNUSED_PAD src0_sel:BYTE_0 src1_sel:BYTE_0
	v_min_u16_sdwa v13, v13, v14 dst_sel:DWORD dst_unused:UNUSED_PAD src0_sel:BYTE_0 src1_sel:BYTE_0
.LBB666_60:
	s_or_b64 exec, exec, s[4:5]
	s_waitcnt lgkmcnt(0)
	v_lshlrev_b32_e32 v14, 2, v8
	v_or_b32_e32 v15, 0x80, v14
	ds_bpermute_b32 v13, v15, v13
	v_add_u32_e32 v9, 32, v9
	v_cmp_lt_u32_e32 vcc, v9, v12
	s_and_saveexec_b64 s[4:5], vcc
	s_cbranch_execz .LBB666_62
; %bb.61:
	s_movk_i32 s6, 0xcd
	s_waitcnt lgkmcnt(0)
	v_mul_lo_u16_sdwa v9, v13, s6 dst_sel:DWORD dst_unused:UNUSED_PAD src0_sel:BYTE_0 src1_sel:DWORD
	v_mul_lo_u16_sdwa v12, v11, s6 dst_sel:DWORD dst_unused:UNUSED_PAD src0_sel:BYTE_0 src1_sel:DWORD
	v_lshrrev_b16_e32 v9, 11, v9
	v_lshrrev_b16_e32 v12, 11, v12
	v_mul_lo_u16_e32 v9, 10, v9
	v_mul_lo_u16_e32 v12, 10, v12
	v_sub_u16_e32 v9, v13, v9
	v_sub_u16_e32 v11, v11, v12
	v_add_u16_e32 v9, v9, v11
	v_add_u16_e32 v11, -10, v9
	v_min_u16_sdwa v11, v9, v11 dst_sel:DWORD dst_unused:UNUSED_PAD src0_sel:BYTE_0 src1_sel:BYTE_0
.LBB666_62:
	s_or_b64 exec, exec, s[4:5]
	v_cmp_eq_u32_e32 vcc, 0, v8
	s_and_saveexec_b64 s[4:5], vcc
; %bb.63:
	v_lshrrev_b32_e32 v9, 6, v6
	ds_write_b8 v9, v11
; %bb.64:
	s_or_b64 exec, exec, s[4:5]
	v_cmp_gt_u32_e32 vcc, 4, v6
	s_waitcnt lgkmcnt(0)
	s_barrier
	s_and_saveexec_b64 s[4:5], vcc
	s_cbranch_execz .LBB666_70
; %bb.65:
	ds_read_u8 v11, v8
	v_and_b32_e32 v9, 3, v8
	v_cmp_ne_u32_e32 vcc, 3, v9
	v_add_u32_e32 v7, 63, v7
	v_lshrrev_b32_e32 v7, 6, v7
	v_addc_co_u32_e32 v8, vcc, 0, v8, vcc
	v_lshlrev_b32_e32 v12, 2, v8
	s_waitcnt lgkmcnt(0)
	v_and_b32_e32 v8, 0xff, v11
	ds_bpermute_b32 v12, v12, v8
	v_add_u32_e32 v13, 1, v9
	v_cmp_lt_u32_e32 vcc, v13, v7
	s_and_saveexec_b64 s[6:7], vcc
	s_cbranch_execz .LBB666_67
; %bb.66:
	s_movk_i32 s8, 0xcd
	s_waitcnt lgkmcnt(0)
	v_mul_lo_u16_sdwa v8, v12, s8 dst_sel:DWORD dst_unused:UNUSED_PAD src0_sel:BYTE_0 src1_sel:DWORD
	v_lshrrev_b16_e32 v8, 11, v8
	v_mul_lo_u16_e32 v8, 10, v8
	v_sub_u16_e32 v8, v12, v8
	v_mul_lo_u16_sdwa v12, v11, s8 dst_sel:DWORD dst_unused:UNUSED_PAD src0_sel:BYTE_0 src1_sel:DWORD
	v_lshrrev_b16_e32 v12, 11, v12
	v_mul_lo_u16_e32 v12, 10, v12
	v_sub_u16_e32 v11, v11, v12
	v_add_u16_e32 v8, v8, v11
	v_add_u16_e32 v12, -10, v8
	v_min_u16_sdwa v11, v8, v12 dst_sel:DWORD dst_unused:UNUSED_PAD src0_sel:BYTE_0 src1_sel:BYTE_0
	v_min_u16_sdwa v8, v8, v12 dst_sel:DWORD dst_unused:UNUSED_PAD src0_sel:BYTE_0 src1_sel:BYTE_0
.LBB666_67:
	s_or_b64 exec, exec, s[6:7]
	s_waitcnt lgkmcnt(0)
	v_or_b32_e32 v12, 8, v14
	ds_bpermute_b32 v8, v12, v8
	v_add_u32_e32 v9, 2, v9
	v_cmp_lt_u32_e32 vcc, v9, v7
	s_and_saveexec_b64 s[6:7], vcc
	s_cbranch_execz .LBB666_69
; %bb.68:
	s_movk_i32 s8, 0xcd
	s_waitcnt lgkmcnt(0)
	v_mul_lo_u16_sdwa v7, v8, s8 dst_sel:DWORD dst_unused:UNUSED_PAD src0_sel:BYTE_0 src1_sel:DWORD
	v_lshrrev_b16_e32 v7, 11, v7
	v_mul_lo_u16_e32 v7, 10, v7
	v_sub_u16_e32 v7, v8, v7
	v_mul_lo_u16_sdwa v8, v11, s8 dst_sel:DWORD dst_unused:UNUSED_PAD src0_sel:BYTE_0 src1_sel:DWORD
	v_lshrrev_b16_e32 v8, 11, v8
	v_mul_lo_u16_e32 v8, 10, v8
	v_sub_u16_e32 v8, v11, v8
	v_add_u16_e32 v7, v7, v8
	v_add_u16_e32 v8, -10, v7
	v_min_u16_sdwa v11, v7, v8 dst_sel:DWORD dst_unused:UNUSED_PAD src0_sel:BYTE_0 src1_sel:BYTE_0
.LBB666_69:
	s_or_b64 exec, exec, s[6:7]
.LBB666_70:
	s_or_b64 exec, exec, s[4:5]
	s_or_b64 exec, exec, s[2:3]
	v_cmp_eq_u32_e32 vcc, 0, v6
	s_and_b64 exec, exec, vcc
	s_cbranch_execz .LBB666_74
.LBB666_71:
	v_cmp_ne_u64_e32 vcc, 0, v[4:5]
	s_and_saveexec_b64 s[2:3], vcc
	s_cbranch_execz .LBB666_73
; %bb.72:
	s_movk_i32 s4, 0xcd
	v_mul_lo_u16_sdwa v4, v11, s4 dst_sel:DWORD dst_unused:UNUSED_PAD src0_sel:BYTE_0 src1_sel:DWORD
	v_mul_lo_u16_sdwa v5, v10, s4 dst_sel:DWORD dst_unused:UNUSED_PAD src0_sel:BYTE_0 src1_sel:DWORD
	v_lshrrev_b16_e32 v4, 11, v4
	v_lshrrev_b16_e32 v5, 11, v5
	v_mul_lo_u16_e32 v4, 10, v4
	v_mul_lo_u16_e32 v5, 10, v5
	v_sub_u16_e32 v4, v11, v4
	v_sub_u16_e32 v5, v10, v5
	v_add_u16_e32 v4, v4, v5
	v_add_u16_e32 v5, -10, v4
	v_min_u16_sdwa v10, v4, v5 dst_sel:DWORD dst_unused:UNUSED_PAD src0_sel:BYTE_0 src1_sel:BYTE_0
.LBB666_73:
	s_or_b64 exec, exec, s[2:3]
	v_lshl_add_u64 v[2:3], v[2:3], 0, s[12:13]
	flat_store_byte v[2:3], v10
.LBB666_74:
	s_or_b64 exec, exec, s[0:1]
	flat_load_dwordx2 v[2:3], v[0:1]
	s_waitcnt vmcnt(0) lgkmcnt(0)
	flat_load_dword v2, v[2:3]
	s_waitcnt vmcnt(0) lgkmcnt(0)
	v_cmp_eq_u32_e32 vcc, 4, v2
	s_and_saveexec_b64 s[4:5], vcc
	s_cbranch_execz .LBB666_118
; %bb.75:
	flat_load_dwordx4 v[6:9], v[0:1] offset:8
	flat_load_dwordx4 v[12:15], v[0:1] offset:24
	s_mov_b32 s1, 0
	s_lshl_b32 s0, s12, 10
	s_mov_b32 s13, s1
	s_waitcnt vmcnt(0) lgkmcnt(0)
	flat_load_dwordx2 v[4:5], v[8:9]
	flat_load_dwordx2 v[16:17], v[6:7]
	;; [unrolled: 1-line block ×3, first 2 shown]
	flat_load_ubyte v10, v[14:15]
	v_and_b32_e32 v6, 0x3ff, v31
                                        ; implicit-def: $vgpr7
	s_waitcnt vmcnt(0) lgkmcnt(0)
	v_lshrrev_b64 v[8:9], 10, v[4:5]
	v_cmp_ne_u64_e32 vcc, s[12:13], v[8:9]
	v_lshl_add_u64 v[8:9], v[16:17], 0, s[0:1]
	s_and_saveexec_b64 s[2:3], vcc
	s_xor_b64 s[2:3], exec, s[2:3]
	s_cbranch_execnz .LBB666_78
; %bb.76:
	s_andn2_saveexec_b64 s[6:7], s[2:3]
	s_cbranch_execnz .LBB666_83
.LBB666_77:
	s_or_b64 exec, exec, s[6:7]
	v_cmp_eq_u32_e32 vcc, 0, v6
	s_and_b64 exec, exec, vcc
	s_cbranch_execnz .LBB666_115
	s_branch .LBB666_118
.LBB666_78:
	v_mov_b32_e32 v7, 0
	v_lshl_add_u64 v[8:9], v[8:9], 0, v[6:7]
	flat_load_ubyte v7, v[8:9] offset:256
	flat_load_ubyte v11, v[8:9]
	flat_load_ubyte v12, v[8:9] offset:512
	flat_load_ubyte v13, v[8:9] offset:768
	s_movk_i32 s1, 0xcd
	v_mbcnt_lo_u32_b32 v8, -1, 0
	v_mbcnt_hi_u32_b32 v8, -1, v8
	v_lshlrev_b32_e32 v9, 2, v8
	v_cmp_eq_u32_e32 vcc, 0, v8
	s_waitcnt vmcnt(0) lgkmcnt(0)
	v_mul_lo_u16_e32 v14, 0xcd, v7
	v_mul_lo_u16_e32 v15, 0xcd, v11
	v_lshrrev_b16_e32 v14, 11, v14
	v_lshrrev_b16_e32 v15, 11, v15
	v_mul_lo_u16_e32 v14, 10, v14
	v_mul_lo_u16_e32 v15, 10, v15
	v_sub_u16_e32 v7, v7, v14
	v_sub_u16_e32 v11, v11, v15
	v_add_u16_e32 v7, v7, v11
	v_add_u16_e32 v11, -10, v7
	v_min_u16_sdwa v7, v7, v11 dst_sel:DWORD dst_unused:UNUSED_PAD src0_sel:BYTE_0 src1_sel:BYTE_0
	v_mul_lo_u16_e32 v16, 0xcd, v12
	v_mul_lo_u16_e32 v11, 0xcd, v7
	v_lshrrev_b16_e32 v16, 11, v16
	v_lshrrev_b16_e32 v11, 11, v11
	v_mul_lo_u16_e32 v16, 10, v16
	v_mul_lo_u16_e32 v11, 10, v11
	v_sub_u16_e32 v12, v12, v16
	v_sub_u16_e32 v7, v7, v11
	v_add_u16_e32 v7, v7, v12
	v_add_u16_e32 v11, -10, v7
	v_min_u16_sdwa v7, v7, v11 dst_sel:DWORD dst_unused:UNUSED_PAD src0_sel:BYTE_0 src1_sel:BYTE_0
	;; [unrolled: 11-line block ×3, first 2 shown]
	v_mul_lo_u16_e32 v12, 0xcd, v7
	v_lshrrev_b16_e32 v12, 11, v12
	v_mov_b32_dpp v11, v7 quad_perm:[1,0,3,2] row_mask:0xf bank_mask:0xf bound_ctrl:1
	v_mul_lo_u16_sdwa v13, v11, s1 dst_sel:DWORD dst_unused:UNUSED_PAD src0_sel:BYTE_0 src1_sel:DWORD
	v_mul_lo_u16_e32 v12, 10, v12
	v_lshrrev_b16_e32 v13, 11, v13
	v_sub_u16_e32 v7, v7, v12
	v_mul_lo_u16_e32 v12, 10, v13
	v_sub_u16_e32 v11, v11, v12
	v_add_u16_e32 v7, v7, v11
	v_add_u16_e32 v11, -10, v7
	v_min_u16_sdwa v7, v7, v11 dst_sel:DWORD dst_unused:UNUSED_PAD src0_sel:BYTE_0 src1_sel:BYTE_0
	s_nop 1
	v_mov_b32_dpp v11, v7 quad_perm:[2,3,0,1] row_mask:0xf bank_mask:0xf bound_ctrl:1
	v_mul_lo_u16_sdwa v12, v11, s1 dst_sel:DWORD dst_unused:UNUSED_PAD src0_sel:BYTE_0 src1_sel:DWORD
	v_lshrrev_b16_e32 v12, 11, v12
	v_mul_lo_u16_e32 v12, 10, v12
	v_sub_u16_e32 v11, v11, v12
	v_add_u16_e32 v7, v7, v11
	v_add_u16_e32 v11, -10, v7
	v_min_u16_sdwa v7, v7, v11 dst_sel:DWORD dst_unused:UNUSED_PAD src0_sel:BYTE_0 src1_sel:BYTE_0
	v_mul_lo_u16_e32 v12, 0xcd, v7
	v_lshrrev_b16_e32 v12, 11, v12
	v_mov_b32_dpp v11, v7 row_ror:4 row_mask:0xf bank_mask:0xf bound_ctrl:1
	v_mul_lo_u16_sdwa v13, v11, s1 dst_sel:DWORD dst_unused:UNUSED_PAD src0_sel:BYTE_0 src1_sel:DWORD
	v_mul_lo_u16_e32 v12, 10, v12
	v_lshrrev_b16_e32 v13, 11, v13
	v_sub_u16_e32 v7, v7, v12
	v_mul_lo_u16_e32 v12, 10, v13
	v_sub_u16_e32 v11, v11, v12
	v_add_u16_e32 v7, v7, v11
	v_add_u16_e32 v11, -10, v7
	v_min_u16_sdwa v7, v7, v11 dst_sel:DWORD dst_unused:UNUSED_PAD src0_sel:BYTE_0 src1_sel:BYTE_0
	v_mul_lo_u16_e32 v12, 0xcd, v7
	v_lshrrev_b16_e32 v12, 11, v12
	v_mov_b32_dpp v11, v7 row_ror:8 row_mask:0xf bank_mask:0xf bound_ctrl:1
	v_mul_lo_u16_sdwa v13, v11, s1 dst_sel:DWORD dst_unused:UNUSED_PAD src0_sel:BYTE_0 src1_sel:DWORD
	v_mul_lo_u16_e32 v12, 10, v12
	v_lshrrev_b16_e32 v13, 11, v13
	v_sub_u16_e32 v7, v7, v12
	v_mul_lo_u16_e32 v12, 10, v13
	v_sub_u16_e32 v11, v11, v12
	v_add_u16_e32 v7, v7, v11
	v_add_u16_e32 v11, -10, v7
	v_min_u16_sdwa v7, v7, v11 dst_sel:DWORD dst_unused:UNUSED_PAD src0_sel:BYTE_0 src1_sel:BYTE_0
	v_mul_lo_u16_e32 v12, 0xcd, v7
	v_lshrrev_b16_e32 v12, 11, v12
	v_mov_b32_dpp v11, v7 row_bcast:15 row_mask:0xf bank_mask:0xf bound_ctrl:1
	v_mul_lo_u16_sdwa v13, v11, s1 dst_sel:DWORD dst_unused:UNUSED_PAD src0_sel:BYTE_0 src1_sel:DWORD
	v_mul_lo_u16_e32 v12, 10, v12
	v_lshrrev_b16_e32 v13, 11, v13
	v_sub_u16_e32 v7, v7, v12
	v_mul_lo_u16_e32 v12, 10, v13
	v_sub_u16_e32 v11, v11, v12
	v_add_u16_e32 v7, v7, v11
	v_add_u16_e32 v11, -10, v7
	v_min_u16_sdwa v7, v7, v11 dst_sel:DWORD dst_unused:UNUSED_PAD src0_sel:BYTE_0 src1_sel:BYTE_0
	v_mul_lo_u16_e32 v12, 0xcd, v7
	v_lshrrev_b16_e32 v12, 11, v12
	v_mov_b32_dpp v11, v7 row_bcast:31 row_mask:0xf bank_mask:0xf bound_ctrl:1
	v_mul_lo_u16_sdwa v13, v11, s1 dst_sel:DWORD dst_unused:UNUSED_PAD src0_sel:BYTE_0 src1_sel:DWORD
	v_mul_lo_u16_e32 v12, 10, v12
	v_lshrrev_b16_e32 v13, 11, v13
	v_sub_u16_e32 v7, v7, v12
	v_mul_lo_u16_e32 v12, 10, v13
	v_sub_u16_e32 v11, v11, v12
	v_add_u16_e32 v7, v7, v11
	v_add_u16_e32 v11, -10, v7
	v_or_b32_e32 v12, 0xfc, v9
	v_min_u16_sdwa v7, v7, v11 dst_sel:DWORD dst_unused:UNUSED_PAD src0_sel:BYTE_0 src1_sel:BYTE_0
	ds_bpermute_b32 v7, v12, v7
	s_and_saveexec_b64 s[6:7], vcc
	s_cbranch_execz .LBB666_80
; %bb.79:
	v_lshrrev_b32_e32 v11, 6, v6
	s_waitcnt lgkmcnt(0)
	ds_write_b8 v11, v7 offset:24
.LBB666_80:
	s_or_b64 exec, exec, s[6:7]
	v_cmp_gt_u32_e32 vcc, 64, v6
	s_waitcnt lgkmcnt(0)
	s_barrier
	s_and_saveexec_b64 s[6:7], vcc
	s_cbranch_execz .LBB666_82
; %bb.81:
	v_and_b32_e32 v7, 3, v8
	ds_read_u8 v11, v7 offset:24
	v_cmp_ne_u32_e32 vcc, 3, v7
	s_nop 1
	v_addc_co_u32_e32 v7, vcc, 0, v8, vcc
	v_lshlrev_b32_e32 v7, 2, v7
	s_waitcnt lgkmcnt(0)
	v_and_b32_e32 v8, 0xffff, v11
	ds_bpermute_b32 v7, v7, v8
	v_mul_lo_u16_e32 v8, 0xcd, v11
	v_lshrrev_b16_e32 v8, 11, v8
	v_mul_lo_u16_e32 v8, 10, v8
	v_sub_u16_e32 v8, v11, v8
	s_waitcnt lgkmcnt(0)
	v_mul_lo_u16_sdwa v12, v7, s1 dst_sel:DWORD dst_unused:UNUSED_PAD src0_sel:BYTE_0 src1_sel:DWORD
	v_lshrrev_b16_e32 v12, 11, v12
	v_mul_lo_u16_e32 v12, 10, v12
	v_sub_u16_e32 v7, v7, v12
	v_add_u16_e32 v7, v7, v8
	v_add_u16_e32 v8, -10, v7
	v_min_u16_sdwa v7, v7, v8 dst_sel:DWORD dst_unused:UNUSED_PAD src0_sel:BYTE_0 src1_sel:BYTE_0
	v_or_b32_e32 v8, 8, v9
	ds_bpermute_b32 v8, v8, v7
	s_waitcnt lgkmcnt(0)
	v_mul_lo_u16_sdwa v9, v8, s1 dst_sel:DWORD dst_unused:UNUSED_PAD src0_sel:BYTE_0 src1_sel:DWORD
	v_lshrrev_b16_e32 v9, 11, v9
	v_mul_lo_u16_e32 v9, 10, v9
	v_sub_u16_e32 v8, v8, v9
	v_add_u16_e32 v7, v7, v8
	v_add_u16_e32 v8, -10, v7
	v_min_u16_sdwa v7, v7, v8 dst_sel:DWORD dst_unused:UNUSED_PAD src0_sel:BYTE_0 src1_sel:BYTE_0
.LBB666_82:
	s_or_b64 exec, exec, s[6:7]
                                        ; implicit-def: $vgpr8_vgpr9
	s_andn2_saveexec_b64 s[6:7], s[2:3]
	s_cbranch_execz .LBB666_77
.LBB666_83:
	v_subrev_u32_e32 v11, s0, v4
	v_cmp_lt_u32_e32 vcc, v6, v11
	v_mov_b32_e32 v12, 0
	s_and_saveexec_b64 s[0:1], vcc
	s_cbranch_execz .LBB666_85
; %bb.84:
	v_mov_b32_e32 v7, 0
	v_lshl_add_u64 v[12:13], v[8:9], 0, v[6:7]
	flat_load_ubyte v12, v[12:13]
.LBB666_85:
	s_or_b64 exec, exec, s[0:1]
	v_add_u32_e32 v7, 0x100, v6
	v_cmp_lt_u32_e64 s[2:3], v7, v11
	s_and_saveexec_b64 s[0:1], s[2:3]
	s_cbranch_execz .LBB666_87
; %bb.86:
	v_mov_b32_e32 v7, 0
	v_lshl_add_u64 v[14:15], v[8:9], 0, v[6:7]
	flat_load_ubyte v7, v[14:15] offset:256
	s_waitcnt vmcnt(0) lgkmcnt(0)
	v_lshlrev_b16_e32 v7, 8, v7
	v_or_b32_e32 v7, v12, v7
	v_and_b32_e32 v12, 0xffff, v7
.LBB666_87:
	s_or_b64 exec, exec, s[0:1]
	v_add_u32_e32 v7, 0x200, v6
	v_cmp_lt_u32_e64 s[0:1], v7, v11
	s_and_saveexec_b64 s[8:9], s[0:1]
	s_cbranch_execz .LBB666_89
; %bb.88:
	v_mov_b32_e32 v7, 0
	v_lshl_add_u64 v[14:15], v[8:9], 0, v[6:7]
	flat_load_ubyte v7, v[14:15] offset:512
	s_waitcnt vmcnt(0) lgkmcnt(0)
	v_lshl_or_b32 v12, v7, 16, v12
.LBB666_89:
	s_or_b64 exec, exec, s[8:9]
	v_add_u32_e32 v7, 0x300, v6
	v_cmp_lt_u32_e32 vcc, v7, v11
	s_and_saveexec_b64 s[8:9], vcc
	s_cbranch_execnz .LBB666_1122
; %bb.90:
	s_or_b64 exec, exec, s[8:9]
	s_waitcnt vmcnt(0) lgkmcnt(0)
	v_mov_b32_e32 v7, v12
	s_and_saveexec_b64 s[8:9], s[2:3]
	s_cbranch_execnz .LBB666_1123
.LBB666_91:
	s_or_b64 exec, exec, s[8:9]
	s_and_saveexec_b64 s[2:3], s[0:1]
	s_cbranch_execnz .LBB666_1124
.LBB666_92:
	s_or_b64 exec, exec, s[2:3]
	s_and_saveexec_b64 s[0:1], vcc
	s_cbranch_execz .LBB666_94
.LBB666_93:
	s_movk_i32 s2, 0xcd
	v_mul_lo_u16_sdwa v8, v12, s2 dst_sel:DWORD dst_unused:UNUSED_PAD src0_sel:BYTE_3 src1_sel:DWORD
	v_mul_lo_u16_sdwa v9, v7, s2 dst_sel:DWORD dst_unused:UNUSED_PAD src0_sel:BYTE_0 src1_sel:DWORD
	v_lshrrev_b16_e32 v8, 11, v8
	v_lshrrev_b16_e32 v9, 11, v9
	v_mul_lo_u16_e32 v8, 10, v8
	v_mul_lo_u16_e32 v9, 10, v9
	v_sub_u16_sdwa v8, v12, v8 dst_sel:DWORD dst_unused:UNUSED_PAD src0_sel:BYTE_3 src1_sel:DWORD
	v_sub_u16_e32 v7, v7, v9
	v_add_u16_e32 v7, v7, v8
	v_add_u16_e32 v8, -10, v7
	v_min_u16_sdwa v7, v7, v8 dst_sel:DWORD dst_unused:UNUSED_PAD src0_sel:BYTE_0 src1_sel:BYTE_0
.LBB666_94:
	s_or_b64 exec, exec, s[0:1]
	v_mbcnt_lo_u32_b32 v9, -1, 0
	v_mbcnt_hi_u32_b32 v9, -1, v9
	v_min_u32_e32 v8, 0x100, v11
	v_and_b32_e32 v11, 63, v9
	v_cmp_ne_u32_e32 vcc, 63, v11
	v_and_b32_e32 v13, 0xff, v7
	v_add_u32_e32 v15, 1, v11
	v_addc_co_u32_e32 v12, vcc, 0, v9, vcc
	v_lshlrev_b32_e32 v12, 2, v12
	ds_bpermute_b32 v14, v12, v13
	v_and_b32_e32 v12, 0x3c0, v6
	v_sub_u32_e64 v12, v8, v12 clamp
	v_cmp_lt_u32_e32 vcc, v15, v12
	s_and_saveexec_b64 s[0:1], vcc
	s_xor_b64 s[0:1], exec, s[0:1]
	s_cbranch_execz .LBB666_96
; %bb.95:
	s_movk_i32 s2, 0xcd
	s_waitcnt lgkmcnt(0)
	v_mul_lo_u16_sdwa v13, v14, s2 dst_sel:DWORD dst_unused:UNUSED_PAD src0_sel:BYTE_0 src1_sel:DWORD
	v_lshrrev_b16_e32 v13, 11, v13
	v_mul_lo_u16_e32 v13, 10, v13
	v_sub_u16_e32 v13, v14, v13
	v_mul_lo_u16_sdwa v14, v7, s2 dst_sel:DWORD dst_unused:UNUSED_PAD src0_sel:BYTE_0 src1_sel:DWORD
	v_lshrrev_b16_e32 v14, 11, v14
	v_mul_lo_u16_e32 v14, 10, v14
	v_sub_u16_e32 v7, v7, v14
	v_add_u16_e32 v13, v13, v7
	v_add_u16_e32 v14, -10, v13
	v_min_u16_sdwa v7, v13, v14 dst_sel:DWORD dst_unused:UNUSED_PAD src0_sel:BYTE_0 src1_sel:BYTE_0
	v_min_u16_sdwa v13, v13, v14 dst_sel:DWORD dst_unused:UNUSED_PAD src0_sel:BYTE_0 src1_sel:BYTE_0
.LBB666_96:
	s_or_b64 exec, exec, s[0:1]
	v_cmp_gt_u32_e32 vcc, 62, v11
	v_add_u32_e32 v15, 2, v11
	s_waitcnt lgkmcnt(0)
	v_cndmask_b32_e64 v14, 0, 2, vcc
	v_add_lshl_u32 v14, v14, v9, 2
	ds_bpermute_b32 v14, v14, v13
	v_cmp_lt_u32_e32 vcc, v15, v12
	s_and_saveexec_b64 s[0:1], vcc
	s_cbranch_execz .LBB666_98
; %bb.97:
	s_movk_i32 s2, 0xcd
	s_waitcnt lgkmcnt(0)
	v_mul_lo_u16_sdwa v13, v14, s2 dst_sel:DWORD dst_unused:UNUSED_PAD src0_sel:BYTE_0 src1_sel:DWORD
	v_lshrrev_b16_e32 v13, 11, v13
	v_mul_lo_u16_e32 v13, 10, v13
	v_sub_u16_e32 v13, v14, v13
	v_mul_lo_u16_sdwa v14, v7, s2 dst_sel:DWORD dst_unused:UNUSED_PAD src0_sel:BYTE_0 src1_sel:DWORD
	v_lshrrev_b16_e32 v14, 11, v14
	v_mul_lo_u16_e32 v14, 10, v14
	v_sub_u16_e32 v7, v7, v14
	v_add_u16_e32 v13, v13, v7
	v_add_u16_e32 v14, -10, v13
	v_min_u16_sdwa v7, v13, v14 dst_sel:DWORD dst_unused:UNUSED_PAD src0_sel:BYTE_0 src1_sel:BYTE_0
	v_min_u16_sdwa v13, v13, v14 dst_sel:DWORD dst_unused:UNUSED_PAD src0_sel:BYTE_0 src1_sel:BYTE_0
.LBB666_98:
	s_or_b64 exec, exec, s[0:1]
	v_cmp_gt_u32_e32 vcc, 60, v11
	v_add_u32_e32 v15, 4, v11
	s_waitcnt lgkmcnt(0)
	v_cndmask_b32_e64 v14, 0, 4, vcc
	v_add_lshl_u32 v14, v14, v9, 2
	ds_bpermute_b32 v14, v14, v13
	v_cmp_lt_u32_e32 vcc, v15, v12
	s_and_saveexec_b64 s[0:1], vcc
	s_cbranch_execz .LBB666_100
; %bb.99:
	s_movk_i32 s2, 0xcd
	s_waitcnt lgkmcnt(0)
	v_mul_lo_u16_sdwa v13, v14, s2 dst_sel:DWORD dst_unused:UNUSED_PAD src0_sel:BYTE_0 src1_sel:DWORD
	v_lshrrev_b16_e32 v13, 11, v13
	v_mul_lo_u16_e32 v13, 10, v13
	v_sub_u16_e32 v13, v14, v13
	v_mul_lo_u16_sdwa v14, v7, s2 dst_sel:DWORD dst_unused:UNUSED_PAD src0_sel:BYTE_0 src1_sel:DWORD
	v_lshrrev_b16_e32 v14, 11, v14
	v_mul_lo_u16_e32 v14, 10, v14
	v_sub_u16_e32 v7, v7, v14
	v_add_u16_e32 v13, v13, v7
	v_add_u16_e32 v14, -10, v13
	v_min_u16_sdwa v7, v13, v14 dst_sel:DWORD dst_unused:UNUSED_PAD src0_sel:BYTE_0 src1_sel:BYTE_0
	v_min_u16_sdwa v13, v13, v14 dst_sel:DWORD dst_unused:UNUSED_PAD src0_sel:BYTE_0 src1_sel:BYTE_0
.LBB666_100:
	s_or_b64 exec, exec, s[0:1]
	v_cmp_gt_u32_e32 vcc, 56, v11
	v_add_u32_e32 v15, 8, v11
	s_waitcnt lgkmcnt(0)
	v_cndmask_b32_e64 v14, 0, 8, vcc
	v_add_lshl_u32 v14, v14, v9, 2
	ds_bpermute_b32 v14, v14, v13
	v_cmp_lt_u32_e32 vcc, v15, v12
	s_and_saveexec_b64 s[0:1], vcc
	s_cbranch_execz .LBB666_102
; %bb.101:
	s_movk_i32 s2, 0xcd
	s_waitcnt lgkmcnt(0)
	v_mul_lo_u16_sdwa v13, v14, s2 dst_sel:DWORD dst_unused:UNUSED_PAD src0_sel:BYTE_0 src1_sel:DWORD
	v_lshrrev_b16_e32 v13, 11, v13
	v_mul_lo_u16_e32 v13, 10, v13
	v_sub_u16_e32 v13, v14, v13
	v_mul_lo_u16_sdwa v14, v7, s2 dst_sel:DWORD dst_unused:UNUSED_PAD src0_sel:BYTE_0 src1_sel:DWORD
	v_lshrrev_b16_e32 v14, 11, v14
	v_mul_lo_u16_e32 v14, 10, v14
	v_sub_u16_e32 v7, v7, v14
	v_add_u16_e32 v13, v13, v7
	v_add_u16_e32 v14, -10, v13
	v_min_u16_sdwa v7, v13, v14 dst_sel:DWORD dst_unused:UNUSED_PAD src0_sel:BYTE_0 src1_sel:BYTE_0
	v_min_u16_sdwa v13, v13, v14 dst_sel:DWORD dst_unused:UNUSED_PAD src0_sel:BYTE_0 src1_sel:BYTE_0
.LBB666_102:
	s_or_b64 exec, exec, s[0:1]
	v_cmp_gt_u32_e32 vcc, 48, v11
	v_add_u32_e32 v15, 16, v11
	s_waitcnt lgkmcnt(0)
	v_cndmask_b32_e64 v14, 0, 16, vcc
	v_add_lshl_u32 v14, v14, v9, 2
	ds_bpermute_b32 v14, v14, v13
	v_cmp_lt_u32_e32 vcc, v15, v12
	s_and_saveexec_b64 s[0:1], vcc
	s_cbranch_execz .LBB666_104
; %bb.103:
	s_movk_i32 s2, 0xcd
	s_waitcnt lgkmcnt(0)
	v_mul_lo_u16_sdwa v13, v14, s2 dst_sel:DWORD dst_unused:UNUSED_PAD src0_sel:BYTE_0 src1_sel:DWORD
	v_lshrrev_b16_e32 v13, 11, v13
	v_mul_lo_u16_e32 v13, 10, v13
	v_sub_u16_e32 v13, v14, v13
	v_mul_lo_u16_sdwa v14, v7, s2 dst_sel:DWORD dst_unused:UNUSED_PAD src0_sel:BYTE_0 src1_sel:DWORD
	v_lshrrev_b16_e32 v14, 11, v14
	v_mul_lo_u16_e32 v14, 10, v14
	v_sub_u16_e32 v7, v7, v14
	v_add_u16_e32 v13, v13, v7
	v_add_u16_e32 v14, -10, v13
	v_min_u16_sdwa v7, v13, v14 dst_sel:DWORD dst_unused:UNUSED_PAD src0_sel:BYTE_0 src1_sel:BYTE_0
	v_min_u16_sdwa v13, v13, v14 dst_sel:DWORD dst_unused:UNUSED_PAD src0_sel:BYTE_0 src1_sel:BYTE_0
.LBB666_104:
	s_or_b64 exec, exec, s[0:1]
	s_waitcnt lgkmcnt(0)
	v_lshlrev_b32_e32 v14, 2, v9
	v_or_b32_e32 v15, 0x80, v14
	ds_bpermute_b32 v13, v15, v13
	v_add_u32_e32 v11, 32, v11
	v_cmp_lt_u32_e32 vcc, v11, v12
	s_and_saveexec_b64 s[0:1], vcc
	s_cbranch_execz .LBB666_106
; %bb.105:
	s_movk_i32 s2, 0xcd
	s_waitcnt lgkmcnt(0)
	v_mul_lo_u16_sdwa v11, v13, s2 dst_sel:DWORD dst_unused:UNUSED_PAD src0_sel:BYTE_0 src1_sel:DWORD
	v_mul_lo_u16_sdwa v12, v7, s2 dst_sel:DWORD dst_unused:UNUSED_PAD src0_sel:BYTE_0 src1_sel:DWORD
	v_lshrrev_b16_e32 v11, 11, v11
	v_lshrrev_b16_e32 v12, 11, v12
	v_mul_lo_u16_e32 v11, 10, v11
	v_mul_lo_u16_e32 v12, 10, v12
	v_sub_u16_e32 v11, v13, v11
	v_sub_u16_e32 v7, v7, v12
	v_add_u16_e32 v7, v11, v7
	v_add_u16_e32 v11, -10, v7
	v_min_u16_sdwa v7, v7, v11 dst_sel:DWORD dst_unused:UNUSED_PAD src0_sel:BYTE_0 src1_sel:BYTE_0
.LBB666_106:
	s_or_b64 exec, exec, s[0:1]
	v_cmp_eq_u32_e32 vcc, 0, v9
	s_and_saveexec_b64 s[0:1], vcc
; %bb.107:
	v_lshrrev_b32_e32 v11, 6, v6
	ds_write_b8 v11, v7
; %bb.108:
	s_or_b64 exec, exec, s[0:1]
	v_cmp_gt_u32_e32 vcc, 4, v6
	s_waitcnt lgkmcnt(0)
	s_barrier
	s_and_saveexec_b64 s[0:1], vcc
	s_cbranch_execz .LBB666_114
; %bb.109:
	ds_read_u8 v7, v9
	v_and_b32_e32 v11, 3, v9
	v_cmp_ne_u32_e32 vcc, 3, v11
	v_add_u32_e32 v8, 63, v8
	v_lshrrev_b32_e32 v8, 6, v8
	v_addc_co_u32_e32 v9, vcc, 0, v9, vcc
	v_lshlrev_b32_e32 v12, 2, v9
	s_waitcnt lgkmcnt(0)
	v_and_b32_e32 v9, 0xff, v7
	ds_bpermute_b32 v12, v12, v9
	v_add_u32_e32 v13, 1, v11
	v_cmp_lt_u32_e32 vcc, v13, v8
	s_and_saveexec_b64 s[2:3], vcc
	s_cbranch_execz .LBB666_111
; %bb.110:
	s_movk_i32 s8, 0xcd
	s_waitcnt lgkmcnt(0)
	v_mul_lo_u16_sdwa v9, v12, s8 dst_sel:DWORD dst_unused:UNUSED_PAD src0_sel:BYTE_0 src1_sel:DWORD
	v_lshrrev_b16_e32 v9, 11, v9
	v_mul_lo_u16_e32 v9, 10, v9
	v_sub_u16_e32 v9, v12, v9
	v_mul_lo_u16_sdwa v12, v7, s8 dst_sel:DWORD dst_unused:UNUSED_PAD src0_sel:BYTE_0 src1_sel:DWORD
	v_lshrrev_b16_e32 v12, 11, v12
	v_mul_lo_u16_e32 v12, 10, v12
	v_sub_u16_e32 v7, v7, v12
	v_add_u16_e32 v9, v9, v7
	v_add_u16_e32 v12, -10, v9
	v_min_u16_sdwa v7, v9, v12 dst_sel:DWORD dst_unused:UNUSED_PAD src0_sel:BYTE_0 src1_sel:BYTE_0
	v_min_u16_sdwa v9, v9, v12 dst_sel:DWORD dst_unused:UNUSED_PAD src0_sel:BYTE_0 src1_sel:BYTE_0
.LBB666_111:
	s_or_b64 exec, exec, s[2:3]
	s_waitcnt lgkmcnt(0)
	v_or_b32_e32 v12, 8, v14
	ds_bpermute_b32 v9, v12, v9
	v_add_u32_e32 v11, 2, v11
	v_cmp_lt_u32_e32 vcc, v11, v8
	s_and_saveexec_b64 s[2:3], vcc
	s_cbranch_execz .LBB666_113
; %bb.112:
	s_movk_i32 s8, 0xcd
	s_waitcnt lgkmcnt(0)
	v_mul_lo_u16_sdwa v8, v9, s8 dst_sel:DWORD dst_unused:UNUSED_PAD src0_sel:BYTE_0 src1_sel:DWORD
	v_lshrrev_b16_e32 v8, 11, v8
	v_mul_lo_u16_e32 v8, 10, v8
	v_sub_u16_e32 v8, v9, v8
	v_mul_lo_u16_sdwa v9, v7, s8 dst_sel:DWORD dst_unused:UNUSED_PAD src0_sel:BYTE_0 src1_sel:DWORD
	v_lshrrev_b16_e32 v9, 11, v9
	v_mul_lo_u16_e32 v9, 10, v9
	v_sub_u16_e32 v7, v7, v9
	v_add_u16_e32 v7, v8, v7
	v_add_u16_e32 v8, -10, v7
	v_min_u16_sdwa v7, v7, v8 dst_sel:DWORD dst_unused:UNUSED_PAD src0_sel:BYTE_0 src1_sel:BYTE_0
.LBB666_113:
	s_or_b64 exec, exec, s[2:3]
.LBB666_114:
	s_or_b64 exec, exec, s[0:1]
	s_or_b64 exec, exec, s[6:7]
	v_cmp_eq_u32_e32 vcc, 0, v6
	s_and_b64 exec, exec, vcc
	s_cbranch_execz .LBB666_118
.LBB666_115:
	v_cmp_ne_u64_e32 vcc, 0, v[4:5]
	s_and_saveexec_b64 s[0:1], vcc
	s_cbranch_execz .LBB666_117
; %bb.116:
	s_movk_i32 s2, 0xcd
	v_mul_lo_u16_sdwa v4, v7, s2 dst_sel:DWORD dst_unused:UNUSED_PAD src0_sel:BYTE_0 src1_sel:DWORD
	v_mul_lo_u16_sdwa v5, v10, s2 dst_sel:DWORD dst_unused:UNUSED_PAD src0_sel:BYTE_0 src1_sel:DWORD
	v_lshrrev_b16_e32 v4, 11, v4
	v_lshrrev_b16_e32 v5, 11, v5
	v_mul_lo_u16_e32 v4, 10, v4
	v_mul_lo_u16_e32 v5, 10, v5
	v_sub_u16_e32 v4, v7, v4
	v_sub_u16_e32 v5, v10, v5
	v_add_u16_e32 v4, v4, v5
	v_add_u16_e32 v5, -10, v4
	v_min_u16_sdwa v10, v4, v5 dst_sel:DWORD dst_unused:UNUSED_PAD src0_sel:BYTE_0 src1_sel:BYTE_0
.LBB666_117:
	s_or_b64 exec, exec, s[0:1]
	v_lshl_add_u64 v[2:3], v[2:3], 0, s[12:13]
	flat_store_byte v[2:3], v10
.LBB666_118:
	s_or_b64 exec, exec, s[4:5]
	flat_load_dwordx2 v[2:3], v[0:1]
	s_waitcnt vmcnt(0) lgkmcnt(0)
	flat_load_dword v2, v[2:3]
	s_waitcnt vmcnt(0) lgkmcnt(0)
	v_cmp_eq_u32_e32 vcc, 8, v2
	s_and_saveexec_b64 s[14:15], vcc
	s_cbranch_execz .LBB666_174
; %bb.119:
	flat_load_dwordx4 v[6:9], v[0:1] offset:8
	flat_load_dwordx4 v[14:17], v[0:1] offset:24
	s_mov_b32 s1, 0
	s_lshl_b32 s0, s12, 11
	s_mov_b32 s13, s1
	s_waitcnt vmcnt(0) lgkmcnt(0)
	flat_load_dwordx2 v[4:5], v[8:9]
	flat_load_dwordx2 v[10:11], v[6:7]
	;; [unrolled: 1-line block ×3, first 2 shown]
	flat_load_ubyte v12, v[16:17]
	v_and_b32_e32 v6, 0x3ff, v31
                                        ; implicit-def: $vgpr7
	s_waitcnt vmcnt(0) lgkmcnt(0)
	v_lshrrev_b64 v[8:9], 11, v[4:5]
	v_cmp_ne_u64_e32 vcc, s[12:13], v[8:9]
	v_lshl_add_u64 v[10:11], v[10:11], 0, s[0:1]
	s_and_saveexec_b64 s[2:3], vcc
	s_xor_b64 s[2:3], exec, s[2:3]
	s_cbranch_execnz .LBB666_122
; %bb.120:
	s_andn2_saveexec_b64 s[16:17], s[2:3]
	s_cbranch_execnz .LBB666_127
.LBB666_121:
	s_or_b64 exec, exec, s[16:17]
	v_cmp_eq_u32_e32 vcc, 0, v6
	s_and_b64 exec, exec, vcc
	s_cbranch_execnz .LBB666_171
	s_branch .LBB666_174
.LBB666_122:
	v_mov_b32_e32 v7, 0
	v_lshl_add_u64 v[8:9], v[10:11], 0, v[6:7]
	flat_load_ubyte v7, v[8:9] offset:256
	flat_load_ubyte v10, v[8:9]
	flat_load_ubyte v11, v[8:9] offset:512
	flat_load_ubyte v13, v[8:9] offset:768
	;; [unrolled: 1-line block ×6, first 2 shown]
	s_movk_i32 s1, 0xcd
	v_mbcnt_lo_u32_b32 v8, -1, 0
	v_mbcnt_hi_u32_b32 v8, -1, v8
	v_lshlrev_b32_e32 v9, 2, v8
	v_cmp_eq_u32_e32 vcc, 0, v8
	s_waitcnt vmcnt(0) lgkmcnt(0)
	v_mul_lo_u16_e32 v18, 0xcd, v7
	v_mul_lo_u16_e32 v19, 0xcd, v10
	v_lshrrev_b16_e32 v18, 11, v18
	v_lshrrev_b16_e32 v19, 11, v19
	v_mul_lo_u16_e32 v18, 10, v18
	v_mul_lo_u16_e32 v19, 10, v19
	v_sub_u16_e32 v7, v7, v18
	v_sub_u16_e32 v10, v10, v19
	v_add_u16_e32 v7, v7, v10
	v_add_u16_e32 v10, -10, v7
	v_min_u16_sdwa v7, v7, v10 dst_sel:DWORD dst_unused:UNUSED_PAD src0_sel:BYTE_0 src1_sel:BYTE_0
	v_mul_lo_u16_e32 v20, 0xcd, v11
	v_mul_lo_u16_e32 v10, 0xcd, v7
	v_lshrrev_b16_e32 v20, 11, v20
	v_lshrrev_b16_e32 v10, 11, v10
	v_mul_lo_u16_e32 v20, 10, v20
	v_mul_lo_u16_e32 v10, 10, v10
	v_sub_u16_e32 v11, v11, v20
	v_sub_u16_e32 v7, v7, v10
	v_add_u16_e32 v7, v7, v11
	v_add_u16_e32 v10, -10, v7
	v_min_u16_sdwa v7, v7, v10 dst_sel:DWORD dst_unused:UNUSED_PAD src0_sel:BYTE_0 src1_sel:BYTE_0
	;; [unrolled: 11-line block ×7, first 2 shown]
	v_mul_lo_u16_e32 v11, 0xcd, v7
	v_lshrrev_b16_e32 v11, 11, v11
	v_mov_b32_dpp v10, v7 quad_perm:[1,0,3,2] row_mask:0xf bank_mask:0xf bound_ctrl:1
	v_mul_lo_u16_sdwa v13, v10, s1 dst_sel:DWORD dst_unused:UNUSED_PAD src0_sel:BYTE_0 src1_sel:DWORD
	v_mul_lo_u16_e32 v11, 10, v11
	v_lshrrev_b16_e32 v13, 11, v13
	v_sub_u16_e32 v7, v7, v11
	v_mul_lo_u16_e32 v11, 10, v13
	v_sub_u16_e32 v10, v10, v11
	v_add_u16_e32 v7, v7, v10
	v_add_u16_e32 v10, -10, v7
	v_min_u16_sdwa v7, v7, v10 dst_sel:DWORD dst_unused:UNUSED_PAD src0_sel:BYTE_0 src1_sel:BYTE_0
	s_nop 1
	v_mov_b32_dpp v10, v7 quad_perm:[2,3,0,1] row_mask:0xf bank_mask:0xf bound_ctrl:1
	v_mul_lo_u16_sdwa v11, v10, s1 dst_sel:DWORD dst_unused:UNUSED_PAD src0_sel:BYTE_0 src1_sel:DWORD
	v_lshrrev_b16_e32 v11, 11, v11
	v_mul_lo_u16_e32 v11, 10, v11
	v_sub_u16_e32 v10, v10, v11
	v_add_u16_e32 v7, v7, v10
	v_add_u16_e32 v10, -10, v7
	v_min_u16_sdwa v7, v7, v10 dst_sel:DWORD dst_unused:UNUSED_PAD src0_sel:BYTE_0 src1_sel:BYTE_0
	v_mul_lo_u16_e32 v11, 0xcd, v7
	v_lshrrev_b16_e32 v11, 11, v11
	v_mov_b32_dpp v10, v7 row_ror:4 row_mask:0xf bank_mask:0xf bound_ctrl:1
	v_mul_lo_u16_sdwa v13, v10, s1 dst_sel:DWORD dst_unused:UNUSED_PAD src0_sel:BYTE_0 src1_sel:DWORD
	v_mul_lo_u16_e32 v11, 10, v11
	v_lshrrev_b16_e32 v13, 11, v13
	v_sub_u16_e32 v7, v7, v11
	v_mul_lo_u16_e32 v11, 10, v13
	v_sub_u16_e32 v10, v10, v11
	v_add_u16_e32 v7, v7, v10
	v_add_u16_e32 v10, -10, v7
	v_min_u16_sdwa v7, v7, v10 dst_sel:DWORD dst_unused:UNUSED_PAD src0_sel:BYTE_0 src1_sel:BYTE_0
	v_mul_lo_u16_e32 v11, 0xcd, v7
	v_lshrrev_b16_e32 v11, 11, v11
	v_mov_b32_dpp v10, v7 row_ror:8 row_mask:0xf bank_mask:0xf bound_ctrl:1
	v_mul_lo_u16_sdwa v13, v10, s1 dst_sel:DWORD dst_unused:UNUSED_PAD src0_sel:BYTE_0 src1_sel:DWORD
	v_mul_lo_u16_e32 v11, 10, v11
	v_lshrrev_b16_e32 v13, 11, v13
	v_sub_u16_e32 v7, v7, v11
	v_mul_lo_u16_e32 v11, 10, v13
	v_sub_u16_e32 v10, v10, v11
	v_add_u16_e32 v7, v7, v10
	v_add_u16_e32 v10, -10, v7
	v_min_u16_sdwa v7, v7, v10 dst_sel:DWORD dst_unused:UNUSED_PAD src0_sel:BYTE_0 src1_sel:BYTE_0
	v_mul_lo_u16_e32 v11, 0xcd, v7
	v_lshrrev_b16_e32 v11, 11, v11
	v_mov_b32_dpp v10, v7 row_bcast:15 row_mask:0xf bank_mask:0xf bound_ctrl:1
	v_mul_lo_u16_sdwa v13, v10, s1 dst_sel:DWORD dst_unused:UNUSED_PAD src0_sel:BYTE_0 src1_sel:DWORD
	v_mul_lo_u16_e32 v11, 10, v11
	v_lshrrev_b16_e32 v13, 11, v13
	v_sub_u16_e32 v7, v7, v11
	v_mul_lo_u16_e32 v11, 10, v13
	v_sub_u16_e32 v10, v10, v11
	v_add_u16_e32 v7, v7, v10
	v_add_u16_e32 v10, -10, v7
	v_min_u16_sdwa v7, v7, v10 dst_sel:DWORD dst_unused:UNUSED_PAD src0_sel:BYTE_0 src1_sel:BYTE_0
	v_mul_lo_u16_e32 v11, 0xcd, v7
	v_lshrrev_b16_e32 v11, 11, v11
	v_mov_b32_dpp v10, v7 row_bcast:31 row_mask:0xf bank_mask:0xf bound_ctrl:1
	v_mul_lo_u16_sdwa v13, v10, s1 dst_sel:DWORD dst_unused:UNUSED_PAD src0_sel:BYTE_0 src1_sel:DWORD
	v_mul_lo_u16_e32 v11, 10, v11
	v_lshrrev_b16_e32 v13, 11, v13
	v_sub_u16_e32 v7, v7, v11
	v_mul_lo_u16_e32 v11, 10, v13
	v_sub_u16_e32 v10, v10, v11
	v_add_u16_e32 v7, v7, v10
	v_add_u16_e32 v10, -10, v7
	v_or_b32_e32 v11, 0xfc, v9
	v_min_u16_sdwa v7, v7, v10 dst_sel:DWORD dst_unused:UNUSED_PAD src0_sel:BYTE_0 src1_sel:BYTE_0
	ds_bpermute_b32 v7, v11, v7
	s_and_saveexec_b64 s[4:5], vcc
	s_cbranch_execz .LBB666_124
; %bb.123:
	v_lshrrev_b32_e32 v10, 6, v6
	s_waitcnt lgkmcnt(0)
	ds_write_b8 v10, v7 offset:32
.LBB666_124:
	s_or_b64 exec, exec, s[4:5]
	v_cmp_gt_u32_e32 vcc, 64, v6
	s_waitcnt lgkmcnt(0)
	s_barrier
	s_and_saveexec_b64 s[4:5], vcc
	s_cbranch_execz .LBB666_126
; %bb.125:
	v_and_b32_e32 v7, 3, v8
	ds_read_u8 v10, v7 offset:32
	v_cmp_ne_u32_e32 vcc, 3, v7
	s_nop 1
	v_addc_co_u32_e32 v7, vcc, 0, v8, vcc
	v_lshlrev_b32_e32 v7, 2, v7
	s_waitcnt lgkmcnt(0)
	v_and_b32_e32 v8, 0xffff, v10
	ds_bpermute_b32 v7, v7, v8
	v_mul_lo_u16_e32 v8, 0xcd, v10
	v_lshrrev_b16_e32 v8, 11, v8
	v_mul_lo_u16_e32 v8, 10, v8
	v_sub_u16_e32 v8, v10, v8
	s_waitcnt lgkmcnt(0)
	v_mul_lo_u16_sdwa v11, v7, s1 dst_sel:DWORD dst_unused:UNUSED_PAD src0_sel:BYTE_0 src1_sel:DWORD
	v_lshrrev_b16_e32 v11, 11, v11
	v_mul_lo_u16_e32 v11, 10, v11
	v_sub_u16_e32 v7, v7, v11
	v_add_u16_e32 v7, v7, v8
	v_add_u16_e32 v8, -10, v7
	v_min_u16_sdwa v7, v7, v8 dst_sel:DWORD dst_unused:UNUSED_PAD src0_sel:BYTE_0 src1_sel:BYTE_0
	v_or_b32_e32 v8, 8, v9
	ds_bpermute_b32 v8, v8, v7
	s_waitcnt lgkmcnt(0)
	v_mul_lo_u16_sdwa v9, v8, s1 dst_sel:DWORD dst_unused:UNUSED_PAD src0_sel:BYTE_0 src1_sel:DWORD
	v_lshrrev_b16_e32 v9, 11, v9
	v_mul_lo_u16_e32 v9, 10, v9
	v_sub_u16_e32 v8, v8, v9
	v_add_u16_e32 v7, v7, v8
	v_add_u16_e32 v8, -10, v7
	v_min_u16_sdwa v7, v7, v8 dst_sel:DWORD dst_unused:UNUSED_PAD src0_sel:BYTE_0 src1_sel:BYTE_0
.LBB666_126:
	s_or_b64 exec, exec, s[4:5]
                                        ; implicit-def: $vgpr10_vgpr11
	s_andn2_saveexec_b64 s[16:17], s[2:3]
	s_cbranch_execz .LBB666_121
.LBB666_127:
	v_subrev_u32_e32 v13, s0, v4
	v_mov_b32_e32 v8, 0
	v_cmp_lt_u32_e32 vcc, v6, v13
	s_mov_b32 s2, 0
	v_mov_b32_e32 v9, v8
	s_and_saveexec_b64 s[0:1], vcc
	s_cbranch_execz .LBB666_129
; %bb.128:
	v_mov_b32_e32 v7, v8
	v_lshl_add_u64 v[8:9], v[10:11], 0, v[6:7]
	flat_load_ubyte v7, v[8:9]
	v_mov_b32_e32 v9, s2
	s_waitcnt vmcnt(0) lgkmcnt(0)
	v_and_b32_e32 v8, 0xffff, v7
.LBB666_129:
	s_or_b64 exec, exec, s[0:1]
	v_add_u32_e32 v7, 0x100, v6
	v_cmp_lt_u32_e64 s[0:1], v7, v13
	s_and_saveexec_b64 s[2:3], s[0:1]
	s_cbranch_execz .LBB666_131
; %bb.130:
	v_mov_b32_e32 v7, 0
	v_lshl_add_u64 v[14:15], v[10:11], 0, v[6:7]
	flat_load_ubyte v7, v[14:15] offset:256
	s_mov_b32 s4, 0x7060004
	s_waitcnt vmcnt(0) lgkmcnt(0)
	v_perm_b32 v8, v8, v7, s4
.LBB666_131:
	s_or_b64 exec, exec, s[2:3]
	v_add_u32_e32 v7, 0x200, v6
	v_cmp_lt_u32_e32 vcc, v7, v13
	s_and_saveexec_b64 s[2:3], vcc
	s_cbranch_execz .LBB666_133
; %bb.132:
	v_mov_b32_e32 v7, 0
	v_lshl_add_u64 v[14:15], v[10:11], 0, v[6:7]
	flat_load_ubyte v7, v[14:15] offset:512
	s_mov_b32 s4, 0xc0c0304
	s_waitcnt vmcnt(0) lgkmcnt(0)
	v_perm_b32 v7, v7, v8, s4
	v_lshlrev_b32_e32 v7, 16, v7
	s_mov_b32 s4, 0xffff
	v_and_or_b32 v8, v8, s4, v7
.LBB666_133:
	s_or_b64 exec, exec, s[2:3]
	v_add_u32_e32 v7, 0x300, v6
	v_cmp_lt_u32_e64 s[2:3], v7, v13
	s_and_saveexec_b64 s[4:5], s[2:3]
	s_cbranch_execz .LBB666_135
; %bb.134:
	v_mov_b32_e32 v7, 0
	v_lshl_add_u64 v[14:15], v[10:11], 0, v[6:7]
	flat_load_ubyte v7, v[14:15] offset:768
	s_mov_b32 s6, 0xc0c0006
	s_waitcnt vmcnt(0) lgkmcnt(0)
	v_perm_b32 v7, v8, v7, s6
	v_lshlrev_b32_e32 v7, 16, v7
	s_mov_b32 s6, 0xffff
	v_and_or_b32 v8, v8, s6, v7
.LBB666_135:
	s_or_b64 exec, exec, s[4:5]
	v_or_b32_e32 v7, 0x400, v6
	v_cmp_lt_u32_e64 s[4:5], v7, v13
	s_and_saveexec_b64 s[6:7], s[4:5]
	s_cbranch_execz .LBB666_137
; %bb.136:
	v_mov_b32_e32 v7, 0
	v_lshl_add_u64 v[14:15], v[10:11], 0, v[6:7]
	flat_load_ubyte v7, v[14:15] offset:1024
	s_mov_b32 s8, 0x3020104
	s_waitcnt vmcnt(0) lgkmcnt(0)
	v_perm_b32 v9, v7, v9, s8
.LBB666_137:
	s_or_b64 exec, exec, s[6:7]
	v_add_u32_e32 v7, 0x500, v6
	v_cmp_lt_u32_e64 s[8:9], v7, v13
	s_and_saveexec_b64 s[6:7], s[8:9]
	s_cbranch_execz .LBB666_139
; %bb.138:
	v_mov_b32_e32 v7, 0
	v_lshl_add_u64 v[14:15], v[10:11], 0, v[6:7]
	flat_load_ubyte v7, v[14:15] offset:1280
	s_mov_b32 s10, 0x7060004
	s_waitcnt vmcnt(0) lgkmcnt(0)
	v_perm_b32 v9, v9, v7, s10
.LBB666_139:
	s_or_b64 exec, exec, s[6:7]
	v_add_u32_e32 v7, 0x600, v6
	;; [unrolled: 13-line block ×3, first 2 shown]
	v_cmp_lt_u32_e64 s[6:7], v7, v13
	s_and_saveexec_b64 s[18:19], s[6:7]
	s_cbranch_execnz .LBB666_1125
; %bb.142:
	s_or_b64 exec, exec, s[18:19]
	v_mov_b32_e32 v7, v8
	s_and_saveexec_b64 s[18:19], s[0:1]
	s_cbranch_execnz .LBB666_1126
.LBB666_143:
	s_or_b64 exec, exec, s[18:19]
	s_and_saveexec_b64 s[0:1], vcc
	s_cbranch_execnz .LBB666_1127
.LBB666_144:
	s_or_b64 exec, exec, s[0:1]
	s_and_saveexec_b64 s[0:1], s[2:3]
	s_cbranch_execnz .LBB666_1128
.LBB666_145:
	s_or_b64 exec, exec, s[0:1]
	s_and_saveexec_b64 s[0:1], s[4:5]
	s_cbranch_execnz .LBB666_1129
.LBB666_146:
	s_or_b64 exec, exec, s[0:1]
	s_and_saveexec_b64 s[0:1], s[8:9]
	s_cbranch_execnz .LBB666_1130
.LBB666_147:
	s_or_b64 exec, exec, s[0:1]
	s_and_saveexec_b64 s[0:1], s[10:11]
	s_cbranch_execnz .LBB666_1131
.LBB666_148:
	s_or_b64 exec, exec, s[0:1]
	s_and_saveexec_b64 s[0:1], s[6:7]
	s_cbranch_execz .LBB666_150
.LBB666_149:
	s_movk_i32 s2, 0xcd
	v_mul_lo_u16_sdwa v8, v9, s2 dst_sel:DWORD dst_unused:UNUSED_PAD src0_sel:BYTE_3 src1_sel:DWORD
	v_lshrrev_b16_e32 v8, 11, v8
	v_mul_lo_u16_e32 v8, 10, v8
	v_sub_u16_sdwa v8, v9, v8 dst_sel:DWORD dst_unused:UNUSED_PAD src0_sel:BYTE_3 src1_sel:DWORD
	v_mul_lo_u16_sdwa v9, v7, s2 dst_sel:DWORD dst_unused:UNUSED_PAD src0_sel:BYTE_0 src1_sel:DWORD
	v_lshrrev_b16_e32 v9, 11, v9
	v_mul_lo_u16_e32 v9, 10, v9
	v_sub_u16_e32 v7, v7, v9
	v_add_u16_e32 v7, v7, v8
	v_add_u16_e32 v8, -10, v7
	v_min_u16_sdwa v7, v7, v8 dst_sel:DWORD dst_unused:UNUSED_PAD src0_sel:BYTE_0 src1_sel:BYTE_0
.LBB666_150:
	s_or_b64 exec, exec, s[0:1]
	v_mbcnt_lo_u32_b32 v9, -1, 0
	v_mbcnt_hi_u32_b32 v9, -1, v9
	v_and_b32_e32 v10, 63, v9
	v_cmp_ne_u32_e32 vcc, 63, v10
	v_min_u32_e32 v8, 0x100, v13
	v_and_b32_e32 v13, 0xff, v7
	v_addc_co_u32_e32 v11, vcc, 0, v9, vcc
	v_lshlrev_b32_e32 v11, 2, v11
	ds_bpermute_b32 v14, v11, v13
	v_and_b32_e32 v11, 0x3c0, v6
	v_sub_u32_e64 v11, v8, v11 clamp
	v_add_u32_e32 v15, 1, v10
	v_cmp_lt_u32_e32 vcc, v15, v11
	s_and_saveexec_b64 s[0:1], vcc
	s_xor_b64 s[0:1], exec, s[0:1]
	s_cbranch_execz .LBB666_152
; %bb.151:
	s_movk_i32 s2, 0xcd
	s_waitcnt lgkmcnt(0)
	v_mul_lo_u16_sdwa v13, v14, s2 dst_sel:DWORD dst_unused:UNUSED_PAD src0_sel:BYTE_0 src1_sel:DWORD
	v_lshrrev_b16_e32 v13, 11, v13
	v_mul_lo_u16_e32 v13, 10, v13
	v_sub_u16_e32 v13, v14, v13
	v_mul_lo_u16_sdwa v14, v7, s2 dst_sel:DWORD dst_unused:UNUSED_PAD src0_sel:BYTE_0 src1_sel:DWORD
	v_lshrrev_b16_e32 v14, 11, v14
	v_mul_lo_u16_e32 v14, 10, v14
	v_sub_u16_e32 v7, v7, v14
	v_add_u16_e32 v13, v13, v7
	v_add_u16_e32 v14, -10, v13
	v_min_u16_sdwa v7, v13, v14 dst_sel:DWORD dst_unused:UNUSED_PAD src0_sel:BYTE_0 src1_sel:BYTE_0
	v_min_u16_sdwa v13, v13, v14 dst_sel:DWORD dst_unused:UNUSED_PAD src0_sel:BYTE_0 src1_sel:BYTE_0
.LBB666_152:
	s_or_b64 exec, exec, s[0:1]
	v_cmp_gt_u32_e32 vcc, 62, v10
	v_add_u32_e32 v15, 2, v10
	s_waitcnt lgkmcnt(0)
	v_cndmask_b32_e64 v14, 0, 2, vcc
	v_add_lshl_u32 v14, v14, v9, 2
	ds_bpermute_b32 v14, v14, v13
	v_cmp_lt_u32_e32 vcc, v15, v11
	s_and_saveexec_b64 s[0:1], vcc
	s_cbranch_execz .LBB666_154
; %bb.153:
	s_movk_i32 s2, 0xcd
	s_waitcnt lgkmcnt(0)
	v_mul_lo_u16_sdwa v13, v14, s2 dst_sel:DWORD dst_unused:UNUSED_PAD src0_sel:BYTE_0 src1_sel:DWORD
	v_lshrrev_b16_e32 v13, 11, v13
	v_mul_lo_u16_e32 v13, 10, v13
	v_sub_u16_e32 v13, v14, v13
	v_mul_lo_u16_sdwa v14, v7, s2 dst_sel:DWORD dst_unused:UNUSED_PAD src0_sel:BYTE_0 src1_sel:DWORD
	v_lshrrev_b16_e32 v14, 11, v14
	v_mul_lo_u16_e32 v14, 10, v14
	v_sub_u16_e32 v7, v7, v14
	v_add_u16_e32 v13, v13, v7
	v_add_u16_e32 v14, -10, v13
	v_min_u16_sdwa v7, v13, v14 dst_sel:DWORD dst_unused:UNUSED_PAD src0_sel:BYTE_0 src1_sel:BYTE_0
	v_min_u16_sdwa v13, v13, v14 dst_sel:DWORD dst_unused:UNUSED_PAD src0_sel:BYTE_0 src1_sel:BYTE_0
.LBB666_154:
	s_or_b64 exec, exec, s[0:1]
	v_cmp_gt_u32_e32 vcc, 60, v10
	v_add_u32_e32 v15, 4, v10
	s_waitcnt lgkmcnt(0)
	v_cndmask_b32_e64 v14, 0, 4, vcc
	v_add_lshl_u32 v14, v14, v9, 2
	ds_bpermute_b32 v14, v14, v13
	v_cmp_lt_u32_e32 vcc, v15, v11
	s_and_saveexec_b64 s[0:1], vcc
	;; [unrolled: 26-line block ×4, first 2 shown]
	s_cbranch_execz .LBB666_160
; %bb.159:
	s_movk_i32 s2, 0xcd
	s_waitcnt lgkmcnt(0)
	v_mul_lo_u16_sdwa v13, v14, s2 dst_sel:DWORD dst_unused:UNUSED_PAD src0_sel:BYTE_0 src1_sel:DWORD
	v_lshrrev_b16_e32 v13, 11, v13
	v_mul_lo_u16_e32 v13, 10, v13
	v_sub_u16_e32 v13, v14, v13
	v_mul_lo_u16_sdwa v14, v7, s2 dst_sel:DWORD dst_unused:UNUSED_PAD src0_sel:BYTE_0 src1_sel:DWORD
	v_lshrrev_b16_e32 v14, 11, v14
	v_mul_lo_u16_e32 v14, 10, v14
	v_sub_u16_e32 v7, v7, v14
	v_add_u16_e32 v13, v13, v7
	v_add_u16_e32 v14, -10, v13
	v_min_u16_sdwa v7, v13, v14 dst_sel:DWORD dst_unused:UNUSED_PAD src0_sel:BYTE_0 src1_sel:BYTE_0
	v_min_u16_sdwa v13, v13, v14 dst_sel:DWORD dst_unused:UNUSED_PAD src0_sel:BYTE_0 src1_sel:BYTE_0
.LBB666_160:
	s_or_b64 exec, exec, s[0:1]
	s_waitcnt lgkmcnt(0)
	v_lshlrev_b32_e32 v14, 2, v9
	v_or_b32_e32 v15, 0x80, v14
	ds_bpermute_b32 v13, v15, v13
	v_add_u32_e32 v10, 32, v10
	v_cmp_lt_u32_e32 vcc, v10, v11
	s_and_saveexec_b64 s[0:1], vcc
	s_cbranch_execz .LBB666_162
; %bb.161:
	s_movk_i32 s2, 0xcd
	s_waitcnt lgkmcnt(0)
	v_mul_lo_u16_sdwa v10, v13, s2 dst_sel:DWORD dst_unused:UNUSED_PAD src0_sel:BYTE_0 src1_sel:DWORD
	v_mul_lo_u16_sdwa v11, v7, s2 dst_sel:DWORD dst_unused:UNUSED_PAD src0_sel:BYTE_0 src1_sel:DWORD
	v_lshrrev_b16_e32 v10, 11, v10
	v_lshrrev_b16_e32 v11, 11, v11
	v_mul_lo_u16_e32 v10, 10, v10
	v_mul_lo_u16_e32 v11, 10, v11
	v_sub_u16_e32 v10, v13, v10
	v_sub_u16_e32 v7, v7, v11
	v_add_u16_e32 v7, v10, v7
	v_add_u16_e32 v10, -10, v7
	v_min_u16_sdwa v7, v7, v10 dst_sel:DWORD dst_unused:UNUSED_PAD src0_sel:BYTE_0 src1_sel:BYTE_0
.LBB666_162:
	s_or_b64 exec, exec, s[0:1]
	v_cmp_eq_u32_e32 vcc, 0, v9
	s_and_saveexec_b64 s[0:1], vcc
; %bb.163:
	v_lshrrev_b32_e32 v10, 6, v6
	ds_write_b8 v10, v7
; %bb.164:
	s_or_b64 exec, exec, s[0:1]
	v_cmp_gt_u32_e32 vcc, 4, v6
	s_waitcnt lgkmcnt(0)
	s_barrier
	s_and_saveexec_b64 s[0:1], vcc
	s_cbranch_execz .LBB666_170
; %bb.165:
	ds_read_u8 v7, v9
	v_and_b32_e32 v10, 3, v9
	v_cmp_ne_u32_e32 vcc, 3, v10
	v_add_u32_e32 v8, 63, v8
	v_lshrrev_b32_e32 v8, 6, v8
	v_addc_co_u32_e32 v9, vcc, 0, v9, vcc
	v_lshlrev_b32_e32 v11, 2, v9
	s_waitcnt lgkmcnt(0)
	v_and_b32_e32 v9, 0xff, v7
	ds_bpermute_b32 v11, v11, v9
	v_add_u32_e32 v13, 1, v10
	v_cmp_lt_u32_e32 vcc, v13, v8
	s_and_saveexec_b64 s[2:3], vcc
	s_cbranch_execz .LBB666_167
; %bb.166:
	s_movk_i32 s4, 0xcd
	s_waitcnt lgkmcnt(0)
	v_mul_lo_u16_sdwa v9, v11, s4 dst_sel:DWORD dst_unused:UNUSED_PAD src0_sel:BYTE_0 src1_sel:DWORD
	v_lshrrev_b16_e32 v9, 11, v9
	v_mul_lo_u16_e32 v9, 10, v9
	v_sub_u16_e32 v9, v11, v9
	v_mul_lo_u16_sdwa v11, v7, s4 dst_sel:DWORD dst_unused:UNUSED_PAD src0_sel:BYTE_0 src1_sel:DWORD
	v_lshrrev_b16_e32 v11, 11, v11
	v_mul_lo_u16_e32 v11, 10, v11
	v_sub_u16_e32 v7, v7, v11
	v_add_u16_e32 v9, v9, v7
	v_add_u16_e32 v11, -10, v9
	v_min_u16_sdwa v7, v9, v11 dst_sel:DWORD dst_unused:UNUSED_PAD src0_sel:BYTE_0 src1_sel:BYTE_0
	v_min_u16_sdwa v9, v9, v11 dst_sel:DWORD dst_unused:UNUSED_PAD src0_sel:BYTE_0 src1_sel:BYTE_0
.LBB666_167:
	s_or_b64 exec, exec, s[2:3]
	s_waitcnt lgkmcnt(0)
	v_or_b32_e32 v11, 8, v14
	ds_bpermute_b32 v9, v11, v9
	v_add_u32_e32 v10, 2, v10
	v_cmp_lt_u32_e32 vcc, v10, v8
	s_and_saveexec_b64 s[2:3], vcc
	s_cbranch_execz .LBB666_169
; %bb.168:
	s_movk_i32 s4, 0xcd
	s_waitcnt lgkmcnt(0)
	v_mul_lo_u16_sdwa v8, v9, s4 dst_sel:DWORD dst_unused:UNUSED_PAD src0_sel:BYTE_0 src1_sel:DWORD
	v_lshrrev_b16_e32 v8, 11, v8
	v_mul_lo_u16_e32 v8, 10, v8
	v_sub_u16_e32 v8, v9, v8
	v_mul_lo_u16_sdwa v9, v7, s4 dst_sel:DWORD dst_unused:UNUSED_PAD src0_sel:BYTE_0 src1_sel:DWORD
	v_lshrrev_b16_e32 v9, 11, v9
	v_mul_lo_u16_e32 v9, 10, v9
	v_sub_u16_e32 v7, v7, v9
	v_add_u16_e32 v7, v8, v7
	v_add_u16_e32 v8, -10, v7
	v_min_u16_sdwa v7, v7, v8 dst_sel:DWORD dst_unused:UNUSED_PAD src0_sel:BYTE_0 src1_sel:BYTE_0
.LBB666_169:
	s_or_b64 exec, exec, s[2:3]
.LBB666_170:
	s_or_b64 exec, exec, s[0:1]
	s_or_b64 exec, exec, s[16:17]
	v_cmp_eq_u32_e32 vcc, 0, v6
	s_and_b64 exec, exec, vcc
	s_cbranch_execz .LBB666_174
.LBB666_171:
	v_cmp_ne_u64_e32 vcc, 0, v[4:5]
	s_and_saveexec_b64 s[0:1], vcc
	s_cbranch_execz .LBB666_173
; %bb.172:
	s_movk_i32 s2, 0xcd
	v_mul_lo_u16_sdwa v4, v7, s2 dst_sel:DWORD dst_unused:UNUSED_PAD src0_sel:BYTE_0 src1_sel:DWORD
	v_mul_lo_u16_sdwa v5, v12, s2 dst_sel:DWORD dst_unused:UNUSED_PAD src0_sel:BYTE_0 src1_sel:DWORD
	v_lshrrev_b16_e32 v4, 11, v4
	v_lshrrev_b16_e32 v5, 11, v5
	v_mul_lo_u16_e32 v4, 10, v4
	v_mul_lo_u16_e32 v5, 10, v5
	v_sub_u16_e32 v4, v7, v4
	v_sub_u16_e32 v5, v12, v5
	v_add_u16_e32 v4, v4, v5
	v_add_u16_e32 v5, -10, v4
	v_min_u16_sdwa v12, v4, v5 dst_sel:DWORD dst_unused:UNUSED_PAD src0_sel:BYTE_0 src1_sel:BYTE_0
.LBB666_173:
	s_or_b64 exec, exec, s[0:1]
	v_lshl_add_u64 v[2:3], v[2:3], 0, s[12:13]
	flat_store_byte v[2:3], v12
.LBB666_174:
	s_or_b64 exec, exec, s[14:15]
	flat_load_dwordx2 v[2:3], v[0:1]
	s_waitcnt vmcnt(0) lgkmcnt(0)
	flat_load_dword v2, v[2:3]
	s_waitcnt vmcnt(0) lgkmcnt(0)
	v_cmp_eq_u32_e32 vcc, 16, v2
	s_and_saveexec_b64 s[40:41], vcc
	s_cbranch_execz .LBB666_254
; %bb.175:
	flat_load_dwordx4 v[2:5], v[0:1] offset:8
	flat_load_dwordx4 v[10:13], v[0:1] offset:24
	s_mov_b32 s1, 0
	s_lshl_b32 s0, s12, 12
	s_mov_b32 s13, s1
	s_waitcnt vmcnt(0) lgkmcnt(0)
	flat_load_dwordx2 v[8:9], v[4:5]
	flat_load_dwordx2 v[16:17], v[2:3]
	;; [unrolled: 1-line block ×3, first 2 shown]
	flat_load_ubyte v14, v[12:13]
	v_and_b32_e32 v10, 0x3ff, v31
                                        ; implicit-def: $vgpr11
	s_waitcnt vmcnt(0) lgkmcnt(0)
	v_lshrrev_b64 v[2:3], 12, v[8:9]
	v_cmp_ne_u64_e32 vcc, s[12:13], v[2:3]
	v_lshl_add_u64 v[12:13], v[16:17], 0, s[0:1]
	s_and_saveexec_b64 s[2:3], vcc
	s_xor_b64 s[2:3], exec, s[2:3]
	s_cbranch_execnz .LBB666_178
; %bb.176:
	s_andn2_saveexec_b64 s[42:43], s[2:3]
	s_cbranch_execnz .LBB666_183
.LBB666_177:
	s_or_b64 exec, exec, s[42:43]
	v_cmp_eq_u32_e32 vcc, 0, v10
	s_and_b64 exec, exec, vcc
	s_cbranch_execnz .LBB666_251
	s_branch .LBB666_254
.LBB666_178:
	v_mov_b32_e32 v11, 0
	v_lshl_add_u64 v[2:3], v[12:13], 0, v[10:11]
	flat_load_ubyte v4, v[2:3] offset:256
	flat_load_ubyte v5, v[2:3]
	flat_load_ubyte v11, v[2:3] offset:512
	flat_load_ubyte v12, v[2:3] offset:768
	;; [unrolled: 1-line block ×13, first 2 shown]
	s_nop 0
	flat_load_ubyte v3, v[2:3] offset:3840
	s_movk_i32 s1, 0xcd
	v_mbcnt_lo_u32_b32 v2, -1, 0
	v_mbcnt_hi_u32_b32 v2, -1, v2
	v_cmp_eq_u32_e32 vcc, 0, v2
	s_waitcnt vmcnt(0) lgkmcnt(0)
	v_mul_lo_u16_e32 v25, 0xcd, v4
	v_mul_lo_u16_e32 v26, 0xcd, v5
	v_lshrrev_b16_e32 v25, 11, v25
	v_lshrrev_b16_e32 v26, 11, v26
	v_mul_lo_u16_e32 v25, 10, v25
	v_mul_lo_u16_e32 v26, 10, v26
	v_sub_u16_e32 v4, v4, v25
	v_sub_u16_e32 v5, v5, v26
	v_add_u16_e32 v4, v4, v5
	v_add_u16_e32 v5, -10, v4
	v_min_u16_sdwa v4, v4, v5 dst_sel:DWORD dst_unused:UNUSED_PAD src0_sel:BYTE_0 src1_sel:BYTE_0
	v_mul_lo_u16_e32 v27, 0xcd, v11
	v_mul_lo_u16_e32 v5, 0xcd, v4
	v_lshrrev_b16_e32 v27, 11, v27
	v_lshrrev_b16_e32 v5, 11, v5
	v_mul_lo_u16_e32 v27, 10, v27
	v_mul_lo_u16_e32 v5, 10, v5
	v_sub_u16_e32 v11, v11, v27
	v_sub_u16_e32 v4, v4, v5
	v_add_u16_e32 v4, v4, v11
	v_add_u16_e32 v5, -10, v4
	v_min_u16_sdwa v4, v4, v5 dst_sel:DWORD dst_unused:UNUSED_PAD src0_sel:BYTE_0 src1_sel:BYTE_0
	;; [unrolled: 11-line block ×15, first 2 shown]
	v_mul_lo_u16_e32 v5, 0xcd, v3
	v_lshrrev_b16_e32 v5, 11, v5
	v_mov_b32_dpp v4, v3 quad_perm:[1,0,3,2] row_mask:0xf bank_mask:0xf bound_ctrl:1
	v_mul_lo_u16_e32 v5, 10, v5
	v_sub_u16_e32 v3, v3, v5
	v_mul_lo_u16_sdwa v5, v4, s1 dst_sel:DWORD dst_unused:UNUSED_PAD src0_sel:BYTE_0 src1_sel:DWORD
	v_lshrrev_b16_e32 v5, 11, v5
	v_mul_lo_u16_e32 v5, 10, v5
	v_sub_u16_e32 v4, v4, v5
	v_add_u16_e32 v3, v3, v4
	v_add_u16_e32 v4, -10, v3
	v_min_u16_sdwa v3, v3, v4 dst_sel:DWORD dst_unused:UNUSED_PAD src0_sel:BYTE_0 src1_sel:BYTE_0
	s_nop 1
	v_mov_b32_dpp v4, v3 quad_perm:[2,3,0,1] row_mask:0xf bank_mask:0xf bound_ctrl:1
	v_mul_lo_u16_sdwa v5, v4, s1 dst_sel:DWORD dst_unused:UNUSED_PAD src0_sel:BYTE_0 src1_sel:DWORD
	v_lshrrev_b16_e32 v5, 11, v5
	v_mul_lo_u16_e32 v5, 10, v5
	v_sub_u16_e32 v4, v4, v5
	v_add_u16_e32 v3, v3, v4
	v_add_u16_e32 v4, -10, v3
	v_min_u16_sdwa v3, v3, v4 dst_sel:DWORD dst_unused:UNUSED_PAD src0_sel:BYTE_0 src1_sel:BYTE_0
	v_mul_lo_u16_e32 v5, 0xcd, v3
	v_lshrrev_b16_e32 v5, 11, v5
	v_mov_b32_dpp v4, v3 row_ror:4 row_mask:0xf bank_mask:0xf bound_ctrl:1
	v_mul_lo_u16_e32 v5, 10, v5
	v_sub_u16_e32 v3, v3, v5
	v_mul_lo_u16_sdwa v5, v4, s1 dst_sel:DWORD dst_unused:UNUSED_PAD src0_sel:BYTE_0 src1_sel:DWORD
	v_lshrrev_b16_e32 v5, 11, v5
	v_mul_lo_u16_e32 v5, 10, v5
	v_sub_u16_e32 v4, v4, v5
	v_add_u16_e32 v3, v3, v4
	v_add_u16_e32 v4, -10, v3
	v_min_u16_sdwa v3, v3, v4 dst_sel:DWORD dst_unused:UNUSED_PAD src0_sel:BYTE_0 src1_sel:BYTE_0
	v_mul_lo_u16_e32 v5, 0xcd, v3
	v_lshrrev_b16_e32 v5, 11, v5
	v_mov_b32_dpp v4, v3 row_ror:8 row_mask:0xf bank_mask:0xf bound_ctrl:1
	v_mul_lo_u16_e32 v5, 10, v5
	v_sub_u16_e32 v3, v3, v5
	v_mul_lo_u16_sdwa v5, v4, s1 dst_sel:DWORD dst_unused:UNUSED_PAD src0_sel:BYTE_0 src1_sel:DWORD
	v_lshrrev_b16_e32 v5, 11, v5
	v_mul_lo_u16_e32 v5, 10, v5
	v_sub_u16_e32 v4, v4, v5
	v_add_u16_e32 v3, v3, v4
	v_add_u16_e32 v4, -10, v3
	v_min_u16_sdwa v3, v3, v4 dst_sel:DWORD dst_unused:UNUSED_PAD src0_sel:BYTE_0 src1_sel:BYTE_0
	v_mul_lo_u16_e32 v5, 0xcd, v3
	v_lshrrev_b16_e32 v5, 11, v5
	v_mov_b32_dpp v4, v3 row_bcast:15 row_mask:0xf bank_mask:0xf bound_ctrl:1
	v_mul_lo_u16_e32 v5, 10, v5
	v_sub_u16_e32 v3, v3, v5
	v_mul_lo_u16_sdwa v5, v4, s1 dst_sel:DWORD dst_unused:UNUSED_PAD src0_sel:BYTE_0 src1_sel:DWORD
	v_lshrrev_b16_e32 v5, 11, v5
	v_mul_lo_u16_e32 v5, 10, v5
	v_sub_u16_e32 v4, v4, v5
	v_add_u16_e32 v3, v3, v4
	v_add_u16_e32 v4, -10, v3
	v_min_u16_sdwa v3, v3, v4 dst_sel:DWORD dst_unused:UNUSED_PAD src0_sel:BYTE_0 src1_sel:BYTE_0
	v_mul_lo_u16_e32 v5, 0xcd, v3
	v_lshrrev_b16_e32 v5, 11, v5
	v_mov_b32_dpp v4, v3 row_bcast:31 row_mask:0xf bank_mask:0xf bound_ctrl:1
	v_mul_lo_u16_e32 v5, 10, v5
	v_sub_u16_e32 v3, v3, v5
	v_mul_lo_u16_sdwa v5, v4, s1 dst_sel:DWORD dst_unused:UNUSED_PAD src0_sel:BYTE_0 src1_sel:DWORD
	v_lshrrev_b16_e32 v5, 11, v5
	v_mul_lo_u16_e32 v5, 10, v5
	v_sub_u16_e32 v4, v4, v5
	v_add_u16_e32 v4, v3, v4
	v_add_u16_e32 v5, -10, v4
	v_lshlrev_b32_e32 v3, 2, v2
	v_or_b32_e32 v11, 0xfc, v3
	v_min_u16_sdwa v4, v4, v5 dst_sel:DWORD dst_unused:UNUSED_PAD src0_sel:BYTE_0 src1_sel:BYTE_0
	ds_bpermute_b32 v11, v11, v4
	s_and_saveexec_b64 s[4:5], vcc
	s_cbranch_execz .LBB666_180
; %bb.179:
	v_lshrrev_b32_e32 v4, 6, v10
	s_waitcnt lgkmcnt(0)
	ds_write_b8 v4, v11 offset:8
.LBB666_180:
	s_or_b64 exec, exec, s[4:5]
	v_cmp_gt_u32_e32 vcc, 64, v10
	s_waitcnt lgkmcnt(0)
	s_barrier
	s_and_saveexec_b64 s[4:5], vcc
	s_cbranch_execz .LBB666_182
; %bb.181:
	v_and_b32_e32 v4, 3, v2
	ds_read_u8 v5, v4 offset:8
	v_cmp_ne_u32_e32 vcc, 3, v4
	v_or_b32_e32 v3, 8, v3
	s_waitcnt lgkmcnt(0)
	v_and_b32_e32 v4, 0xffff, v5
	v_addc_co_u32_e32 v2, vcc, 0, v2, vcc
	v_lshlrev_b32_e32 v2, 2, v2
	ds_bpermute_b32 v2, v2, v4
	v_mul_lo_u16_e32 v4, 0xcd, v5
	v_lshrrev_b16_e32 v4, 11, v4
	v_mul_lo_u16_e32 v4, 10, v4
	v_sub_u16_e32 v4, v5, v4
	s_waitcnt lgkmcnt(0)
	v_mul_lo_u16_sdwa v11, v2, s1 dst_sel:DWORD dst_unused:UNUSED_PAD src0_sel:BYTE_0 src1_sel:DWORD
	v_lshrrev_b16_e32 v11, 11, v11
	v_mul_lo_u16_e32 v11, 10, v11
	v_sub_u16_e32 v2, v2, v11
	v_add_u16_e32 v2, v2, v4
	v_add_u16_e32 v4, -10, v2
	v_min_u16_sdwa v2, v2, v4 dst_sel:DWORD dst_unused:UNUSED_PAD src0_sel:BYTE_0 src1_sel:BYTE_0
	ds_bpermute_b32 v3, v3, v2
	s_waitcnt lgkmcnt(0)
	v_mul_lo_u16_sdwa v4, v3, s1 dst_sel:DWORD dst_unused:UNUSED_PAD src0_sel:BYTE_0 src1_sel:DWORD
	v_lshrrev_b16_e32 v4, 11, v4
	v_mul_lo_u16_e32 v4, 10, v4
	v_sub_u16_e32 v3, v3, v4
	v_add_u16_e32 v2, v2, v3
	v_add_u16_e32 v3, -10, v2
	v_min_u16_sdwa v11, v2, v3 dst_sel:DWORD dst_unused:UNUSED_PAD src0_sel:BYTE_0 src1_sel:BYTE_0
.LBB666_182:
	s_or_b64 exec, exec, s[4:5]
                                        ; implicit-def: $vgpr12_vgpr13
	s_andn2_saveexec_b64 s[42:43], s[2:3]
	s_cbranch_execz .LBB666_177
.LBB666_183:
	v_subrev_u32_e32 v15, s0, v8
	v_mov_b32_e32 v2, 0
	v_cmp_lt_u32_e32 vcc, v10, v15
	s_mov_b32 s2, 0
	v_mov_b32_e32 v3, v2
	v_mov_b32_e32 v4, v2
	;; [unrolled: 1-line block ×3, first 2 shown]
	s_and_saveexec_b64 s[0:1], vcc
	s_cbranch_execz .LBB666_185
; %bb.184:
	v_mov_b32_e32 v11, v2
	v_lshl_add_u64 v[4:5], v[12:13], 0, v[10:11]
	flat_load_ubyte v3, v[4:5]
	v_mov_b32_e32 v17, s2
	v_mov_b32_e32 v18, v2
	;; [unrolled: 1-line block ×3, first 2 shown]
	s_waitcnt vmcnt(0) lgkmcnt(0)
	v_and_b32_e32 v16, 0xffff, v3
	v_mov_b64_e32 v[2:3], v[16:17]
	v_mov_b64_e32 v[4:5], v[18:19]
.LBB666_185:
	s_or_b64 exec, exec, s[0:1]
	v_add_u32_e32 v11, 0x100, v10
	v_cmp_lt_u32_e32 vcc, v11, v15
	s_and_saveexec_b64 s[0:1], vcc
	s_cbranch_execz .LBB666_187
; %bb.186:
	v_mov_b32_e32 v11, 0
	v_lshl_add_u64 v[16:17], v[12:13], 0, v[10:11]
	flat_load_ubyte v11, v[16:17] offset:256
	s_mov_b32 s2, 0x7060004
	s_waitcnt vmcnt(0) lgkmcnt(0)
	v_perm_b32 v2, v2, v11, s2
.LBB666_187:
	s_or_b64 exec, exec, s[0:1]
	v_add_u32_e32 v11, 0x200, v10
	v_cmp_lt_u32_e64 s[2:3], v11, v15
	s_and_saveexec_b64 s[0:1], s[2:3]
	s_cbranch_execz .LBB666_189
; %bb.188:
	v_mov_b32_e32 v11, 0
	v_lshl_add_u64 v[16:17], v[12:13], 0, v[10:11]
	flat_load_ubyte v11, v[16:17] offset:512
	s_mov_b32 s4, 0x7000504
	s_waitcnt vmcnt(0) lgkmcnt(0)
	v_perm_b32 v2, v2, v11, s4
.LBB666_189:
	s_or_b64 exec, exec, s[0:1]
	v_add_u32_e32 v11, 0x300, v10
	v_cmp_lt_u32_e64 s[4:5], v11, v15
	s_and_saveexec_b64 s[0:1], s[4:5]
	s_cbranch_execz .LBB666_191
; %bb.190:
	v_mov_b32_e32 v11, 0
	v_lshl_add_u64 v[16:17], v[12:13], 0, v[10:11]
	flat_load_ubyte v11, v[16:17] offset:768
	s_mov_b32 s6, 0x60504
	s_waitcnt vmcnt(0) lgkmcnt(0)
	v_perm_b32 v2, v2, v11, s6
.LBB666_191:
	s_or_b64 exec, exec, s[0:1]
	v_or_b32_e32 v11, 0x400, v10
	v_cmp_lt_u32_e64 s[0:1], v11, v15
	s_and_saveexec_b64 s[6:7], s[0:1]
	s_cbranch_execz .LBB666_193
; %bb.192:
	v_mov_b32_e32 v11, 0
	v_lshl_add_u64 v[16:17], v[12:13], 0, v[10:11]
	flat_load_ubyte v11, v[16:17] offset:1024
	s_mov_b32 s8, 0x3020104
	s_waitcnt vmcnt(0) lgkmcnt(0)
	v_perm_b32 v3, v11, v3, s8
.LBB666_193:
	s_or_b64 exec, exec, s[6:7]
	v_add_u32_e32 v11, 0x500, v10
	v_cmp_lt_u32_e64 s[6:7], v11, v15
	s_and_saveexec_b64 s[8:9], s[6:7]
	s_cbranch_execz .LBB666_195
; %bb.194:
	v_mov_b32_e32 v11, 0
	v_lshl_add_u64 v[16:17], v[12:13], 0, v[10:11]
	flat_load_ubyte v11, v[16:17] offset:1280
	s_mov_b32 s10, 0x7060004
	s_waitcnt vmcnt(0) lgkmcnt(0)
	v_perm_b32 v3, v3, v11, s10
.LBB666_195:
	s_or_b64 exec, exec, s[8:9]
	v_add_u32_e32 v11, 0x600, v10
	v_cmp_lt_u32_e64 s[8:9], v11, v15
	s_and_saveexec_b64 s[10:11], s[8:9]
	s_cbranch_execz .LBB666_197
; %bb.196:
	v_mov_b32_e32 v11, 0
	v_lshl_add_u64 v[16:17], v[12:13], 0, v[10:11]
	flat_load_ubyte v11, v[16:17] offset:1536
	s_mov_b32 s14, 0x7000504
	s_waitcnt vmcnt(0) lgkmcnt(0)
	v_perm_b32 v3, v3, v11, s14
.LBB666_197:
	s_or_b64 exec, exec, s[10:11]
	v_add_u32_e32 v11, 0x700, v10
	v_cmp_lt_u32_e64 s[10:11], v11, v15
	s_and_saveexec_b64 s[14:15], s[10:11]
	s_cbranch_execz .LBB666_199
; %bb.198:
	v_mov_b32_e32 v11, 0
	v_lshl_add_u64 v[16:17], v[12:13], 0, v[10:11]
	flat_load_ubyte v11, v[16:17] offset:1792
	s_mov_b32 s16, 0x60504
	s_waitcnt vmcnt(0) lgkmcnt(0)
	v_perm_b32 v3, v3, v11, s16
.LBB666_199:
	s_or_b64 exec, exec, s[14:15]
	v_or_b32_e32 v11, 0x800, v10
	v_cmp_lt_u32_e64 s[14:15], v11, v15
	s_and_saveexec_b64 s[16:17], s[14:15]
	s_cbranch_execz .LBB666_201
; %bb.200:
	v_mov_b32_e32 v11, 0
	v_lshl_add_u64 v[16:17], v[12:13], 0, v[10:11]
	flat_load_ubyte v11, v[16:17] offset:2048
	s_mov_b32 s18, 0x3020104
	s_waitcnt vmcnt(0) lgkmcnt(0)
	v_perm_b32 v4, v11, v4, s18
.LBB666_201:
	s_or_b64 exec, exec, s[16:17]
	v_add_u32_e32 v11, 0x900, v10
	v_cmp_lt_u32_e64 s[16:17], v11, v15
	s_and_saveexec_b64 s[18:19], s[16:17]
	s_cbranch_execz .LBB666_203
; %bb.202:
	v_mov_b32_e32 v11, 0
	v_lshl_add_u64 v[16:17], v[12:13], 0, v[10:11]
	flat_load_ubyte v11, v[16:17] offset:2304
	s_mov_b32 s20, 0x7060004
	s_waitcnt vmcnt(0) lgkmcnt(0)
	v_perm_b32 v4, v4, v11, s20
.LBB666_203:
	s_or_b64 exec, exec, s[18:19]
	v_add_u32_e32 v11, 0xa00, v10
	v_cmp_lt_u32_e64 s[20:21], v11, v15
	s_and_saveexec_b64 s[18:19], s[20:21]
	s_cbranch_execz .LBB666_205
; %bb.204:
	v_mov_b32_e32 v11, 0
	v_lshl_add_u64 v[16:17], v[12:13], 0, v[10:11]
	flat_load_ubyte v11, v[16:17] offset:2560
	s_mov_b32 s22, 0x7000504
	s_waitcnt vmcnt(0) lgkmcnt(0)
	v_perm_b32 v4, v4, v11, s22
.LBB666_205:
	s_or_b64 exec, exec, s[18:19]
	v_add_u32_e32 v11, 0xb00, v10
	v_cmp_lt_u32_e64 s[22:23], v11, v15
	s_and_saveexec_b64 s[18:19], s[22:23]
	s_cbranch_execz .LBB666_207
; %bb.206:
	v_mov_b32_e32 v11, 0
	v_lshl_add_u64 v[16:17], v[12:13], 0, v[10:11]
	flat_load_ubyte v11, v[16:17] offset:2816
	s_mov_b32 s24, 0x60504
	s_waitcnt vmcnt(0) lgkmcnt(0)
	v_perm_b32 v4, v4, v11, s24
.LBB666_207:
	s_or_b64 exec, exec, s[18:19]
	v_or_b32_e32 v11, 0xc00, v10
	v_cmp_lt_u32_e64 s[18:19], v11, v15
	s_and_saveexec_b64 s[24:25], s[18:19]
	s_cbranch_execz .LBB666_209
; %bb.208:
	v_mov_b32_e32 v11, 0
	v_lshl_add_u64 v[16:17], v[12:13], 0, v[10:11]
	flat_load_ubyte v11, v[16:17] offset:3072
	s_mov_b32 s26, 0x3020104
	s_waitcnt vmcnt(0) lgkmcnt(0)
	v_perm_b32 v5, v11, v5, s26
.LBB666_209:
	s_or_b64 exec, exec, s[24:25]
	v_add_u32_e32 v11, 0xd00, v10
	v_cmp_lt_u32_e64 s[24:25], v11, v15
	s_and_saveexec_b64 s[26:27], s[24:25]
	s_cbranch_execz .LBB666_211
; %bb.210:
	v_mov_b32_e32 v11, 0
	v_lshl_add_u64 v[16:17], v[12:13], 0, v[10:11]
	flat_load_ubyte v11, v[16:17] offset:3328
	s_mov_b32 s28, 0x7060004
	s_waitcnt vmcnt(0) lgkmcnt(0)
	v_perm_b32 v5, v5, v11, s28
.LBB666_211:
	s_or_b64 exec, exec, s[26:27]
	v_add_u32_e32 v11, 0xe00, v10
	v_cmp_lt_u32_e64 s[26:27], v11, v15
	s_and_saveexec_b64 s[28:29], s[26:27]
	s_cbranch_execz .LBB666_213
; %bb.212:
	v_mov_b32_e32 v11, 0
	v_lshl_add_u64 v[16:17], v[12:13], 0, v[10:11]
	flat_load_ubyte v11, v[16:17] offset:3584
	s_mov_b32 s44, 0x7000504
	s_waitcnt vmcnt(0) lgkmcnt(0)
	v_perm_b32 v5, v5, v11, s44
.LBB666_213:
	s_or_b64 exec, exec, s[28:29]
	v_add_u32_e32 v11, 0xf00, v10
	v_cmp_lt_u32_e64 s[28:29], v11, v15
	s_and_saveexec_b64 s[44:45], s[28:29]
	s_cbranch_execnz .LBB666_1132
; %bb.214:
	s_or_b64 exec, exec, s[44:45]
	v_mov_b32_e32 v11, v2
	s_and_saveexec_b64 s[44:45], vcc
	s_cbranch_execnz .LBB666_1133
.LBB666_215:
	s_or_b64 exec, exec, s[44:45]
	s_and_saveexec_b64 s[44:45], s[2:3]
	s_cbranch_execnz .LBB666_1134
.LBB666_216:
	s_or_b64 exec, exec, s[44:45]
	s_and_saveexec_b64 s[2:3], s[4:5]
	s_cbranch_execnz .LBB666_1135
.LBB666_217:
	s_or_b64 exec, exec, s[2:3]
	s_and_saveexec_b64 s[2:3], s[0:1]
	s_cbranch_execnz .LBB666_1136
.LBB666_218:
	s_or_b64 exec, exec, s[2:3]
	s_and_saveexec_b64 s[0:1], s[6:7]
	s_cbranch_execnz .LBB666_1137
.LBB666_219:
	s_or_b64 exec, exec, s[0:1]
	s_and_saveexec_b64 s[0:1], s[8:9]
	s_cbranch_execnz .LBB666_1138
.LBB666_220:
	s_or_b64 exec, exec, s[0:1]
	s_and_saveexec_b64 s[0:1], s[10:11]
	s_cbranch_execnz .LBB666_1139
.LBB666_221:
	s_or_b64 exec, exec, s[0:1]
	s_and_saveexec_b64 s[0:1], s[14:15]
	s_cbranch_execnz .LBB666_1140
.LBB666_222:
	s_or_b64 exec, exec, s[0:1]
	s_and_saveexec_b64 s[0:1], s[16:17]
	s_cbranch_execnz .LBB666_1141
.LBB666_223:
	s_or_b64 exec, exec, s[0:1]
	s_and_saveexec_b64 s[0:1], s[20:21]
	s_cbranch_execnz .LBB666_1142
.LBB666_224:
	s_or_b64 exec, exec, s[0:1]
	s_and_saveexec_b64 s[0:1], s[22:23]
	s_cbranch_execnz .LBB666_1143
.LBB666_225:
	s_or_b64 exec, exec, s[0:1]
	s_and_saveexec_b64 s[0:1], s[18:19]
	s_cbranch_execnz .LBB666_1144
.LBB666_226:
	s_or_b64 exec, exec, s[0:1]
	s_and_saveexec_b64 s[0:1], s[24:25]
	s_cbranch_execnz .LBB666_1145
.LBB666_227:
	s_or_b64 exec, exec, s[0:1]
	s_and_saveexec_b64 s[0:1], s[26:27]
	s_cbranch_execnz .LBB666_1146
.LBB666_228:
	s_or_b64 exec, exec, s[0:1]
	s_and_saveexec_b64 s[0:1], s[28:29]
	s_cbranch_execz .LBB666_230
.LBB666_229:
	s_movk_i32 s2, 0xcd
	v_mul_lo_u16_sdwa v2, v5, s2 dst_sel:DWORD dst_unused:UNUSED_PAD src0_sel:BYTE_3 src1_sel:DWORD
	v_mul_lo_u16_sdwa v3, v11, s2 dst_sel:DWORD dst_unused:UNUSED_PAD src0_sel:BYTE_0 src1_sel:DWORD
	v_lshrrev_b16_e32 v2, 11, v2
	v_lshrrev_b16_e32 v3, 11, v3
	v_mul_lo_u16_e32 v2, 10, v2
	v_mul_lo_u16_e32 v3, 10, v3
	v_sub_u16_sdwa v2, v5, v2 dst_sel:DWORD dst_unused:UNUSED_PAD src0_sel:BYTE_3 src1_sel:DWORD
	v_sub_u16_e32 v3, v11, v3
	v_add_u16_e32 v2, v3, v2
	v_add_u16_e32 v3, -10, v2
	v_min_u16_sdwa v11, v2, v3 dst_sel:DWORD dst_unused:UNUSED_PAD src0_sel:BYTE_0 src1_sel:BYTE_0
.LBB666_230:
	s_or_b64 exec, exec, s[0:1]
	v_mbcnt_lo_u32_b32 v3, -1, 0
	v_mbcnt_hi_u32_b32 v3, -1, v3
	v_and_b32_e32 v4, 63, v3
	v_cmp_ne_u32_e32 vcc, 63, v4
	v_and_b32_e32 v12, 0xff, v11
	v_min_u32_e32 v2, 0x100, v15
	v_addc_co_u32_e32 v5, vcc, 0, v3, vcc
	v_lshlrev_b32_e32 v5, 2, v5
	ds_bpermute_b32 v13, v5, v12
	v_and_b32_e32 v5, 0x3c0, v10
	v_sub_u32_e64 v5, v2, v5 clamp
	v_add_u32_e32 v15, 1, v4
	v_cmp_lt_u32_e32 vcc, v15, v5
	s_and_saveexec_b64 s[0:1], vcc
	s_xor_b64 s[0:1], exec, s[0:1]
	s_cbranch_execz .LBB666_232
; %bb.231:
	s_movk_i32 s2, 0xcd
	s_waitcnt lgkmcnt(0)
	v_mul_lo_u16_sdwa v12, v13, s2 dst_sel:DWORD dst_unused:UNUSED_PAD src0_sel:BYTE_0 src1_sel:DWORD
	v_lshrrev_b16_e32 v12, 11, v12
	v_mul_lo_u16_e32 v12, 10, v12
	v_sub_u16_e32 v12, v13, v12
	v_mul_lo_u16_sdwa v13, v11, s2 dst_sel:DWORD dst_unused:UNUSED_PAD src0_sel:BYTE_0 src1_sel:DWORD
	v_lshrrev_b16_e32 v13, 11, v13
	v_mul_lo_u16_e32 v13, 10, v13
	v_sub_u16_e32 v11, v11, v13
	v_add_u16_e32 v12, v12, v11
	v_add_u16_e32 v13, -10, v12
	v_min_u16_sdwa v11, v12, v13 dst_sel:DWORD dst_unused:UNUSED_PAD src0_sel:BYTE_0 src1_sel:BYTE_0
	v_min_u16_sdwa v12, v12, v13 dst_sel:DWORD dst_unused:UNUSED_PAD src0_sel:BYTE_0 src1_sel:BYTE_0
.LBB666_232:
	s_or_b64 exec, exec, s[0:1]
	v_cmp_gt_u32_e32 vcc, 62, v4
	v_add_u32_e32 v15, 2, v4
	s_waitcnt lgkmcnt(0)
	v_cndmask_b32_e64 v13, 0, 2, vcc
	v_add_lshl_u32 v13, v13, v3, 2
	ds_bpermute_b32 v13, v13, v12
	v_cmp_lt_u32_e32 vcc, v15, v5
	s_and_saveexec_b64 s[0:1], vcc
	s_cbranch_execz .LBB666_234
; %bb.233:
	s_movk_i32 s2, 0xcd
	s_waitcnt lgkmcnt(0)
	v_mul_lo_u16_sdwa v12, v13, s2 dst_sel:DWORD dst_unused:UNUSED_PAD src0_sel:BYTE_0 src1_sel:DWORD
	v_lshrrev_b16_e32 v12, 11, v12
	v_mul_lo_u16_e32 v12, 10, v12
	v_sub_u16_e32 v12, v13, v12
	v_mul_lo_u16_sdwa v13, v11, s2 dst_sel:DWORD dst_unused:UNUSED_PAD src0_sel:BYTE_0 src1_sel:DWORD
	v_lshrrev_b16_e32 v13, 11, v13
	v_mul_lo_u16_e32 v13, 10, v13
	v_sub_u16_e32 v11, v11, v13
	v_add_u16_e32 v12, v12, v11
	v_add_u16_e32 v13, -10, v12
	v_min_u16_sdwa v11, v12, v13 dst_sel:DWORD dst_unused:UNUSED_PAD src0_sel:BYTE_0 src1_sel:BYTE_0
	v_min_u16_sdwa v12, v12, v13 dst_sel:DWORD dst_unused:UNUSED_PAD src0_sel:BYTE_0 src1_sel:BYTE_0
.LBB666_234:
	s_or_b64 exec, exec, s[0:1]
	v_cmp_gt_u32_e32 vcc, 60, v4
	v_add_u32_e32 v15, 4, v4
	s_waitcnt lgkmcnt(0)
	v_cndmask_b32_e64 v13, 0, 4, vcc
	v_add_lshl_u32 v13, v13, v3, 2
	ds_bpermute_b32 v13, v13, v12
	v_cmp_lt_u32_e32 vcc, v15, v5
	s_and_saveexec_b64 s[0:1], vcc
	;; [unrolled: 26-line block ×4, first 2 shown]
	s_cbranch_execz .LBB666_240
; %bb.239:
	s_movk_i32 s2, 0xcd
	s_waitcnt lgkmcnt(0)
	v_mul_lo_u16_sdwa v12, v13, s2 dst_sel:DWORD dst_unused:UNUSED_PAD src0_sel:BYTE_0 src1_sel:DWORD
	v_lshrrev_b16_e32 v12, 11, v12
	v_mul_lo_u16_e32 v12, 10, v12
	v_sub_u16_e32 v12, v13, v12
	v_mul_lo_u16_sdwa v13, v11, s2 dst_sel:DWORD dst_unused:UNUSED_PAD src0_sel:BYTE_0 src1_sel:DWORD
	v_lshrrev_b16_e32 v13, 11, v13
	v_mul_lo_u16_e32 v13, 10, v13
	v_sub_u16_e32 v11, v11, v13
	v_add_u16_e32 v12, v12, v11
	v_add_u16_e32 v13, -10, v12
	v_min_u16_sdwa v11, v12, v13 dst_sel:DWORD dst_unused:UNUSED_PAD src0_sel:BYTE_0 src1_sel:BYTE_0
	v_min_u16_sdwa v12, v12, v13 dst_sel:DWORD dst_unused:UNUSED_PAD src0_sel:BYTE_0 src1_sel:BYTE_0
.LBB666_240:
	s_or_b64 exec, exec, s[0:1]
	s_waitcnt lgkmcnt(0)
	v_lshlrev_b32_e32 v13, 2, v3
	v_or_b32_e32 v15, 0x80, v13
	ds_bpermute_b32 v12, v15, v12
	v_add_u32_e32 v4, 32, v4
	v_cmp_lt_u32_e32 vcc, v4, v5
	s_and_saveexec_b64 s[0:1], vcc
	s_cbranch_execz .LBB666_242
; %bb.241:
	s_movk_i32 s2, 0xcd
	s_waitcnt lgkmcnt(0)
	v_mul_lo_u16_sdwa v4, v12, s2 dst_sel:DWORD dst_unused:UNUSED_PAD src0_sel:BYTE_0 src1_sel:DWORD
	v_mul_lo_u16_sdwa v5, v11, s2 dst_sel:DWORD dst_unused:UNUSED_PAD src0_sel:BYTE_0 src1_sel:DWORD
	v_lshrrev_b16_e32 v4, 11, v4
	v_lshrrev_b16_e32 v5, 11, v5
	v_mul_lo_u16_e32 v4, 10, v4
	v_mul_lo_u16_e32 v5, 10, v5
	v_sub_u16_e32 v4, v12, v4
	v_sub_u16_e32 v5, v11, v5
	v_add_u16_e32 v4, v4, v5
	v_add_u16_e32 v5, -10, v4
	v_min_u16_sdwa v11, v4, v5 dst_sel:DWORD dst_unused:UNUSED_PAD src0_sel:BYTE_0 src1_sel:BYTE_0
.LBB666_242:
	s_or_b64 exec, exec, s[0:1]
	v_cmp_eq_u32_e32 vcc, 0, v3
	s_and_saveexec_b64 s[0:1], vcc
; %bb.243:
	v_lshrrev_b32_e32 v4, 6, v10
	ds_write_b8 v4, v11
; %bb.244:
	s_or_b64 exec, exec, s[0:1]
	v_cmp_gt_u32_e32 vcc, 4, v10
	s_waitcnt lgkmcnt(0)
	s_barrier
	s_and_saveexec_b64 s[0:1], vcc
	s_cbranch_execz .LBB666_250
; %bb.245:
	ds_read_u8 v11, v3
	v_and_b32_e32 v4, 3, v3
	v_cmp_ne_u32_e32 vcc, 3, v4
	v_add_u32_e32 v2, 63, v2
	v_lshrrev_b32_e32 v2, 6, v2
	v_addc_co_u32_e32 v3, vcc, 0, v3, vcc
	v_lshlrev_b32_e32 v5, 2, v3
	s_waitcnt lgkmcnt(0)
	v_and_b32_e32 v3, 0xff, v11
	ds_bpermute_b32 v5, v5, v3
	v_add_u32_e32 v12, 1, v4
	v_cmp_lt_u32_e32 vcc, v12, v2
	s_and_saveexec_b64 s[2:3], vcc
	s_cbranch_execz .LBB666_247
; %bb.246:
	s_movk_i32 s4, 0xcd
	s_waitcnt lgkmcnt(0)
	v_mul_lo_u16_sdwa v3, v5, s4 dst_sel:DWORD dst_unused:UNUSED_PAD src0_sel:BYTE_0 src1_sel:DWORD
	v_lshrrev_b16_e32 v3, 11, v3
	v_mul_lo_u16_e32 v3, 10, v3
	v_sub_u16_e32 v3, v5, v3
	v_mul_lo_u16_sdwa v5, v11, s4 dst_sel:DWORD dst_unused:UNUSED_PAD src0_sel:BYTE_0 src1_sel:DWORD
	v_lshrrev_b16_e32 v5, 11, v5
	v_mul_lo_u16_e32 v5, 10, v5
	v_sub_u16_e32 v5, v11, v5
	v_add_u16_e32 v3, v3, v5
	v_add_u16_e32 v5, -10, v3
	v_min_u16_sdwa v11, v3, v5 dst_sel:DWORD dst_unused:UNUSED_PAD src0_sel:BYTE_0 src1_sel:BYTE_0
	v_min_u16_sdwa v3, v3, v5 dst_sel:DWORD dst_unused:UNUSED_PAD src0_sel:BYTE_0 src1_sel:BYTE_0
.LBB666_247:
	s_or_b64 exec, exec, s[2:3]
	s_waitcnt lgkmcnt(0)
	v_or_b32_e32 v5, 8, v13
	ds_bpermute_b32 v3, v5, v3
	v_add_u32_e32 v4, 2, v4
	v_cmp_lt_u32_e32 vcc, v4, v2
	s_and_saveexec_b64 s[2:3], vcc
	s_cbranch_execz .LBB666_249
; %bb.248:
	s_movk_i32 s4, 0xcd
	s_waitcnt lgkmcnt(0)
	v_mul_lo_u16_sdwa v2, v3, s4 dst_sel:DWORD dst_unused:UNUSED_PAD src0_sel:BYTE_0 src1_sel:DWORD
	v_lshrrev_b16_e32 v2, 11, v2
	v_mul_lo_u16_e32 v2, 10, v2
	v_sub_u16_e32 v2, v3, v2
	v_mul_lo_u16_sdwa v3, v11, s4 dst_sel:DWORD dst_unused:UNUSED_PAD src0_sel:BYTE_0 src1_sel:DWORD
	v_lshrrev_b16_e32 v3, 11, v3
	v_mul_lo_u16_e32 v3, 10, v3
	v_sub_u16_e32 v3, v11, v3
	v_add_u16_e32 v2, v2, v3
	v_add_u16_e32 v3, -10, v2
	v_min_u16_sdwa v11, v2, v3 dst_sel:DWORD dst_unused:UNUSED_PAD src0_sel:BYTE_0 src1_sel:BYTE_0
.LBB666_249:
	s_or_b64 exec, exec, s[2:3]
.LBB666_250:
	s_or_b64 exec, exec, s[0:1]
	s_or_b64 exec, exec, s[42:43]
	v_cmp_eq_u32_e32 vcc, 0, v10
	s_and_b64 exec, exec, vcc
	s_cbranch_execz .LBB666_254
.LBB666_251:
	v_cmp_ne_u64_e32 vcc, 0, v[8:9]
	s_and_saveexec_b64 s[0:1], vcc
	s_cbranch_execz .LBB666_253
; %bb.252:
	s_movk_i32 s2, 0xcd
	v_mul_lo_u16_sdwa v2, v11, s2 dst_sel:DWORD dst_unused:UNUSED_PAD src0_sel:BYTE_0 src1_sel:DWORD
	s_waitcnt lgkmcnt(0)
	v_mul_lo_u16_sdwa v3, v14, s2 dst_sel:DWORD dst_unused:UNUSED_PAD src0_sel:BYTE_0 src1_sel:DWORD
	v_lshrrev_b16_e32 v2, 11, v2
	v_lshrrev_b16_e32 v3, 11, v3
	v_mul_lo_u16_e32 v2, 10, v2
	v_mul_lo_u16_e32 v3, 10, v3
	v_sub_u16_e32 v2, v11, v2
	v_sub_u16_e32 v3, v14, v3
	v_add_u16_e32 v2, v2, v3
	v_add_u16_e32 v3, -10, v2
	v_min_u16_sdwa v14, v2, v3 dst_sel:DWORD dst_unused:UNUSED_PAD src0_sel:BYTE_0 src1_sel:BYTE_0
.LBB666_253:
	s_or_b64 exec, exec, s[0:1]
	s_waitcnt lgkmcnt(0)
	v_lshl_add_u64 v[2:3], v[6:7], 0, s[12:13]
	flat_store_byte v[2:3], v14
.LBB666_254:
	s_or_b64 exec, exec, s[40:41]
	s_waitcnt lgkmcnt(0)
	flat_load_dwordx2 v[2:3], v[0:1]
	s_waitcnt vmcnt(0) lgkmcnt(0)
	flat_load_dword v2, v[2:3]
	s_waitcnt vmcnt(0) lgkmcnt(0)
	v_cmp_eq_u32_e32 vcc, 32, v2
	s_and_saveexec_b64 s[30:31], vcc
	s_cbranch_execz .LBB666_382
; %bb.255:
	flat_load_dwordx4 v[2:5], v[0:1] offset:8
	flat_load_dwordx4 v[6:9], v[0:1] offset:24
	s_mov_b32 s1, 0
	s_lshl_b32 s0, s12, 13
	s_mov_b32 s13, s1
	v_and_b32_e32 v14, 0x3ff, v31
                                        ; implicit-def: $vgpr15
	s_waitcnt vmcnt(0) lgkmcnt(0)
	flat_load_dwordx2 v[12:13], v[4:5]
	flat_load_dwordx2 v[16:17], v[2:3]
	;; [unrolled: 1-line block ×3, first 2 shown]
	flat_load_ubyte v20, v[8:9]
	s_waitcnt vmcnt(0) lgkmcnt(0)
	v_lshrrev_b64 v[2:3], 13, v[12:13]
	v_cmp_ne_u64_e32 vcc, s[12:13], v[2:3]
	v_lshl_add_u64 v[16:17], v[16:17], 0, s[0:1]
	s_and_saveexec_b64 s[2:3], vcc
	s_xor_b64 s[2:3], exec, s[2:3]
	s_cbranch_execnz .LBB666_258
; %bb.256:
	s_andn2_saveexec_b64 s[34:35], s[2:3]
	s_cbranch_execnz .LBB666_263
.LBB666_257:
	s_or_b64 exec, exec, s[34:35]
	v_cmp_eq_u32_e32 vcc, 0, v14
	s_and_b64 exec, exec, vcc
	s_cbranch_execnz .LBB666_379
	s_branch .LBB666_382
.LBB666_258:
	v_mov_b32_e32 v15, 0
	v_lshl_add_u64 v[2:3], v[16:17], 0, v[14:15]
	flat_load_ubyte v4, v[2:3] offset:256
	flat_load_ubyte v5, v[2:3]
	flat_load_ubyte v6, v[2:3] offset:512
	flat_load_ubyte v7, v[2:3] offset:768
	;; [unrolled: 1-line block ×10, first 2 shown]
	s_movk_i32 s4, 0x1000
	flat_load_ubyte v22, v[2:3] offset:3072
	flat_load_ubyte v23, v[2:3] offset:3328
	;; [unrolled: 1-line block ×4, first 2 shown]
	v_add_co_u32_e32 v2, vcc, s4, v2
	s_movk_i32 s1, 0xcd
	s_nop 0
	v_addc_co_u32_e32 v3, vcc, 0, v3, vcc
	flat_load_ubyte v26, v[2:3]
	flat_load_ubyte v27, v[2:3] offset:256
	flat_load_ubyte v28, v[2:3] offset:512
	flat_load_ubyte v29, v[2:3] offset:768
	flat_load_ubyte v30, v[2:3] offset:1024
	flat_load_ubyte v32, v[2:3] offset:1280
	flat_load_ubyte v33, v[2:3] offset:1536
	flat_load_ubyte v34, v[2:3] offset:1792
	flat_load_ubyte v35, v[2:3] offset:2048
	flat_load_ubyte v36, v[2:3] offset:2304
	flat_load_ubyte v37, v[2:3] offset:2560
	flat_load_ubyte v38, v[2:3] offset:2816
	flat_load_ubyte v39, v[2:3] offset:3072
	flat_load_ubyte v48, v[2:3] offset:3328
	flat_load_ubyte v49, v[2:3] offset:3584
	s_nop 0
	flat_load_ubyte v2, v[2:3] offset:3840
	s_waitcnt vmcnt(0) lgkmcnt(0)
	v_mul_lo_u16_e32 v3, 0xcd, v4
	v_mul_lo_u16_e32 v50, 0xcd, v5
	v_lshrrev_b16_e32 v3, 11, v3
	v_lshrrev_b16_e32 v50, 11, v50
	v_mul_lo_u16_e32 v3, 10, v3
	v_mul_lo_u16_e32 v50, 10, v50
	v_sub_u16_e32 v3, v4, v3
	v_sub_u16_e32 v4, v5, v50
	v_add_u16_e32 v3, v3, v4
	v_add_u16_e32 v4, -10, v3
	v_min_u16_sdwa v3, v3, v4 dst_sel:DWORD dst_unused:UNUSED_PAD src0_sel:BYTE_0 src1_sel:BYTE_0
	v_mul_lo_u16_e32 v51, 0xcd, v6
	v_mul_lo_u16_e32 v4, 0xcd, v3
	v_lshrrev_b16_e32 v51, 11, v51
	v_lshrrev_b16_e32 v4, 11, v4
	v_mul_lo_u16_e32 v51, 10, v51
	v_mul_lo_u16_e32 v4, 10, v4
	v_sub_u16_e32 v5, v6, v51
	v_sub_u16_e32 v3, v3, v4
	v_add_u16_e32 v3, v3, v5
	v_add_u16_e32 v4, -10, v3
	v_min_u16_sdwa v3, v3, v4 dst_sel:DWORD dst_unused:UNUSED_PAD src0_sel:BYTE_0 src1_sel:BYTE_0
	;; [unrolled: 11-line block ×30, first 2 shown]
	v_mul_lo_u16_e32 v4, 0xcd, v2
	v_lshrrev_b16_e32 v4, 11, v4
	v_mul_lo_u16_e32 v4, 10, v4
	v_sub_u16_e32 v2, v2, v4
	v_mul_lo_u16_e32 v4, 0xcd, v3
	v_lshrrev_b16_e32 v4, 11, v4
	v_mul_lo_u16_e32 v4, 10, v4
	v_sub_u16_e32 v3, v3, v4
	v_add_u16_e32 v2, v3, v2
	v_add_u16_e32 v3, -10, v2
	v_min_u16_sdwa v3, v2, v3 dst_sel:DWORD dst_unused:UNUSED_PAD src0_sel:BYTE_0 src1_sel:BYTE_0
	v_mul_lo_u16_e32 v5, 0xcd, v3
	v_lshrrev_b16_e32 v5, 11, v5
	v_mov_b32_dpp v4, v3 quad_perm:[1,0,3,2] row_mask:0xf bank_mask:0xf bound_ctrl:1
	v_mul_lo_u16_e32 v5, 10, v5
	v_sub_u16_e32 v3, v3, v5
	v_mul_lo_u16_sdwa v5, v4, s1 dst_sel:DWORD dst_unused:UNUSED_PAD src0_sel:BYTE_0 src1_sel:DWORD
	v_lshrrev_b16_e32 v5, 11, v5
	v_mul_lo_u16_e32 v5, 10, v5
	v_sub_u16_e32 v4, v4, v5
	v_add_u16_e32 v3, v3, v4
	v_add_u16_e32 v4, -10, v3
	v_min_u16_sdwa v3, v3, v4 dst_sel:DWORD dst_unused:UNUSED_PAD src0_sel:BYTE_0 src1_sel:BYTE_0
	v_mbcnt_lo_u32_b32 v2, -1, 0
	v_mbcnt_hi_u32_b32 v2, -1, v2
	v_mov_b32_dpp v4, v3 quad_perm:[2,3,0,1] row_mask:0xf bank_mask:0xf bound_ctrl:1
	v_mul_lo_u16_sdwa v5, v4, s1 dst_sel:DWORD dst_unused:UNUSED_PAD src0_sel:BYTE_0 src1_sel:DWORD
	v_lshrrev_b16_e32 v5, 11, v5
	v_mul_lo_u16_e32 v5, 10, v5
	v_sub_u16_e32 v4, v4, v5
	v_add_u16_e32 v3, v3, v4
	v_add_u16_e32 v4, -10, v3
	v_min_u16_sdwa v3, v3, v4 dst_sel:DWORD dst_unused:UNUSED_PAD src0_sel:BYTE_0 src1_sel:BYTE_0
	v_mul_lo_u16_e32 v5, 0xcd, v3
	v_lshrrev_b16_e32 v5, 11, v5
	v_mov_b32_dpp v4, v3 row_ror:4 row_mask:0xf bank_mask:0xf bound_ctrl:1
	v_mul_lo_u16_e32 v5, 10, v5
	v_sub_u16_e32 v3, v3, v5
	v_mul_lo_u16_sdwa v5, v4, s1 dst_sel:DWORD dst_unused:UNUSED_PAD src0_sel:BYTE_0 src1_sel:DWORD
	v_lshrrev_b16_e32 v5, 11, v5
	v_mul_lo_u16_e32 v5, 10, v5
	v_sub_u16_e32 v4, v4, v5
	v_add_u16_e32 v3, v3, v4
	v_add_u16_e32 v4, -10, v3
	v_min_u16_sdwa v3, v3, v4 dst_sel:DWORD dst_unused:UNUSED_PAD src0_sel:BYTE_0 src1_sel:BYTE_0
	v_mul_lo_u16_e32 v5, 0xcd, v3
	v_lshrrev_b16_e32 v5, 11, v5
	v_mov_b32_dpp v4, v3 row_ror:8 row_mask:0xf bank_mask:0xf bound_ctrl:1
	v_mul_lo_u16_e32 v5, 10, v5
	v_sub_u16_e32 v3, v3, v5
	v_mul_lo_u16_sdwa v5, v4, s1 dst_sel:DWORD dst_unused:UNUSED_PAD src0_sel:BYTE_0 src1_sel:DWORD
	v_lshrrev_b16_e32 v5, 11, v5
	v_mul_lo_u16_e32 v5, 10, v5
	v_sub_u16_e32 v4, v4, v5
	v_add_u16_e32 v3, v3, v4
	v_add_u16_e32 v4, -10, v3
	v_min_u16_sdwa v3, v3, v4 dst_sel:DWORD dst_unused:UNUSED_PAD src0_sel:BYTE_0 src1_sel:BYTE_0
	v_mul_lo_u16_e32 v5, 0xcd, v3
	v_lshrrev_b16_e32 v5, 11, v5
	v_mov_b32_dpp v4, v3 row_bcast:15 row_mask:0xf bank_mask:0xf bound_ctrl:1
	v_mul_lo_u16_e32 v5, 10, v5
	v_sub_u16_e32 v3, v3, v5
	v_mul_lo_u16_sdwa v5, v4, s1 dst_sel:DWORD dst_unused:UNUSED_PAD src0_sel:BYTE_0 src1_sel:DWORD
	v_lshrrev_b16_e32 v5, 11, v5
	v_mul_lo_u16_e32 v5, 10, v5
	v_sub_u16_e32 v4, v4, v5
	v_add_u16_e32 v3, v3, v4
	v_add_u16_e32 v4, -10, v3
	v_min_u16_sdwa v3, v3, v4 dst_sel:DWORD dst_unused:UNUSED_PAD src0_sel:BYTE_0 src1_sel:BYTE_0
	v_mul_lo_u16_e32 v5, 0xcd, v3
	v_lshrrev_b16_e32 v5, 11, v5
	v_mov_b32_dpp v4, v3 row_bcast:31 row_mask:0xf bank_mask:0xf bound_ctrl:1
	v_mul_lo_u16_e32 v5, 10, v5
	v_sub_u16_e32 v3, v3, v5
	v_mul_lo_u16_sdwa v5, v4, s1 dst_sel:DWORD dst_unused:UNUSED_PAD src0_sel:BYTE_0 src1_sel:DWORD
	v_lshrrev_b16_e32 v5, 11, v5
	v_mul_lo_u16_e32 v5, 10, v5
	v_sub_u16_e32 v4, v4, v5
	v_add_u16_e32 v4, v3, v4
	v_add_u16_e32 v5, -10, v4
	v_lshlrev_b32_e32 v3, 2, v2
	v_or_b32_e32 v6, 0xfc, v3
	v_min_u16_sdwa v4, v4, v5 dst_sel:DWORD dst_unused:UNUSED_PAD src0_sel:BYTE_0 src1_sel:BYTE_0
	ds_bpermute_b32 v15, v6, v4
	v_cmp_eq_u32_e32 vcc, 0, v2
	s_and_saveexec_b64 s[4:5], vcc
	s_cbranch_execz .LBB666_260
; %bb.259:
	v_lshrrev_b32_e32 v4, 6, v14
	s_waitcnt lgkmcnt(0)
	ds_write_b8 v4, v15 offset:20
.LBB666_260:
	s_or_b64 exec, exec, s[4:5]
	v_cmp_gt_u32_e32 vcc, 64, v14
	s_waitcnt lgkmcnt(0)
	s_barrier
	s_and_saveexec_b64 s[4:5], vcc
	s_cbranch_execz .LBB666_262
; %bb.261:
	v_and_b32_e32 v4, 3, v2
	ds_read_u8 v5, v4 offset:20
	v_cmp_ne_u32_e32 vcc, 3, v4
	v_or_b32_e32 v3, 8, v3
	s_waitcnt lgkmcnt(0)
	v_and_b32_e32 v4, 0xffff, v5
	v_addc_co_u32_e32 v2, vcc, 0, v2, vcc
	v_lshlrev_b32_e32 v2, 2, v2
	ds_bpermute_b32 v2, v2, v4
	v_mul_lo_u16_e32 v4, 0xcd, v5
	v_lshrrev_b16_e32 v4, 11, v4
	v_mul_lo_u16_e32 v4, 10, v4
	v_sub_u16_e32 v4, v5, v4
	s_waitcnt lgkmcnt(0)
	v_mul_lo_u16_sdwa v6, v2, s1 dst_sel:DWORD dst_unused:UNUSED_PAD src0_sel:BYTE_0 src1_sel:DWORD
	v_lshrrev_b16_e32 v6, 11, v6
	v_mul_lo_u16_e32 v6, 10, v6
	v_sub_u16_e32 v2, v2, v6
	v_add_u16_e32 v2, v2, v4
	v_add_u16_e32 v4, -10, v2
	v_min_u16_sdwa v2, v2, v4 dst_sel:DWORD dst_unused:UNUSED_PAD src0_sel:BYTE_0 src1_sel:BYTE_0
	ds_bpermute_b32 v3, v3, v2
	s_waitcnt lgkmcnt(0)
	v_mul_lo_u16_sdwa v4, v3, s1 dst_sel:DWORD dst_unused:UNUSED_PAD src0_sel:BYTE_0 src1_sel:DWORD
	v_lshrrev_b16_e32 v4, 11, v4
	v_mul_lo_u16_e32 v4, 10, v4
	v_sub_u16_e32 v3, v3, v4
	v_add_u16_e32 v2, v2, v3
	v_add_u16_e32 v3, -10, v2
	v_min_u16_sdwa v15, v2, v3 dst_sel:DWORD dst_unused:UNUSED_PAD src0_sel:BYTE_0 src1_sel:BYTE_0
.LBB666_262:
	s_or_b64 exec, exec, s[4:5]
                                        ; implicit-def: $vgpr16_vgpr17
	s_andn2_saveexec_b64 s[34:35], s[2:3]
	s_cbranch_execz .LBB666_257
.LBB666_263:
	v_subrev_u32_e32 v21, s0, v12
	v_mov_b32_e32 v2, 0
	v_cmp_lt_u32_e32 vcc, v14, v21
	v_mov_b32_e32 v3, v2
	v_mov_b32_e32 v4, v2
	v_mov_b32_e32 v5, v2
	v_mov_b32_e32 v6, v2
	v_mov_b32_e32 v7, v2
	v_mov_b32_e32 v8, v2
	v_mov_b32_e32 v9, v2
	s_and_saveexec_b64 s[0:1], vcc
	s_cbranch_execz .LBB666_265
; %bb.264:
	v_mov_b32_e32 v15, v2
	v_lshl_add_u64 v[4:5], v[16:17], 0, v[14:15]
	flat_load_ubyte v22, v[4:5]
	v_mov_b32_e32 v23, v2
	v_mov_b32_e32 v24, v2
	;; [unrolled: 1-line block ×7, first 2 shown]
	s_waitcnt vmcnt(0) lgkmcnt(0)
	v_mov_b64_e32 v[2:3], v[22:23]
	v_mov_b64_e32 v[4:5], v[24:25]
	;; [unrolled: 1-line block ×4, first 2 shown]
.LBB666_265:
	s_or_b64 exec, exec, s[0:1]
	v_add_u32_e32 v15, 0x100, v14
	v_cmp_lt_u32_e32 vcc, v15, v21
	s_and_saveexec_b64 s[0:1], vcc
	s_cbranch_execz .LBB666_267
; %bb.266:
	v_mov_b32_e32 v15, 0
	v_lshl_add_u64 v[18:19], v[16:17], 0, v[14:15]
	flat_load_ubyte v15, v[18:19] offset:256
	s_mov_b32 s2, 0x7060004
	s_waitcnt vmcnt(0) lgkmcnt(0)
	v_perm_b32 v2, v2, v15, s2
.LBB666_267:
	s_or_b64 exec, exec, s[0:1]
	v_add_u32_e32 v15, 0x200, v14
	v_cmp_lt_u32_e64 s[0:1], v15, v21
	s_and_saveexec_b64 s[2:3], s[0:1]
	s_cbranch_execz .LBB666_269
; %bb.268:
	v_mov_b32_e32 v15, 0
	v_lshl_add_u64 v[18:19], v[16:17], 0, v[14:15]
	flat_load_ubyte v15, v[18:19] offset:512
	s_mov_b32 s4, 0x7000504
	s_waitcnt vmcnt(0) lgkmcnt(0)
	v_perm_b32 v2, v2, v15, s4
.LBB666_269:
	s_or_b64 exec, exec, s[2:3]
	v_add_u32_e32 v15, 0x300, v14
	v_cmp_lt_u32_e64 s[2:3], v15, v21
	s_and_saveexec_b64 s[4:5], s[2:3]
	s_cbranch_execz .LBB666_271
; %bb.270:
	v_mov_b32_e32 v15, 0
	v_lshl_add_u64 v[18:19], v[16:17], 0, v[14:15]
	flat_load_ubyte v15, v[18:19] offset:768
	s_mov_b32 s6, 0x60504
	s_waitcnt vmcnt(0) lgkmcnt(0)
	v_perm_b32 v2, v2, v15, s6
.LBB666_271:
	s_or_b64 exec, exec, s[4:5]
	v_or_b32_e32 v15, 0x400, v14
	v_cmp_lt_u32_e64 s[4:5], v15, v21
	s_and_saveexec_b64 s[6:7], s[4:5]
	s_cbranch_execz .LBB666_273
; %bb.272:
	v_mov_b32_e32 v15, 0
	v_lshl_add_u64 v[18:19], v[16:17], 0, v[14:15]
	flat_load_ubyte v15, v[18:19] offset:1024
	s_mov_b32 s8, 0x3020104
	s_waitcnt vmcnt(0) lgkmcnt(0)
	v_perm_b32 v3, v15, v3, s8
.LBB666_273:
	s_or_b64 exec, exec, s[6:7]
	v_add_u32_e32 v15, 0x500, v14
	v_cmp_lt_u32_e64 s[6:7], v15, v21
	s_and_saveexec_b64 s[8:9], s[6:7]
	s_cbranch_execz .LBB666_275
; %bb.274:
	v_mov_b32_e32 v15, 0
	v_lshl_add_u64 v[18:19], v[16:17], 0, v[14:15]
	flat_load_ubyte v15, v[18:19] offset:1280
	s_mov_b32 s10, 0x7060004
	s_waitcnt vmcnt(0) lgkmcnt(0)
	v_perm_b32 v3, v3, v15, s10
.LBB666_275:
	s_or_b64 exec, exec, s[8:9]
	v_add_u32_e32 v15, 0x600, v14
	v_cmp_lt_u32_e64 s[8:9], v15, v21
	s_and_saveexec_b64 s[10:11], s[8:9]
	s_cbranch_execz .LBB666_277
; %bb.276:
	v_mov_b32_e32 v15, 0
	v_lshl_add_u64 v[18:19], v[16:17], 0, v[14:15]
	flat_load_ubyte v15, v[18:19] offset:1536
	s_mov_b32 s14, 0x7000504
	s_waitcnt vmcnt(0) lgkmcnt(0)
	v_perm_b32 v3, v3, v15, s14
.LBB666_277:
	s_or_b64 exec, exec, s[10:11]
	v_add_u32_e32 v15, 0x700, v14
	v_cmp_lt_u32_e64 s[10:11], v15, v21
	s_and_saveexec_b64 s[14:15], s[10:11]
	s_cbranch_execz .LBB666_279
; %bb.278:
	v_mov_b32_e32 v15, 0
	v_lshl_add_u64 v[18:19], v[16:17], 0, v[14:15]
	flat_load_ubyte v15, v[18:19] offset:1792
	s_mov_b32 s16, 0x60504
	s_waitcnt vmcnt(0) lgkmcnt(0)
	v_perm_b32 v3, v3, v15, s16
.LBB666_279:
	s_or_b64 exec, exec, s[14:15]
	v_or_b32_e32 v15, 0x800, v14
	v_cmp_lt_u32_e64 s[14:15], v15, v21
	s_and_saveexec_b64 s[16:17], s[14:15]
	s_cbranch_execz .LBB666_281
; %bb.280:
	v_mov_b32_e32 v15, 0
	v_lshl_add_u64 v[18:19], v[16:17], 0, v[14:15]
	flat_load_ubyte v15, v[18:19] offset:2048
	s_mov_b32 s18, 0x3020104
	s_waitcnt vmcnt(0) lgkmcnt(0)
	v_perm_b32 v4, v15, v4, s18
.LBB666_281:
	s_or_b64 exec, exec, s[16:17]
	v_add_u32_e32 v15, 0x900, v14
	v_cmp_lt_u32_e64 s[16:17], v15, v21
	s_and_saveexec_b64 s[18:19], s[16:17]
	;; [unrolled: 52-line block ×3, first 2 shown]
	s_cbranch_execz .LBB666_291
; %bb.290:
	v_mov_b32_e32 v15, 0
	v_lshl_add_u64 v[18:19], v[16:17], 0, v[14:15]
	flat_load_ubyte v15, v[18:19] offset:3328
	s_mov_b32 s28, 0x7060004
	s_waitcnt vmcnt(0) lgkmcnt(0)
	v_perm_b32 v5, v5, v15, s28
.LBB666_291:
	s_or_b64 exec, exec, s[26:27]
	v_add_u32_e32 v15, 0xe00, v14
	v_cmp_lt_u32_e64 s[26:27], v15, v21
	s_and_saveexec_b64 s[28:29], s[26:27]
	s_cbranch_execz .LBB666_293
; %bb.292:
	v_mov_b32_e32 v15, 0
	v_lshl_add_u64 v[18:19], v[16:17], 0, v[14:15]
	flat_load_ubyte v15, v[18:19] offset:3584
	s_mov_b32 s40, 0x7000504
	s_waitcnt vmcnt(0) lgkmcnt(0)
	v_perm_b32 v5, v5, v15, s40
.LBB666_293:
	s_or_b64 exec, exec, s[28:29]
	v_add_u32_e32 v15, 0xf00, v14
	v_cmp_lt_u32_e64 s[28:29], v15, v21
	s_and_saveexec_b64 s[40:41], s[28:29]
	s_cbranch_execz .LBB666_295
; %bb.294:
	v_mov_b32_e32 v15, 0
	v_lshl_add_u64 v[18:19], v[16:17], 0, v[14:15]
	flat_load_ubyte v15, v[18:19] offset:3840
	s_mov_b32 s42, 0x60504
	s_waitcnt vmcnt(0) lgkmcnt(0)
	v_perm_b32 v5, v5, v15, s42
.LBB666_295:
	s_or_b64 exec, exec, s[40:41]
	v_or_b32_e32 v18, 0x1000, v14
	v_cmp_lt_u32_e64 s[40:41], v18, v21
	s_and_saveexec_b64 s[42:43], s[40:41]
	s_cbranch_execz .LBB666_297
; %bb.296:
	v_mov_b32_e32 v19, 0
	v_lshl_add_u64 v[18:19], v[16:17], 0, v[18:19]
	flat_load_ubyte v15, v[18:19]
	s_mov_b32 s44, 0x3020104
	s_waitcnt vmcnt(0) lgkmcnt(0)
	v_perm_b32 v6, v15, v6, s44
.LBB666_297:
	s_or_b64 exec, exec, s[42:43]
	v_add_u32_e32 v18, 0x1100, v14
	v_cmp_lt_u32_e64 s[42:43], v18, v21
	s_and_saveexec_b64 s[44:45], s[42:43]
	s_cbranch_execz .LBB666_299
; %bb.298:
	v_mov_b32_e32 v19, 0
	v_lshl_add_u64 v[18:19], v[16:17], 0, v[18:19]
	flat_load_ubyte v15, v[18:19]
	s_mov_b32 s46, 0x7060004
	s_waitcnt vmcnt(0) lgkmcnt(0)
	v_perm_b32 v6, v6, v15, s46
.LBB666_299:
	s_or_b64 exec, exec, s[44:45]
	v_add_u32_e32 v18, 0x1200, v14
	v_cmp_lt_u32_e64 s[44:45], v18, v21
	s_and_saveexec_b64 s[46:47], s[44:45]
	s_cbranch_execz .LBB666_301
; %bb.300:
	v_mov_b32_e32 v19, 0
	v_lshl_add_u64 v[18:19], v[16:17], 0, v[18:19]
	flat_load_ubyte v15, v[18:19]
	s_mov_b32 s56, 0x7000504
	s_waitcnt vmcnt(0) lgkmcnt(0)
	v_perm_b32 v6, v6, v15, s56
.LBB666_301:
	s_or_b64 exec, exec, s[46:47]
	v_add_u32_e32 v18, 0x1300, v14
	v_cmp_lt_u32_e64 s[46:47], v18, v21
	s_and_saveexec_b64 s[56:57], s[46:47]
	s_cbranch_execz .LBB666_303
; %bb.302:
	v_mov_b32_e32 v19, 0
	v_lshl_add_u64 v[18:19], v[16:17], 0, v[18:19]
	flat_load_ubyte v15, v[18:19]
	s_mov_b32 s58, 0x60504
	s_waitcnt vmcnt(0) lgkmcnt(0)
	v_perm_b32 v6, v6, v15, s58
.LBB666_303:
	s_or_b64 exec, exec, s[56:57]
	v_or_b32_e32 v18, 0x1400, v14
	v_cmp_lt_u32_e64 s[56:57], v18, v21
	s_and_saveexec_b64 s[58:59], s[56:57]
	s_cbranch_execz .LBB666_305
; %bb.304:
	v_mov_b32_e32 v19, 0
	v_lshl_add_u64 v[18:19], v[16:17], 0, v[18:19]
	flat_load_ubyte v15, v[18:19]
	s_mov_b32 s60, 0x3020104
	s_waitcnt vmcnt(0) lgkmcnt(0)
	v_perm_b32 v7, v15, v7, s60
.LBB666_305:
	s_or_b64 exec, exec, s[58:59]
	v_add_u32_e32 v18, 0x1500, v14
	v_cmp_lt_u32_e64 s[58:59], v18, v21
	s_and_saveexec_b64 s[60:61], s[58:59]
	s_cbranch_execz .LBB666_307
; %bb.306:
	v_mov_b32_e32 v19, 0
	v_lshl_add_u64 v[18:19], v[16:17], 0, v[18:19]
	flat_load_ubyte v15, v[18:19]
	s_mov_b32 s62, 0x7060004
	s_waitcnt vmcnt(0) lgkmcnt(0)
	v_perm_b32 v7, v7, v15, s62
.LBB666_307:
	s_or_b64 exec, exec, s[60:61]
	v_add_u32_e32 v18, 0x1600, v14
	v_cmp_lt_u32_e64 s[60:61], v18, v21
	s_and_saveexec_b64 s[62:63], s[60:61]
	s_cbranch_execz .LBB666_309
; %bb.308:
	v_mov_b32_e32 v19, 0
	v_lshl_add_u64 v[18:19], v[16:17], 0, v[18:19]
	flat_load_ubyte v15, v[18:19]
	s_mov_b32 s72, 0x7000504
	s_waitcnt vmcnt(0) lgkmcnt(0)
	v_perm_b32 v7, v7, v15, s72
.LBB666_309:
	s_or_b64 exec, exec, s[62:63]
	v_add_u32_e32 v18, 0x1700, v14
	v_cmp_lt_u32_e64 s[62:63], v18, v21
	s_and_saveexec_b64 s[72:73], s[62:63]
	s_cbranch_execz .LBB666_311
; %bb.310:
	v_mov_b32_e32 v19, 0
	v_lshl_add_u64 v[18:19], v[16:17], 0, v[18:19]
	flat_load_ubyte v15, v[18:19]
	s_mov_b32 s74, 0x60504
	s_waitcnt vmcnt(0) lgkmcnt(0)
	v_perm_b32 v7, v7, v15, s74
.LBB666_311:
	;; [unrolled: 52-line block ×3, first 2 shown]
	s_or_b64 exec, exec, s[88:89]
	v_or_b32_e32 v18, 0x1c00, v14
	v_cmp_lt_u32_e64 s[88:89], v18, v21
	s_and_saveexec_b64 s[90:91], s[88:89]
	s_cbranch_execz .LBB666_321
; %bb.320:
	v_mov_b32_e32 v19, 0
	v_lshl_add_u64 v[18:19], v[16:17], 0, v[18:19]
	flat_load_ubyte v15, v[18:19]
	s_mov_b32 s92, 0x3020104
	s_waitcnt vmcnt(0) lgkmcnt(0)
	v_perm_b32 v9, v15, v9, s92
.LBB666_321:
	s_or_b64 exec, exec, s[90:91]
	v_add_u32_e32 v18, 0x1d00, v14
	v_cmp_lt_u32_e64 s[90:91], v18, v21
	s_and_saveexec_b64 s[92:93], s[90:91]
	s_cbranch_execz .LBB666_323
; %bb.322:
	v_mov_b32_e32 v19, 0
	v_lshl_add_u64 v[18:19], v[16:17], 0, v[18:19]
	flat_load_ubyte v15, v[18:19]
	s_mov_b32 s94, 0x7060004
	s_waitcnt vmcnt(0) lgkmcnt(0)
	v_perm_b32 v9, v9, v15, s94
.LBB666_323:
	s_or_b64 exec, exec, s[92:93]
	v_add_u32_e32 v18, 0x1e00, v14
	;; [unrolled: 13-line block ×3, first 2 shown]
	v_cmp_lt_u32_e64 s[94:95], v18, v21
	s_and_saveexec_b64 s[36:37], s[94:95]
	s_cbranch_execnz .LBB666_1147
; %bb.326:
	s_or_b64 exec, exec, s[36:37]
	v_mov_b32_e32 v15, v2
	s_and_saveexec_b64 s[36:37], vcc
	s_cbranch_execnz .LBB666_1148
.LBB666_327:
	s_or_b64 exec, exec, s[36:37]
	s_and_saveexec_b64 vcc, s[0:1]
	s_cbranch_execnz .LBB666_1149
.LBB666_328:
	s_or_b64 exec, exec, vcc
	s_and_saveexec_b64 s[0:1], s[2:3]
	s_cbranch_execnz .LBB666_1150
.LBB666_329:
	s_or_b64 exec, exec, s[0:1]
	s_and_saveexec_b64 s[0:1], s[4:5]
	s_cbranch_execnz .LBB666_1151
.LBB666_330:
	s_or_b64 exec, exec, s[0:1]
	s_and_saveexec_b64 s[0:1], s[6:7]
	s_cbranch_execnz .LBB666_1152
.LBB666_331:
	s_or_b64 exec, exec, s[0:1]
	s_and_saveexec_b64 s[0:1], s[8:9]
	s_cbranch_execnz .LBB666_1153
.LBB666_332:
	s_or_b64 exec, exec, s[0:1]
	s_and_saveexec_b64 s[0:1], s[10:11]
	s_cbranch_execnz .LBB666_1154
.LBB666_333:
	s_or_b64 exec, exec, s[0:1]
	s_and_saveexec_b64 s[0:1], s[14:15]
	s_cbranch_execnz .LBB666_1155
.LBB666_334:
	s_or_b64 exec, exec, s[0:1]
	s_and_saveexec_b64 s[0:1], s[16:17]
	s_cbranch_execnz .LBB666_1156
.LBB666_335:
	s_or_b64 exec, exec, s[0:1]
	s_and_saveexec_b64 s[0:1], s[18:19]
	s_cbranch_execnz .LBB666_1157
.LBB666_336:
	s_or_b64 exec, exec, s[0:1]
	s_and_saveexec_b64 s[0:1], s[20:21]
	s_cbranch_execnz .LBB666_1158
.LBB666_337:
	s_or_b64 exec, exec, s[0:1]
	s_and_saveexec_b64 s[0:1], s[22:23]
	s_cbranch_execnz .LBB666_1159
.LBB666_338:
	s_or_b64 exec, exec, s[0:1]
	s_and_saveexec_b64 s[0:1], s[24:25]
	s_cbranch_execnz .LBB666_1160
.LBB666_339:
	s_or_b64 exec, exec, s[0:1]
	s_and_saveexec_b64 s[0:1], s[26:27]
	s_cbranch_execnz .LBB666_1161
.LBB666_340:
	s_or_b64 exec, exec, s[0:1]
	s_and_saveexec_b64 s[0:1], s[28:29]
	s_cbranch_execnz .LBB666_1162
.LBB666_341:
	s_or_b64 exec, exec, s[0:1]
	s_and_saveexec_b64 s[0:1], s[40:41]
	s_cbranch_execnz .LBB666_1163
.LBB666_342:
	s_or_b64 exec, exec, s[0:1]
	s_and_saveexec_b64 s[0:1], s[42:43]
	s_cbranch_execnz .LBB666_1164
.LBB666_343:
	s_or_b64 exec, exec, s[0:1]
	s_and_saveexec_b64 s[0:1], s[44:45]
	s_cbranch_execnz .LBB666_1165
.LBB666_344:
	s_or_b64 exec, exec, s[0:1]
	s_and_saveexec_b64 s[0:1], s[46:47]
	s_cbranch_execnz .LBB666_1166
.LBB666_345:
	s_or_b64 exec, exec, s[0:1]
	s_and_saveexec_b64 s[0:1], s[56:57]
	s_cbranch_execnz .LBB666_1167
.LBB666_346:
	s_or_b64 exec, exec, s[0:1]
	s_and_saveexec_b64 s[0:1], s[58:59]
	s_cbranch_execnz .LBB666_1168
.LBB666_347:
	s_or_b64 exec, exec, s[0:1]
	s_and_saveexec_b64 s[0:1], s[60:61]
	s_cbranch_execnz .LBB666_1169
.LBB666_348:
	s_or_b64 exec, exec, s[0:1]
	s_and_saveexec_b64 s[0:1], s[62:63]
	s_cbranch_execnz .LBB666_1170
.LBB666_349:
	s_or_b64 exec, exec, s[0:1]
	s_and_saveexec_b64 s[0:1], s[72:73]
	s_cbranch_execnz .LBB666_1171
.LBB666_350:
	s_or_b64 exec, exec, s[0:1]
	s_and_saveexec_b64 s[0:1], s[74:75]
	s_cbranch_execnz .LBB666_1172
.LBB666_351:
	s_or_b64 exec, exec, s[0:1]
	s_and_saveexec_b64 s[0:1], s[76:77]
	s_cbranch_execnz .LBB666_1173
.LBB666_352:
	s_or_b64 exec, exec, s[0:1]
	s_and_saveexec_b64 s[0:1], s[78:79]
	s_cbranch_execnz .LBB666_1174
.LBB666_353:
	s_or_b64 exec, exec, s[0:1]
	s_and_saveexec_b64 s[0:1], s[88:89]
	s_cbranch_execnz .LBB666_1175
.LBB666_354:
	s_or_b64 exec, exec, s[0:1]
	s_and_saveexec_b64 s[0:1], s[90:91]
	s_cbranch_execnz .LBB666_1176
.LBB666_355:
	s_or_b64 exec, exec, s[0:1]
	s_and_saveexec_b64 s[0:1], s[92:93]
	s_cbranch_execnz .LBB666_1177
.LBB666_356:
	s_or_b64 exec, exec, s[0:1]
	s_and_saveexec_b64 s[0:1], s[94:95]
	s_cbranch_execz .LBB666_358
.LBB666_357:
	s_movk_i32 s2, 0xcd
	v_mul_lo_u16_sdwa v2, v9, s2 dst_sel:DWORD dst_unused:UNUSED_PAD src0_sel:BYTE_3 src1_sel:DWORD
	v_mul_lo_u16_sdwa v3, v15, s2 dst_sel:DWORD dst_unused:UNUSED_PAD src0_sel:BYTE_0 src1_sel:DWORD
	v_lshrrev_b16_e32 v2, 11, v2
	v_lshrrev_b16_e32 v3, 11, v3
	v_mul_lo_u16_e32 v2, 10, v2
	v_mul_lo_u16_e32 v3, 10, v3
	v_sub_u16_sdwa v2, v9, v2 dst_sel:DWORD dst_unused:UNUSED_PAD src0_sel:BYTE_3 src1_sel:DWORD
	v_sub_u16_e32 v3, v15, v3
	v_add_u16_e32 v2, v3, v2
	v_add_u16_e32 v3, -10, v2
	v_min_u16_sdwa v15, v2, v3 dst_sel:DWORD dst_unused:UNUSED_PAD src0_sel:BYTE_0 src1_sel:BYTE_0
.LBB666_358:
	s_or_b64 exec, exec, s[0:1]
	v_mbcnt_lo_u32_b32 v3, -1, 0
	v_mbcnt_hi_u32_b32 v3, -1, v3
	v_and_b32_e32 v4, 63, v3
	v_cmp_ne_u32_e32 vcc, 63, v4
	v_and_b32_e32 v6, 0xff, v15
	v_min_u32_e32 v2, 0x100, v21
	v_addc_co_u32_e32 v5, vcc, 0, v3, vcc
	v_lshlrev_b32_e32 v5, 2, v5
	ds_bpermute_b32 v7, v5, v6
	v_and_b32_e32 v5, 0x3c0, v14
	v_sub_u32_e64 v5, v2, v5 clamp
	v_add_u32_e32 v8, 1, v4
	v_cmp_lt_u32_e32 vcc, v8, v5
	s_and_saveexec_b64 s[0:1], vcc
	s_xor_b64 s[0:1], exec, s[0:1]
	s_cbranch_execz .LBB666_360
; %bb.359:
	s_movk_i32 s2, 0xcd
	s_waitcnt lgkmcnt(0)
	v_mul_lo_u16_sdwa v6, v7, s2 dst_sel:DWORD dst_unused:UNUSED_PAD src0_sel:BYTE_0 src1_sel:DWORD
	v_lshrrev_b16_e32 v6, 11, v6
	v_mul_lo_u16_e32 v6, 10, v6
	v_sub_u16_e32 v6, v7, v6
	v_mul_lo_u16_sdwa v7, v15, s2 dst_sel:DWORD dst_unused:UNUSED_PAD src0_sel:BYTE_0 src1_sel:DWORD
	v_lshrrev_b16_e32 v7, 11, v7
	v_mul_lo_u16_e32 v7, 10, v7
	v_sub_u16_e32 v7, v15, v7
	v_add_u16_e32 v6, v6, v7
	v_add_u16_e32 v7, -10, v6
	v_min_u16_sdwa v15, v6, v7 dst_sel:DWORD dst_unused:UNUSED_PAD src0_sel:BYTE_0 src1_sel:BYTE_0
	v_min_u16_sdwa v6, v6, v7 dst_sel:DWORD dst_unused:UNUSED_PAD src0_sel:BYTE_0 src1_sel:BYTE_0
.LBB666_360:
	s_or_b64 exec, exec, s[0:1]
	v_cmp_gt_u32_e32 vcc, 62, v4
	v_add_u32_e32 v8, 2, v4
	s_waitcnt lgkmcnt(0)
	v_cndmask_b32_e64 v7, 0, 2, vcc
	v_add_lshl_u32 v7, v7, v3, 2
	ds_bpermute_b32 v7, v7, v6
	v_cmp_lt_u32_e32 vcc, v8, v5
	s_and_saveexec_b64 s[0:1], vcc
	s_cbranch_execz .LBB666_362
; %bb.361:
	s_movk_i32 s2, 0xcd
	s_waitcnt lgkmcnt(0)
	v_mul_lo_u16_sdwa v6, v7, s2 dst_sel:DWORD dst_unused:UNUSED_PAD src0_sel:BYTE_0 src1_sel:DWORD
	v_lshrrev_b16_e32 v6, 11, v6
	v_mul_lo_u16_e32 v6, 10, v6
	v_sub_u16_e32 v6, v7, v6
	v_mul_lo_u16_sdwa v7, v15, s2 dst_sel:DWORD dst_unused:UNUSED_PAD src0_sel:BYTE_0 src1_sel:DWORD
	v_lshrrev_b16_e32 v7, 11, v7
	v_mul_lo_u16_e32 v7, 10, v7
	v_sub_u16_e32 v7, v15, v7
	v_add_u16_e32 v6, v6, v7
	v_add_u16_e32 v7, -10, v6
	v_min_u16_sdwa v15, v6, v7 dst_sel:DWORD dst_unused:UNUSED_PAD src0_sel:BYTE_0 src1_sel:BYTE_0
	v_min_u16_sdwa v6, v6, v7 dst_sel:DWORD dst_unused:UNUSED_PAD src0_sel:BYTE_0 src1_sel:BYTE_0
.LBB666_362:
	s_or_b64 exec, exec, s[0:1]
	v_cmp_gt_u32_e32 vcc, 60, v4
	v_add_u32_e32 v8, 4, v4
	s_waitcnt lgkmcnt(0)
	v_cndmask_b32_e64 v7, 0, 4, vcc
	v_add_lshl_u32 v7, v7, v3, 2
	ds_bpermute_b32 v7, v7, v6
	v_cmp_lt_u32_e32 vcc, v8, v5
	s_and_saveexec_b64 s[0:1], vcc
	;; [unrolled: 26-line block ×4, first 2 shown]
	s_cbranch_execz .LBB666_368
; %bb.367:
	s_movk_i32 s2, 0xcd
	s_waitcnt lgkmcnt(0)
	v_mul_lo_u16_sdwa v6, v7, s2 dst_sel:DWORD dst_unused:UNUSED_PAD src0_sel:BYTE_0 src1_sel:DWORD
	v_lshrrev_b16_e32 v6, 11, v6
	v_mul_lo_u16_e32 v6, 10, v6
	v_sub_u16_e32 v6, v7, v6
	v_mul_lo_u16_sdwa v7, v15, s2 dst_sel:DWORD dst_unused:UNUSED_PAD src0_sel:BYTE_0 src1_sel:DWORD
	v_lshrrev_b16_e32 v7, 11, v7
	v_mul_lo_u16_e32 v7, 10, v7
	v_sub_u16_e32 v7, v15, v7
	v_add_u16_e32 v6, v6, v7
	v_add_u16_e32 v7, -10, v6
	v_min_u16_sdwa v15, v6, v7 dst_sel:DWORD dst_unused:UNUSED_PAD src0_sel:BYTE_0 src1_sel:BYTE_0
	v_min_u16_sdwa v6, v6, v7 dst_sel:DWORD dst_unused:UNUSED_PAD src0_sel:BYTE_0 src1_sel:BYTE_0
.LBB666_368:
	s_or_b64 exec, exec, s[0:1]
	s_waitcnt lgkmcnt(0)
	v_lshlrev_b32_e32 v7, 2, v3
	v_or_b32_e32 v8, 0x80, v7
	ds_bpermute_b32 v6, v8, v6
	v_add_u32_e32 v4, 32, v4
	v_cmp_lt_u32_e32 vcc, v4, v5
	s_and_saveexec_b64 s[0:1], vcc
	s_cbranch_execz .LBB666_370
; %bb.369:
	s_movk_i32 s2, 0xcd
	s_waitcnt lgkmcnt(0)
	v_mul_lo_u16_sdwa v4, v6, s2 dst_sel:DWORD dst_unused:UNUSED_PAD src0_sel:BYTE_0 src1_sel:DWORD
	v_mul_lo_u16_sdwa v5, v15, s2 dst_sel:DWORD dst_unused:UNUSED_PAD src0_sel:BYTE_0 src1_sel:DWORD
	v_lshrrev_b16_e32 v4, 11, v4
	v_lshrrev_b16_e32 v5, 11, v5
	v_mul_lo_u16_e32 v4, 10, v4
	v_mul_lo_u16_e32 v5, 10, v5
	v_sub_u16_e32 v4, v6, v4
	v_sub_u16_e32 v5, v15, v5
	v_add_u16_e32 v4, v4, v5
	v_add_u16_e32 v5, -10, v4
	v_min_u16_sdwa v15, v4, v5 dst_sel:DWORD dst_unused:UNUSED_PAD src0_sel:BYTE_0 src1_sel:BYTE_0
.LBB666_370:
	s_or_b64 exec, exec, s[0:1]
	v_cmp_eq_u32_e32 vcc, 0, v3
	s_and_saveexec_b64 s[0:1], vcc
; %bb.371:
	v_lshrrev_b32_e32 v4, 6, v14
	ds_write_b8 v4, v15
; %bb.372:
	s_or_b64 exec, exec, s[0:1]
	v_cmp_gt_u32_e32 vcc, 4, v14
	s_waitcnt lgkmcnt(0)
	s_barrier
	s_and_saveexec_b64 s[0:1], vcc
	s_cbranch_execz .LBB666_378
; %bb.373:
	ds_read_u8 v15, v3
	v_and_b32_e32 v4, 3, v3
	v_cmp_ne_u32_e32 vcc, 3, v4
	v_add_u32_e32 v2, 63, v2
	v_lshrrev_b32_e32 v2, 6, v2
	v_addc_co_u32_e32 v3, vcc, 0, v3, vcc
	v_lshlrev_b32_e32 v5, 2, v3
	s_waitcnt lgkmcnt(0)
	v_and_b32_e32 v3, 0xff, v15
	ds_bpermute_b32 v5, v5, v3
	v_add_u32_e32 v6, 1, v4
	v_cmp_lt_u32_e32 vcc, v6, v2
	s_and_saveexec_b64 s[2:3], vcc
	s_cbranch_execz .LBB666_375
; %bb.374:
	s_movk_i32 s4, 0xcd
	s_waitcnt lgkmcnt(0)
	v_mul_lo_u16_sdwa v3, v5, s4 dst_sel:DWORD dst_unused:UNUSED_PAD src0_sel:BYTE_0 src1_sel:DWORD
	v_lshrrev_b16_e32 v3, 11, v3
	v_mul_lo_u16_e32 v3, 10, v3
	v_sub_u16_e32 v3, v5, v3
	v_mul_lo_u16_sdwa v5, v15, s4 dst_sel:DWORD dst_unused:UNUSED_PAD src0_sel:BYTE_0 src1_sel:DWORD
	v_lshrrev_b16_e32 v5, 11, v5
	v_mul_lo_u16_e32 v5, 10, v5
	v_sub_u16_e32 v5, v15, v5
	v_add_u16_e32 v3, v3, v5
	v_add_u16_e32 v5, -10, v3
	v_min_u16_sdwa v15, v3, v5 dst_sel:DWORD dst_unused:UNUSED_PAD src0_sel:BYTE_0 src1_sel:BYTE_0
	v_min_u16_sdwa v3, v3, v5 dst_sel:DWORD dst_unused:UNUSED_PAD src0_sel:BYTE_0 src1_sel:BYTE_0
.LBB666_375:
	s_or_b64 exec, exec, s[2:3]
	s_waitcnt lgkmcnt(0)
	v_or_b32_e32 v5, 8, v7
	ds_bpermute_b32 v3, v5, v3
	v_add_u32_e32 v4, 2, v4
	v_cmp_lt_u32_e32 vcc, v4, v2
	s_and_saveexec_b64 s[2:3], vcc
	s_cbranch_execz .LBB666_377
; %bb.376:
	s_movk_i32 s4, 0xcd
	s_waitcnt lgkmcnt(0)
	v_mul_lo_u16_sdwa v2, v3, s4 dst_sel:DWORD dst_unused:UNUSED_PAD src0_sel:BYTE_0 src1_sel:DWORD
	v_lshrrev_b16_e32 v2, 11, v2
	v_mul_lo_u16_e32 v2, 10, v2
	v_sub_u16_e32 v2, v3, v2
	v_mul_lo_u16_sdwa v3, v15, s4 dst_sel:DWORD dst_unused:UNUSED_PAD src0_sel:BYTE_0 src1_sel:DWORD
	v_lshrrev_b16_e32 v3, 11, v3
	v_mul_lo_u16_e32 v3, 10, v3
	v_sub_u16_e32 v3, v15, v3
	v_add_u16_e32 v2, v2, v3
	v_add_u16_e32 v3, -10, v2
	v_min_u16_sdwa v15, v2, v3 dst_sel:DWORD dst_unused:UNUSED_PAD src0_sel:BYTE_0 src1_sel:BYTE_0
.LBB666_377:
	s_or_b64 exec, exec, s[2:3]
.LBB666_378:
	s_or_b64 exec, exec, s[0:1]
	s_or_b64 exec, exec, s[34:35]
	v_cmp_eq_u32_e32 vcc, 0, v14
	s_and_b64 exec, exec, vcc
	s_cbranch_execz .LBB666_382
.LBB666_379:
	v_cmp_ne_u64_e32 vcc, 0, v[12:13]
	s_and_saveexec_b64 s[0:1], vcc
	s_cbranch_execz .LBB666_381
; %bb.380:
	s_movk_i32 s2, 0xcd
	v_mul_lo_u16_sdwa v2, v15, s2 dst_sel:DWORD dst_unused:UNUSED_PAD src0_sel:BYTE_0 src1_sel:DWORD
	s_waitcnt lgkmcnt(0)
	v_mul_lo_u16_sdwa v3, v20, s2 dst_sel:DWORD dst_unused:UNUSED_PAD src0_sel:BYTE_0 src1_sel:DWORD
	v_lshrrev_b16_e32 v2, 11, v2
	v_lshrrev_b16_e32 v3, 11, v3
	v_mul_lo_u16_e32 v2, 10, v2
	v_mul_lo_u16_e32 v3, 10, v3
	v_sub_u16_e32 v2, v15, v2
	v_sub_u16_e32 v3, v20, v3
	v_add_u16_e32 v2, v2, v3
	v_add_u16_e32 v3, -10, v2
	v_min_u16_sdwa v20, v2, v3 dst_sel:DWORD dst_unused:UNUSED_PAD src0_sel:BYTE_0 src1_sel:BYTE_0
.LBB666_381:
	s_or_b64 exec, exec, s[0:1]
	s_waitcnt lgkmcnt(0)
	v_lshl_add_u64 v[2:3], v[10:11], 0, s[12:13]
	flat_store_byte v[2:3], v20
.LBB666_382:
	s_or_b64 exec, exec, s[30:31]
	s_waitcnt lgkmcnt(0)
	flat_load_dwordx2 v[2:3], v[0:1]
	s_waitcnt vmcnt(0) lgkmcnt(0)
	flat_load_dword v2, v[2:3]
	s_waitcnt vmcnt(0) lgkmcnt(0)
	v_cmp_eq_u32_e32 vcc, 64, v2
	s_and_saveexec_b64 s[28:29], vcc
                                        ; implicit-def: $vgpr43 : SGPR spill to VGPR lane
	s_cbranch_execz .LBB666_624
; %bb.383:
	flat_load_dwordx4 v[2:5], v[0:1] offset:8
	flat_load_dwordx4 v[6:9], v[0:1] offset:24
	s_mov_b32 s1, 0
	s_lshl_b32 s0, s12, 14
	s_mov_b32 s13, s1
	v_and_b32_e32 v22, 0x3ff, v31
                                        ; implicit-def: $vgpr23
	s_waitcnt vmcnt(0) lgkmcnt(0)
	flat_load_dwordx2 v[20:21], v[4:5]
	flat_load_dwordx2 v[10:11], v[2:3]
	;; [unrolled: 1-line block ×3, first 2 shown]
	flat_load_ubyte v28, v[8:9]
	s_waitcnt vmcnt(0) lgkmcnt(0)
	v_lshrrev_b64 v[2:3], 14, v[20:21]
	v_cmp_ne_u64_e32 vcc, s[12:13], v[2:3]
	v_lshl_add_u64 v[24:25], v[10:11], 0, s[0:1]
	s_and_saveexec_b64 s[2:3], vcc
	s_xor_b64 s[2:3], exec, s[2:3]
	s_cbranch_execnz .LBB666_386
; %bb.384:
	s_andn2_saveexec_b64 s[40:41], s[2:3]
	s_cbranch_execnz .LBB666_391
.LBB666_385:
	s_or_b64 exec, exec, s[40:41]
	v_cmp_eq_u32_e32 vcc, 0, v22
	s_and_b64 exec, exec, vcc
	s_cbranch_execnz .LBB666_621
	s_branch .LBB666_624
.LBB666_386:
	v_mov_b32_e32 v23, 0
	v_lshl_add_u64 v[2:3], v[24:25], 0, v[22:23]
	flat_load_ubyte v29, v[2:3] offset:256
	flat_load_ubyte v30, v[2:3]
	flat_load_ubyte v34, v[2:3] offset:512
	flat_load_ubyte v35, v[2:3] offset:768
	;; [unrolled: 1-line block ×14, first 2 shown]
	s_movk_i32 s4, 0x1000
	v_add_co_u32_e32 v4, vcc, s4, v2
	s_movk_i32 s5, 0x2000
	s_nop 0
	v_addc_co_u32_e32 v5, vcc, 0, v3, vcc
	v_add_co_u32_e32 v26, vcc, s5, v2
	s_movk_i32 s6, 0x3000
	s_nop 0
	v_addc_co_u32_e32 v27, vcc, 0, v3, vcc
	;; [unrolled: 4-line block ×3, first 2 shown]
	flat_load_ubyte v64, v[4:5]
	flat_load_ubyte v65, v[4:5] offset:256
	flat_load_ubyte v66, v[4:5] offset:512
	;; [unrolled: 1-line block ×15, first 2 shown]
	flat_load_ubyte v96, v[26:27]
	flat_load_ubyte v97, v[26:27] offset:256
	flat_load_ubyte v98, v[26:27] offset:512
	;; [unrolled: 1-line block ×13, first 2 shown]
                                        ; kill: killed $vgpr4 killed $vgpr5
	flat_load_ubyte v24, v[26:27] offset:3584
	flat_load_ubyte v23, v[26:27] offset:3840
	flat_load_ubyte v17, v[32:33]
	flat_load_ubyte v16, v[32:33] offset:256
	flat_load_ubyte v15, v[32:33] offset:512
	;; [unrolled: 1-line block ×12, first 2 shown]
                                        ; kill: killed $vgpr26 killed $vgpr27
	flat_load_ubyte v4, v[32:33] offset:3328
	flat_load_ubyte v3, v[32:33] offset:3584
	flat_load_ubyte v2, v[32:33] offset:3840
	s_waitcnt vmcnt(0) lgkmcnt(0)
	v_mul_lo_u16_e32 v26, 0xcd, v29
	v_mul_lo_u16_e32 v27, 0xcd, v30
	v_lshrrev_b16_e32 v26, 11, v26
	v_lshrrev_b16_e32 v27, 11, v27
	v_mul_lo_u16_e32 v26, 10, v26
	v_mul_lo_u16_e32 v27, 10, v27
	v_sub_u16_e32 v26, v29, v26
	v_sub_u16_e32 v27, v30, v27
	v_add_u16_e32 v26, v26, v27
	v_add_u16_e32 v27, -10, v26
	v_min_u16_sdwa v26, v26, v27 dst_sel:DWORD dst_unused:UNUSED_PAD src0_sel:BYTE_0 src1_sel:BYTE_0
	v_mul_lo_u16_e32 v27, 0xcd, v34
	v_mul_lo_u16_e32 v29, 0xcd, v26
	v_lshrrev_b16_e32 v27, 11, v27
	v_lshrrev_b16_e32 v29, 11, v29
	v_mul_lo_u16_e32 v27, 10, v27
	v_mul_lo_u16_e32 v29, 10, v29
	v_sub_u16_e32 v27, v34, v27
	v_sub_u16_e32 v26, v26, v29
	v_add_u16_e32 v26, v26, v27
	v_add_u16_e32 v27, -10, v26
	v_min_u16_sdwa v26, v26, v27 dst_sel:DWORD dst_unused:UNUSED_PAD src0_sel:BYTE_0 src1_sel:BYTE_0
	;; [unrolled: 11-line block ×44, first 2 shown]
	v_mul_lo_u16_e32 v27, 0xcd, v25
	v_lshrrev_b16_e32 v27, 11, v27
	v_mul_lo_u16_e32 v27, 10, v27
	v_sub_u16_e32 v25, v25, v27
	v_mul_lo_u16_e32 v27, 0xcd, v26
	v_lshrrev_b16_e32 v27, 11, v27
	v_mul_lo_u16_e32 v27, 10, v27
	v_sub_u16_e32 v26, v26, v27
	v_add_u16_e32 v25, v26, v25
	v_add_u16_e32 v26, -10, v25
	v_min_u16_sdwa v25, v25, v26 dst_sel:DWORD dst_unused:UNUSED_PAD src0_sel:BYTE_0 src1_sel:BYTE_0
	v_mul_lo_u16_e32 v26, 0xcd, v24
	v_lshrrev_b16_e32 v26, 11, v26
	v_mul_lo_u16_e32 v26, 10, v26
	v_sub_u16_e32 v24, v24, v26
	v_mul_lo_u16_e32 v26, 0xcd, v25
	v_lshrrev_b16_e32 v26, 11, v26
	v_mul_lo_u16_e32 v26, 10, v26
	v_sub_u16_e32 v25, v25, v26
	v_add_u16_e32 v24, v25, v24
	v_add_u16_e32 v25, -10, v24
	v_min_u16_sdwa v24, v24, v25 dst_sel:DWORD dst_unused:UNUSED_PAD src0_sel:BYTE_0 src1_sel:BYTE_0
	;; [unrolled: 11-line block ×19, first 2 shown]
	v_mul_lo_u16_e32 v5, 0xcd, v3
	v_lshrrev_b16_e32 v5, 11, v5
	v_mov_b32_dpp v4, v3 quad_perm:[1,0,3,2] row_mask:0xf bank_mask:0xf bound_ctrl:1
	v_mul_lo_u16_e32 v5, 10, v5
	v_sub_u16_e32 v3, v3, v5
	v_mul_lo_u16_sdwa v5, v4, s1 dst_sel:DWORD dst_unused:UNUSED_PAD src0_sel:BYTE_0 src1_sel:DWORD
	v_lshrrev_b16_e32 v5, 11, v5
	v_mul_lo_u16_e32 v5, 10, v5
	v_sub_u16_e32 v4, v4, v5
	v_add_u16_e32 v3, v3, v4
	v_add_u16_e32 v4, -10, v3
	v_min_u16_sdwa v3, v3, v4 dst_sel:DWORD dst_unused:UNUSED_PAD src0_sel:BYTE_0 src1_sel:BYTE_0
	v_mbcnt_lo_u32_b32 v2, -1, 0
	v_mbcnt_hi_u32_b32 v2, -1, v2
	v_mov_b32_dpp v4, v3 quad_perm:[2,3,0,1] row_mask:0xf bank_mask:0xf bound_ctrl:1
	v_mul_lo_u16_sdwa v5, v4, s1 dst_sel:DWORD dst_unused:UNUSED_PAD src0_sel:BYTE_0 src1_sel:DWORD
	v_lshrrev_b16_e32 v5, 11, v5
	v_mul_lo_u16_e32 v5, 10, v5
	v_sub_u16_e32 v4, v4, v5
	v_add_u16_e32 v3, v3, v4
	v_add_u16_e32 v4, -10, v3
	v_min_u16_sdwa v3, v3, v4 dst_sel:DWORD dst_unused:UNUSED_PAD src0_sel:BYTE_0 src1_sel:BYTE_0
	v_mul_lo_u16_e32 v5, 0xcd, v3
	v_lshrrev_b16_e32 v5, 11, v5
	v_mov_b32_dpp v4, v3 row_ror:4 row_mask:0xf bank_mask:0xf bound_ctrl:1
	v_mul_lo_u16_e32 v5, 10, v5
	v_sub_u16_e32 v3, v3, v5
	v_mul_lo_u16_sdwa v5, v4, s1 dst_sel:DWORD dst_unused:UNUSED_PAD src0_sel:BYTE_0 src1_sel:DWORD
	v_lshrrev_b16_e32 v5, 11, v5
	v_mul_lo_u16_e32 v5, 10, v5
	v_sub_u16_e32 v4, v4, v5
	v_add_u16_e32 v3, v3, v4
	v_add_u16_e32 v4, -10, v3
	v_min_u16_sdwa v3, v3, v4 dst_sel:DWORD dst_unused:UNUSED_PAD src0_sel:BYTE_0 src1_sel:BYTE_0
	v_mul_lo_u16_e32 v5, 0xcd, v3
	v_lshrrev_b16_e32 v5, 11, v5
	v_mov_b32_dpp v4, v3 row_ror:8 row_mask:0xf bank_mask:0xf bound_ctrl:1
	v_mul_lo_u16_e32 v5, 10, v5
	v_sub_u16_e32 v3, v3, v5
	v_mul_lo_u16_sdwa v5, v4, s1 dst_sel:DWORD dst_unused:UNUSED_PAD src0_sel:BYTE_0 src1_sel:DWORD
	v_lshrrev_b16_e32 v5, 11, v5
	v_mul_lo_u16_e32 v5, 10, v5
	v_sub_u16_e32 v4, v4, v5
	v_add_u16_e32 v3, v3, v4
	v_add_u16_e32 v4, -10, v3
	v_min_u16_sdwa v3, v3, v4 dst_sel:DWORD dst_unused:UNUSED_PAD src0_sel:BYTE_0 src1_sel:BYTE_0
	v_mul_lo_u16_e32 v5, 0xcd, v3
	v_lshrrev_b16_e32 v5, 11, v5
	v_mov_b32_dpp v4, v3 row_bcast:15 row_mask:0xf bank_mask:0xf bound_ctrl:1
	v_mul_lo_u16_e32 v5, 10, v5
	v_sub_u16_e32 v3, v3, v5
	v_mul_lo_u16_sdwa v5, v4, s1 dst_sel:DWORD dst_unused:UNUSED_PAD src0_sel:BYTE_0 src1_sel:DWORD
	v_lshrrev_b16_e32 v5, 11, v5
	v_mul_lo_u16_e32 v5, 10, v5
	v_sub_u16_e32 v4, v4, v5
	v_add_u16_e32 v3, v3, v4
	v_add_u16_e32 v4, -10, v3
	v_min_u16_sdwa v3, v3, v4 dst_sel:DWORD dst_unused:UNUSED_PAD src0_sel:BYTE_0 src1_sel:BYTE_0
	v_mul_lo_u16_e32 v5, 0xcd, v3
	v_lshrrev_b16_e32 v5, 11, v5
	v_mov_b32_dpp v4, v3 row_bcast:31 row_mask:0xf bank_mask:0xf bound_ctrl:1
	v_mul_lo_u16_e32 v5, 10, v5
	v_sub_u16_e32 v3, v3, v5
	v_mul_lo_u16_sdwa v5, v4, s1 dst_sel:DWORD dst_unused:UNUSED_PAD src0_sel:BYTE_0 src1_sel:DWORD
	v_lshrrev_b16_e32 v5, 11, v5
	v_mul_lo_u16_e32 v5, 10, v5
	v_sub_u16_e32 v4, v4, v5
	v_add_u16_e32 v4, v3, v4
	v_add_u16_e32 v5, -10, v4
	v_lshlrev_b32_e32 v3, 2, v2
	v_or_b32_e32 v6, 0xfc, v3
	v_min_u16_sdwa v4, v4, v5 dst_sel:DWORD dst_unused:UNUSED_PAD src0_sel:BYTE_0 src1_sel:BYTE_0
	ds_bpermute_b32 v23, v6, v4
	v_cmp_eq_u32_e32 vcc, 0, v2
	s_and_saveexec_b64 s[4:5], vcc
	s_cbranch_execz .LBB666_388
; %bb.387:
	v_lshrrev_b32_e32 v4, 6, v22
	s_waitcnt lgkmcnt(0)
	ds_write_b8 v4, v23 offset:28
.LBB666_388:
	s_or_b64 exec, exec, s[4:5]
	v_cmp_gt_u32_e32 vcc, 64, v22
	s_waitcnt lgkmcnt(0)
	s_barrier
	s_and_saveexec_b64 s[4:5], vcc
	s_cbranch_execz .LBB666_390
; %bb.389:
	v_and_b32_e32 v4, 3, v2
	ds_read_u8 v5, v4 offset:28
	v_cmp_ne_u32_e32 vcc, 3, v4
	v_or_b32_e32 v3, 8, v3
	s_waitcnt lgkmcnt(0)
	v_and_b32_e32 v4, 0xffff, v5
	v_addc_co_u32_e32 v2, vcc, 0, v2, vcc
	v_lshlrev_b32_e32 v2, 2, v2
	ds_bpermute_b32 v2, v2, v4
	v_mul_lo_u16_e32 v4, 0xcd, v5
	v_lshrrev_b16_e32 v4, 11, v4
	v_mul_lo_u16_e32 v4, 10, v4
	v_sub_u16_e32 v4, v5, v4
	s_waitcnt lgkmcnt(0)
	v_mul_lo_u16_sdwa v6, v2, s1 dst_sel:DWORD dst_unused:UNUSED_PAD src0_sel:BYTE_0 src1_sel:DWORD
	v_lshrrev_b16_e32 v6, 11, v6
	v_mul_lo_u16_e32 v6, 10, v6
	v_sub_u16_e32 v2, v2, v6
	v_add_u16_e32 v2, v2, v4
	v_add_u16_e32 v4, -10, v2
	v_min_u16_sdwa v2, v2, v4 dst_sel:DWORD dst_unused:UNUSED_PAD src0_sel:BYTE_0 src1_sel:BYTE_0
	ds_bpermute_b32 v3, v3, v2
	s_waitcnt lgkmcnt(0)
	v_mul_lo_u16_sdwa v4, v3, s1 dst_sel:DWORD dst_unused:UNUSED_PAD src0_sel:BYTE_0 src1_sel:DWORD
	v_lshrrev_b16_e32 v4, 11, v4
	v_mul_lo_u16_e32 v4, 10, v4
	v_sub_u16_e32 v3, v3, v4
	v_add_u16_e32 v2, v2, v3
	v_add_u16_e32 v3, -10, v2
	v_min_u16_sdwa v23, v2, v3 dst_sel:DWORD dst_unused:UNUSED_PAD src0_sel:BYTE_0 src1_sel:BYTE_0
.LBB666_390:
	s_or_b64 exec, exec, s[4:5]
                                        ; implicit-def: $vgpr24_vgpr25
	s_andn2_saveexec_b64 s[40:41], s[2:3]
	s_cbranch_execz .LBB666_385
.LBB666_391:
	v_subrev_u32_e32 v29, s0, v20
	v_mov_b32_e32 v2, 0
	v_cmp_lt_u32_e32 vcc, v22, v29
	v_mov_b32_e32 v3, v2
	v_mov_b32_e32 v4, v2
	;; [unrolled: 1-line block ×15, first 2 shown]
	s_and_saveexec_b64 s[0:1], vcc
	s_cbranch_execz .LBB666_393
; %bb.392:
	v_mov_b32_e32 v23, v2
	v_lshl_add_u64 v[4:5], v[24:25], 0, v[22:23]
	flat_load_ubyte a0, v[4:5]
	v_accvgpr_write_b32 a15, v2
	v_accvgpr_write_b32 a1, v2
	;; [unrolled: 1-line block ×15, first 2 shown]
	s_waitcnt vmcnt(0) lgkmcnt(0)
	v_accvgpr_read_b32 v17, a15
	v_accvgpr_read_b32 v16, a14
	;; [unrolled: 1-line block ×16, first 2 shown]
.LBB666_393:
	s_or_b64 exec, exec, s[0:1]
	v_add_u32_e32 v23, 0x100, v22
	v_cmp_lt_u32_e64 s[2:3], v23, v29
	s_mov_b64 s[0:1], exec
	s_nop 0
	v_writelane_b32 v43, s2, 0
	s_nop 1
	v_writelane_b32 v43, s3, 1
	s_and_b64 s[2:3], s[0:1], s[2:3]
	s_mov_b64 exec, s[2:3]
	s_cbranch_execz .LBB666_395
; %bb.394:
	v_mov_b32_e32 v23, 0
	v_lshl_add_u64 v[26:27], v[24:25], 0, v[22:23]
	flat_load_ubyte v23, v[26:27] offset:256
	s_mov_b32 s2, 0x7060004
	s_waitcnt vmcnt(0) lgkmcnt(0)
	v_perm_b32 v2, v2, v23, s2
.LBB666_395:
	s_or_b64 exec, exec, s[0:1]
	v_add_u32_e32 v23, 0x200, v22
	v_cmp_lt_u32_e64 s[2:3], v23, v29
	s_mov_b64 s[0:1], exec
	s_nop 0
	v_writelane_b32 v43, s2, 2
	s_nop 1
	v_writelane_b32 v43, s3, 3
	s_and_b64 s[2:3], s[0:1], s[2:3]
	s_mov_b64 exec, s[2:3]
	s_cbranch_execz .LBB666_397
; %bb.396:
	v_mov_b32_e32 v23, 0
	v_lshl_add_u64 v[26:27], v[24:25], 0, v[22:23]
	flat_load_ubyte v23, v[26:27] offset:512
	s_mov_b32 s2, 0x7000504
	s_waitcnt vmcnt(0) lgkmcnt(0)
	v_perm_b32 v2, v2, v23, s2
.LBB666_397:
	;; [unrolled: 19-line block ×3, first 2 shown]
	s_or_b64 exec, exec, s[0:1]
	v_or_b32_e32 v23, 0x400, v22
	v_cmp_lt_u32_e64 s[2:3], v23, v29
	s_mov_b64 s[0:1], exec
	s_nop 0
	v_writelane_b32 v43, s2, 6
	s_nop 1
	v_writelane_b32 v43, s3, 7
	s_and_b64 s[2:3], s[0:1], s[2:3]
	s_mov_b64 exec, s[2:3]
	s_cbranch_execz .LBB666_401
; %bb.400:
	v_mov_b32_e32 v23, 0
	v_lshl_add_u64 v[26:27], v[24:25], 0, v[22:23]
	flat_load_ubyte v23, v[26:27] offset:1024
	s_mov_b32 s2, 0x3020104
	s_waitcnt vmcnt(0) lgkmcnt(0)
	v_perm_b32 v3, v23, v3, s2
.LBB666_401:
	s_or_b64 exec, exec, s[0:1]
	v_add_u32_e32 v23, 0x500, v22
	v_cmp_lt_u32_e64 s[2:3], v23, v29
	s_mov_b64 s[0:1], exec
	s_nop 0
	v_writelane_b32 v43, s2, 8
	s_nop 1
	v_writelane_b32 v43, s3, 9
	s_and_b64 s[2:3], s[0:1], s[2:3]
	s_mov_b64 exec, s[2:3]
	s_cbranch_execz .LBB666_403
; %bb.402:
	v_mov_b32_e32 v23, 0
	v_lshl_add_u64 v[26:27], v[24:25], 0, v[22:23]
	flat_load_ubyte v23, v[26:27] offset:1280
	s_mov_b32 s2, 0x7060004
	s_waitcnt vmcnt(0) lgkmcnt(0)
	v_perm_b32 v3, v3, v23, s2
.LBB666_403:
	s_or_b64 exec, exec, s[0:1]
	v_add_u32_e32 v23, 0x600, v22
	;; [unrolled: 19-line block ×3, first 2 shown]
	v_cmp_lt_u32_e64 s[2:3], v23, v29
	s_mov_b64 s[0:1], exec
	s_nop 0
	v_writelane_b32 v43, s2, 12
	s_nop 1
	v_writelane_b32 v43, s3, 13
	s_and_b64 s[2:3], s[0:1], s[2:3]
	s_mov_b64 exec, s[2:3]
	s_cbranch_execz .LBB666_407
; %bb.406:
	v_mov_b32_e32 v23, 0
	v_lshl_add_u64 v[26:27], v[24:25], 0, v[22:23]
	flat_load_ubyte v23, v[26:27] offset:1792
	s_mov_b32 s2, 0x60504
	s_waitcnt vmcnt(0) lgkmcnt(0)
	v_perm_b32 v3, v3, v23, s2
.LBB666_407:
	s_or_b64 exec, exec, s[0:1]
	v_or_b32_e32 v23, 0x800, v22
	v_cmp_lt_u32_e64 s[2:3], v23, v29
	s_mov_b64 s[0:1], exec
	s_nop 0
	v_writelane_b32 v43, s2, 14
	s_nop 1
	v_writelane_b32 v43, s3, 15
	s_and_b64 s[2:3], s[0:1], s[2:3]
	s_mov_b64 exec, s[2:3]
	s_cbranch_execz .LBB666_409
; %bb.408:
	v_mov_b32_e32 v23, 0
	v_lshl_add_u64 v[26:27], v[24:25], 0, v[22:23]
	flat_load_ubyte v23, v[26:27] offset:2048
	s_mov_b32 s2, 0x3020104
	s_waitcnt vmcnt(0) lgkmcnt(0)
	v_perm_b32 v4, v23, v4, s2
.LBB666_409:
	s_or_b64 exec, exec, s[0:1]
	v_add_u32_e32 v23, 0x900, v22
	v_cmp_lt_u32_e64 s[2:3], v23, v29
	s_mov_b64 s[0:1], exec
	s_nop 0
	v_writelane_b32 v43, s2, 16
	s_nop 1
	v_writelane_b32 v43, s3, 17
	s_and_b64 s[2:3], s[0:1], s[2:3]
	s_mov_b64 exec, s[2:3]
	s_cbranch_execz .LBB666_411
; %bb.410:
	v_mov_b32_e32 v23, 0
	v_lshl_add_u64 v[26:27], v[24:25], 0, v[22:23]
	flat_load_ubyte v23, v[26:27] offset:2304
	s_mov_b32 s2, 0x7060004
	s_waitcnt vmcnt(0) lgkmcnt(0)
	v_perm_b32 v4, v4, v23, s2
.LBB666_411:
	s_or_b64 exec, exec, s[0:1]
	v_add_u32_e32 v23, 0xa00, v22
	;; [unrolled: 19-line block ×3, first 2 shown]
	v_cmp_lt_u32_e64 s[2:3], v23, v29
	s_mov_b64 s[0:1], exec
	s_nop 0
	v_writelane_b32 v43, s2, 20
	s_nop 1
	v_writelane_b32 v43, s3, 21
	s_and_b64 s[2:3], s[0:1], s[2:3]
	s_mov_b64 exec, s[2:3]
	s_cbranch_execz .LBB666_415
; %bb.414:
	v_mov_b32_e32 v23, 0
	v_lshl_add_u64 v[26:27], v[24:25], 0, v[22:23]
	flat_load_ubyte v23, v[26:27] offset:2816
	s_mov_b32 s2, 0x60504
	s_waitcnt vmcnt(0) lgkmcnt(0)
	v_perm_b32 v4, v4, v23, s2
.LBB666_415:
	s_or_b64 exec, exec, s[0:1]
	v_or_b32_e32 v23, 0xc00, v22
	v_cmp_lt_u32_e64 s[2:3], v23, v29
	s_mov_b64 s[0:1], exec
	s_nop 0
	v_writelane_b32 v43, s2, 22
	s_nop 1
	v_writelane_b32 v43, s3, 23
	s_and_b64 s[2:3], s[0:1], s[2:3]
	s_mov_b64 exec, s[2:3]
	s_cbranch_execz .LBB666_417
; %bb.416:
	v_mov_b32_e32 v23, 0
	v_lshl_add_u64 v[26:27], v[24:25], 0, v[22:23]
	flat_load_ubyte v23, v[26:27] offset:3072
	s_mov_b32 s2, 0x3020104
	s_waitcnt vmcnt(0) lgkmcnt(0)
	v_perm_b32 v5, v23, v5, s2
.LBB666_417:
	s_or_b64 exec, exec, s[0:1]
	v_add_u32_e32 v23, 0xd00, v22
	v_cmp_lt_u32_e64 s[2:3], v23, v29
	s_mov_b64 s[0:1], exec
	s_nop 0
	v_writelane_b32 v43, s2, 24
	s_nop 1
	v_writelane_b32 v43, s3, 25
	s_and_b64 s[2:3], s[0:1], s[2:3]
	s_mov_b64 exec, s[2:3]
	s_cbranch_execz .LBB666_419
; %bb.418:
	v_mov_b32_e32 v23, 0
	v_lshl_add_u64 v[26:27], v[24:25], 0, v[22:23]
	flat_load_ubyte v23, v[26:27] offset:3328
	s_mov_b32 s2, 0x7060004
	s_waitcnt vmcnt(0) lgkmcnt(0)
	v_perm_b32 v5, v5, v23, s2
.LBB666_419:
	s_or_b64 exec, exec, s[0:1]
	v_add_u32_e32 v23, 0xe00, v22
	;; [unrolled: 19-line block ×3, first 2 shown]
	v_cmp_lt_u32_e64 s[2:3], v23, v29
	s_mov_b64 s[0:1], exec
	s_nop 0
	v_writelane_b32 v43, s2, 28
	s_nop 1
	v_writelane_b32 v43, s3, 29
	s_and_b64 s[2:3], s[0:1], s[2:3]
	s_mov_b64 exec, s[2:3]
	s_cbranch_execz .LBB666_423
; %bb.422:
	v_mov_b32_e32 v23, 0
	v_lshl_add_u64 v[26:27], v[24:25], 0, v[22:23]
	flat_load_ubyte v23, v[26:27] offset:3840
	s_mov_b32 s2, 0x60504
	s_waitcnt vmcnt(0) lgkmcnt(0)
	v_perm_b32 v5, v5, v23, s2
.LBB666_423:
	s_or_b64 exec, exec, s[0:1]
	v_or_b32_e32 v26, 0x1000, v22
	v_cmp_lt_u32_e64 s[2:3], v26, v29
	s_mov_b64 s[0:1], exec
	s_nop 0
	v_writelane_b32 v43, s2, 30
	s_nop 1
	v_writelane_b32 v43, s3, 31
	s_and_b64 s[2:3], s[0:1], s[2:3]
	s_mov_b64 exec, s[2:3]
	s_cbranch_execz .LBB666_425
; %bb.424:
	v_mov_b32_e32 v27, 0
	v_lshl_add_u64 v[26:27], v[24:25], 0, v[26:27]
	flat_load_ubyte v23, v[26:27]
	s_mov_b32 s2, 0x3020104
	s_waitcnt vmcnt(0) lgkmcnt(0)
	v_perm_b32 v6, v23, v6, s2
.LBB666_425:
	s_or_b64 exec, exec, s[0:1]
	v_add_u32_e32 v26, 0x1100, v22
	v_cmp_lt_u32_e64 s[2:3], v26, v29
	s_mov_b64 s[0:1], exec
	s_nop 0
	v_writelane_b32 v43, s2, 32
	s_nop 1
	v_writelane_b32 v43, s3, 33
	s_and_b64 s[2:3], s[0:1], s[2:3]
	s_mov_b64 exec, s[2:3]
	s_cbranch_execz .LBB666_427
; %bb.426:
	v_mov_b32_e32 v27, 0
	v_lshl_add_u64 v[26:27], v[24:25], 0, v[26:27]
	flat_load_ubyte v23, v[26:27]
	s_mov_b32 s2, 0x7060004
	s_waitcnt vmcnt(0) lgkmcnt(0)
	v_perm_b32 v6, v6, v23, s2
.LBB666_427:
	s_or_b64 exec, exec, s[0:1]
	v_add_u32_e32 v26, 0x1200, v22
	;; [unrolled: 19-line block ×3, first 2 shown]
	v_cmp_lt_u32_e64 s[46:47], v26, v29
	s_and_saveexec_b64 s[0:1], s[46:47]
	s_cbranch_execz .LBB666_431
; %bb.430:
	v_mov_b32_e32 v27, 0
	v_lshl_add_u64 v[26:27], v[24:25], 0, v[26:27]
	flat_load_ubyte v23, v[26:27]
	s_mov_b32 s2, 0x60504
	s_waitcnt vmcnt(0) lgkmcnt(0)
	v_perm_b32 v6, v6, v23, s2
.LBB666_431:
	s_or_b64 exec, exec, s[0:1]
	v_or_b32_e32 v26, 0x1400, v22
	v_cmp_lt_u32_e64 s[56:57], v26, v29
	s_and_saveexec_b64 s[0:1], s[56:57]
	s_cbranch_execz .LBB666_433
; %bb.432:
	v_mov_b32_e32 v27, 0
	v_lshl_add_u64 v[26:27], v[24:25], 0, v[26:27]
	flat_load_ubyte v23, v[26:27]
	s_mov_b32 s2, 0x3020104
	s_waitcnt vmcnt(0) lgkmcnt(0)
	v_perm_b32 v7, v23, v7, s2
.LBB666_433:
	s_or_b64 exec, exec, s[0:1]
	v_add_u32_e32 v26, 0x1500, v22
	v_cmp_lt_u32_e64 s[58:59], v26, v29
	s_and_saveexec_b64 s[0:1], s[58:59]
	s_cbranch_execz .LBB666_435
; %bb.434:
	v_mov_b32_e32 v27, 0
	v_lshl_add_u64 v[26:27], v[24:25], 0, v[26:27]
	flat_load_ubyte v23, v[26:27]
	s_mov_b32 s2, 0x7060004
	s_waitcnt vmcnt(0) lgkmcnt(0)
	v_perm_b32 v7, v7, v23, s2
.LBB666_435:
	s_or_b64 exec, exec, s[0:1]
	v_add_u32_e32 v26, 0x1600, v22
	v_cmp_lt_u32_e64 s[60:61], v26, v29
	s_and_saveexec_b64 s[0:1], s[60:61]
	s_cbranch_execz .LBB666_437
; %bb.436:
	v_mov_b32_e32 v27, 0
	v_lshl_add_u64 v[26:27], v[24:25], 0, v[26:27]
	flat_load_ubyte v23, v[26:27]
	s_mov_b32 s2, 0x7000504
	s_waitcnt vmcnt(0) lgkmcnt(0)
	v_perm_b32 v7, v7, v23, s2
.LBB666_437:
	s_or_b64 exec, exec, s[0:1]
	v_add_u32_e32 v26, 0x1700, v22
	v_cmp_lt_u32_e64 s[62:63], v26, v29
	s_and_saveexec_b64 s[0:1], s[62:63]
	s_cbranch_execz .LBB666_439
; %bb.438:
	v_mov_b32_e32 v27, 0
	v_lshl_add_u64 v[26:27], v[24:25], 0, v[26:27]
	flat_load_ubyte v23, v[26:27]
	s_mov_b32 s2, 0x60504
	s_waitcnt vmcnt(0) lgkmcnt(0)
	v_perm_b32 v7, v7, v23, s2
.LBB666_439:
	s_or_b64 exec, exec, s[0:1]
	v_or_b32_e32 v26, 0x1800, v22
	v_cmp_lt_u32_e64 s[72:73], v26, v29
	s_and_saveexec_b64 s[0:1], s[72:73]
	s_cbranch_execz .LBB666_441
; %bb.440:
	v_mov_b32_e32 v27, 0
	v_lshl_add_u64 v[26:27], v[24:25], 0, v[26:27]
	flat_load_ubyte v23, v[26:27]
	s_mov_b32 s2, 0x3020104
	s_waitcnt vmcnt(0) lgkmcnt(0)
	v_perm_b32 v8, v23, v8, s2
.LBB666_441:
	s_or_b64 exec, exec, s[0:1]
	v_add_u32_e32 v26, 0x1900, v22
	v_cmp_lt_u32_e64 s[74:75], v26, v29
	s_and_saveexec_b64 s[0:1], s[74:75]
	s_cbranch_execz .LBB666_443
; %bb.442:
	v_mov_b32_e32 v27, 0
	v_lshl_add_u64 v[26:27], v[24:25], 0, v[26:27]
	flat_load_ubyte v23, v[26:27]
	s_mov_b32 s2, 0x7060004
	s_waitcnt vmcnt(0) lgkmcnt(0)
	v_perm_b32 v8, v8, v23, s2
.LBB666_443:
	s_or_b64 exec, exec, s[0:1]
	v_add_u32_e32 v26, 0x1a00, v22
	v_cmp_lt_u32_e64 s[76:77], v26, v29
	s_and_saveexec_b64 s[0:1], s[76:77]
	s_cbranch_execz .LBB666_445
; %bb.444:
	v_mov_b32_e32 v27, 0
	v_lshl_add_u64 v[26:27], v[24:25], 0, v[26:27]
	flat_load_ubyte v23, v[26:27]
	s_mov_b32 s2, 0x7000504
	s_waitcnt vmcnt(0) lgkmcnt(0)
	v_perm_b32 v8, v8, v23, s2
.LBB666_445:
	s_or_b64 exec, exec, s[0:1]
	v_add_u32_e32 v26, 0x1b00, v22
	;; [unrolled: 52-line block ×10, first 2 shown]
	v_cmp_lt_u32_e64 s[20:21], v26, v29
	s_and_saveexec_b64 s[22:23], s[20:21]
	s_cbranch_execz .LBB666_511
; %bb.510:
	v_mov_b32_e32 v27, 0
	v_lshl_add_u64 v[26:27], v[24:25], 0, v[26:27]
	flat_load_ubyte v23, v[26:27]
	s_mov_b32 s24, 0x60504
	s_waitcnt vmcnt(0) lgkmcnt(0)
	v_perm_b32 v16, v16, v23, s24
.LBB666_511:
	s_or_b64 exec, exec, s[22:23]
	v_or_b32_e32 v26, 0x3c00, v22
	v_cmp_lt_u32_e64 s[22:23], v26, v29
	s_and_saveexec_b64 s[24:25], s[22:23]
	s_cbranch_execz .LBB666_513
; %bb.512:
	v_mov_b32_e32 v27, 0
	v_lshl_add_u64 v[26:27], v[24:25], 0, v[26:27]
	flat_load_ubyte v23, v[26:27]
	s_mov_b32 s26, 0x3020104
	s_waitcnt vmcnt(0) lgkmcnt(0)
	v_perm_b32 v17, v23, v17, s26
.LBB666_513:
	s_or_b64 exec, exec, s[24:25]
	v_add_u32_e32 v26, 0x3d00, v22
	v_cmp_lt_u32_e64 s[24:25], v26, v29
	s_and_saveexec_b64 s[26:27], s[24:25]
	s_cbranch_execz .LBB666_515
; %bb.514:
	v_mov_b32_e32 v27, 0
	v_lshl_add_u64 v[26:27], v[24:25], 0, v[26:27]
	flat_load_ubyte v23, v[26:27]
	s_mov_b32 s42, 0x7060004
	s_waitcnt vmcnt(0) lgkmcnt(0)
	v_perm_b32 v17, v17, v23, s42
.LBB666_515:
	s_or_b64 exec, exec, s[26:27]
	v_add_u32_e32 v26, 0x3e00, v22
	v_cmp_lt_u32_e64 s[26:27], v26, v29
	s_and_saveexec_b64 vcc, s[26:27]
	s_cbranch_execz .LBB666_517
; %bb.516:
	v_mov_b32_e32 v27, 0
	v_lshl_add_u64 v[26:27], v[24:25], 0, v[26:27]
	flat_load_ubyte v23, v[26:27]
	s_mov_b32 s42, 0x7000504
	s_waitcnt vmcnt(0) lgkmcnt(0)
	v_perm_b32 v17, v17, v23, s42
.LBB666_517:
	s_or_b64 exec, exec, vcc
	v_add_u32_e32 v26, 0x3f00, v22
	v_cmp_lt_u32_e32 vcc, v26, v29
	s_and_saveexec_b64 s[42:43], vcc
	s_cbranch_execz .LBB666_519
; %bb.518:
	v_mov_b32_e32 v27, 0
	v_lshl_add_u64 v[24:25], v[24:25], 0, v[26:27]
	flat_load_ubyte v23, v[24:25]
	s_mov_b32 s44, 0x60504
	s_waitcnt vmcnt(0) lgkmcnt(0)
	v_perm_b32 v17, v17, v23, s44
.LBB666_519:
	s_or_b64 exec, exec, s[42:43]
	v_mov_b32_e32 v23, v2
	s_mov_b64 s[42:43], exec
	v_readlane_b32 s44, v43, 0
	v_readlane_b32 s45, v43, 1
	s_and_b64 s[44:45], s[42:43], s[44:45]
	s_mov_b64 exec, s[44:45]
	s_cbranch_execz .LBB666_521
; %bb.520:
	v_lshrrev_b32_e32 v23, 8, v2
	s_movk_i32 s44, 0xcd
	v_mul_lo_u16_sdwa v24, v23, s44 dst_sel:DWORD dst_unused:UNUSED_PAD src0_sel:BYTE_0 src1_sel:DWORD
	v_lshrrev_b16_e32 v24, 11, v24
	v_mul_lo_u16_e32 v24, 10, v24
	v_sub_u16_e32 v23, v23, v24
	v_mul_lo_u16_sdwa v24, v2, s44 dst_sel:DWORD dst_unused:UNUSED_PAD src0_sel:BYTE_0 src1_sel:DWORD
	v_lshrrev_b16_e32 v24, 11, v24
	v_mul_lo_u16_e32 v24, 10, v24
	v_sub_u16_e32 v24, v2, v24
	v_add_u16_e32 v23, v23, v24
	v_add_u16_e32 v24, -10, v23
	v_min_u16_sdwa v23, v23, v24 dst_sel:DWORD dst_unused:UNUSED_PAD src0_sel:BYTE_0 src1_sel:BYTE_0
.LBB666_521:
	s_or_b64 exec, exec, s[42:43]
	s_mov_b64 s[42:43], exec
	v_readlane_b32 s44, v43, 2
	v_readlane_b32 s45, v43, 3
	s_and_b64 s[44:45], s[42:43], s[44:45]
	s_mov_b64 exec, s[44:45]
	s_cbranch_execz .LBB666_523
; %bb.522:
	s_movk_i32 s44, 0xff
	v_and_b32_sdwa v24, v2, s44 dst_sel:DWORD dst_unused:UNUSED_PAD src0_sel:WORD_1 src1_sel:DWORD
	s_movk_i32 s44, 0xcd
	v_mul_lo_u16_e32 v24, 0xcd, v24
	v_mul_lo_u16_sdwa v25, v23, s44 dst_sel:DWORD dst_unused:UNUSED_PAD src0_sel:BYTE_0 src1_sel:DWORD
	v_lshrrev_b16_e32 v24, 11, v24
	v_lshrrev_b16_e32 v25, 11, v25
	v_mul_lo_u16_e32 v24, 10, v24
	v_mul_lo_u16_e32 v25, 10, v25
	v_sub_u16_sdwa v24, v2, v24 dst_sel:DWORD dst_unused:UNUSED_PAD src0_sel:WORD_1 src1_sel:DWORD
	v_sub_u16_e32 v23, v23, v25
	v_add_u16_e32 v23, v23, v24
	v_add_u16_e32 v24, -10, v23
	v_min_u16_sdwa v23, v23, v24 dst_sel:DWORD dst_unused:UNUSED_PAD src0_sel:BYTE_0 src1_sel:BYTE_0
.LBB666_523:
	s_or_b64 exec, exec, s[42:43]
	s_mov_b64 s[42:43], exec
	v_readlane_b32 s44, v43, 4
	v_readlane_b32 s45, v43, 5
	s_and_b64 s[44:45], s[42:43], s[44:45]
	s_mov_b64 exec, s[44:45]
	s_cbranch_execz .LBB666_525
; %bb.524:
	v_lshrrev_b64 v[24:25], 24, v[2:3]
	s_movk_i32 s44, 0xcd
	v_mul_lo_u16_sdwa v2, v24, s44 dst_sel:DWORD dst_unused:UNUSED_PAD src0_sel:BYTE_0 src1_sel:DWORD
	v_lshrrev_b16_e32 v2, 11, v2
	v_mul_lo_u16_e32 v2, 10, v2
	v_sub_u16_e32 v2, v24, v2
	v_mul_lo_u16_sdwa v24, v23, s44 dst_sel:DWORD dst_unused:UNUSED_PAD src0_sel:BYTE_0 src1_sel:DWORD
	v_lshrrev_b16_e32 v24, 11, v24
	v_mul_lo_u16_e32 v24, 10, v24
	v_sub_u16_e32 v23, v23, v24
	v_add_u16_e32 v2, v23, v2
	v_add_u16_e32 v23, -10, v2
	v_min_u16_sdwa v23, v2, v23 dst_sel:DWORD dst_unused:UNUSED_PAD src0_sel:BYTE_0 src1_sel:BYTE_0
.LBB666_525:
	s_or_b64 exec, exec, s[42:43]
	s_mov_b64 s[42:43], exec
	v_readlane_b32 s44, v43, 6
	v_readlane_b32 s45, v43, 7
	s_and_b64 s[44:45], s[42:43], s[44:45]
	s_mov_b64 exec, s[44:45]
	s_cbranch_execz .LBB666_527
; %bb.526:
	s_movk_i32 s44, 0xcd
	v_mul_lo_u16_sdwa v2, v3, s44 dst_sel:DWORD dst_unused:UNUSED_PAD src0_sel:BYTE_0 src1_sel:DWORD
	v_mul_lo_u16_sdwa v24, v23, s44 dst_sel:DWORD dst_unused:UNUSED_PAD src0_sel:BYTE_0 src1_sel:DWORD
	v_lshrrev_b16_e32 v2, 11, v2
	v_lshrrev_b16_e32 v24, 11, v24
	v_mul_lo_u16_e32 v2, 10, v2
	v_mul_lo_u16_e32 v24, 10, v24
	v_sub_u16_e32 v2, v3, v2
	v_sub_u16_e32 v23, v23, v24
	v_add_u16_e32 v2, v23, v2
	v_add_u16_e32 v23, -10, v2
	v_min_u16_sdwa v23, v2, v23 dst_sel:DWORD dst_unused:UNUSED_PAD src0_sel:BYTE_0 src1_sel:BYTE_0
.LBB666_527:
	s_or_b64 exec, exec, s[42:43]
	s_mov_b64 s[42:43], exec
	v_readlane_b32 s44, v43, 8
	v_readlane_b32 s45, v43, 9
	s_and_b64 s[44:45], s[42:43], s[44:45]
	s_mov_b64 exec, s[44:45]
	s_cbranch_execz .LBB666_529
; %bb.528:
	v_lshrrev_b32_e32 v2, 8, v3
	s_movk_i32 s44, 0xcd
	v_mul_lo_u16_sdwa v24, v2, s44 dst_sel:DWORD dst_unused:UNUSED_PAD src0_sel:BYTE_0 src1_sel:DWORD
	v_lshrrev_b16_e32 v24, 11, v24
	v_mul_lo_u16_e32 v24, 10, v24
	v_sub_u16_e32 v2, v2, v24
	v_mul_lo_u16_sdwa v24, v23, s44 dst_sel:DWORD dst_unused:UNUSED_PAD src0_sel:BYTE_0 src1_sel:DWORD
	v_lshrrev_b16_e32 v24, 11, v24
	v_mul_lo_u16_e32 v24, 10, v24
	v_sub_u16_e32 v23, v23, v24
	v_add_u16_e32 v2, v23, v2
	v_add_u16_e32 v23, -10, v2
	v_min_u16_sdwa v23, v2, v23 dst_sel:DWORD dst_unused:UNUSED_PAD src0_sel:BYTE_0 src1_sel:BYTE_0
.LBB666_529:
	s_or_b64 exec, exec, s[42:43]
	s_mov_b64 s[42:43], exec
	v_readlane_b32 s44, v43, 10
	v_readlane_b32 s45, v43, 11
	s_and_b64 s[44:45], s[42:43], s[44:45]
	s_mov_b64 exec, s[44:45]
	s_cbranch_execz .LBB666_531
; %bb.530:
	s_movk_i32 s44, 0xff
	v_and_b32_sdwa v2, v3, s44 dst_sel:DWORD dst_unused:UNUSED_PAD src0_sel:WORD_1 src1_sel:DWORD
	s_movk_i32 s44, 0xcd
	v_mul_lo_u16_e32 v2, 0xcd, v2
	v_mul_lo_u16_sdwa v24, v23, s44 dst_sel:DWORD dst_unused:UNUSED_PAD src0_sel:BYTE_0 src1_sel:DWORD
	v_lshrrev_b16_e32 v2, 11, v2
	v_lshrrev_b16_e32 v24, 11, v24
	v_mul_lo_u16_e32 v2, 10, v2
	v_mul_lo_u16_e32 v24, 10, v24
	v_sub_u16_sdwa v2, v3, v2 dst_sel:DWORD dst_unused:UNUSED_PAD src0_sel:WORD_1 src1_sel:DWORD
	v_sub_u16_e32 v23, v23, v24
	v_add_u16_e32 v2, v23, v2
	v_add_u16_e32 v23, -10, v2
	v_min_u16_sdwa v23, v2, v23 dst_sel:DWORD dst_unused:UNUSED_PAD src0_sel:BYTE_0 src1_sel:BYTE_0
.LBB666_531:
	s_or_b64 exec, exec, s[42:43]
	s_mov_b64 s[42:43], exec
	v_readlane_b32 s44, v43, 12
	v_readlane_b32 s45, v43, 13
	s_and_b64 s[44:45], s[42:43], s[44:45]
	s_mov_b64 exec, s[44:45]
	s_cbranch_execz .LBB666_533
; %bb.532:
	s_movk_i32 s44, 0xcd
	v_mul_lo_u16_sdwa v2, v3, s44 dst_sel:DWORD dst_unused:UNUSED_PAD src0_sel:BYTE_3 src1_sel:DWORD
	v_lshrrev_b16_e32 v2, 11, v2
	v_mul_lo_u16_e32 v2, 10, v2
	v_sub_u16_sdwa v2, v3, v2 dst_sel:DWORD dst_unused:UNUSED_PAD src0_sel:BYTE_3 src1_sel:DWORD
	v_mul_lo_u16_sdwa v3, v23, s44 dst_sel:DWORD dst_unused:UNUSED_PAD src0_sel:BYTE_0 src1_sel:DWORD
	v_lshrrev_b16_e32 v3, 11, v3
	v_mul_lo_u16_e32 v3, 10, v3
	v_sub_u16_e32 v3, v23, v3
	v_add_u16_e32 v2, v3, v2
	v_add_u16_e32 v3, -10, v2
	v_min_u16_sdwa v23, v2, v3 dst_sel:DWORD dst_unused:UNUSED_PAD src0_sel:BYTE_0 src1_sel:BYTE_0
.LBB666_533:
	s_or_b64 exec, exec, s[42:43]
	s_mov_b64 s[42:43], exec
	v_readlane_b32 s44, v43, 14
	v_readlane_b32 s45, v43, 15
	s_and_b64 s[44:45], s[42:43], s[44:45]
	s_mov_b64 exec, s[44:45]
	s_cbranch_execz .LBB666_535
; %bb.534:
	s_movk_i32 s44, 0xcd
	v_mul_lo_u16_sdwa v2, v4, s44 dst_sel:DWORD dst_unused:UNUSED_PAD src0_sel:BYTE_0 src1_sel:DWORD
	v_mul_lo_u16_sdwa v3, v23, s44 dst_sel:DWORD dst_unused:UNUSED_PAD src0_sel:BYTE_0 src1_sel:DWORD
	v_lshrrev_b16_e32 v2, 11, v2
	v_lshrrev_b16_e32 v3, 11, v3
	v_mul_lo_u16_e32 v2, 10, v2
	v_mul_lo_u16_e32 v3, 10, v3
	v_sub_u16_e32 v2, v4, v2
	v_sub_u16_e32 v3, v23, v3
	v_add_u16_e32 v2, v3, v2
	v_add_u16_e32 v3, -10, v2
	v_min_u16_sdwa v23, v2, v3 dst_sel:DWORD dst_unused:UNUSED_PAD src0_sel:BYTE_0 src1_sel:BYTE_0
.LBB666_535:
	s_or_b64 exec, exec, s[42:43]
	s_mov_b64 s[42:43], exec
	v_readlane_b32 s44, v43, 16
	v_readlane_b32 s45, v43, 17
	s_and_b64 s[44:45], s[42:43], s[44:45]
	s_mov_b64 exec, s[44:45]
	s_cbranch_execz .LBB666_537
; %bb.536:
	v_lshrrev_b32_e32 v2, 8, v4
	s_movk_i32 s44, 0xcd
	v_mul_lo_u16_sdwa v3, v2, s44 dst_sel:DWORD dst_unused:UNUSED_PAD src0_sel:BYTE_0 src1_sel:DWORD
	v_lshrrev_b16_e32 v3, 11, v3
	v_mul_lo_u16_e32 v3, 10, v3
	v_sub_u16_e32 v2, v2, v3
	v_mul_lo_u16_sdwa v3, v23, s44 dst_sel:DWORD dst_unused:UNUSED_PAD src0_sel:BYTE_0 src1_sel:DWORD
	v_lshrrev_b16_e32 v3, 11, v3
	v_mul_lo_u16_e32 v3, 10, v3
	v_sub_u16_e32 v3, v23, v3
	v_add_u16_e32 v2, v3, v2
	v_add_u16_e32 v3, -10, v2
	v_min_u16_sdwa v23, v2, v3 dst_sel:DWORD dst_unused:UNUSED_PAD src0_sel:BYTE_0 src1_sel:BYTE_0
.LBB666_537:
	s_or_b64 exec, exec, s[42:43]
	s_mov_b64 s[42:43], exec
	v_readlane_b32 s44, v43, 18
	v_readlane_b32 s45, v43, 19
	s_and_b64 s[44:45], s[42:43], s[44:45]
	s_mov_b64 exec, s[44:45]
	s_cbranch_execz .LBB666_539
; %bb.538:
	s_movk_i32 s44, 0xff
	v_and_b32_sdwa v2, v4, s44 dst_sel:DWORD dst_unused:UNUSED_PAD src0_sel:WORD_1 src1_sel:DWORD
	s_movk_i32 s44, 0xcd
	v_mul_lo_u16_e32 v2, 0xcd, v2
	v_mul_lo_u16_sdwa v3, v23, s44 dst_sel:DWORD dst_unused:UNUSED_PAD src0_sel:BYTE_0 src1_sel:DWORD
	v_lshrrev_b16_e32 v2, 11, v2
	v_lshrrev_b16_e32 v3, 11, v3
	v_mul_lo_u16_e32 v2, 10, v2
	v_mul_lo_u16_e32 v3, 10, v3
	v_sub_u16_sdwa v2, v4, v2 dst_sel:DWORD dst_unused:UNUSED_PAD src0_sel:WORD_1 src1_sel:DWORD
	v_sub_u16_e32 v3, v23, v3
	v_add_u16_e32 v2, v3, v2
	v_add_u16_e32 v3, -10, v2
	v_min_u16_sdwa v23, v2, v3 dst_sel:DWORD dst_unused:UNUSED_PAD src0_sel:BYTE_0 src1_sel:BYTE_0
.LBB666_539:
	s_or_b64 exec, exec, s[42:43]
	s_mov_b64 s[42:43], exec
	v_readlane_b32 s44, v43, 20
	v_readlane_b32 s45, v43, 21
	s_and_b64 s[44:45], s[42:43], s[44:45]
	s_mov_b64 exec, s[44:45]
	s_cbranch_execz .LBB666_541
; %bb.540:
	v_lshrrev_b64 v[2:3], 24, v[4:5]
	s_movk_i32 s44, 0xcd
	v_mul_lo_u16_sdwa v3, v2, s44 dst_sel:DWORD dst_unused:UNUSED_PAD src0_sel:BYTE_0 src1_sel:DWORD
	v_lshrrev_b16_e32 v3, 11, v3
	v_mul_lo_u16_e32 v3, 10, v3
	v_sub_u16_e32 v2, v2, v3
	v_mul_lo_u16_sdwa v3, v23, s44 dst_sel:DWORD dst_unused:UNUSED_PAD src0_sel:BYTE_0 src1_sel:DWORD
	v_lshrrev_b16_e32 v3, 11, v3
	v_mul_lo_u16_e32 v3, 10, v3
	v_sub_u16_e32 v3, v23, v3
	v_add_u16_e32 v2, v3, v2
	v_add_u16_e32 v3, -10, v2
	v_min_u16_sdwa v23, v2, v3 dst_sel:DWORD dst_unused:UNUSED_PAD src0_sel:BYTE_0 src1_sel:BYTE_0
.LBB666_541:
	s_or_b64 exec, exec, s[42:43]
	s_mov_b64 s[42:43], exec
	v_readlane_b32 s44, v43, 22
	v_readlane_b32 s45, v43, 23
	s_and_b64 s[44:45], s[42:43], s[44:45]
	s_mov_b64 exec, s[44:45]
	s_cbranch_execz .LBB666_543
; %bb.542:
	s_movk_i32 s44, 0xcd
	v_mul_lo_u16_sdwa v2, v5, s44 dst_sel:DWORD dst_unused:UNUSED_PAD src0_sel:BYTE_0 src1_sel:DWORD
	v_mul_lo_u16_sdwa v3, v23, s44 dst_sel:DWORD dst_unused:UNUSED_PAD src0_sel:BYTE_0 src1_sel:DWORD
	v_lshrrev_b16_e32 v2, 11, v2
	v_lshrrev_b16_e32 v3, 11, v3
	v_mul_lo_u16_e32 v2, 10, v2
	v_mul_lo_u16_e32 v3, 10, v3
	v_sub_u16_e32 v2, v5, v2
	v_sub_u16_e32 v3, v23, v3
	v_add_u16_e32 v2, v3, v2
	v_add_u16_e32 v3, -10, v2
	v_min_u16_sdwa v23, v2, v3 dst_sel:DWORD dst_unused:UNUSED_PAD src0_sel:BYTE_0 src1_sel:BYTE_0
.LBB666_543:
	s_or_b64 exec, exec, s[42:43]
	s_mov_b64 s[42:43], exec
	v_readlane_b32 s44, v43, 24
	v_readlane_b32 s45, v43, 25
	s_and_b64 s[44:45], s[42:43], s[44:45]
	s_mov_b64 exec, s[44:45]
	s_cbranch_execz .LBB666_545
; %bb.544:
	v_lshrrev_b32_e32 v2, 8, v5
	s_movk_i32 s44, 0xcd
	v_mul_lo_u16_sdwa v3, v2, s44 dst_sel:DWORD dst_unused:UNUSED_PAD src0_sel:BYTE_0 src1_sel:DWORD
	v_lshrrev_b16_e32 v3, 11, v3
	v_mul_lo_u16_e32 v3, 10, v3
	v_sub_u16_e32 v2, v2, v3
	v_mul_lo_u16_sdwa v3, v23, s44 dst_sel:DWORD dst_unused:UNUSED_PAD src0_sel:BYTE_0 src1_sel:DWORD
	v_lshrrev_b16_e32 v3, 11, v3
	v_mul_lo_u16_e32 v3, 10, v3
	v_sub_u16_e32 v3, v23, v3
	v_add_u16_e32 v2, v3, v2
	v_add_u16_e32 v3, -10, v2
	v_min_u16_sdwa v23, v2, v3 dst_sel:DWORD dst_unused:UNUSED_PAD src0_sel:BYTE_0 src1_sel:BYTE_0
.LBB666_545:
	s_or_b64 exec, exec, s[42:43]
	s_mov_b64 s[42:43], exec
	v_readlane_b32 s44, v43, 26
	v_readlane_b32 s45, v43, 27
	s_and_b64 s[44:45], s[42:43], s[44:45]
	s_mov_b64 exec, s[44:45]
	s_cbranch_execz .LBB666_547
; %bb.546:
	s_movk_i32 s44, 0xff
	v_and_b32_sdwa v2, v5, s44 dst_sel:DWORD dst_unused:UNUSED_PAD src0_sel:WORD_1 src1_sel:DWORD
	s_movk_i32 s44, 0xcd
	v_mul_lo_u16_e32 v2, 0xcd, v2
	v_mul_lo_u16_sdwa v3, v23, s44 dst_sel:DWORD dst_unused:UNUSED_PAD src0_sel:BYTE_0 src1_sel:DWORD
	v_lshrrev_b16_e32 v2, 11, v2
	v_lshrrev_b16_e32 v3, 11, v3
	v_mul_lo_u16_e32 v2, 10, v2
	v_mul_lo_u16_e32 v3, 10, v3
	v_sub_u16_sdwa v2, v5, v2 dst_sel:DWORD dst_unused:UNUSED_PAD src0_sel:WORD_1 src1_sel:DWORD
	v_sub_u16_e32 v3, v23, v3
	v_add_u16_e32 v2, v3, v2
	v_add_u16_e32 v3, -10, v2
	v_min_u16_sdwa v23, v2, v3 dst_sel:DWORD dst_unused:UNUSED_PAD src0_sel:BYTE_0 src1_sel:BYTE_0
.LBB666_547:
	s_or_b64 exec, exec, s[42:43]
	s_mov_b64 s[42:43], exec
	v_readlane_b32 s44, v43, 28
	v_readlane_b32 s45, v43, 29
	s_and_b64 s[44:45], s[42:43], s[44:45]
	s_mov_b64 exec, s[44:45]
	s_cbranch_execz .LBB666_549
; %bb.548:
	s_movk_i32 s44, 0xcd
	v_mul_lo_u16_sdwa v2, v5, s44 dst_sel:DWORD dst_unused:UNUSED_PAD src0_sel:BYTE_3 src1_sel:DWORD
	v_mul_lo_u16_sdwa v3, v23, s44 dst_sel:DWORD dst_unused:UNUSED_PAD src0_sel:BYTE_0 src1_sel:DWORD
	v_lshrrev_b16_e32 v2, 11, v2
	v_lshrrev_b16_e32 v3, 11, v3
	v_mul_lo_u16_e32 v2, 10, v2
	v_mul_lo_u16_e32 v3, 10, v3
	v_sub_u16_sdwa v2, v5, v2 dst_sel:DWORD dst_unused:UNUSED_PAD src0_sel:BYTE_3 src1_sel:DWORD
	v_sub_u16_e32 v3, v23, v3
	v_add_u16_e32 v2, v3, v2
	v_add_u16_e32 v3, -10, v2
	v_min_u16_sdwa v23, v2, v3 dst_sel:DWORD dst_unused:UNUSED_PAD src0_sel:BYTE_0 src1_sel:BYTE_0
.LBB666_549:
	s_or_b64 exec, exec, s[42:43]
	s_mov_b64 s[42:43], exec
	v_readlane_b32 s44, v43, 30
	v_readlane_b32 s45, v43, 31
	s_and_b64 s[44:45], s[42:43], s[44:45]
	s_mov_b64 exec, s[44:45]
	s_cbranch_execz .LBB666_551
; %bb.550:
	s_movk_i32 s44, 0xcd
	v_mul_lo_u16_sdwa v2, v6, s44 dst_sel:DWORD dst_unused:UNUSED_PAD src0_sel:BYTE_0 src1_sel:DWORD
	v_mul_lo_u16_sdwa v3, v23, s44 dst_sel:DWORD dst_unused:UNUSED_PAD src0_sel:BYTE_0 src1_sel:DWORD
	v_lshrrev_b16_e32 v2, 11, v2
	v_lshrrev_b16_e32 v3, 11, v3
	v_mul_lo_u16_e32 v2, 10, v2
	v_mul_lo_u16_e32 v3, 10, v3
	v_sub_u16_e32 v2, v6, v2
	v_sub_u16_e32 v3, v23, v3
	v_add_u16_e32 v2, v3, v2
	v_add_u16_e32 v3, -10, v2
	v_min_u16_sdwa v23, v2, v3 dst_sel:DWORD dst_unused:UNUSED_PAD src0_sel:BYTE_0 src1_sel:BYTE_0
.LBB666_551:
	s_or_b64 exec, exec, s[42:43]
	s_mov_b64 s[42:43], exec
	v_readlane_b32 s44, v43, 32
	v_readlane_b32 s45, v43, 33
	s_and_b64 s[44:45], s[42:43], s[44:45]
	s_mov_b64 exec, s[44:45]
	s_cbranch_execz .LBB666_553
; %bb.552:
	v_lshrrev_b32_e32 v2, 8, v6
	s_movk_i32 s44, 0xcd
	v_mul_lo_u16_sdwa v3, v2, s44 dst_sel:DWORD dst_unused:UNUSED_PAD src0_sel:BYTE_0 src1_sel:DWORD
	v_lshrrev_b16_e32 v3, 11, v3
	v_mul_lo_u16_e32 v3, 10, v3
	v_sub_u16_e32 v2, v2, v3
	v_mul_lo_u16_sdwa v3, v23, s44 dst_sel:DWORD dst_unused:UNUSED_PAD src0_sel:BYTE_0 src1_sel:DWORD
	v_lshrrev_b16_e32 v3, 11, v3
	v_mul_lo_u16_e32 v3, 10, v3
	v_sub_u16_e32 v3, v23, v3
	v_add_u16_e32 v2, v3, v2
	v_add_u16_e32 v3, -10, v2
	v_min_u16_sdwa v23, v2, v3 dst_sel:DWORD dst_unused:UNUSED_PAD src0_sel:BYTE_0 src1_sel:BYTE_0
.LBB666_553:
	s_or_b64 exec, exec, s[42:43]
	s_mov_b64 s[42:43], exec
	v_readlane_b32 s44, v43, 34
	v_readlane_b32 s45, v43, 35
	s_and_b64 s[44:45], s[42:43], s[44:45]
	s_mov_b64 exec, s[44:45]
	s_cbranch_execnz .LBB666_1178
; %bb.554:
	s_or_b64 exec, exec, s[42:43]
	s_and_saveexec_b64 s[42:43], s[46:47]
	s_cbranch_execnz .LBB666_1179
.LBB666_555:
	s_or_b64 exec, exec, s[42:43]
	s_and_saveexec_b64 s[42:43], s[56:57]
	s_cbranch_execnz .LBB666_1180
.LBB666_556:
	s_or_b64 exec, exec, s[42:43]
	s_and_saveexec_b64 s[42:43], s[58:59]
	s_cbranch_execnz .LBB666_1181
.LBB666_557:
	s_or_b64 exec, exec, s[42:43]
	s_and_saveexec_b64 s[42:43], s[60:61]
	s_cbranch_execnz .LBB666_1182
.LBB666_558:
	s_or_b64 exec, exec, s[42:43]
	s_and_saveexec_b64 s[42:43], s[62:63]
	s_cbranch_execnz .LBB666_1183
.LBB666_559:
	s_or_b64 exec, exec, s[42:43]
	s_and_saveexec_b64 s[42:43], s[72:73]
	s_cbranch_execnz .LBB666_1184
.LBB666_560:
	s_or_b64 exec, exec, s[42:43]
	s_and_saveexec_b64 s[42:43], s[74:75]
	s_cbranch_execnz .LBB666_1185
.LBB666_561:
	s_or_b64 exec, exec, s[42:43]
	s_and_saveexec_b64 s[42:43], s[76:77]
	s_cbranch_execnz .LBB666_1186
.LBB666_562:
	s_or_b64 exec, exec, s[42:43]
	s_and_saveexec_b64 s[42:43], s[78:79]
	s_cbranch_execnz .LBB666_1187
.LBB666_563:
	s_or_b64 exec, exec, s[42:43]
	s_and_saveexec_b64 s[42:43], s[88:89]
	s_cbranch_execnz .LBB666_1188
.LBB666_564:
	s_or_b64 exec, exec, s[42:43]
	s_and_saveexec_b64 s[42:43], s[90:91]
	s_cbranch_execnz .LBB666_1189
.LBB666_565:
	s_or_b64 exec, exec, s[42:43]
	s_and_saveexec_b64 s[42:43], s[92:93]
	s_cbranch_execnz .LBB666_1190
.LBB666_566:
	s_or_b64 exec, exec, s[42:43]
	s_and_saveexec_b64 s[42:43], s[94:95]
	s_cbranch_execnz .LBB666_1191
.LBB666_567:
	s_or_b64 exec, exec, s[42:43]
	s_and_saveexec_b64 s[42:43], s[30:31]
	s_cbranch_execnz .LBB666_1192
.LBB666_568:
	s_or_b64 exec, exec, s[42:43]
	s_and_saveexec_b64 s[42:43], s[34:35]
	s_cbranch_execnz .LBB666_1193
.LBB666_569:
	s_or_b64 exec, exec, s[42:43]
	s_and_saveexec_b64 s[42:43], s[36:37]
	s_cbranch_execnz .LBB666_1194
.LBB666_570:
	s_or_b64 exec, exec, s[42:43]
	s_and_saveexec_b64 s[42:43], s[38:39]
	s_cbranch_execnz .LBB666_1195
.LBB666_571:
	s_or_b64 exec, exec, s[42:43]
	s_and_saveexec_b64 s[42:43], s[48:49]
	s_cbranch_execnz .LBB666_1196
.LBB666_572:
	s_or_b64 exec, exec, s[42:43]
	s_and_saveexec_b64 s[42:43], s[50:51]
	s_cbranch_execnz .LBB666_1197
.LBB666_573:
	s_or_b64 exec, exec, s[42:43]
	s_and_saveexec_b64 s[42:43], s[52:53]
	s_cbranch_execnz .LBB666_1198
.LBB666_574:
	s_or_b64 exec, exec, s[42:43]
	s_and_saveexec_b64 s[42:43], s[54:55]
	s_cbranch_execnz .LBB666_1199
.LBB666_575:
	s_or_b64 exec, exec, s[42:43]
	s_and_saveexec_b64 s[42:43], s[64:65]
	s_cbranch_execnz .LBB666_1200
.LBB666_576:
	s_or_b64 exec, exec, s[42:43]
	s_and_saveexec_b64 s[42:43], s[66:67]
	s_cbranch_execnz .LBB666_1201
.LBB666_577:
	s_or_b64 exec, exec, s[42:43]
	s_and_saveexec_b64 s[42:43], s[68:69]
	s_cbranch_execnz .LBB666_1202
.LBB666_578:
	s_or_b64 exec, exec, s[42:43]
	s_and_saveexec_b64 s[42:43], s[70:71]
	s_cbranch_execnz .LBB666_1203
.LBB666_579:
	s_or_b64 exec, exec, s[42:43]
	s_and_saveexec_b64 s[42:43], s[80:81]
	s_cbranch_execnz .LBB666_1204
.LBB666_580:
	s_or_b64 exec, exec, s[42:43]
	s_and_saveexec_b64 s[42:43], s[82:83]
	s_cbranch_execnz .LBB666_1205
.LBB666_581:
	s_or_b64 exec, exec, s[42:43]
	s_and_saveexec_b64 s[42:43], s[84:85]
	s_cbranch_execnz .LBB666_1206
.LBB666_582:
	s_or_b64 exec, exec, s[42:43]
	s_and_saveexec_b64 s[42:43], s[86:87]
	s_cbranch_execnz .LBB666_1207
.LBB666_583:
	s_or_b64 exec, exec, s[42:43]
	s_and_saveexec_b64 s[42:43], s[96:97]
	s_cbranch_execnz .LBB666_1208
.LBB666_584:
	s_or_b64 exec, exec, s[42:43]
	s_and_saveexec_b64 s[42:43], s[98:99]
	s_cbranch_execnz .LBB666_1209
.LBB666_585:
	s_or_b64 exec, exec, s[42:43]
	s_and_saveexec_b64 s[42:43], s[0:1]
	s_cbranch_execnz .LBB666_1210
.LBB666_586:
	s_or_b64 exec, exec, s[42:43]
	s_and_saveexec_b64 s[0:1], s[2:3]
	s_cbranch_execnz .LBB666_1211
.LBB666_587:
	s_or_b64 exec, exec, s[0:1]
	s_and_saveexec_b64 s[0:1], s[4:5]
	s_cbranch_execnz .LBB666_1212
.LBB666_588:
	s_or_b64 exec, exec, s[0:1]
	s_and_saveexec_b64 s[0:1], s[6:7]
	s_cbranch_execnz .LBB666_1213
.LBB666_589:
	s_or_b64 exec, exec, s[0:1]
	s_and_saveexec_b64 s[0:1], s[8:9]
	s_cbranch_execnz .LBB666_1214
.LBB666_590:
	s_or_b64 exec, exec, s[0:1]
	s_and_saveexec_b64 s[0:1], s[10:11]
	s_cbranch_execnz .LBB666_1215
.LBB666_591:
	s_or_b64 exec, exec, s[0:1]
	s_and_saveexec_b64 s[0:1], s[14:15]
	s_cbranch_execnz .LBB666_1216
.LBB666_592:
	s_or_b64 exec, exec, s[0:1]
	s_and_saveexec_b64 s[0:1], s[16:17]
	s_cbranch_execnz .LBB666_1217
.LBB666_593:
	s_or_b64 exec, exec, s[0:1]
	s_and_saveexec_b64 s[0:1], s[18:19]
	s_cbranch_execnz .LBB666_1218
.LBB666_594:
	s_or_b64 exec, exec, s[0:1]
	s_and_saveexec_b64 s[0:1], s[20:21]
	s_cbranch_execnz .LBB666_1219
.LBB666_595:
	s_or_b64 exec, exec, s[0:1]
	s_and_saveexec_b64 s[0:1], s[22:23]
	s_cbranch_execnz .LBB666_1220
.LBB666_596:
	s_or_b64 exec, exec, s[0:1]
	s_and_saveexec_b64 s[0:1], s[24:25]
	s_cbranch_execnz .LBB666_1221
.LBB666_597:
	s_or_b64 exec, exec, s[0:1]
	s_and_saveexec_b64 s[0:1], s[26:27]
	s_cbranch_execnz .LBB666_1222
.LBB666_598:
	s_or_b64 exec, exec, s[0:1]
	s_and_saveexec_b64 s[0:1], vcc
	s_cbranch_execz .LBB666_600
.LBB666_599:
	s_movk_i32 s2, 0xcd
	v_mul_lo_u16_sdwa v2, v17, s2 dst_sel:DWORD dst_unused:UNUSED_PAD src0_sel:BYTE_3 src1_sel:DWORD
	v_mul_lo_u16_sdwa v3, v23, s2 dst_sel:DWORD dst_unused:UNUSED_PAD src0_sel:BYTE_0 src1_sel:DWORD
	v_lshrrev_b16_e32 v2, 11, v2
	v_lshrrev_b16_e32 v3, 11, v3
	v_mul_lo_u16_e32 v2, 10, v2
	v_mul_lo_u16_e32 v3, 10, v3
	v_sub_u16_sdwa v2, v17, v2 dst_sel:DWORD dst_unused:UNUSED_PAD src0_sel:BYTE_3 src1_sel:DWORD
	v_sub_u16_e32 v3, v23, v3
	v_add_u16_e32 v2, v3, v2
	v_add_u16_e32 v3, -10, v2
	v_min_u16_sdwa v23, v2, v3 dst_sel:DWORD dst_unused:UNUSED_PAD src0_sel:BYTE_0 src1_sel:BYTE_0
.LBB666_600:
	s_or_b64 exec, exec, s[0:1]
	v_mbcnt_lo_u32_b32 v3, -1, 0
	v_mbcnt_hi_u32_b32 v3, -1, v3
	v_and_b32_e32 v4, 63, v3
	v_cmp_ne_u32_e32 vcc, 63, v4
	v_and_b32_e32 v6, 0xff, v23
	v_min_u32_e32 v2, 0x100, v29
	v_addc_co_u32_e32 v5, vcc, 0, v3, vcc
	v_lshlrev_b32_e32 v5, 2, v5
	ds_bpermute_b32 v7, v5, v6
	v_and_b32_e32 v5, 0x3c0, v22
	v_sub_u32_e64 v5, v2, v5 clamp
	v_add_u32_e32 v8, 1, v4
	v_cmp_lt_u32_e32 vcc, v8, v5
	s_and_saveexec_b64 s[0:1], vcc
	s_xor_b64 s[0:1], exec, s[0:1]
	s_cbranch_execz .LBB666_602
; %bb.601:
	s_movk_i32 s2, 0xcd
	s_waitcnt lgkmcnt(0)
	v_mul_lo_u16_sdwa v6, v7, s2 dst_sel:DWORD dst_unused:UNUSED_PAD src0_sel:BYTE_0 src1_sel:DWORD
	v_lshrrev_b16_e32 v6, 11, v6
	v_mul_lo_u16_e32 v6, 10, v6
	v_sub_u16_e32 v6, v7, v6
	v_mul_lo_u16_sdwa v7, v23, s2 dst_sel:DWORD dst_unused:UNUSED_PAD src0_sel:BYTE_0 src1_sel:DWORD
	v_lshrrev_b16_e32 v7, 11, v7
	v_mul_lo_u16_e32 v7, 10, v7
	v_sub_u16_e32 v7, v23, v7
	v_add_u16_e32 v6, v6, v7
	v_add_u16_e32 v7, -10, v6
	v_min_u16_sdwa v23, v6, v7 dst_sel:DWORD dst_unused:UNUSED_PAD src0_sel:BYTE_0 src1_sel:BYTE_0
	v_min_u16_sdwa v6, v6, v7 dst_sel:DWORD dst_unused:UNUSED_PAD src0_sel:BYTE_0 src1_sel:BYTE_0
.LBB666_602:
	s_or_b64 exec, exec, s[0:1]
	v_cmp_gt_u32_e32 vcc, 62, v4
	v_add_u32_e32 v8, 2, v4
	s_waitcnt lgkmcnt(0)
	v_cndmask_b32_e64 v7, 0, 2, vcc
	v_add_lshl_u32 v7, v7, v3, 2
	ds_bpermute_b32 v7, v7, v6
	v_cmp_lt_u32_e32 vcc, v8, v5
	s_and_saveexec_b64 s[0:1], vcc
	s_cbranch_execz .LBB666_604
; %bb.603:
	s_movk_i32 s2, 0xcd
	s_waitcnt lgkmcnt(0)
	v_mul_lo_u16_sdwa v6, v7, s2 dst_sel:DWORD dst_unused:UNUSED_PAD src0_sel:BYTE_0 src1_sel:DWORD
	v_lshrrev_b16_e32 v6, 11, v6
	v_mul_lo_u16_e32 v6, 10, v6
	v_sub_u16_e32 v6, v7, v6
	v_mul_lo_u16_sdwa v7, v23, s2 dst_sel:DWORD dst_unused:UNUSED_PAD src0_sel:BYTE_0 src1_sel:DWORD
	v_lshrrev_b16_e32 v7, 11, v7
	v_mul_lo_u16_e32 v7, 10, v7
	v_sub_u16_e32 v7, v23, v7
	v_add_u16_e32 v6, v6, v7
	v_add_u16_e32 v7, -10, v6
	v_min_u16_sdwa v23, v6, v7 dst_sel:DWORD dst_unused:UNUSED_PAD src0_sel:BYTE_0 src1_sel:BYTE_0
	v_min_u16_sdwa v6, v6, v7 dst_sel:DWORD dst_unused:UNUSED_PAD src0_sel:BYTE_0 src1_sel:BYTE_0
.LBB666_604:
	s_or_b64 exec, exec, s[0:1]
	v_cmp_gt_u32_e32 vcc, 60, v4
	v_add_u32_e32 v8, 4, v4
	s_waitcnt lgkmcnt(0)
	v_cndmask_b32_e64 v7, 0, 4, vcc
	v_add_lshl_u32 v7, v7, v3, 2
	ds_bpermute_b32 v7, v7, v6
	v_cmp_lt_u32_e32 vcc, v8, v5
	s_and_saveexec_b64 s[0:1], vcc
	;; [unrolled: 26-line block ×4, first 2 shown]
	s_cbranch_execz .LBB666_610
; %bb.609:
	s_movk_i32 s2, 0xcd
	s_waitcnt lgkmcnt(0)
	v_mul_lo_u16_sdwa v6, v7, s2 dst_sel:DWORD dst_unused:UNUSED_PAD src0_sel:BYTE_0 src1_sel:DWORD
	v_lshrrev_b16_e32 v6, 11, v6
	v_mul_lo_u16_e32 v6, 10, v6
	v_sub_u16_e32 v6, v7, v6
	v_mul_lo_u16_sdwa v7, v23, s2 dst_sel:DWORD dst_unused:UNUSED_PAD src0_sel:BYTE_0 src1_sel:DWORD
	v_lshrrev_b16_e32 v7, 11, v7
	v_mul_lo_u16_e32 v7, 10, v7
	v_sub_u16_e32 v7, v23, v7
	v_add_u16_e32 v6, v6, v7
	v_add_u16_e32 v7, -10, v6
	v_min_u16_sdwa v23, v6, v7 dst_sel:DWORD dst_unused:UNUSED_PAD src0_sel:BYTE_0 src1_sel:BYTE_0
	v_min_u16_sdwa v6, v6, v7 dst_sel:DWORD dst_unused:UNUSED_PAD src0_sel:BYTE_0 src1_sel:BYTE_0
.LBB666_610:
	s_or_b64 exec, exec, s[0:1]
	s_waitcnt lgkmcnt(0)
	v_lshlrev_b32_e32 v7, 2, v3
	v_or_b32_e32 v8, 0x80, v7
	ds_bpermute_b32 v6, v8, v6
	v_add_u32_e32 v4, 32, v4
	v_cmp_lt_u32_e32 vcc, v4, v5
	s_and_saveexec_b64 s[0:1], vcc
	s_cbranch_execz .LBB666_612
; %bb.611:
	s_movk_i32 s2, 0xcd
	s_waitcnt lgkmcnt(0)
	v_mul_lo_u16_sdwa v4, v6, s2 dst_sel:DWORD dst_unused:UNUSED_PAD src0_sel:BYTE_0 src1_sel:DWORD
	v_mul_lo_u16_sdwa v5, v23, s2 dst_sel:DWORD dst_unused:UNUSED_PAD src0_sel:BYTE_0 src1_sel:DWORD
	v_lshrrev_b16_e32 v4, 11, v4
	v_lshrrev_b16_e32 v5, 11, v5
	v_mul_lo_u16_e32 v4, 10, v4
	v_mul_lo_u16_e32 v5, 10, v5
	v_sub_u16_e32 v4, v6, v4
	v_sub_u16_e32 v5, v23, v5
	v_add_u16_e32 v4, v4, v5
	v_add_u16_e32 v5, -10, v4
	v_min_u16_sdwa v23, v4, v5 dst_sel:DWORD dst_unused:UNUSED_PAD src0_sel:BYTE_0 src1_sel:BYTE_0
.LBB666_612:
	s_or_b64 exec, exec, s[0:1]
	v_cmp_eq_u32_e32 vcc, 0, v3
	s_and_saveexec_b64 s[0:1], vcc
; %bb.613:
	v_lshrrev_b32_e32 v4, 6, v22
	ds_write_b8 v4, v23
; %bb.614:
	s_or_b64 exec, exec, s[0:1]
	v_cmp_gt_u32_e32 vcc, 4, v22
	s_waitcnt lgkmcnt(0)
	s_barrier
	s_and_saveexec_b64 s[0:1], vcc
	s_cbranch_execz .LBB666_620
; %bb.615:
	ds_read_u8 v23, v3
	v_and_b32_e32 v4, 3, v3
	v_cmp_ne_u32_e32 vcc, 3, v4
	v_add_u32_e32 v2, 63, v2
	v_lshrrev_b32_e32 v2, 6, v2
	v_addc_co_u32_e32 v3, vcc, 0, v3, vcc
	v_lshlrev_b32_e32 v5, 2, v3
	s_waitcnt lgkmcnt(0)
	v_and_b32_e32 v3, 0xff, v23
	ds_bpermute_b32 v5, v5, v3
	v_add_u32_e32 v6, 1, v4
	v_cmp_lt_u32_e32 vcc, v6, v2
	s_and_saveexec_b64 s[2:3], vcc
	s_cbranch_execz .LBB666_617
; %bb.616:
	s_movk_i32 s4, 0xcd
	s_waitcnt lgkmcnt(0)
	v_mul_lo_u16_sdwa v3, v5, s4 dst_sel:DWORD dst_unused:UNUSED_PAD src0_sel:BYTE_0 src1_sel:DWORD
	v_lshrrev_b16_e32 v3, 11, v3
	v_mul_lo_u16_e32 v3, 10, v3
	v_sub_u16_e32 v3, v5, v3
	v_mul_lo_u16_sdwa v5, v23, s4 dst_sel:DWORD dst_unused:UNUSED_PAD src0_sel:BYTE_0 src1_sel:DWORD
	v_lshrrev_b16_e32 v5, 11, v5
	v_mul_lo_u16_e32 v5, 10, v5
	v_sub_u16_e32 v5, v23, v5
	v_add_u16_e32 v3, v3, v5
	v_add_u16_e32 v5, -10, v3
	v_min_u16_sdwa v23, v3, v5 dst_sel:DWORD dst_unused:UNUSED_PAD src0_sel:BYTE_0 src1_sel:BYTE_0
	v_min_u16_sdwa v3, v3, v5 dst_sel:DWORD dst_unused:UNUSED_PAD src0_sel:BYTE_0 src1_sel:BYTE_0
.LBB666_617:
	s_or_b64 exec, exec, s[2:3]
	s_waitcnt lgkmcnt(0)
	v_or_b32_e32 v5, 8, v7
	ds_bpermute_b32 v3, v5, v3
	v_add_u32_e32 v4, 2, v4
	v_cmp_lt_u32_e32 vcc, v4, v2
	s_and_saveexec_b64 s[2:3], vcc
	s_cbranch_execz .LBB666_619
; %bb.618:
	s_movk_i32 s4, 0xcd
	s_waitcnt lgkmcnt(0)
	v_mul_lo_u16_sdwa v2, v3, s4 dst_sel:DWORD dst_unused:UNUSED_PAD src0_sel:BYTE_0 src1_sel:DWORD
	v_lshrrev_b16_e32 v2, 11, v2
	v_mul_lo_u16_e32 v2, 10, v2
	v_sub_u16_e32 v2, v3, v2
	v_mul_lo_u16_sdwa v3, v23, s4 dst_sel:DWORD dst_unused:UNUSED_PAD src0_sel:BYTE_0 src1_sel:DWORD
	v_lshrrev_b16_e32 v3, 11, v3
	v_mul_lo_u16_e32 v3, 10, v3
	v_sub_u16_e32 v3, v23, v3
	v_add_u16_e32 v2, v2, v3
	v_add_u16_e32 v3, -10, v2
	v_min_u16_sdwa v23, v2, v3 dst_sel:DWORD dst_unused:UNUSED_PAD src0_sel:BYTE_0 src1_sel:BYTE_0
.LBB666_619:
	s_or_b64 exec, exec, s[2:3]
.LBB666_620:
	s_or_b64 exec, exec, s[0:1]
	s_or_b64 exec, exec, s[40:41]
	v_cmp_eq_u32_e32 vcc, 0, v22
	s_and_b64 exec, exec, vcc
	s_cbranch_execz .LBB666_624
.LBB666_621:
	v_cmp_ne_u64_e32 vcc, 0, v[20:21]
	s_and_saveexec_b64 s[0:1], vcc
	s_cbranch_execz .LBB666_623
; %bb.622:
	s_movk_i32 s2, 0xcd
	v_mul_lo_u16_sdwa v2, v23, s2 dst_sel:DWORD dst_unused:UNUSED_PAD src0_sel:BYTE_0 src1_sel:DWORD
	s_waitcnt lgkmcnt(0)
	v_mul_lo_u16_sdwa v3, v28, s2 dst_sel:DWORD dst_unused:UNUSED_PAD src0_sel:BYTE_0 src1_sel:DWORD
	v_lshrrev_b16_e32 v2, 11, v2
	v_lshrrev_b16_e32 v3, 11, v3
	v_mul_lo_u16_e32 v2, 10, v2
	v_mul_lo_u16_e32 v3, 10, v3
	v_sub_u16_e32 v2, v23, v2
	v_sub_u16_e32 v3, v28, v3
	v_add_u16_e32 v2, v2, v3
	v_add_u16_e32 v3, -10, v2
	v_min_u16_sdwa v28, v2, v3 dst_sel:DWORD dst_unused:UNUSED_PAD src0_sel:BYTE_0 src1_sel:BYTE_0
.LBB666_623:
	s_or_b64 exec, exec, s[0:1]
	s_waitcnt lgkmcnt(0)
	v_lshl_add_u64 v[2:3], v[18:19], 0, s[12:13]
	flat_store_byte v[2:3], v28
.LBB666_624:
	s_or_b64 exec, exec, s[28:29]
	s_waitcnt lgkmcnt(0)
	flat_load_dwordx2 v[2:3], v[0:1]
	s_movk_i32 s0, 0x80
	s_waitcnt vmcnt(0) lgkmcnt(0)
	flat_load_dword v2, v[2:3]
	s_waitcnt vmcnt(0) lgkmcnt(0)
	v_cmp_eq_u32_e32 vcc, s0, v2
	s_and_saveexec_b64 s[94:95], vcc
	s_cbranch_execz .LBB666_1121
; %bb.625:
	flat_load_dwordx4 v[2:5], v[0:1] offset:8
	flat_load_dwordx4 v[6:9], v[0:1] offset:24
	s_mov_b32 s1, 0
	s_lshl_b32 s0, s12, 15
	s_mov_b32 s13, s1
	v_and_b32_e32 v36, 0x3ff, v31
                                        ; implicit-def: $vgpr37
	s_waitcnt vmcnt(0) lgkmcnt(0)
	flat_load_dwordx2 v[34:35], v[4:5]
	flat_load_dwordx2 v[0:1], v[2:3]
	;; [unrolled: 1-line block ×3, first 2 shown]
	flat_load_ubyte v50, v[8:9]
	s_waitcnt vmcnt(0) lgkmcnt(0)
	v_lshrrev_b64 v[2:3], 15, v[34:35]
	v_cmp_ne_u64_e32 vcc, s[12:13], v[2:3]
	v_lshl_add_u64 v[38:39], v[0:1], 0, s[0:1]
	s_and_saveexec_b64 s[2:3], vcc
	s_xor_b64 s[2:3], exec, s[2:3]
	s_cbranch_execz .LBB666_631
; %bb.626:
	v_mov_b32_e32 v37, 0
	v_lshl_add_u64 v[0:1], v[38:39], 0, v[36:37]
	flat_load_ubyte v167, v[0:1]
	flat_load_ubyte v178, v[0:1] offset:256
	flat_load_ubyte v179, v[0:1] offset:512
	;; [unrolled: 1-line block ×15, first 2 shown]
	s_movk_i32 s1, 0x1000
	v_add_co_u32_e32 v2, vcc, s1, v0
	s_movk_i32 s1, 0x2000
	s_nop 0
	v_addc_co_u32_e32 v3, vcc, 0, v1, vcc
	flat_load_ubyte v209, v[2:3]
	flat_load_ubyte v210, v[2:3] offset:256
	flat_load_ubyte v211, v[2:3] offset:512
	flat_load_ubyte v212, v[2:3] offset:768
	flat_load_ubyte v213, v[2:3] offset:1024
	flat_load_ubyte v214, v[2:3] offset:1280
	flat_load_ubyte v215, v[2:3] offset:1536
	flat_load_ubyte v224, v[2:3] offset:1792
	flat_load_ubyte v225, v[2:3] offset:2048
	flat_load_ubyte v226, v[2:3] offset:2304
	flat_load_ubyte v227, v[2:3] offset:2560
	flat_load_ubyte v228, v[2:3] offset:2816
	flat_load_ubyte v229, v[2:3] offset:3072
	flat_load_ubyte v230, v[2:3] offset:3328
	flat_load_ubyte v231, v[2:3] offset:3584
	flat_load_ubyte v166, v[2:3] offset:3840
	v_add_co_u32_e32 v2, vcc, s1, v0
	s_movk_i32 s1, 0x3000
	s_nop 0
	v_addc_co_u32_e32 v3, vcc, 0, v1, vcc
	flat_load_ubyte v165, v[2:3]
	flat_load_ubyte v164, v[2:3] offset:256
	flat_load_ubyte v163, v[2:3] offset:512
	flat_load_ubyte v162, v[2:3] offset:768
	flat_load_ubyte v161, v[2:3] offset:1024
	flat_load_ubyte v160, v[2:3] offset:1280
	flat_load_ubyte v151, v[2:3] offset:1536
	flat_load_ubyte v150, v[2:3] offset:1792
	flat_load_ubyte v149, v[2:3] offset:2048
	flat_load_ubyte v148, v[2:3] offset:2304
	flat_load_ubyte v147, v[2:3] offset:2560
	flat_load_ubyte v146, v[2:3] offset:2816
	flat_load_ubyte v145, v[2:3] offset:3072
	flat_load_ubyte v144, v[2:3] offset:3328
	flat_load_ubyte v135, v[2:3] offset:3584
	flat_load_ubyte v134, v[2:3] offset:3840
	;; [unrolled: 20-line block ×3, first 2 shown]
	v_add_co_u32_e32 v2, vcc, s1, v0
	s_movk_i32 s1, 0x5000
	s_nop 0
	v_addc_co_u32_e32 v3, vcc, 0, v1, vcc
	v_add_co_u32_e32 v4, vcc, s1, v0
	s_movk_i32 s1, 0x6000
	s_nop 0
	v_addc_co_u32_e32 v5, vcc, 0, v1, vcc
	;; [unrolled: 4-line block ×4, first 2 shown]
	flat_load_ubyte v115, v[2:3]
	flat_load_ubyte v113, v[2:3] offset:256
	flat_load_ubyte v103, v[2:3] offset:512
	;; [unrolled: 1-line block ×15, first 2 shown]
	flat_load_ubyte v69, v[4:5]
	flat_load_ubyte v68, v[4:5] offset:256
	flat_load_ubyte v67, v[4:5] offset:512
	;; [unrolled: 1-line block ×13, first 2 shown]
                                        ; kill: killed $vgpr2 killed $vgpr3
	flat_load_ubyte v38, v[4:5] offset:3584
	flat_load_ubyte v37, v[4:5] offset:3840
	flat_load_ubyte v31, v[6:7]
	flat_load_ubyte v30, v[6:7] offset:256
	flat_load_ubyte v29, v[6:7] offset:512
	;; [unrolled: 1-line block ×12, first 2 shown]
                                        ; kill: killed $vgpr4 killed $vgpr5
	flat_load_ubyte v18, v[6:7] offset:3328
	flat_load_ubyte v17, v[6:7] offset:3584
	flat_load_ubyte v16, v[6:7] offset:3840
	flat_load_ubyte v15, v[176:177]
	flat_load_ubyte v14, v[176:177] offset:256
	flat_load_ubyte v13, v[176:177] offset:512
	;; [unrolled: 1-line block ×5, first 2 shown]
                                        ; kill: killed $vgpr6 killed $vgpr7
	flat_load_ubyte v9, v[176:177] offset:1536
	flat_load_ubyte v8, v[176:177] offset:1792
	s_nop 0
	flat_load_ubyte v7, v[176:177] offset:2048
	flat_load_ubyte v6, v[176:177] offset:2304
	;; [unrolled: 1-line block ×8, first 2 shown]
	s_waitcnt vmcnt(0) lgkmcnt(0)
	v_mul_lo_u16_e32 v177, 0xcd, v167
	v_mul_lo_u16_e32 v176, 0xcd, v178
	v_lshrrev_b16_e32 v176, 11, v176
	v_lshrrev_b16_e32 v177, 11, v177
	v_mul_lo_u16_e32 v176, 10, v176
	v_mul_lo_u16_e32 v177, 10, v177
	v_sub_u16_e32 v176, v178, v176
	v_sub_u16_e32 v167, v167, v177
	v_add_u16_e32 v167, v176, v167
	v_add_u16_e32 v176, -10, v167
	v_min_u16_sdwa v167, v167, v176 dst_sel:DWORD dst_unused:UNUSED_PAD src0_sel:BYTE_0 src1_sel:BYTE_0
	v_mul_lo_u16_e32 v176, 0xcd, v179
	v_mul_lo_u16_e32 v177, 0xcd, v167
	v_lshrrev_b16_e32 v176, 11, v176
	v_lshrrev_b16_e32 v177, 11, v177
	v_mul_lo_u16_e32 v176, 10, v176
	v_mul_lo_u16_e32 v177, 10, v177
	v_sub_u16_e32 v176, v179, v176
	v_sub_u16_e32 v167, v167, v177
	v_add_u16_e32 v167, v167, v176
	v_add_u16_e32 v176, -10, v167
	v_min_u16_sdwa v167, v167, v176 dst_sel:DWORD dst_unused:UNUSED_PAD src0_sel:BYTE_0 src1_sel:BYTE_0
	;; [unrolled: 11-line block ×30, first 2 shown]
	v_mul_lo_u16_e32 v176, 0xcd, v166
	v_lshrrev_b16_e32 v176, 11, v176
	v_mul_lo_u16_e32 v176, 10, v176
	v_sub_u16_e32 v166, v166, v176
	v_mul_lo_u16_e32 v176, 0xcd, v167
	v_lshrrev_b16_e32 v176, 11, v176
	v_mul_lo_u16_e32 v176, 10, v176
	v_sub_u16_e32 v167, v167, v176
	v_add_u16_e32 v166, v167, v166
	v_add_u16_e32 v167, -10, v166
	v_min_u16_sdwa v166, v166, v167 dst_sel:DWORD dst_unused:UNUSED_PAD src0_sel:BYTE_0 src1_sel:BYTE_0
	v_mul_lo_u16_e32 v167, 0xcd, v165
	v_lshrrev_b16_e32 v167, 11, v167
	v_mul_lo_u16_e32 v167, 10, v167
	v_sub_u16_e32 v165, v165, v167
	v_mul_lo_u16_e32 v167, 0xcd, v166
	v_lshrrev_b16_e32 v167, 11, v167
	v_mul_lo_u16_e32 v167, 10, v167
	v_sub_u16_e32 v166, v166, v167
	v_add_u16_e32 v165, v166, v165
	v_add_u16_e32 v166, -10, v165
	v_min_u16_sdwa v165, v165, v166 dst_sel:DWORD dst_unused:UNUSED_PAD src0_sel:BYTE_0 src1_sel:BYTE_0
	;; [unrolled: 11-line block ×33, first 2 shown]
	v_mul_lo_u16_e32 v98, 0xcd, v115
	v_mul_lo_u16_e32 v100, 0xcd, v96
	v_lshrrev_b16_e32 v98, 11, v98
	v_lshrrev_b16_e32 v100, 11, v100
	v_mul_lo_u16_e32 v98, 10, v98
	v_mul_lo_u16_e32 v100, 10, v100
	v_sub_u16_e32 v98, v115, v98
	v_sub_u16_e32 v96, v96, v100
	v_add_u16_e32 v96, v96, v98
	v_add_u16_e32 v98, -10, v96
	v_min_u16_sdwa v96, v96, v98 dst_sel:DWORD dst_unused:UNUSED_PAD src0_sel:BYTE_0 src1_sel:BYTE_0
	v_mul_lo_u16_e32 v98, 0xcd, v113
	v_mul_lo_u16_e32 v100, 0xcd, v96
	v_lshrrev_b16_e32 v98, 11, v98
	v_lshrrev_b16_e32 v100, 11, v100
	v_mul_lo_u16_e32 v98, 10, v98
	v_mul_lo_u16_e32 v100, 10, v100
	v_sub_u16_e32 v98, v113, v98
	v_sub_u16_e32 v96, v96, v100
	v_add_u16_e32 v96, v96, v98
	v_add_u16_e32 v98, -10, v96
	v_min_u16_sdwa v96, v96, v98 dst_sel:DWORD dst_unused:UNUSED_PAD src0_sel:BYTE_0 src1_sel:BYTE_0
	;; [unrolled: 11-line block ×4, first 2 shown]
	v_mul_lo_u16_e32 v98, 0xcd, v99
	v_lshrrev_b16_e32 v98, 11, v98
	v_mul_lo_u16_e32 v98, 10, v98
	v_sub_u16_e32 v98, v99, v98
	v_mul_lo_u16_e32 v99, 0xcd, v96
	v_lshrrev_b16_e32 v99, 11, v99
	v_mul_lo_u16_e32 v99, 10, v99
	v_sub_u16_e32 v96, v96, v99
	v_add_u16_e32 v96, v96, v98
	v_add_u16_e32 v98, -10, v96
	v_min_u16_sdwa v96, v96, v98 dst_sel:DWORD dst_unused:UNUSED_PAD src0_sel:BYTE_0 src1_sel:BYTE_0
	v_mul_lo_u16_e32 v98, 0xcd, v97
	v_lshrrev_b16_e32 v98, 11, v98
	v_mul_lo_u16_e32 v98, 10, v98
	v_sub_u16_e32 v97, v97, v98
	v_mul_lo_u16_e32 v98, 0xcd, v96
	v_lshrrev_b16_e32 v98, 11, v98
	v_mul_lo_u16_e32 v98, 10, v98
	v_sub_u16_e32 v96, v96, v98
	v_add_u16_e32 v96, v96, v97
	v_add_u16_e32 v97, -10, v96
	v_min_u16_sdwa v96, v96, v97 dst_sel:DWORD dst_unused:UNUSED_PAD src0_sel:BYTE_0 src1_sel:BYTE_0
	;; [unrolled: 11-line block ×60, first 2 shown]
	v_mul_lo_u16_e32 v3, 0xcd, v1
	v_lshrrev_b16_e32 v3, 11, v3
	v_mov_b32_dpp v2, v1 quad_perm:[1,0,3,2] row_mask:0xf bank_mask:0xf bound_ctrl:1
	v_mul_lo_u16_e32 v3, 10, v3
	v_sub_u16_e32 v1, v1, v3
	v_mul_lo_u16_sdwa v3, v2, s1 dst_sel:DWORD dst_unused:UNUSED_PAD src0_sel:BYTE_0 src1_sel:DWORD
	v_lshrrev_b16_e32 v3, 11, v3
	v_mul_lo_u16_e32 v3, 10, v3
	v_sub_u16_e32 v2, v2, v3
	v_add_u16_e32 v1, v1, v2
	v_add_u16_e32 v2, -10, v1
	v_min_u16_sdwa v1, v1, v2 dst_sel:DWORD dst_unused:UNUSED_PAD src0_sel:BYTE_0 src1_sel:BYTE_0
	v_mbcnt_lo_u32_b32 v0, -1, 0
	v_mbcnt_hi_u32_b32 v0, -1, v0
	v_mov_b32_dpp v2, v1 quad_perm:[2,3,0,1] row_mask:0xf bank_mask:0xf bound_ctrl:1
	v_mul_lo_u16_sdwa v3, v2, s1 dst_sel:DWORD dst_unused:UNUSED_PAD src0_sel:BYTE_0 src1_sel:DWORD
	v_lshrrev_b16_e32 v3, 11, v3
	v_mul_lo_u16_e32 v3, 10, v3
	v_sub_u16_e32 v2, v2, v3
	v_add_u16_e32 v1, v1, v2
	v_add_u16_e32 v2, -10, v1
	v_min_u16_sdwa v1, v1, v2 dst_sel:DWORD dst_unused:UNUSED_PAD src0_sel:BYTE_0 src1_sel:BYTE_0
	v_mul_lo_u16_e32 v3, 0xcd, v1
	v_lshrrev_b16_e32 v3, 11, v3
	v_mov_b32_dpp v2, v1 row_ror:4 row_mask:0xf bank_mask:0xf bound_ctrl:1
	v_mul_lo_u16_e32 v3, 10, v3
	v_sub_u16_e32 v1, v1, v3
	v_mul_lo_u16_sdwa v3, v2, s1 dst_sel:DWORD dst_unused:UNUSED_PAD src0_sel:BYTE_0 src1_sel:DWORD
	v_lshrrev_b16_e32 v3, 11, v3
	v_mul_lo_u16_e32 v3, 10, v3
	v_sub_u16_e32 v2, v2, v3
	v_add_u16_e32 v1, v1, v2
	v_add_u16_e32 v2, -10, v1
	v_min_u16_sdwa v1, v1, v2 dst_sel:DWORD dst_unused:UNUSED_PAD src0_sel:BYTE_0 src1_sel:BYTE_0
	v_mul_lo_u16_e32 v3, 0xcd, v1
	v_lshrrev_b16_e32 v3, 11, v3
	v_mov_b32_dpp v2, v1 row_ror:8 row_mask:0xf bank_mask:0xf bound_ctrl:1
	v_mul_lo_u16_e32 v3, 10, v3
	v_sub_u16_e32 v1, v1, v3
	v_mul_lo_u16_sdwa v3, v2, s1 dst_sel:DWORD dst_unused:UNUSED_PAD src0_sel:BYTE_0 src1_sel:DWORD
	v_lshrrev_b16_e32 v3, 11, v3
	v_mul_lo_u16_e32 v3, 10, v3
	v_sub_u16_e32 v2, v2, v3
	v_add_u16_e32 v1, v1, v2
	v_add_u16_e32 v2, -10, v1
	v_min_u16_sdwa v1, v1, v2 dst_sel:DWORD dst_unused:UNUSED_PAD src0_sel:BYTE_0 src1_sel:BYTE_0
	v_mul_lo_u16_e32 v3, 0xcd, v1
	v_lshrrev_b16_e32 v3, 11, v3
	v_mov_b32_dpp v2, v1 row_bcast:15 row_mask:0xf bank_mask:0xf bound_ctrl:1
	v_mul_lo_u16_e32 v3, 10, v3
	v_sub_u16_e32 v1, v1, v3
	v_mul_lo_u16_sdwa v3, v2, s1 dst_sel:DWORD dst_unused:UNUSED_PAD src0_sel:BYTE_0 src1_sel:DWORD
	v_lshrrev_b16_e32 v3, 11, v3
	v_mul_lo_u16_e32 v3, 10, v3
	v_sub_u16_e32 v2, v2, v3
	v_add_u16_e32 v1, v1, v2
	v_add_u16_e32 v2, -10, v1
	v_min_u16_sdwa v1, v1, v2 dst_sel:DWORD dst_unused:UNUSED_PAD src0_sel:BYTE_0 src1_sel:BYTE_0
	v_mul_lo_u16_e32 v3, 0xcd, v1
	v_lshrrev_b16_e32 v3, 11, v3
	v_mov_b32_dpp v2, v1 row_bcast:31 row_mask:0xf bank_mask:0xf bound_ctrl:1
	v_mul_lo_u16_e32 v3, 10, v3
	v_sub_u16_e32 v1, v1, v3
	v_mul_lo_u16_sdwa v3, v2, s1 dst_sel:DWORD dst_unused:UNUSED_PAD src0_sel:BYTE_0 src1_sel:DWORD
	v_lshrrev_b16_e32 v3, 11, v3
	v_mul_lo_u16_e32 v3, 10, v3
	v_sub_u16_e32 v2, v2, v3
	v_add_u16_e32 v2, v1, v2
	v_add_u16_e32 v3, -10, v2
	v_lshlrev_b32_e32 v1, 2, v0
	v_or_b32_e32 v4, 0xfc, v1
	v_min_u16_sdwa v2, v2, v3 dst_sel:DWORD dst_unused:UNUSED_PAD src0_sel:BYTE_0 src1_sel:BYTE_0
	ds_bpermute_b32 v37, v4, v2
	v_cmp_eq_u32_e32 vcc, 0, v0
	s_and_saveexec_b64 s[4:5], vcc
	s_cbranch_execz .LBB666_628
; %bb.627:
	v_lshrrev_b32_e32 v2, 6, v36
	s_waitcnt lgkmcnt(0)
	ds_write_b8 v2, v37 offset:4
.LBB666_628:
	s_or_b64 exec, exec, s[4:5]
	v_cmp_gt_u32_e32 vcc, 64, v36
	s_waitcnt lgkmcnt(0)
	s_barrier
	s_and_saveexec_b64 s[4:5], vcc
	s_cbranch_execz .LBB666_630
; %bb.629:
	v_and_b32_e32 v2, 3, v0
	ds_read_u8 v3, v2 offset:4
	v_cmp_ne_u32_e32 vcc, 3, v2
	v_or_b32_e32 v1, 8, v1
	s_waitcnt lgkmcnt(0)
	v_and_b32_e32 v2, 0xffff, v3
	v_addc_co_u32_e32 v0, vcc, 0, v0, vcc
	v_lshlrev_b32_e32 v0, 2, v0
	ds_bpermute_b32 v0, v0, v2
	v_mul_lo_u16_e32 v2, 0xcd, v3
	v_lshrrev_b16_e32 v2, 11, v2
	v_mul_lo_u16_e32 v2, 10, v2
	v_sub_u16_e32 v2, v3, v2
	s_waitcnt lgkmcnt(0)
	v_mul_lo_u16_sdwa v4, v0, s1 dst_sel:DWORD dst_unused:UNUSED_PAD src0_sel:BYTE_0 src1_sel:DWORD
	v_lshrrev_b16_e32 v4, 11, v4
	v_mul_lo_u16_e32 v4, 10, v4
	v_sub_u16_e32 v0, v0, v4
	v_add_u16_e32 v0, v0, v2
	v_add_u16_e32 v2, -10, v0
	v_min_u16_sdwa v0, v0, v2 dst_sel:DWORD dst_unused:UNUSED_PAD src0_sel:BYTE_0 src1_sel:BYTE_0
	ds_bpermute_b32 v1, v1, v0
	s_waitcnt lgkmcnt(0)
	v_mul_lo_u16_sdwa v2, v1, s1 dst_sel:DWORD dst_unused:UNUSED_PAD src0_sel:BYTE_0 src1_sel:DWORD
	v_lshrrev_b16_e32 v2, 11, v2
	v_mul_lo_u16_e32 v2, 10, v2
	v_sub_u16_e32 v1, v1, v2
	v_add_u16_e32 v0, v0, v1
	v_add_u16_e32 v1, -10, v0
	v_min_u16_sdwa v37, v0, v1 dst_sel:DWORD dst_unused:UNUSED_PAD src0_sel:BYTE_0 src1_sel:BYTE_0
.LBB666_630:
	s_or_b64 exec, exec, s[4:5]
                                        ; implicit-def: $vgpr38_vgpr39
.LBB666_631:
	s_or_saveexec_b64 s[2:3], s[2:3]
	v_writelane_b32 v43, s2, 0
	s_nop 1
	v_writelane_b32 v43, s3, 1
	s_xor_b64 exec, exec, s[2:3]
	s_cbranch_execz .LBB666_1117
; %bb.632:
	v_subrev_u32_e32 v51, s0, v34
	v_mov_b32_e32 v0, 0
	v_cmp_lt_u32_e32 vcc, v36, v51
	v_mov_b32_e32 v1, v0
	v_mov_b32_e32 v2, v0
	;; [unrolled: 1-line block ×31, first 2 shown]
	s_and_saveexec_b64 s[0:1], vcc
	s_cbranch_execz .LBB666_634
; %bb.633:
	v_mov_b32_e32 v37, v0
	v_lshl_add_u64 v[2:3], v[38:39], 0, v[36:37]
	flat_load_ubyte a0, v[2:3]
	v_accvgpr_write_b32 a1, v0
	v_accvgpr_write_b32 a2, v0
	;; [unrolled: 1-line block ×31, first 2 shown]
	s_waitcnt vmcnt(0) lgkmcnt(0)
	v_accvgpr_read_b32 v0, a0
	v_accvgpr_read_b32 v1, a1
	;; [unrolled: 1-line block ×32, first 2 shown]
.LBB666_634:
	s_or_b64 exec, exec, s[0:1]
	v_add_u32_e32 v37, 0x100, v36
	v_cmp_lt_u32_e64 s[2:3], v37, v51
	s_mov_b64 s[0:1], exec
	s_nop 0
	v_writelane_b32 v43, s2, 2
	s_nop 1
	v_writelane_b32 v43, s3, 3
	s_and_b64 s[2:3], s[0:1], s[2:3]
	s_mov_b64 exec, s[2:3]
	s_cbranch_execz .LBB666_636
; %bb.635:
	v_mov_b32_e32 v37, 0
	v_lshl_add_u64 v[48:49], v[38:39], 0, v[36:37]
	flat_load_ubyte v37, v[48:49] offset:256
	s_mov_b32 s2, 0x7060004
	s_waitcnt vmcnt(0) lgkmcnt(0)
	v_perm_b32 v0, v0, v37, s2
.LBB666_636:
	s_or_b64 exec, exec, s[0:1]
	v_add_u32_e32 v37, 0x200, v36
	v_cmp_lt_u32_e64 s[2:3], v37, v51
	s_mov_b64 s[0:1], exec
	s_nop 0
	v_writelane_b32 v43, s2, 4
	s_nop 1
	v_writelane_b32 v43, s3, 5
	s_and_b64 s[2:3], s[0:1], s[2:3]
	s_mov_b64 exec, s[2:3]
	s_cbranch_execz .LBB666_638
; %bb.637:
	v_mov_b32_e32 v37, 0
	v_lshl_add_u64 v[48:49], v[38:39], 0, v[36:37]
	flat_load_ubyte v37, v[48:49] offset:512
	s_mov_b32 s2, 0x7000504
	s_waitcnt vmcnt(0) lgkmcnt(0)
	v_perm_b32 v0, v0, v37, s2
.LBB666_638:
	;; [unrolled: 19-line block ×3, first 2 shown]
	s_or_b64 exec, exec, s[0:1]
	v_or_b32_e32 v37, 0x400, v36
	v_cmp_lt_u32_e64 s[2:3], v37, v51
	s_mov_b64 s[0:1], exec
	s_nop 0
	v_writelane_b32 v43, s2, 8
	s_nop 1
	v_writelane_b32 v43, s3, 9
	s_and_b64 s[2:3], s[0:1], s[2:3]
	s_mov_b64 exec, s[2:3]
	s_cbranch_execz .LBB666_642
; %bb.641:
	v_mov_b32_e32 v37, 0
	v_lshl_add_u64 v[48:49], v[38:39], 0, v[36:37]
	flat_load_ubyte v37, v[48:49] offset:1024
	s_mov_b32 s2, 0x3020104
	s_waitcnt vmcnt(0) lgkmcnt(0)
	v_perm_b32 v1, v37, v1, s2
.LBB666_642:
	s_or_b64 exec, exec, s[0:1]
	v_add_u32_e32 v37, 0x500, v36
	v_cmp_lt_u32_e64 s[2:3], v37, v51
	s_mov_b64 s[0:1], exec
	s_nop 0
	v_writelane_b32 v43, s2, 10
	s_nop 1
	v_writelane_b32 v43, s3, 11
	s_and_b64 s[2:3], s[0:1], s[2:3]
	s_mov_b64 exec, s[2:3]
	s_cbranch_execz .LBB666_644
; %bb.643:
	v_mov_b32_e32 v37, 0
	v_lshl_add_u64 v[48:49], v[38:39], 0, v[36:37]
	flat_load_ubyte v37, v[48:49] offset:1280
	s_mov_b32 s2, 0x7060004
	s_waitcnt vmcnt(0) lgkmcnt(0)
	v_perm_b32 v1, v1, v37, s2
.LBB666_644:
	s_or_b64 exec, exec, s[0:1]
	v_add_u32_e32 v37, 0x600, v36
	;; [unrolled: 19-line block ×3, first 2 shown]
	v_cmp_lt_u32_e64 s[2:3], v37, v51
	s_mov_b64 s[0:1], exec
	s_nop 0
	v_writelane_b32 v43, s2, 14
	s_nop 1
	v_writelane_b32 v43, s3, 15
	s_and_b64 s[2:3], s[0:1], s[2:3]
	s_mov_b64 exec, s[2:3]
	s_cbranch_execz .LBB666_648
; %bb.647:
	v_mov_b32_e32 v37, 0
	v_lshl_add_u64 v[48:49], v[38:39], 0, v[36:37]
	flat_load_ubyte v37, v[48:49] offset:1792
	s_mov_b32 s2, 0x60504
	s_waitcnt vmcnt(0) lgkmcnt(0)
	v_perm_b32 v1, v1, v37, s2
.LBB666_648:
	s_or_b64 exec, exec, s[0:1]
	v_or_b32_e32 v37, 0x800, v36
	v_cmp_lt_u32_e64 s[2:3], v37, v51
	s_mov_b64 s[0:1], exec
	s_nop 0
	v_writelane_b32 v43, s2, 16
	s_nop 1
	v_writelane_b32 v43, s3, 17
	s_and_b64 s[2:3], s[0:1], s[2:3]
	s_mov_b64 exec, s[2:3]
	s_cbranch_execz .LBB666_650
; %bb.649:
	v_mov_b32_e32 v37, 0
	v_lshl_add_u64 v[48:49], v[38:39], 0, v[36:37]
	flat_load_ubyte v37, v[48:49] offset:2048
	s_mov_b32 s2, 0x3020104
	s_waitcnt vmcnt(0) lgkmcnt(0)
	v_perm_b32 v2, v37, v2, s2
.LBB666_650:
	s_or_b64 exec, exec, s[0:1]
	v_add_u32_e32 v37, 0x900, v36
	v_cmp_lt_u32_e64 s[2:3], v37, v51
	s_mov_b64 s[0:1], exec
	s_nop 0
	v_writelane_b32 v43, s2, 18
	s_nop 1
	v_writelane_b32 v43, s3, 19
	s_and_b64 s[2:3], s[0:1], s[2:3]
	s_mov_b64 exec, s[2:3]
	s_cbranch_execz .LBB666_652
; %bb.651:
	v_mov_b32_e32 v37, 0
	v_lshl_add_u64 v[48:49], v[38:39], 0, v[36:37]
	flat_load_ubyte v37, v[48:49] offset:2304
	s_mov_b32 s2, 0x7060004
	s_waitcnt vmcnt(0) lgkmcnt(0)
	v_perm_b32 v2, v2, v37, s2
.LBB666_652:
	s_or_b64 exec, exec, s[0:1]
	v_add_u32_e32 v37, 0xa00, v36
	;; [unrolled: 19-line block ×3, first 2 shown]
	v_cmp_lt_u32_e64 s[2:3], v37, v51
	s_mov_b64 s[0:1], exec
	s_nop 0
	v_writelane_b32 v43, s2, 22
	s_nop 1
	v_writelane_b32 v43, s3, 23
	s_and_b64 s[2:3], s[0:1], s[2:3]
	s_mov_b64 exec, s[2:3]
	s_cbranch_execz .LBB666_656
; %bb.655:
	v_mov_b32_e32 v37, 0
	v_lshl_add_u64 v[48:49], v[38:39], 0, v[36:37]
	flat_load_ubyte v37, v[48:49] offset:2816
	s_mov_b32 s2, 0x60504
	s_waitcnt vmcnt(0) lgkmcnt(0)
	v_perm_b32 v2, v2, v37, s2
.LBB666_656:
	s_or_b64 exec, exec, s[0:1]
	v_or_b32_e32 v37, 0xc00, v36
	v_cmp_lt_u32_e64 s[2:3], v37, v51
	s_mov_b64 s[0:1], exec
	s_nop 0
	v_writelane_b32 v43, s2, 24
	s_nop 1
	v_writelane_b32 v43, s3, 25
	s_and_b64 s[2:3], s[0:1], s[2:3]
	s_mov_b64 exec, s[2:3]
	s_cbranch_execz .LBB666_658
; %bb.657:
	v_mov_b32_e32 v37, 0
	v_lshl_add_u64 v[48:49], v[38:39], 0, v[36:37]
	flat_load_ubyte v37, v[48:49] offset:3072
	s_mov_b32 s2, 0x3020104
	s_waitcnt vmcnt(0) lgkmcnt(0)
	v_perm_b32 v3, v37, v3, s2
.LBB666_658:
	s_or_b64 exec, exec, s[0:1]
	v_add_u32_e32 v37, 0xd00, v36
	v_cmp_lt_u32_e64 s[2:3], v37, v51
	s_mov_b64 s[0:1], exec
	s_nop 0
	v_writelane_b32 v43, s2, 26
	s_nop 1
	v_writelane_b32 v43, s3, 27
	s_and_b64 s[2:3], s[0:1], s[2:3]
	s_mov_b64 exec, s[2:3]
	s_cbranch_execz .LBB666_660
; %bb.659:
	v_mov_b32_e32 v37, 0
	v_lshl_add_u64 v[48:49], v[38:39], 0, v[36:37]
	flat_load_ubyte v37, v[48:49] offset:3328
	s_mov_b32 s2, 0x7060004
	s_waitcnt vmcnt(0) lgkmcnt(0)
	v_perm_b32 v3, v3, v37, s2
.LBB666_660:
	s_or_b64 exec, exec, s[0:1]
	v_add_u32_e32 v37, 0xe00, v36
	;; [unrolled: 19-line block ×3, first 2 shown]
	v_cmp_lt_u32_e64 s[2:3], v37, v51
	s_mov_b64 s[0:1], exec
	s_nop 0
	v_writelane_b32 v43, s2, 30
	s_nop 1
	v_writelane_b32 v43, s3, 31
	s_and_b64 s[2:3], s[0:1], s[2:3]
	s_mov_b64 exec, s[2:3]
	s_cbranch_execz .LBB666_664
; %bb.663:
	v_mov_b32_e32 v37, 0
	v_lshl_add_u64 v[48:49], v[38:39], 0, v[36:37]
	flat_load_ubyte v37, v[48:49] offset:3840
	s_mov_b32 s2, 0x60504
	s_waitcnt vmcnt(0) lgkmcnt(0)
	v_perm_b32 v3, v3, v37, s2
.LBB666_664:
	s_or_b64 exec, exec, s[0:1]
	v_or_b32_e32 v48, 0x1000, v36
	v_cmp_lt_u32_e64 s[2:3], v48, v51
	s_mov_b64 s[0:1], exec
	s_nop 0
	v_writelane_b32 v43, s2, 32
	s_nop 1
	v_writelane_b32 v43, s3, 33
	s_and_b64 s[2:3], s[0:1], s[2:3]
	s_mov_b64 exec, s[2:3]
	s_cbranch_execz .LBB666_666
; %bb.665:
	v_mov_b32_e32 v49, 0
	v_lshl_add_u64 v[48:49], v[38:39], 0, v[48:49]
	flat_load_ubyte v37, v[48:49]
	s_mov_b32 s2, 0x3020104
	s_waitcnt vmcnt(0) lgkmcnt(0)
	v_perm_b32 v4, v37, v4, s2
.LBB666_666:
	s_or_b64 exec, exec, s[0:1]
	v_add_u32_e32 v48, 0x1100, v36
	v_cmp_lt_u32_e64 s[2:3], v48, v51
	s_mov_b64 s[0:1], exec
	s_nop 0
	v_writelane_b32 v43, s2, 34
	s_nop 1
	v_writelane_b32 v43, s3, 35
	s_and_b64 s[2:3], s[0:1], s[2:3]
	s_mov_b64 exec, s[2:3]
	s_cbranch_execz .LBB666_668
; %bb.667:
	v_mov_b32_e32 v49, 0
	v_lshl_add_u64 v[48:49], v[38:39], 0, v[48:49]
	flat_load_ubyte v37, v[48:49]
	s_mov_b32 s2, 0x7060004
	s_waitcnt vmcnt(0) lgkmcnt(0)
	v_perm_b32 v4, v4, v37, s2
.LBB666_668:
	s_or_b64 exec, exec, s[0:1]
	v_add_u32_e32 v48, 0x1200, v36
	;; [unrolled: 19-line block ×3, first 2 shown]
	v_cmp_lt_u32_e64 s[2:3], v48, v51
	s_mov_b64 s[0:1], exec
	s_nop 0
	v_writelane_b32 v43, s2, 38
	s_nop 1
	v_writelane_b32 v43, s3, 39
	s_and_b64 s[2:3], s[0:1], s[2:3]
	s_mov_b64 exec, s[2:3]
	s_cbranch_execz .LBB666_672
; %bb.671:
	v_mov_b32_e32 v49, 0
	v_lshl_add_u64 v[48:49], v[38:39], 0, v[48:49]
	flat_load_ubyte v37, v[48:49]
	s_mov_b32 s2, 0x60504
	s_waitcnt vmcnt(0) lgkmcnt(0)
	v_perm_b32 v4, v4, v37, s2
.LBB666_672:
	s_or_b64 exec, exec, s[0:1]
	v_or_b32_e32 v48, 0x1400, v36
	v_cmp_lt_u32_e64 s[2:3], v48, v51
	s_mov_b64 s[0:1], exec
	s_nop 0
	v_writelane_b32 v43, s2, 40
	s_nop 1
	v_writelane_b32 v43, s3, 41
	s_and_b64 s[2:3], s[0:1], s[2:3]
	s_mov_b64 exec, s[2:3]
	s_cbranch_execz .LBB666_674
; %bb.673:
	v_mov_b32_e32 v49, 0
	v_lshl_add_u64 v[48:49], v[38:39], 0, v[48:49]
	flat_load_ubyte v37, v[48:49]
	s_mov_b32 s2, 0x3020104
	s_waitcnt vmcnt(0) lgkmcnt(0)
	v_perm_b32 v5, v37, v5, s2
.LBB666_674:
	s_or_b64 exec, exec, s[0:1]
	v_add_u32_e32 v48, 0x1500, v36
	v_cmp_lt_u32_e64 s[2:3], v48, v51
	s_mov_b64 s[0:1], exec
	s_nop 0
	v_writelane_b32 v43, s2, 42
	s_nop 1
	v_writelane_b32 v43, s3, 43
	s_and_b64 s[2:3], s[0:1], s[2:3]
	s_mov_b64 exec, s[2:3]
	s_cbranch_execz .LBB666_676
; %bb.675:
	v_mov_b32_e32 v49, 0
	v_lshl_add_u64 v[48:49], v[38:39], 0, v[48:49]
	flat_load_ubyte v37, v[48:49]
	s_mov_b32 s2, 0x7060004
	s_waitcnt vmcnt(0) lgkmcnt(0)
	v_perm_b32 v5, v5, v37, s2
.LBB666_676:
	s_or_b64 exec, exec, s[0:1]
	v_add_u32_e32 v48, 0x1600, v36
	;; [unrolled: 19-line block ×3, first 2 shown]
	v_cmp_lt_u32_e64 s[2:3], v48, v51
	s_mov_b64 s[0:1], exec
	s_nop 0
	v_writelane_b32 v43, s2, 46
	s_nop 1
	v_writelane_b32 v43, s3, 47
	s_and_b64 s[2:3], s[0:1], s[2:3]
	s_mov_b64 exec, s[2:3]
	s_cbranch_execz .LBB666_680
; %bb.679:
	v_mov_b32_e32 v49, 0
	v_lshl_add_u64 v[48:49], v[38:39], 0, v[48:49]
	flat_load_ubyte v37, v[48:49]
	s_mov_b32 s2, 0x60504
	s_waitcnt vmcnt(0) lgkmcnt(0)
	v_perm_b32 v5, v5, v37, s2
.LBB666_680:
	s_or_b64 exec, exec, s[0:1]
	v_or_b32_e32 v48, 0x1800, v36
	v_cmp_lt_u32_e64 s[2:3], v48, v51
	s_mov_b64 s[0:1], exec
	s_nop 0
	v_writelane_b32 v43, s2, 48
	s_nop 1
	v_writelane_b32 v43, s3, 49
	s_and_b64 s[2:3], s[0:1], s[2:3]
	s_mov_b64 exec, s[2:3]
	s_cbranch_execz .LBB666_682
; %bb.681:
	v_mov_b32_e32 v49, 0
	v_lshl_add_u64 v[48:49], v[38:39], 0, v[48:49]
	flat_load_ubyte v37, v[48:49]
	s_mov_b32 s2, 0x3020104
	s_waitcnt vmcnt(0) lgkmcnt(0)
	v_perm_b32 v6, v37, v6, s2
.LBB666_682:
	s_or_b64 exec, exec, s[0:1]
	v_add_u32_e32 v48, 0x1900, v36
	v_cmp_lt_u32_e64 s[2:3], v48, v51
	s_mov_b64 s[0:1], exec
	s_nop 0
	v_writelane_b32 v43, s2, 50
	s_nop 1
	v_writelane_b32 v43, s3, 51
	s_and_b64 s[2:3], s[0:1], s[2:3]
	s_mov_b64 exec, s[2:3]
	s_cbranch_execz .LBB666_684
; %bb.683:
	v_mov_b32_e32 v49, 0
	v_lshl_add_u64 v[48:49], v[38:39], 0, v[48:49]
	flat_load_ubyte v37, v[48:49]
	s_mov_b32 s2, 0x7060004
	s_waitcnt vmcnt(0) lgkmcnt(0)
	v_perm_b32 v6, v6, v37, s2
.LBB666_684:
	s_or_b64 exec, exec, s[0:1]
	v_add_u32_e32 v48, 0x1a00, v36
	;; [unrolled: 19-line block ×3, first 2 shown]
	v_cmp_lt_u32_e64 s[2:3], v48, v51
	s_mov_b64 s[0:1], exec
	s_nop 0
	v_writelane_b32 v43, s2, 54
	s_nop 1
	v_writelane_b32 v43, s3, 55
	s_and_b64 s[2:3], s[0:1], s[2:3]
	s_mov_b64 exec, s[2:3]
	s_cbranch_execz .LBB666_688
; %bb.687:
	v_mov_b32_e32 v49, 0
	v_lshl_add_u64 v[48:49], v[38:39], 0, v[48:49]
	flat_load_ubyte v37, v[48:49]
	s_mov_b32 s2, 0x60504
	s_waitcnt vmcnt(0) lgkmcnt(0)
	v_perm_b32 v6, v6, v37, s2
.LBB666_688:
	s_or_b64 exec, exec, s[0:1]
	v_or_b32_e32 v48, 0x1c00, v36
	v_cmp_lt_u32_e64 s[2:3], v48, v51
	s_mov_b64 s[0:1], exec
	s_nop 0
	v_writelane_b32 v43, s2, 56
	s_nop 1
	v_writelane_b32 v43, s3, 57
	s_and_b64 s[2:3], s[0:1], s[2:3]
	s_mov_b64 exec, s[2:3]
	s_cbranch_execz .LBB666_690
; %bb.689:
	v_mov_b32_e32 v49, 0
	v_lshl_add_u64 v[48:49], v[38:39], 0, v[48:49]
	flat_load_ubyte v37, v[48:49]
	s_mov_b32 s2, 0x3020104
	s_waitcnt vmcnt(0) lgkmcnt(0)
	v_perm_b32 v7, v37, v7, s2
.LBB666_690:
	s_or_b64 exec, exec, s[0:1]
	v_add_u32_e32 v48, 0x1d00, v36
	v_cmp_lt_u32_e64 s[2:3], v48, v51
	s_mov_b64 s[0:1], exec
	s_nop 0
	v_writelane_b32 v43, s2, 58
	s_nop 1
	v_writelane_b32 v43, s3, 59
	s_and_b64 s[2:3], s[0:1], s[2:3]
	s_mov_b64 exec, s[2:3]
	s_cbranch_execz .LBB666_692
; %bb.691:
	v_mov_b32_e32 v49, 0
	v_lshl_add_u64 v[48:49], v[38:39], 0, v[48:49]
	flat_load_ubyte v37, v[48:49]
	s_mov_b32 s2, 0x7060004
	s_waitcnt vmcnt(0) lgkmcnt(0)
	v_perm_b32 v7, v7, v37, s2
.LBB666_692:
	s_or_b64 exec, exec, s[0:1]
	v_add_u32_e32 v48, 0x1e00, v36
	;; [unrolled: 19-line block ×3, first 2 shown]
	v_cmp_lt_u32_e64 s[2:3], v48, v51
	s_mov_b64 s[0:1], exec
	s_nop 0
	v_writelane_b32 v43, s2, 62
	s_nop 1
	v_writelane_b32 v43, s3, 63
	s_and_b64 s[2:3], s[0:1], s[2:3]
	s_mov_b64 exec, s[2:3]
	s_cbranch_execz .LBB666_696
; %bb.695:
	v_mov_b32_e32 v49, 0
	v_lshl_add_u64 v[48:49], v[38:39], 0, v[48:49]
	flat_load_ubyte v37, v[48:49]
	s_mov_b32 s2, 0x60504
	s_waitcnt vmcnt(0) lgkmcnt(0)
	v_perm_b32 v7, v7, v37, s2
.LBB666_696:
	s_or_b64 exec, exec, s[0:1]
	v_or_b32_e32 v48, 0x2000, v36
	v_cmp_lt_u32_e64 s[2:3], v48, v51
	s_mov_b64 s[0:1], exec
                                        ; implicit-def: $vgpr42 : SGPR spill to VGPR lane
	s_nop 0
	v_writelane_b32 v42, s2, 0
	s_nop 1
	v_writelane_b32 v42, s3, 1
	s_and_b64 s[2:3], s[0:1], s[2:3]
	s_mov_b64 exec, s[2:3]
	s_cbranch_execz .LBB666_698
; %bb.697:
	v_mov_b32_e32 v49, 0
	v_lshl_add_u64 v[48:49], v[38:39], 0, v[48:49]
	flat_load_ubyte v37, v[48:49]
	s_mov_b32 s2, 0x3020104
	s_waitcnt vmcnt(0) lgkmcnt(0)
	v_perm_b32 v8, v37, v8, s2
.LBB666_698:
	s_or_b64 exec, exec, s[0:1]
	v_add_u32_e32 v48, 0x2100, v36
	v_cmp_lt_u32_e64 s[2:3], v48, v51
	s_mov_b64 s[0:1], exec
	s_nop 0
	v_writelane_b32 v42, s2, 2
	s_nop 1
	v_writelane_b32 v42, s3, 3
	s_and_b64 s[2:3], s[0:1], s[2:3]
	s_mov_b64 exec, s[2:3]
	s_cbranch_execz .LBB666_700
; %bb.699:
	v_mov_b32_e32 v49, 0
	v_lshl_add_u64 v[48:49], v[38:39], 0, v[48:49]
	flat_load_ubyte v37, v[48:49]
	s_mov_b32 s2, 0x7060004
	s_waitcnt vmcnt(0) lgkmcnt(0)
	v_perm_b32 v8, v8, v37, s2
.LBB666_700:
	s_or_b64 exec, exec, s[0:1]
	v_add_u32_e32 v48, 0x2200, v36
	v_cmp_lt_u32_e64 s[2:3], v48, v51
	s_mov_b64 s[0:1], exec
	;; [unrolled: 19-line block ×3, first 2 shown]
	s_nop 0
	v_writelane_b32 v42, s2, 6
	s_nop 1
	v_writelane_b32 v42, s3, 7
	s_and_b64 s[2:3], s[0:1], s[2:3]
	s_mov_b64 exec, s[2:3]
	s_cbranch_execz .LBB666_704
; %bb.703:
	v_mov_b32_e32 v49, 0
	v_lshl_add_u64 v[48:49], v[38:39], 0, v[48:49]
	flat_load_ubyte v37, v[48:49]
	s_mov_b32 s2, 0x60504
	s_waitcnt vmcnt(0) lgkmcnt(0)
	v_perm_b32 v8, v8, v37, s2
.LBB666_704:
	s_or_b64 exec, exec, s[0:1]
	v_or_b32_e32 v48, 0x2400, v36
	v_cmp_lt_u32_e64 s[2:3], v48, v51
	s_mov_b64 s[0:1], exec
	s_nop 0
	v_writelane_b32 v42, s2, 8
	s_nop 1
	v_writelane_b32 v42, s3, 9
	s_and_b64 s[2:3], s[0:1], s[2:3]
	s_mov_b64 exec, s[2:3]
	s_cbranch_execz .LBB666_706
; %bb.705:
	v_mov_b32_e32 v49, 0
	v_lshl_add_u64 v[48:49], v[38:39], 0, v[48:49]
	flat_load_ubyte v37, v[48:49]
	s_mov_b32 s2, 0x3020104
	s_waitcnt vmcnt(0) lgkmcnt(0)
	v_perm_b32 v9, v37, v9, s2
.LBB666_706:
	s_or_b64 exec, exec, s[0:1]
	v_add_u32_e32 v48, 0x2500, v36
	v_cmp_lt_u32_e64 s[2:3], v48, v51
	s_mov_b64 s[0:1], exec
	s_nop 0
	v_writelane_b32 v42, s2, 10
	s_nop 1
	v_writelane_b32 v42, s3, 11
	s_and_b64 s[2:3], s[0:1], s[2:3]
	s_mov_b64 exec, s[2:3]
	s_cbranch_execz .LBB666_708
; %bb.707:
	v_mov_b32_e32 v49, 0
	v_lshl_add_u64 v[48:49], v[38:39], 0, v[48:49]
	flat_load_ubyte v37, v[48:49]
	s_mov_b32 s2, 0x7060004
	s_waitcnt vmcnt(0) lgkmcnt(0)
	v_perm_b32 v9, v9, v37, s2
.LBB666_708:
	s_or_b64 exec, exec, s[0:1]
	v_add_u32_e32 v48, 0x2600, v36
	;; [unrolled: 19-line block ×3, first 2 shown]
	v_cmp_lt_u32_e64 s[2:3], v48, v51
	s_mov_b64 s[0:1], exec
	s_nop 0
	v_writelane_b32 v42, s2, 14
	s_nop 1
	v_writelane_b32 v42, s3, 15
	s_and_b64 s[2:3], s[0:1], s[2:3]
	s_mov_b64 exec, s[2:3]
	s_cbranch_execz .LBB666_712
; %bb.711:
	v_mov_b32_e32 v49, 0
	v_lshl_add_u64 v[48:49], v[38:39], 0, v[48:49]
	flat_load_ubyte v37, v[48:49]
	s_mov_b32 s2, 0x60504
	s_waitcnt vmcnt(0) lgkmcnt(0)
	v_perm_b32 v9, v9, v37, s2
.LBB666_712:
	s_or_b64 exec, exec, s[0:1]
	v_or_b32_e32 v48, 0x2800, v36
	v_cmp_lt_u32_e64 s[2:3], v48, v51
	s_mov_b64 s[0:1], exec
	s_nop 0
	v_writelane_b32 v42, s2, 16
	s_nop 1
	v_writelane_b32 v42, s3, 17
	s_and_b64 s[2:3], s[0:1], s[2:3]
	s_mov_b64 exec, s[2:3]
	s_cbranch_execz .LBB666_714
; %bb.713:
	v_mov_b32_e32 v49, 0
	v_lshl_add_u64 v[48:49], v[38:39], 0, v[48:49]
	flat_load_ubyte v37, v[48:49]
	s_mov_b32 s2, 0x3020104
	s_waitcnt vmcnt(0) lgkmcnt(0)
	v_perm_b32 v10, v37, v10, s2
.LBB666_714:
	s_or_b64 exec, exec, s[0:1]
	v_add_u32_e32 v48, 0x2900, v36
	v_cmp_lt_u32_e64 s[2:3], v48, v51
	s_mov_b64 s[0:1], exec
	s_nop 0
	v_writelane_b32 v42, s2, 18
	s_nop 1
	v_writelane_b32 v42, s3, 19
	s_and_b64 s[2:3], s[0:1], s[2:3]
	s_mov_b64 exec, s[2:3]
	s_cbranch_execz .LBB666_716
; %bb.715:
	v_mov_b32_e32 v49, 0
	v_lshl_add_u64 v[48:49], v[38:39], 0, v[48:49]
	flat_load_ubyte v37, v[48:49]
	s_mov_b32 s2, 0x7060004
	s_waitcnt vmcnt(0) lgkmcnt(0)
	v_perm_b32 v10, v10, v37, s2
.LBB666_716:
	s_or_b64 exec, exec, s[0:1]
	v_add_u32_e32 v48, 0x2a00, v36
	;; [unrolled: 19-line block ×3, first 2 shown]
	v_cmp_lt_u32_e64 s[2:3], v48, v51
	s_mov_b64 s[0:1], exec
	s_nop 0
	v_writelane_b32 v42, s2, 22
	s_nop 1
	v_writelane_b32 v42, s3, 23
	s_and_b64 s[2:3], s[0:1], s[2:3]
	s_mov_b64 exec, s[2:3]
	s_cbranch_execz .LBB666_720
; %bb.719:
	v_mov_b32_e32 v49, 0
	v_lshl_add_u64 v[48:49], v[38:39], 0, v[48:49]
	flat_load_ubyte v37, v[48:49]
	s_mov_b32 s2, 0x60504
	s_waitcnt vmcnt(0) lgkmcnt(0)
	v_perm_b32 v10, v10, v37, s2
.LBB666_720:
	s_or_b64 exec, exec, s[0:1]
	v_or_b32_e32 v48, 0x2c00, v36
	v_cmp_lt_u32_e64 s[2:3], v48, v51
	s_mov_b64 s[0:1], exec
	s_nop 0
	v_writelane_b32 v42, s2, 24
	s_nop 1
	v_writelane_b32 v42, s3, 25
	s_and_b64 s[2:3], s[0:1], s[2:3]
	s_mov_b64 exec, s[2:3]
	s_cbranch_execz .LBB666_722
; %bb.721:
	v_mov_b32_e32 v49, 0
	v_lshl_add_u64 v[48:49], v[38:39], 0, v[48:49]
	flat_load_ubyte v37, v[48:49]
	s_mov_b32 s2, 0x3020104
	s_waitcnt vmcnt(0) lgkmcnt(0)
	v_perm_b32 v11, v37, v11, s2
.LBB666_722:
	s_or_b64 exec, exec, s[0:1]
	v_add_u32_e32 v48, 0x2d00, v36
	v_cmp_lt_u32_e64 s[2:3], v48, v51
	s_mov_b64 s[0:1], exec
	s_nop 0
	v_writelane_b32 v42, s2, 26
	s_nop 1
	v_writelane_b32 v42, s3, 27
	s_and_b64 s[2:3], s[0:1], s[2:3]
	s_mov_b64 exec, s[2:3]
	s_cbranch_execz .LBB666_724
; %bb.723:
	v_mov_b32_e32 v49, 0
	v_lshl_add_u64 v[48:49], v[38:39], 0, v[48:49]
	flat_load_ubyte v37, v[48:49]
	s_mov_b32 s2, 0x7060004
	s_waitcnt vmcnt(0) lgkmcnt(0)
	v_perm_b32 v11, v11, v37, s2
.LBB666_724:
	s_or_b64 exec, exec, s[0:1]
	v_add_u32_e32 v48, 0x2e00, v36
	;; [unrolled: 19-line block ×3, first 2 shown]
	v_cmp_lt_u32_e64 s[2:3], v48, v51
	s_mov_b64 s[0:1], exec
	s_nop 0
	v_writelane_b32 v42, s2, 30
	s_nop 1
	v_writelane_b32 v42, s3, 31
	s_and_b64 s[2:3], s[0:1], s[2:3]
	s_mov_b64 exec, s[2:3]
	s_cbranch_execz .LBB666_728
; %bb.727:
	v_mov_b32_e32 v49, 0
	v_lshl_add_u64 v[48:49], v[38:39], 0, v[48:49]
	flat_load_ubyte v37, v[48:49]
	s_mov_b32 s2, 0x60504
	s_waitcnt vmcnt(0) lgkmcnt(0)
	v_perm_b32 v11, v11, v37, s2
.LBB666_728:
	s_or_b64 exec, exec, s[0:1]
	v_or_b32_e32 v48, 0x3000, v36
	v_cmp_lt_u32_e64 s[2:3], v48, v51
	s_mov_b64 s[0:1], exec
	s_nop 0
	v_writelane_b32 v42, s2, 32
	s_nop 1
	v_writelane_b32 v42, s3, 33
	s_and_b64 s[2:3], s[0:1], s[2:3]
	s_mov_b64 exec, s[2:3]
	s_cbranch_execz .LBB666_730
; %bb.729:
	v_mov_b32_e32 v49, 0
	v_lshl_add_u64 v[48:49], v[38:39], 0, v[48:49]
	flat_load_ubyte v37, v[48:49]
	s_mov_b32 s2, 0x3020104
	s_waitcnt vmcnt(0) lgkmcnt(0)
	v_perm_b32 v12, v37, v12, s2
.LBB666_730:
	s_or_b64 exec, exec, s[0:1]
	v_add_u32_e32 v48, 0x3100, v36
	v_cmp_lt_u32_e64 s[2:3], v48, v51
	s_mov_b64 s[0:1], exec
	s_nop 0
	v_writelane_b32 v42, s2, 34
	s_nop 1
	v_writelane_b32 v42, s3, 35
	s_and_b64 s[2:3], s[0:1], s[2:3]
	s_mov_b64 exec, s[2:3]
	s_cbranch_execz .LBB666_732
; %bb.731:
	v_mov_b32_e32 v49, 0
	v_lshl_add_u64 v[48:49], v[38:39], 0, v[48:49]
	flat_load_ubyte v37, v[48:49]
	s_mov_b32 s2, 0x7060004
	s_waitcnt vmcnt(0) lgkmcnt(0)
	v_perm_b32 v12, v12, v37, s2
.LBB666_732:
	s_or_b64 exec, exec, s[0:1]
	v_add_u32_e32 v48, 0x3200, v36
	;; [unrolled: 19-line block ×3, first 2 shown]
	v_cmp_lt_u32_e64 s[2:3], v48, v51
	s_mov_b64 s[0:1], exec
	s_nop 0
	v_writelane_b32 v42, s2, 38
	s_nop 1
	v_writelane_b32 v42, s3, 39
	s_and_b64 s[2:3], s[0:1], s[2:3]
	s_mov_b64 exec, s[2:3]
	s_cbranch_execz .LBB666_736
; %bb.735:
	v_mov_b32_e32 v49, 0
	v_lshl_add_u64 v[48:49], v[38:39], 0, v[48:49]
	flat_load_ubyte v37, v[48:49]
	s_mov_b32 s2, 0x60504
	s_waitcnt vmcnt(0) lgkmcnt(0)
	v_perm_b32 v12, v12, v37, s2
.LBB666_736:
	s_or_b64 exec, exec, s[0:1]
	v_or_b32_e32 v48, 0x3400, v36
	v_cmp_lt_u32_e64 s[2:3], v48, v51
	s_mov_b64 s[0:1], exec
	s_nop 0
	v_writelane_b32 v42, s2, 40
	s_nop 1
	v_writelane_b32 v42, s3, 41
	s_and_b64 s[2:3], s[0:1], s[2:3]
	s_mov_b64 exec, s[2:3]
	s_cbranch_execz .LBB666_738
; %bb.737:
	v_mov_b32_e32 v49, 0
	v_lshl_add_u64 v[48:49], v[38:39], 0, v[48:49]
	flat_load_ubyte v37, v[48:49]
	s_mov_b32 s2, 0x3020104
	s_waitcnt vmcnt(0) lgkmcnt(0)
	v_perm_b32 v13, v37, v13, s2
.LBB666_738:
	s_or_b64 exec, exec, s[0:1]
	v_add_u32_e32 v48, 0x3500, v36
	v_cmp_lt_u32_e64 s[2:3], v48, v51
	s_mov_b64 s[0:1], exec
	s_nop 0
	v_writelane_b32 v42, s2, 42
	s_nop 1
	v_writelane_b32 v42, s3, 43
	s_and_b64 s[2:3], s[0:1], s[2:3]
	s_mov_b64 exec, s[2:3]
	s_cbranch_execz .LBB666_740
; %bb.739:
	v_mov_b32_e32 v49, 0
	v_lshl_add_u64 v[48:49], v[38:39], 0, v[48:49]
	flat_load_ubyte v37, v[48:49]
	s_mov_b32 s2, 0x7060004
	s_waitcnt vmcnt(0) lgkmcnt(0)
	v_perm_b32 v13, v13, v37, s2
.LBB666_740:
	s_or_b64 exec, exec, s[0:1]
	v_add_u32_e32 v48, 0x3600, v36
	;; [unrolled: 19-line block ×3, first 2 shown]
	v_cmp_lt_u32_e64 s[2:3], v48, v51
	s_mov_b64 s[0:1], exec
	s_nop 0
	v_writelane_b32 v42, s2, 46
	s_nop 1
	v_writelane_b32 v42, s3, 47
	s_and_b64 s[2:3], s[0:1], s[2:3]
	s_mov_b64 exec, s[2:3]
	s_cbranch_execz .LBB666_744
; %bb.743:
	v_mov_b32_e32 v49, 0
	v_lshl_add_u64 v[48:49], v[38:39], 0, v[48:49]
	flat_load_ubyte v37, v[48:49]
	s_mov_b32 s2, 0x60504
	s_waitcnt vmcnt(0) lgkmcnt(0)
	v_perm_b32 v13, v13, v37, s2
.LBB666_744:
	s_or_b64 exec, exec, s[0:1]
	v_or_b32_e32 v48, 0x3800, v36
	v_cmp_lt_u32_e64 s[2:3], v48, v51
	s_mov_b64 s[0:1], exec
	s_nop 0
	v_writelane_b32 v42, s2, 48
	s_nop 1
	v_writelane_b32 v42, s3, 49
	s_and_b64 s[2:3], s[0:1], s[2:3]
	s_mov_b64 exec, s[2:3]
	s_cbranch_execz .LBB666_746
; %bb.745:
	v_mov_b32_e32 v49, 0
	v_lshl_add_u64 v[48:49], v[38:39], 0, v[48:49]
	flat_load_ubyte v37, v[48:49]
	s_mov_b32 s2, 0x3020104
	s_waitcnt vmcnt(0) lgkmcnt(0)
	v_perm_b32 v14, v37, v14, s2
.LBB666_746:
	s_or_b64 exec, exec, s[0:1]
	v_add_u32_e32 v48, 0x3900, v36
	v_cmp_lt_u32_e64 s[2:3], v48, v51
	s_mov_b64 s[0:1], exec
	s_nop 0
	v_writelane_b32 v42, s2, 50
	s_nop 1
	v_writelane_b32 v42, s3, 51
	s_and_b64 s[2:3], s[0:1], s[2:3]
	s_mov_b64 exec, s[2:3]
	s_cbranch_execz .LBB666_748
; %bb.747:
	v_mov_b32_e32 v49, 0
	v_lshl_add_u64 v[48:49], v[38:39], 0, v[48:49]
	flat_load_ubyte v37, v[48:49]
	s_mov_b32 s2, 0x7060004
	s_waitcnt vmcnt(0) lgkmcnt(0)
	v_perm_b32 v14, v14, v37, s2
.LBB666_748:
	s_or_b64 exec, exec, s[0:1]
	v_add_u32_e32 v48, 0x3a00, v36
	;; [unrolled: 19-line block ×3, first 2 shown]
	v_cmp_lt_u32_e64 s[2:3], v48, v51
	s_mov_b64 s[0:1], exec
	s_nop 0
	v_writelane_b32 v42, s2, 54
	s_nop 1
	v_writelane_b32 v42, s3, 55
	s_and_b64 s[2:3], s[0:1], s[2:3]
	s_mov_b64 exec, s[2:3]
	s_cbranch_execz .LBB666_752
; %bb.751:
	v_mov_b32_e32 v49, 0
	v_lshl_add_u64 v[48:49], v[38:39], 0, v[48:49]
	flat_load_ubyte v37, v[48:49]
	s_mov_b32 s2, 0x60504
	s_waitcnt vmcnt(0) lgkmcnt(0)
	v_perm_b32 v14, v14, v37, s2
.LBB666_752:
	s_or_b64 exec, exec, s[0:1]
	v_or_b32_e32 v48, 0x3c00, v36
	v_cmp_lt_u32_e64 s[2:3], v48, v51
	s_mov_b64 s[0:1], exec
	s_nop 0
	v_writelane_b32 v42, s2, 56
	s_nop 1
	v_writelane_b32 v42, s3, 57
	s_and_b64 s[2:3], s[0:1], s[2:3]
	s_mov_b64 exec, s[2:3]
	s_cbranch_execz .LBB666_754
; %bb.753:
	v_mov_b32_e32 v49, 0
	v_lshl_add_u64 v[48:49], v[38:39], 0, v[48:49]
	flat_load_ubyte v37, v[48:49]
	s_mov_b32 s2, 0x3020104
	s_waitcnt vmcnt(0) lgkmcnt(0)
	v_perm_b32 v15, v37, v15, s2
.LBB666_754:
	s_or_b64 exec, exec, s[0:1]
	v_add_u32_e32 v48, 0x3d00, v36
	v_cmp_lt_u32_e64 s[2:3], v48, v51
	s_mov_b64 s[0:1], exec
	s_nop 0
	v_writelane_b32 v42, s2, 58
	s_nop 1
	v_writelane_b32 v42, s3, 59
	s_and_b64 s[2:3], s[0:1], s[2:3]
	s_mov_b64 exec, s[2:3]
	s_cbranch_execz .LBB666_756
; %bb.755:
	v_mov_b32_e32 v49, 0
	v_lshl_add_u64 v[48:49], v[38:39], 0, v[48:49]
	flat_load_ubyte v37, v[48:49]
	s_mov_b32 s2, 0x7060004
	s_waitcnt vmcnt(0) lgkmcnt(0)
	v_perm_b32 v15, v15, v37, s2
.LBB666_756:
	s_or_b64 exec, exec, s[0:1]
	v_add_u32_e32 v48, 0x3e00, v36
	;; [unrolled: 19-line block ×3, first 2 shown]
	v_cmp_lt_u32_e64 s[2:3], v48, v51
	s_mov_b64 s[0:1], exec
	s_nop 0
	v_writelane_b32 v42, s2, 62
	s_nop 1
	v_writelane_b32 v42, s3, 63
	s_and_b64 s[2:3], s[0:1], s[2:3]
	s_mov_b64 exec, s[2:3]
	s_cbranch_execz .LBB666_760
; %bb.759:
	v_mov_b32_e32 v49, 0
	v_lshl_add_u64 v[48:49], v[38:39], 0, v[48:49]
	flat_load_ubyte v37, v[48:49]
	s_mov_b32 s2, 0x60504
	s_waitcnt vmcnt(0) lgkmcnt(0)
	v_perm_b32 v15, v15, v37, s2
.LBB666_760:
	s_or_b64 exec, exec, s[0:1]
	v_or_b32_e32 v48, 0x4000, v36
	v_cmp_lt_u32_e64 s[2:3], v48, v51
	s_mov_b64 s[0:1], exec
                                        ; implicit-def: $vgpr41 : SGPR spill to VGPR lane
	s_nop 0
	v_writelane_b32 v41, s2, 0
	s_nop 1
	v_writelane_b32 v41, s3, 1
	s_and_b64 s[2:3], s[0:1], s[2:3]
	s_mov_b64 exec, s[2:3]
	s_cbranch_execz .LBB666_762
; %bb.761:
	v_mov_b32_e32 v49, 0
	v_lshl_add_u64 v[48:49], v[38:39], 0, v[48:49]
	flat_load_ubyte v37, v[48:49]
	s_mov_b32 s2, 0x3020104
	s_waitcnt vmcnt(0) lgkmcnt(0)
	v_perm_b32 v16, v37, v16, s2
.LBB666_762:
	s_or_b64 exec, exec, s[0:1]
	v_add_u32_e32 v48, 0x4100, v36
	v_cmp_lt_u32_e64 s[2:3], v48, v51
	s_mov_b64 s[0:1], exec
	s_nop 0
	v_writelane_b32 v41, s2, 2
	s_nop 1
	v_writelane_b32 v41, s3, 3
	s_and_b64 s[2:3], s[0:1], s[2:3]
	s_mov_b64 exec, s[2:3]
	s_cbranch_execz .LBB666_764
; %bb.763:
	v_mov_b32_e32 v49, 0
	v_lshl_add_u64 v[48:49], v[38:39], 0, v[48:49]
	flat_load_ubyte v37, v[48:49]
	s_mov_b32 s2, 0x7060004
	s_waitcnt vmcnt(0) lgkmcnt(0)
	v_perm_b32 v16, v16, v37, s2
.LBB666_764:
	s_or_b64 exec, exec, s[0:1]
	v_add_u32_e32 v48, 0x4200, v36
	v_cmp_lt_u32_e64 s[2:3], v48, v51
	s_mov_b64 s[0:1], exec
	;; [unrolled: 19-line block ×3, first 2 shown]
	s_nop 0
	v_writelane_b32 v41, s2, 6
	s_nop 1
	v_writelane_b32 v41, s3, 7
	s_and_b64 s[2:3], s[0:1], s[2:3]
	s_mov_b64 exec, s[2:3]
	s_cbranch_execz .LBB666_768
; %bb.767:
	v_mov_b32_e32 v49, 0
	v_lshl_add_u64 v[48:49], v[38:39], 0, v[48:49]
	flat_load_ubyte v37, v[48:49]
	s_mov_b32 s2, 0x60504
	s_waitcnt vmcnt(0) lgkmcnt(0)
	v_perm_b32 v16, v16, v37, s2
.LBB666_768:
	s_or_b64 exec, exec, s[0:1]
	v_or_b32_e32 v48, 0x4400, v36
	v_cmp_lt_u32_e64 s[2:3], v48, v51
	s_mov_b64 s[0:1], exec
	s_nop 0
	v_writelane_b32 v41, s2, 8
	s_nop 1
	v_writelane_b32 v41, s3, 9
	s_and_b64 s[2:3], s[0:1], s[2:3]
	s_mov_b64 exec, s[2:3]
	s_cbranch_execz .LBB666_770
; %bb.769:
	v_mov_b32_e32 v49, 0
	v_lshl_add_u64 v[48:49], v[38:39], 0, v[48:49]
	flat_load_ubyte v37, v[48:49]
	s_mov_b32 s2, 0x3020104
	s_waitcnt vmcnt(0) lgkmcnt(0)
	v_perm_b32 v17, v37, v17, s2
.LBB666_770:
	s_or_b64 exec, exec, s[0:1]
	v_add_u32_e32 v48, 0x4500, v36
	v_cmp_lt_u32_e64 s[2:3], v48, v51
	s_mov_b64 s[0:1], exec
	s_nop 0
	v_writelane_b32 v41, s2, 10
	s_nop 1
	v_writelane_b32 v41, s3, 11
	s_and_b64 s[2:3], s[0:1], s[2:3]
	s_mov_b64 exec, s[2:3]
	s_cbranch_execz .LBB666_772
; %bb.771:
	v_mov_b32_e32 v49, 0
	v_lshl_add_u64 v[48:49], v[38:39], 0, v[48:49]
	flat_load_ubyte v37, v[48:49]
	s_mov_b32 s2, 0x7060004
	s_waitcnt vmcnt(0) lgkmcnt(0)
	v_perm_b32 v17, v17, v37, s2
.LBB666_772:
	s_or_b64 exec, exec, s[0:1]
	v_add_u32_e32 v48, 0x4600, v36
	;; [unrolled: 19-line block ×3, first 2 shown]
	v_cmp_lt_u32_e64 s[2:3], v48, v51
	s_mov_b64 s[0:1], exec
	s_nop 0
	v_writelane_b32 v41, s2, 14
	s_nop 1
	v_writelane_b32 v41, s3, 15
	s_and_b64 s[2:3], s[0:1], s[2:3]
	s_mov_b64 exec, s[2:3]
	s_cbranch_execz .LBB666_776
; %bb.775:
	v_mov_b32_e32 v49, 0
	v_lshl_add_u64 v[48:49], v[38:39], 0, v[48:49]
	flat_load_ubyte v37, v[48:49]
	s_mov_b32 s2, 0x60504
	s_waitcnt vmcnt(0) lgkmcnt(0)
	v_perm_b32 v17, v17, v37, s2
.LBB666_776:
	s_or_b64 exec, exec, s[0:1]
	v_or_b32_e32 v48, 0x4800, v36
	v_cmp_lt_u32_e64 s[2:3], v48, v51
	s_mov_b64 s[0:1], exec
	s_nop 0
	v_writelane_b32 v41, s2, 16
	s_nop 1
	v_writelane_b32 v41, s3, 17
	s_and_b64 s[2:3], s[0:1], s[2:3]
	s_mov_b64 exec, s[2:3]
	s_cbranch_execz .LBB666_778
; %bb.777:
	v_mov_b32_e32 v49, 0
	v_lshl_add_u64 v[48:49], v[38:39], 0, v[48:49]
	flat_load_ubyte v37, v[48:49]
	s_mov_b32 s2, 0x3020104
	s_waitcnt vmcnt(0) lgkmcnt(0)
	v_perm_b32 v18, v37, v18, s2
.LBB666_778:
	s_or_b64 exec, exec, s[0:1]
	v_add_u32_e32 v48, 0x4900, v36
	v_cmp_lt_u32_e64 s[2:3], v48, v51
	s_mov_b64 s[0:1], exec
	s_nop 0
	v_writelane_b32 v41, s2, 18
	s_nop 1
	v_writelane_b32 v41, s3, 19
	s_and_b64 s[2:3], s[0:1], s[2:3]
	s_mov_b64 exec, s[2:3]
	s_cbranch_execz .LBB666_780
; %bb.779:
	v_mov_b32_e32 v49, 0
	v_lshl_add_u64 v[48:49], v[38:39], 0, v[48:49]
	flat_load_ubyte v37, v[48:49]
	s_mov_b32 s2, 0x7060004
	s_waitcnt vmcnt(0) lgkmcnt(0)
	v_perm_b32 v18, v18, v37, s2
.LBB666_780:
	s_or_b64 exec, exec, s[0:1]
	v_add_u32_e32 v48, 0x4a00, v36
	;; [unrolled: 19-line block ×3, first 2 shown]
	v_cmp_lt_u32_e64 s[2:3], v48, v51
	s_mov_b64 s[0:1], exec
	s_nop 0
	v_writelane_b32 v41, s2, 22
	s_nop 1
	v_writelane_b32 v41, s3, 23
	s_and_b64 s[2:3], s[0:1], s[2:3]
	s_mov_b64 exec, s[2:3]
	s_cbranch_execz .LBB666_784
; %bb.783:
	v_mov_b32_e32 v49, 0
	v_lshl_add_u64 v[48:49], v[38:39], 0, v[48:49]
	flat_load_ubyte v37, v[48:49]
	s_mov_b32 s2, 0x60504
	s_waitcnt vmcnt(0) lgkmcnt(0)
	v_perm_b32 v18, v18, v37, s2
.LBB666_784:
	s_or_b64 exec, exec, s[0:1]
	v_or_b32_e32 v48, 0x4c00, v36
	v_cmp_lt_u32_e64 s[2:3], v48, v51
	s_mov_b64 s[0:1], exec
	s_nop 0
	v_writelane_b32 v41, s2, 24
	s_nop 1
	v_writelane_b32 v41, s3, 25
	s_and_b64 s[2:3], s[0:1], s[2:3]
	s_mov_b64 exec, s[2:3]
	s_cbranch_execz .LBB666_786
; %bb.785:
	v_mov_b32_e32 v49, 0
	v_lshl_add_u64 v[48:49], v[38:39], 0, v[48:49]
	flat_load_ubyte v37, v[48:49]
	s_mov_b32 s2, 0x3020104
	s_waitcnt vmcnt(0) lgkmcnt(0)
	v_perm_b32 v19, v37, v19, s2
.LBB666_786:
	s_or_b64 exec, exec, s[0:1]
	v_add_u32_e32 v48, 0x4d00, v36
	v_cmp_lt_u32_e64 s[2:3], v48, v51
	s_mov_b64 s[0:1], exec
	s_nop 0
	v_writelane_b32 v41, s2, 26
	s_nop 1
	v_writelane_b32 v41, s3, 27
	s_and_b64 s[2:3], s[0:1], s[2:3]
	s_mov_b64 exec, s[2:3]
	s_cbranch_execz .LBB666_788
; %bb.787:
	v_mov_b32_e32 v49, 0
	v_lshl_add_u64 v[48:49], v[38:39], 0, v[48:49]
	flat_load_ubyte v37, v[48:49]
	s_mov_b32 s2, 0x7060004
	s_waitcnt vmcnt(0) lgkmcnt(0)
	v_perm_b32 v19, v19, v37, s2
.LBB666_788:
	s_or_b64 exec, exec, s[0:1]
	v_add_u32_e32 v48, 0x4e00, v36
	;; [unrolled: 19-line block ×3, first 2 shown]
	v_cmp_lt_u32_e64 s[2:3], v48, v51
	s_mov_b64 s[0:1], exec
	s_nop 0
	v_writelane_b32 v41, s2, 30
	s_nop 1
	v_writelane_b32 v41, s3, 31
	s_and_b64 s[2:3], s[0:1], s[2:3]
	s_mov_b64 exec, s[2:3]
	s_cbranch_execz .LBB666_792
; %bb.791:
	v_mov_b32_e32 v49, 0
	v_lshl_add_u64 v[48:49], v[38:39], 0, v[48:49]
	flat_load_ubyte v37, v[48:49]
	s_mov_b32 s2, 0x60504
	s_waitcnt vmcnt(0) lgkmcnt(0)
	v_perm_b32 v19, v19, v37, s2
.LBB666_792:
	s_or_b64 exec, exec, s[0:1]
	v_or_b32_e32 v48, 0x5000, v36
	v_cmp_lt_u32_e64 s[2:3], v48, v51
	s_mov_b64 s[0:1], exec
	s_nop 0
	v_writelane_b32 v41, s2, 32
	s_nop 1
	v_writelane_b32 v41, s3, 33
	s_and_b64 s[2:3], s[0:1], s[2:3]
	s_mov_b64 exec, s[2:3]
	s_cbranch_execz .LBB666_794
; %bb.793:
	v_mov_b32_e32 v49, 0
	v_lshl_add_u64 v[48:49], v[38:39], 0, v[48:49]
	flat_load_ubyte v37, v[48:49]
	s_mov_b32 s2, 0x3020104
	s_waitcnt vmcnt(0) lgkmcnt(0)
	v_perm_b32 v20, v37, v20, s2
.LBB666_794:
	s_or_b64 exec, exec, s[0:1]
	v_add_u32_e32 v48, 0x5100, v36
	v_cmp_lt_u32_e64 s[2:3], v48, v51
	s_mov_b64 s[0:1], exec
	s_nop 0
	v_writelane_b32 v41, s2, 34
	s_nop 1
	v_writelane_b32 v41, s3, 35
	s_and_b64 s[2:3], s[0:1], s[2:3]
	s_mov_b64 exec, s[2:3]
	s_cbranch_execz .LBB666_796
; %bb.795:
	v_mov_b32_e32 v49, 0
	v_lshl_add_u64 v[48:49], v[38:39], 0, v[48:49]
	flat_load_ubyte v37, v[48:49]
	s_mov_b32 s2, 0x7060004
	s_waitcnt vmcnt(0) lgkmcnt(0)
	v_perm_b32 v20, v20, v37, s2
.LBB666_796:
	s_or_b64 exec, exec, s[0:1]
	v_add_u32_e32 v48, 0x5200, v36
	v_cmp_lt_u32_e64 s[36:37], v48, v51
	s_and_saveexec_b64 s[0:1], s[36:37]
	s_cbranch_execz .LBB666_798
; %bb.797:
	v_mov_b32_e32 v49, 0
	v_lshl_add_u64 v[48:49], v[38:39], 0, v[48:49]
	flat_load_ubyte v37, v[48:49]
	s_mov_b32 s2, 0x7000504
	s_waitcnt vmcnt(0) lgkmcnt(0)
	v_perm_b32 v20, v20, v37, s2
.LBB666_798:
	s_or_b64 exec, exec, s[0:1]
	v_add_u32_e32 v48, 0x5300, v36
	v_cmp_lt_u32_e64 s[38:39], v48, v51
	s_and_saveexec_b64 s[0:1], s[38:39]
	s_cbranch_execz .LBB666_800
; %bb.799:
	v_mov_b32_e32 v49, 0
	v_lshl_add_u64 v[48:49], v[38:39], 0, v[48:49]
	flat_load_ubyte v37, v[48:49]
	s_mov_b32 s2, 0x60504
	s_waitcnt vmcnt(0) lgkmcnt(0)
	v_perm_b32 v20, v20, v37, s2
.LBB666_800:
	s_or_b64 exec, exec, s[0:1]
	v_or_b32_e32 v48, 0x5400, v36
	v_cmp_lt_u32_e64 s[48:49], v48, v51
	s_and_saveexec_b64 s[0:1], s[48:49]
	s_cbranch_execz .LBB666_802
; %bb.801:
	v_mov_b32_e32 v49, 0
	v_lshl_add_u64 v[48:49], v[38:39], 0, v[48:49]
	flat_load_ubyte v37, v[48:49]
	s_mov_b32 s2, 0x3020104
	s_waitcnt vmcnt(0) lgkmcnt(0)
	v_perm_b32 v21, v37, v21, s2
.LBB666_802:
	s_or_b64 exec, exec, s[0:1]
	v_add_u32_e32 v48, 0x5500, v36
	v_cmp_lt_u32_e64 s[50:51], v48, v51
	s_and_saveexec_b64 s[0:1], s[50:51]
	s_cbranch_execz .LBB666_804
; %bb.803:
	v_mov_b32_e32 v49, 0
	v_lshl_add_u64 v[48:49], v[38:39], 0, v[48:49]
	flat_load_ubyte v37, v[48:49]
	s_mov_b32 s2, 0x7060004
	s_waitcnt vmcnt(0) lgkmcnt(0)
	v_perm_b32 v21, v21, v37, s2
.LBB666_804:
	s_or_b64 exec, exec, s[0:1]
	v_add_u32_e32 v48, 0x5600, v36
	v_cmp_lt_u32_e64 s[52:53], v48, v51
	s_and_saveexec_b64 s[0:1], s[52:53]
	s_cbranch_execz .LBB666_806
; %bb.805:
	v_mov_b32_e32 v49, 0
	v_lshl_add_u64 v[48:49], v[38:39], 0, v[48:49]
	flat_load_ubyte v37, v[48:49]
	s_mov_b32 s2, 0x7000504
	s_waitcnt vmcnt(0) lgkmcnt(0)
	v_perm_b32 v21, v21, v37, s2
.LBB666_806:
	s_or_b64 exec, exec, s[0:1]
	v_add_u32_e32 v48, 0x5700, v36
	v_cmp_lt_u32_e64 s[54:55], v48, v51
	s_and_saveexec_b64 s[0:1], s[54:55]
	s_cbranch_execz .LBB666_808
; %bb.807:
	v_mov_b32_e32 v49, 0
	v_lshl_add_u64 v[48:49], v[38:39], 0, v[48:49]
	flat_load_ubyte v37, v[48:49]
	s_mov_b32 s2, 0x60504
	s_waitcnt vmcnt(0) lgkmcnt(0)
	v_perm_b32 v21, v21, v37, s2
.LBB666_808:
	s_or_b64 exec, exec, s[0:1]
	v_or_b32_e32 v48, 0x5800, v36
	v_cmp_lt_u32_e64 s[64:65], v48, v51
	s_and_saveexec_b64 s[0:1], s[64:65]
	s_cbranch_execz .LBB666_810
; %bb.809:
	v_mov_b32_e32 v49, 0
	v_lshl_add_u64 v[48:49], v[38:39], 0, v[48:49]
	flat_load_ubyte v37, v[48:49]
	s_mov_b32 s2, 0x3020104
	s_waitcnt vmcnt(0) lgkmcnt(0)
	v_perm_b32 v22, v37, v22, s2
.LBB666_810:
	s_or_b64 exec, exec, s[0:1]
	v_add_u32_e32 v48, 0x5900, v36
	v_cmp_lt_u32_e64 s[66:67], v48, v51
	s_and_saveexec_b64 s[0:1], s[66:67]
	;; [unrolled: 52-line block ×11, first 2 shown]
	s_cbranch_execz .LBB666_884
; %bb.883:
	v_mov_b32_e32 v49, 0
	v_lshl_add_u64 v[48:49], v[38:39], 0, v[48:49]
	flat_load_ubyte v37, v[48:49]
	s_mov_b32 vcc_lo, 0x7060004
	s_waitcnt vmcnt(0) lgkmcnt(0)
	v_perm_b32 v31, v31, v37, vcc_lo
.LBB666_884:
	s_or_b64 exec, exec, s[92:93]
	v_add_u32_e32 v48, 0x7e00, v36
	v_cmp_lt_u32_e64 s[92:93], v48, v51
	s_and_saveexec_b64 vcc, s[92:93]
	s_cbranch_execz .LBB666_886
; %bb.885:
	v_mov_b32_e32 v49, 0
	v_lshl_add_u64 v[48:49], v[38:39], 0, v[48:49]
	flat_load_ubyte v37, v[48:49]
	s_mov_b32 s30, 0x7000504
	s_waitcnt vmcnt(0) lgkmcnt(0)
	v_perm_b32 v31, v31, v37, s30
.LBB666_886:
	s_or_b64 exec, exec, vcc
	v_add_u32_e32 v48, 0x7f00, v36
	v_cmp_lt_u32_e32 vcc, v48, v51
	s_and_saveexec_b64 s[30:31], vcc
	s_cbranch_execz .LBB666_888
; %bb.887:
	v_mov_b32_e32 v49, 0
	v_lshl_add_u64 v[38:39], v[38:39], 0, v[48:49]
	flat_load_ubyte v37, v[38:39]
	s_mov_b32 s34, 0x60504
	s_waitcnt vmcnt(0) lgkmcnt(0)
	v_perm_b32 v31, v31, v37, s34
.LBB666_888:
	s_or_b64 exec, exec, s[30:31]
	v_mov_b32_e32 v37, v0
	s_mov_b64 s[30:31], exec
	v_readlane_b32 s34, v43, 2
	v_readlane_b32 s35, v43, 3
	s_and_b64 s[34:35], s[30:31], s[34:35]
	s_mov_b64 exec, s[34:35]
	s_cbranch_execz .LBB666_890
; %bb.889:
	v_lshrrev_b32_e32 v37, 8, v0
	s_movk_i32 s34, 0xcd
	v_mul_lo_u16_sdwa v38, v37, s34 dst_sel:DWORD dst_unused:UNUSED_PAD src0_sel:BYTE_0 src1_sel:DWORD
	v_lshrrev_b16_e32 v38, 11, v38
	v_mul_lo_u16_e32 v38, 10, v38
	v_sub_u16_e32 v37, v37, v38
	v_mul_lo_u16_sdwa v38, v0, s34 dst_sel:DWORD dst_unused:UNUSED_PAD src0_sel:BYTE_0 src1_sel:DWORD
	v_lshrrev_b16_e32 v38, 11, v38
	v_mul_lo_u16_e32 v38, 10, v38
	v_sub_u16_e32 v38, v0, v38
	v_add_u16_e32 v37, v37, v38
	v_add_u16_e32 v38, -10, v37
	v_min_u16_sdwa v37, v37, v38 dst_sel:DWORD dst_unused:UNUSED_PAD src0_sel:BYTE_0 src1_sel:BYTE_0
.LBB666_890:
	s_or_b64 exec, exec, s[30:31]
	s_mov_b64 s[30:31], exec
	v_readlane_b32 s34, v43, 4
	v_readlane_b32 s35, v43, 5
	s_and_b64 s[34:35], s[30:31], s[34:35]
	s_mov_b64 exec, s[34:35]
	s_cbranch_execz .LBB666_892
; %bb.891:
	s_movk_i32 s34, 0xff
	v_and_b32_sdwa v38, v0, s34 dst_sel:DWORD dst_unused:UNUSED_PAD src0_sel:WORD_1 src1_sel:DWORD
	s_movk_i32 s34, 0xcd
	v_mul_lo_u16_e32 v38, 0xcd, v38
	v_mul_lo_u16_sdwa v39, v37, s34 dst_sel:DWORD dst_unused:UNUSED_PAD src0_sel:BYTE_0 src1_sel:DWORD
	v_lshrrev_b16_e32 v38, 11, v38
	v_lshrrev_b16_e32 v39, 11, v39
	v_mul_lo_u16_e32 v38, 10, v38
	v_mul_lo_u16_e32 v39, 10, v39
	v_sub_u16_sdwa v38, v0, v38 dst_sel:DWORD dst_unused:UNUSED_PAD src0_sel:WORD_1 src1_sel:DWORD
	v_sub_u16_e32 v37, v37, v39
	v_add_u16_e32 v37, v37, v38
	v_add_u16_e32 v38, -10, v37
	v_min_u16_sdwa v37, v37, v38 dst_sel:DWORD dst_unused:UNUSED_PAD src0_sel:BYTE_0 src1_sel:BYTE_0
.LBB666_892:
	s_or_b64 exec, exec, s[30:31]
	s_mov_b64 s[30:31], exec
	v_readlane_b32 s34, v43, 6
	v_readlane_b32 s35, v43, 7
	s_and_b64 s[34:35], s[30:31], s[34:35]
	s_mov_b64 exec, s[34:35]
	s_cbranch_execz .LBB666_894
; %bb.893:
	v_lshrrev_b64 v[38:39], 24, v[0:1]
	s_movk_i32 s34, 0xcd
	v_mul_lo_u16_sdwa v0, v38, s34 dst_sel:DWORD dst_unused:UNUSED_PAD src0_sel:BYTE_0 src1_sel:DWORD
	v_lshrrev_b16_e32 v0, 11, v0
	v_mul_lo_u16_e32 v0, 10, v0
	v_sub_u16_e32 v0, v38, v0
	v_mul_lo_u16_sdwa v38, v37, s34 dst_sel:DWORD dst_unused:UNUSED_PAD src0_sel:BYTE_0 src1_sel:DWORD
	v_lshrrev_b16_e32 v38, 11, v38
	v_mul_lo_u16_e32 v38, 10, v38
	v_sub_u16_e32 v37, v37, v38
	v_add_u16_e32 v0, v37, v0
	v_add_u16_e32 v37, -10, v0
	v_min_u16_sdwa v37, v0, v37 dst_sel:DWORD dst_unused:UNUSED_PAD src0_sel:BYTE_0 src1_sel:BYTE_0
.LBB666_894:
	s_or_b64 exec, exec, s[30:31]
	s_mov_b64 s[30:31], exec
	v_readlane_b32 s34, v43, 8
	v_readlane_b32 s35, v43, 9
	s_and_b64 s[34:35], s[30:31], s[34:35]
	s_mov_b64 exec, s[34:35]
	s_cbranch_execz .LBB666_896
; %bb.895:
	s_movk_i32 s34, 0xcd
	v_mul_lo_u16_sdwa v0, v1, s34 dst_sel:DWORD dst_unused:UNUSED_PAD src0_sel:BYTE_0 src1_sel:DWORD
	v_mul_lo_u16_sdwa v38, v37, s34 dst_sel:DWORD dst_unused:UNUSED_PAD src0_sel:BYTE_0 src1_sel:DWORD
	v_lshrrev_b16_e32 v0, 11, v0
	v_lshrrev_b16_e32 v38, 11, v38
	v_mul_lo_u16_e32 v0, 10, v0
	v_mul_lo_u16_e32 v38, 10, v38
	v_sub_u16_e32 v0, v1, v0
	v_sub_u16_e32 v37, v37, v38
	v_add_u16_e32 v0, v37, v0
	v_add_u16_e32 v37, -10, v0
	v_min_u16_sdwa v37, v0, v37 dst_sel:DWORD dst_unused:UNUSED_PAD src0_sel:BYTE_0 src1_sel:BYTE_0
.LBB666_896:
	s_or_b64 exec, exec, s[30:31]
	s_mov_b64 s[30:31], exec
	v_readlane_b32 s34, v43, 10
	v_readlane_b32 s35, v43, 11
	s_and_b64 s[34:35], s[30:31], s[34:35]
	s_mov_b64 exec, s[34:35]
	s_cbranch_execz .LBB666_898
; %bb.897:
	v_lshrrev_b32_e32 v0, 8, v1
	s_movk_i32 s34, 0xcd
	v_mul_lo_u16_sdwa v38, v0, s34 dst_sel:DWORD dst_unused:UNUSED_PAD src0_sel:BYTE_0 src1_sel:DWORD
	v_lshrrev_b16_e32 v38, 11, v38
	v_mul_lo_u16_e32 v38, 10, v38
	v_sub_u16_e32 v0, v0, v38
	v_mul_lo_u16_sdwa v38, v37, s34 dst_sel:DWORD dst_unused:UNUSED_PAD src0_sel:BYTE_0 src1_sel:DWORD
	v_lshrrev_b16_e32 v38, 11, v38
	v_mul_lo_u16_e32 v38, 10, v38
	v_sub_u16_e32 v37, v37, v38
	v_add_u16_e32 v0, v37, v0
	v_add_u16_e32 v37, -10, v0
	v_min_u16_sdwa v37, v0, v37 dst_sel:DWORD dst_unused:UNUSED_PAD src0_sel:BYTE_0 src1_sel:BYTE_0
.LBB666_898:
	s_or_b64 exec, exec, s[30:31]
	s_mov_b64 s[30:31], exec
	v_readlane_b32 s34, v43, 12
	v_readlane_b32 s35, v43, 13
	s_and_b64 s[34:35], s[30:31], s[34:35]
	s_mov_b64 exec, s[34:35]
	s_cbranch_execz .LBB666_900
; %bb.899:
	s_movk_i32 s34, 0xff
	v_and_b32_sdwa v0, v1, s34 dst_sel:DWORD dst_unused:UNUSED_PAD src0_sel:WORD_1 src1_sel:DWORD
	s_movk_i32 s34, 0xcd
	v_mul_lo_u16_e32 v0, 0xcd, v0
	v_mul_lo_u16_sdwa v38, v37, s34 dst_sel:DWORD dst_unused:UNUSED_PAD src0_sel:BYTE_0 src1_sel:DWORD
	v_lshrrev_b16_e32 v0, 11, v0
	v_lshrrev_b16_e32 v38, 11, v38
	v_mul_lo_u16_e32 v0, 10, v0
	v_mul_lo_u16_e32 v38, 10, v38
	v_sub_u16_sdwa v0, v1, v0 dst_sel:DWORD dst_unused:UNUSED_PAD src0_sel:WORD_1 src1_sel:DWORD
	v_sub_u16_e32 v37, v37, v38
	v_add_u16_e32 v0, v37, v0
	v_add_u16_e32 v37, -10, v0
	v_min_u16_sdwa v37, v0, v37 dst_sel:DWORD dst_unused:UNUSED_PAD src0_sel:BYTE_0 src1_sel:BYTE_0
.LBB666_900:
	s_or_b64 exec, exec, s[30:31]
	s_mov_b64 s[30:31], exec
	v_readlane_b32 s34, v43, 14
	v_readlane_b32 s35, v43, 15
	s_and_b64 s[34:35], s[30:31], s[34:35]
	s_mov_b64 exec, s[34:35]
	s_cbranch_execz .LBB666_902
; %bb.901:
	s_movk_i32 s34, 0xcd
	v_mul_lo_u16_sdwa v0, v1, s34 dst_sel:DWORD dst_unused:UNUSED_PAD src0_sel:BYTE_3 src1_sel:DWORD
	v_lshrrev_b16_e32 v0, 11, v0
	v_mul_lo_u16_e32 v0, 10, v0
	v_sub_u16_sdwa v0, v1, v0 dst_sel:DWORD dst_unused:UNUSED_PAD src0_sel:BYTE_3 src1_sel:DWORD
	v_mul_lo_u16_sdwa v1, v37, s34 dst_sel:DWORD dst_unused:UNUSED_PAD src0_sel:BYTE_0 src1_sel:DWORD
	v_lshrrev_b16_e32 v1, 11, v1
	v_mul_lo_u16_e32 v1, 10, v1
	v_sub_u16_e32 v1, v37, v1
	v_add_u16_e32 v0, v1, v0
	v_add_u16_e32 v1, -10, v0
	v_min_u16_sdwa v37, v0, v1 dst_sel:DWORD dst_unused:UNUSED_PAD src0_sel:BYTE_0 src1_sel:BYTE_0
.LBB666_902:
	s_or_b64 exec, exec, s[30:31]
	s_mov_b64 s[30:31], exec
	v_readlane_b32 s34, v43, 16
	v_readlane_b32 s35, v43, 17
	s_and_b64 s[34:35], s[30:31], s[34:35]
	s_mov_b64 exec, s[34:35]
	s_cbranch_execz .LBB666_904
; %bb.903:
	s_movk_i32 s34, 0xcd
	v_mul_lo_u16_sdwa v0, v2, s34 dst_sel:DWORD dst_unused:UNUSED_PAD src0_sel:BYTE_0 src1_sel:DWORD
	v_mul_lo_u16_sdwa v1, v37, s34 dst_sel:DWORD dst_unused:UNUSED_PAD src0_sel:BYTE_0 src1_sel:DWORD
	v_lshrrev_b16_e32 v0, 11, v0
	v_lshrrev_b16_e32 v1, 11, v1
	v_mul_lo_u16_e32 v0, 10, v0
	v_mul_lo_u16_e32 v1, 10, v1
	v_sub_u16_e32 v0, v2, v0
	v_sub_u16_e32 v1, v37, v1
	v_add_u16_e32 v0, v1, v0
	v_add_u16_e32 v1, -10, v0
	v_min_u16_sdwa v37, v0, v1 dst_sel:DWORD dst_unused:UNUSED_PAD src0_sel:BYTE_0 src1_sel:BYTE_0
.LBB666_904:
	s_or_b64 exec, exec, s[30:31]
	s_mov_b64 s[30:31], exec
	v_readlane_b32 s34, v43, 18
	v_readlane_b32 s35, v43, 19
	s_and_b64 s[34:35], s[30:31], s[34:35]
	s_mov_b64 exec, s[34:35]
	s_cbranch_execz .LBB666_906
; %bb.905:
	v_lshrrev_b32_e32 v0, 8, v2
	s_movk_i32 s34, 0xcd
	v_mul_lo_u16_sdwa v1, v0, s34 dst_sel:DWORD dst_unused:UNUSED_PAD src0_sel:BYTE_0 src1_sel:DWORD
	v_lshrrev_b16_e32 v1, 11, v1
	v_mul_lo_u16_e32 v1, 10, v1
	v_sub_u16_e32 v0, v0, v1
	v_mul_lo_u16_sdwa v1, v37, s34 dst_sel:DWORD dst_unused:UNUSED_PAD src0_sel:BYTE_0 src1_sel:DWORD
	v_lshrrev_b16_e32 v1, 11, v1
	v_mul_lo_u16_e32 v1, 10, v1
	v_sub_u16_e32 v1, v37, v1
	v_add_u16_e32 v0, v1, v0
	v_add_u16_e32 v1, -10, v0
	v_min_u16_sdwa v37, v0, v1 dst_sel:DWORD dst_unused:UNUSED_PAD src0_sel:BYTE_0 src1_sel:BYTE_0
.LBB666_906:
	s_or_b64 exec, exec, s[30:31]
	s_mov_b64 s[30:31], exec
	v_readlane_b32 s34, v43, 20
	v_readlane_b32 s35, v43, 21
	s_and_b64 s[34:35], s[30:31], s[34:35]
	s_mov_b64 exec, s[34:35]
	s_cbranch_execz .LBB666_908
; %bb.907:
	s_movk_i32 s34, 0xff
	v_and_b32_sdwa v0, v2, s34 dst_sel:DWORD dst_unused:UNUSED_PAD src0_sel:WORD_1 src1_sel:DWORD
	s_movk_i32 s34, 0xcd
	v_mul_lo_u16_e32 v0, 0xcd, v0
	v_mul_lo_u16_sdwa v1, v37, s34 dst_sel:DWORD dst_unused:UNUSED_PAD src0_sel:BYTE_0 src1_sel:DWORD
	v_lshrrev_b16_e32 v0, 11, v0
	v_lshrrev_b16_e32 v1, 11, v1
	v_mul_lo_u16_e32 v0, 10, v0
	v_mul_lo_u16_e32 v1, 10, v1
	v_sub_u16_sdwa v0, v2, v0 dst_sel:DWORD dst_unused:UNUSED_PAD src0_sel:WORD_1 src1_sel:DWORD
	v_sub_u16_e32 v1, v37, v1
	v_add_u16_e32 v0, v1, v0
	v_add_u16_e32 v1, -10, v0
	v_min_u16_sdwa v37, v0, v1 dst_sel:DWORD dst_unused:UNUSED_PAD src0_sel:BYTE_0 src1_sel:BYTE_0
.LBB666_908:
	s_or_b64 exec, exec, s[30:31]
	s_mov_b64 s[30:31], exec
	v_readlane_b32 s34, v43, 22
	v_readlane_b32 s35, v43, 23
	s_and_b64 s[34:35], s[30:31], s[34:35]
	s_mov_b64 exec, s[34:35]
	s_cbranch_execz .LBB666_910
; %bb.909:
	v_lshrrev_b64 v[0:1], 24, v[2:3]
	s_movk_i32 s34, 0xcd
	v_mul_lo_u16_sdwa v1, v0, s34 dst_sel:DWORD dst_unused:UNUSED_PAD src0_sel:BYTE_0 src1_sel:DWORD
	v_lshrrev_b16_e32 v1, 11, v1
	v_mul_lo_u16_e32 v1, 10, v1
	v_sub_u16_e32 v0, v0, v1
	v_mul_lo_u16_sdwa v1, v37, s34 dst_sel:DWORD dst_unused:UNUSED_PAD src0_sel:BYTE_0 src1_sel:DWORD
	v_lshrrev_b16_e32 v1, 11, v1
	v_mul_lo_u16_e32 v1, 10, v1
	v_sub_u16_e32 v1, v37, v1
	v_add_u16_e32 v0, v1, v0
	v_add_u16_e32 v1, -10, v0
	v_min_u16_sdwa v37, v0, v1 dst_sel:DWORD dst_unused:UNUSED_PAD src0_sel:BYTE_0 src1_sel:BYTE_0
.LBB666_910:
	s_or_b64 exec, exec, s[30:31]
	s_mov_b64 s[30:31], exec
	v_readlane_b32 s34, v43, 24
	v_readlane_b32 s35, v43, 25
	s_and_b64 s[34:35], s[30:31], s[34:35]
	s_mov_b64 exec, s[34:35]
	s_cbranch_execz .LBB666_912
; %bb.911:
	s_movk_i32 s34, 0xcd
	v_mul_lo_u16_sdwa v0, v3, s34 dst_sel:DWORD dst_unused:UNUSED_PAD src0_sel:BYTE_0 src1_sel:DWORD
	v_mul_lo_u16_sdwa v1, v37, s34 dst_sel:DWORD dst_unused:UNUSED_PAD src0_sel:BYTE_0 src1_sel:DWORD
	v_lshrrev_b16_e32 v0, 11, v0
	v_lshrrev_b16_e32 v1, 11, v1
	v_mul_lo_u16_e32 v0, 10, v0
	v_mul_lo_u16_e32 v1, 10, v1
	v_sub_u16_e32 v0, v3, v0
	v_sub_u16_e32 v1, v37, v1
	v_add_u16_e32 v0, v1, v0
	v_add_u16_e32 v1, -10, v0
	v_min_u16_sdwa v37, v0, v1 dst_sel:DWORD dst_unused:UNUSED_PAD src0_sel:BYTE_0 src1_sel:BYTE_0
.LBB666_912:
	s_or_b64 exec, exec, s[30:31]
	s_mov_b64 s[30:31], exec
	v_readlane_b32 s34, v43, 26
	v_readlane_b32 s35, v43, 27
	s_and_b64 s[34:35], s[30:31], s[34:35]
	s_mov_b64 exec, s[34:35]
	s_cbranch_execz .LBB666_914
; %bb.913:
	v_lshrrev_b32_e32 v0, 8, v3
	s_movk_i32 s34, 0xcd
	v_mul_lo_u16_sdwa v1, v0, s34 dst_sel:DWORD dst_unused:UNUSED_PAD src0_sel:BYTE_0 src1_sel:DWORD
	v_lshrrev_b16_e32 v1, 11, v1
	v_mul_lo_u16_e32 v1, 10, v1
	v_sub_u16_e32 v0, v0, v1
	v_mul_lo_u16_sdwa v1, v37, s34 dst_sel:DWORD dst_unused:UNUSED_PAD src0_sel:BYTE_0 src1_sel:DWORD
	v_lshrrev_b16_e32 v1, 11, v1
	v_mul_lo_u16_e32 v1, 10, v1
	v_sub_u16_e32 v1, v37, v1
	v_add_u16_e32 v0, v1, v0
	v_add_u16_e32 v1, -10, v0
	v_min_u16_sdwa v37, v0, v1 dst_sel:DWORD dst_unused:UNUSED_PAD src0_sel:BYTE_0 src1_sel:BYTE_0
.LBB666_914:
	s_or_b64 exec, exec, s[30:31]
	s_mov_b64 s[30:31], exec
	v_readlane_b32 s34, v43, 28
	v_readlane_b32 s35, v43, 29
	s_and_b64 s[34:35], s[30:31], s[34:35]
	s_mov_b64 exec, s[34:35]
	s_cbranch_execz .LBB666_916
; %bb.915:
	s_movk_i32 s34, 0xff
	v_and_b32_sdwa v0, v3, s34 dst_sel:DWORD dst_unused:UNUSED_PAD src0_sel:WORD_1 src1_sel:DWORD
	s_movk_i32 s34, 0xcd
	v_mul_lo_u16_e32 v0, 0xcd, v0
	v_mul_lo_u16_sdwa v1, v37, s34 dst_sel:DWORD dst_unused:UNUSED_PAD src0_sel:BYTE_0 src1_sel:DWORD
	v_lshrrev_b16_e32 v0, 11, v0
	v_lshrrev_b16_e32 v1, 11, v1
	v_mul_lo_u16_e32 v0, 10, v0
	v_mul_lo_u16_e32 v1, 10, v1
	v_sub_u16_sdwa v0, v3, v0 dst_sel:DWORD dst_unused:UNUSED_PAD src0_sel:WORD_1 src1_sel:DWORD
	v_sub_u16_e32 v1, v37, v1
	v_add_u16_e32 v0, v1, v0
	v_add_u16_e32 v1, -10, v0
	v_min_u16_sdwa v37, v0, v1 dst_sel:DWORD dst_unused:UNUSED_PAD src0_sel:BYTE_0 src1_sel:BYTE_0
.LBB666_916:
	s_or_b64 exec, exec, s[30:31]
	s_mov_b64 s[30:31], exec
	v_readlane_b32 s34, v43, 30
	v_readlane_b32 s35, v43, 31
	s_and_b64 s[34:35], s[30:31], s[34:35]
	s_mov_b64 exec, s[34:35]
	s_cbranch_execz .LBB666_918
; %bb.917:
	s_movk_i32 s34, 0xcd
	v_mul_lo_u16_sdwa v0, v3, s34 dst_sel:DWORD dst_unused:UNUSED_PAD src0_sel:BYTE_3 src1_sel:DWORD
	v_mul_lo_u16_sdwa v1, v37, s34 dst_sel:DWORD dst_unused:UNUSED_PAD src0_sel:BYTE_0 src1_sel:DWORD
	v_lshrrev_b16_e32 v0, 11, v0
	v_lshrrev_b16_e32 v1, 11, v1
	v_mul_lo_u16_e32 v0, 10, v0
	v_mul_lo_u16_e32 v1, 10, v1
	v_sub_u16_sdwa v0, v3, v0 dst_sel:DWORD dst_unused:UNUSED_PAD src0_sel:BYTE_3 src1_sel:DWORD
	v_sub_u16_e32 v1, v37, v1
	v_add_u16_e32 v0, v1, v0
	v_add_u16_e32 v1, -10, v0
	v_min_u16_sdwa v37, v0, v1 dst_sel:DWORD dst_unused:UNUSED_PAD src0_sel:BYTE_0 src1_sel:BYTE_0
.LBB666_918:
	s_or_b64 exec, exec, s[30:31]
	s_mov_b64 s[30:31], exec
	v_readlane_b32 s34, v43, 32
	v_readlane_b32 s35, v43, 33
	s_and_b64 s[34:35], s[30:31], s[34:35]
	s_mov_b64 exec, s[34:35]
	s_cbranch_execz .LBB666_920
; %bb.919:
	s_movk_i32 s34, 0xcd
	v_mul_lo_u16_sdwa v0, v4, s34 dst_sel:DWORD dst_unused:UNUSED_PAD src0_sel:BYTE_0 src1_sel:DWORD
	v_mul_lo_u16_sdwa v1, v37, s34 dst_sel:DWORD dst_unused:UNUSED_PAD src0_sel:BYTE_0 src1_sel:DWORD
	v_lshrrev_b16_e32 v0, 11, v0
	v_lshrrev_b16_e32 v1, 11, v1
	v_mul_lo_u16_e32 v0, 10, v0
	v_mul_lo_u16_e32 v1, 10, v1
	v_sub_u16_e32 v0, v4, v0
	v_sub_u16_e32 v1, v37, v1
	v_add_u16_e32 v0, v1, v0
	v_add_u16_e32 v1, -10, v0
	v_min_u16_sdwa v37, v0, v1 dst_sel:DWORD dst_unused:UNUSED_PAD src0_sel:BYTE_0 src1_sel:BYTE_0
.LBB666_920:
	s_or_b64 exec, exec, s[30:31]
	s_mov_b64 s[30:31], exec
	v_readlane_b32 s34, v43, 34
	v_readlane_b32 s35, v43, 35
	s_and_b64 s[34:35], s[30:31], s[34:35]
	s_mov_b64 exec, s[34:35]
	s_cbranch_execz .LBB666_922
; %bb.921:
	v_lshrrev_b32_e32 v0, 8, v4
	s_movk_i32 s34, 0xcd
	v_mul_lo_u16_sdwa v1, v0, s34 dst_sel:DWORD dst_unused:UNUSED_PAD src0_sel:BYTE_0 src1_sel:DWORD
	v_lshrrev_b16_e32 v1, 11, v1
	v_mul_lo_u16_e32 v1, 10, v1
	v_sub_u16_e32 v0, v0, v1
	v_mul_lo_u16_sdwa v1, v37, s34 dst_sel:DWORD dst_unused:UNUSED_PAD src0_sel:BYTE_0 src1_sel:DWORD
	v_lshrrev_b16_e32 v1, 11, v1
	v_mul_lo_u16_e32 v1, 10, v1
	v_sub_u16_e32 v1, v37, v1
	v_add_u16_e32 v0, v1, v0
	v_add_u16_e32 v1, -10, v0
	v_min_u16_sdwa v37, v0, v1 dst_sel:DWORD dst_unused:UNUSED_PAD src0_sel:BYTE_0 src1_sel:BYTE_0
.LBB666_922:
	s_or_b64 exec, exec, s[30:31]
	s_mov_b64 s[30:31], exec
	v_readlane_b32 s34, v43, 36
	v_readlane_b32 s35, v43, 37
	s_and_b64 s[34:35], s[30:31], s[34:35]
	s_mov_b64 exec, s[34:35]
	s_cbranch_execz .LBB666_924
; %bb.923:
	s_movk_i32 s34, 0xff
	v_and_b32_sdwa v0, v4, s34 dst_sel:DWORD dst_unused:UNUSED_PAD src0_sel:WORD_1 src1_sel:DWORD
	s_movk_i32 s34, 0xcd
	v_mul_lo_u16_e32 v0, 0xcd, v0
	v_mul_lo_u16_sdwa v1, v37, s34 dst_sel:DWORD dst_unused:UNUSED_PAD src0_sel:BYTE_0 src1_sel:DWORD
	v_lshrrev_b16_e32 v0, 11, v0
	v_lshrrev_b16_e32 v1, 11, v1
	v_mul_lo_u16_e32 v0, 10, v0
	v_mul_lo_u16_e32 v1, 10, v1
	v_sub_u16_sdwa v0, v4, v0 dst_sel:DWORD dst_unused:UNUSED_PAD src0_sel:WORD_1 src1_sel:DWORD
	v_sub_u16_e32 v1, v37, v1
	v_add_u16_e32 v0, v1, v0
	v_add_u16_e32 v1, -10, v0
	v_min_u16_sdwa v37, v0, v1 dst_sel:DWORD dst_unused:UNUSED_PAD src0_sel:BYTE_0 src1_sel:BYTE_0
.LBB666_924:
	s_or_b64 exec, exec, s[30:31]
	s_mov_b64 s[30:31], exec
	v_readlane_b32 s34, v43, 38
	v_readlane_b32 s35, v43, 39
	s_and_b64 s[34:35], s[30:31], s[34:35]
	s_mov_b64 exec, s[34:35]
	s_cbranch_execz .LBB666_926
; %bb.925:
	v_lshrrev_b64 v[0:1], 24, v[4:5]
	s_movk_i32 s34, 0xcd
	v_mul_lo_u16_sdwa v1, v0, s34 dst_sel:DWORD dst_unused:UNUSED_PAD src0_sel:BYTE_0 src1_sel:DWORD
	v_lshrrev_b16_e32 v1, 11, v1
	v_mul_lo_u16_e32 v1, 10, v1
	v_sub_u16_e32 v0, v0, v1
	v_mul_lo_u16_sdwa v1, v37, s34 dst_sel:DWORD dst_unused:UNUSED_PAD src0_sel:BYTE_0 src1_sel:DWORD
	v_lshrrev_b16_e32 v1, 11, v1
	v_mul_lo_u16_e32 v1, 10, v1
	v_sub_u16_e32 v1, v37, v1
	v_add_u16_e32 v0, v1, v0
	v_add_u16_e32 v1, -10, v0
	v_min_u16_sdwa v37, v0, v1 dst_sel:DWORD dst_unused:UNUSED_PAD src0_sel:BYTE_0 src1_sel:BYTE_0
.LBB666_926:
	s_or_b64 exec, exec, s[30:31]
	s_mov_b64 s[30:31], exec
	v_readlane_b32 s34, v43, 40
	v_readlane_b32 s35, v43, 41
	s_and_b64 s[34:35], s[30:31], s[34:35]
	s_mov_b64 exec, s[34:35]
	s_cbranch_execz .LBB666_928
; %bb.927:
	s_movk_i32 s34, 0xcd
	v_mul_lo_u16_sdwa v0, v5, s34 dst_sel:DWORD dst_unused:UNUSED_PAD src0_sel:BYTE_0 src1_sel:DWORD
	v_mul_lo_u16_sdwa v1, v37, s34 dst_sel:DWORD dst_unused:UNUSED_PAD src0_sel:BYTE_0 src1_sel:DWORD
	v_lshrrev_b16_e32 v0, 11, v0
	v_lshrrev_b16_e32 v1, 11, v1
	v_mul_lo_u16_e32 v0, 10, v0
	v_mul_lo_u16_e32 v1, 10, v1
	v_sub_u16_e32 v0, v5, v0
	v_sub_u16_e32 v1, v37, v1
	v_add_u16_e32 v0, v1, v0
	v_add_u16_e32 v1, -10, v0
	v_min_u16_sdwa v37, v0, v1 dst_sel:DWORD dst_unused:UNUSED_PAD src0_sel:BYTE_0 src1_sel:BYTE_0
.LBB666_928:
	s_or_b64 exec, exec, s[30:31]
	s_mov_b64 s[30:31], exec
	v_readlane_b32 s34, v43, 42
	v_readlane_b32 s35, v43, 43
	s_and_b64 s[34:35], s[30:31], s[34:35]
	s_mov_b64 exec, s[34:35]
	s_cbranch_execz .LBB666_930
; %bb.929:
	v_lshrrev_b32_e32 v0, 8, v5
	s_movk_i32 s34, 0xcd
	v_mul_lo_u16_sdwa v1, v0, s34 dst_sel:DWORD dst_unused:UNUSED_PAD src0_sel:BYTE_0 src1_sel:DWORD
	v_lshrrev_b16_e32 v1, 11, v1
	v_mul_lo_u16_e32 v1, 10, v1
	v_sub_u16_e32 v0, v0, v1
	v_mul_lo_u16_sdwa v1, v37, s34 dst_sel:DWORD dst_unused:UNUSED_PAD src0_sel:BYTE_0 src1_sel:DWORD
	v_lshrrev_b16_e32 v1, 11, v1
	v_mul_lo_u16_e32 v1, 10, v1
	v_sub_u16_e32 v1, v37, v1
	v_add_u16_e32 v0, v1, v0
	v_add_u16_e32 v1, -10, v0
	v_min_u16_sdwa v37, v0, v1 dst_sel:DWORD dst_unused:UNUSED_PAD src0_sel:BYTE_0 src1_sel:BYTE_0
.LBB666_930:
	s_or_b64 exec, exec, s[30:31]
	s_mov_b64 s[30:31], exec
	v_readlane_b32 s34, v43, 44
	v_readlane_b32 s35, v43, 45
	s_and_b64 s[34:35], s[30:31], s[34:35]
	s_mov_b64 exec, s[34:35]
	s_cbranch_execz .LBB666_932
; %bb.931:
	s_movk_i32 s34, 0xff
	v_and_b32_sdwa v0, v5, s34 dst_sel:DWORD dst_unused:UNUSED_PAD src0_sel:WORD_1 src1_sel:DWORD
	s_movk_i32 s34, 0xcd
	v_mul_lo_u16_e32 v0, 0xcd, v0
	v_mul_lo_u16_sdwa v1, v37, s34 dst_sel:DWORD dst_unused:UNUSED_PAD src0_sel:BYTE_0 src1_sel:DWORD
	v_lshrrev_b16_e32 v0, 11, v0
	v_lshrrev_b16_e32 v1, 11, v1
	v_mul_lo_u16_e32 v0, 10, v0
	v_mul_lo_u16_e32 v1, 10, v1
	v_sub_u16_sdwa v0, v5, v0 dst_sel:DWORD dst_unused:UNUSED_PAD src0_sel:WORD_1 src1_sel:DWORD
	v_sub_u16_e32 v1, v37, v1
	v_add_u16_e32 v0, v1, v0
	v_add_u16_e32 v1, -10, v0
	v_min_u16_sdwa v37, v0, v1 dst_sel:DWORD dst_unused:UNUSED_PAD src0_sel:BYTE_0 src1_sel:BYTE_0
.LBB666_932:
	s_or_b64 exec, exec, s[30:31]
	s_mov_b64 s[30:31], exec
	v_readlane_b32 s34, v43, 46
	v_readlane_b32 s35, v43, 47
	s_and_b64 s[34:35], s[30:31], s[34:35]
	s_mov_b64 exec, s[34:35]
	s_cbranch_execz .LBB666_934
; %bb.933:
	s_movk_i32 s34, 0xcd
	v_mul_lo_u16_sdwa v0, v5, s34 dst_sel:DWORD dst_unused:UNUSED_PAD src0_sel:BYTE_3 src1_sel:DWORD
	v_mul_lo_u16_sdwa v1, v37, s34 dst_sel:DWORD dst_unused:UNUSED_PAD src0_sel:BYTE_0 src1_sel:DWORD
	v_lshrrev_b16_e32 v0, 11, v0
	v_lshrrev_b16_e32 v1, 11, v1
	v_mul_lo_u16_e32 v0, 10, v0
	v_mul_lo_u16_e32 v1, 10, v1
	v_sub_u16_sdwa v0, v5, v0 dst_sel:DWORD dst_unused:UNUSED_PAD src0_sel:BYTE_3 src1_sel:DWORD
	v_sub_u16_e32 v1, v37, v1
	v_add_u16_e32 v0, v1, v0
	v_add_u16_e32 v1, -10, v0
	v_min_u16_sdwa v37, v0, v1 dst_sel:DWORD dst_unused:UNUSED_PAD src0_sel:BYTE_0 src1_sel:BYTE_0
.LBB666_934:
	s_or_b64 exec, exec, s[30:31]
	s_mov_b64 s[30:31], exec
	v_readlane_b32 s34, v43, 48
	v_readlane_b32 s35, v43, 49
	s_and_b64 s[34:35], s[30:31], s[34:35]
	s_mov_b64 exec, s[34:35]
	s_cbranch_execz .LBB666_936
; %bb.935:
	s_movk_i32 s34, 0xcd
	v_mul_lo_u16_sdwa v0, v6, s34 dst_sel:DWORD dst_unused:UNUSED_PAD src0_sel:BYTE_0 src1_sel:DWORD
	v_mul_lo_u16_sdwa v1, v37, s34 dst_sel:DWORD dst_unused:UNUSED_PAD src0_sel:BYTE_0 src1_sel:DWORD
	v_lshrrev_b16_e32 v0, 11, v0
	v_lshrrev_b16_e32 v1, 11, v1
	v_mul_lo_u16_e32 v0, 10, v0
	v_mul_lo_u16_e32 v1, 10, v1
	v_sub_u16_e32 v0, v6, v0
	v_sub_u16_e32 v1, v37, v1
	v_add_u16_e32 v0, v1, v0
	v_add_u16_e32 v1, -10, v0
	v_min_u16_sdwa v37, v0, v1 dst_sel:DWORD dst_unused:UNUSED_PAD src0_sel:BYTE_0 src1_sel:BYTE_0
.LBB666_936:
	s_or_b64 exec, exec, s[30:31]
	s_mov_b64 s[30:31], exec
	v_readlane_b32 s34, v43, 50
	v_readlane_b32 s35, v43, 51
	s_and_b64 s[34:35], s[30:31], s[34:35]
	s_mov_b64 exec, s[34:35]
	s_cbranch_execz .LBB666_938
; %bb.937:
	v_lshrrev_b32_e32 v0, 8, v6
	s_movk_i32 s34, 0xcd
	v_mul_lo_u16_sdwa v1, v0, s34 dst_sel:DWORD dst_unused:UNUSED_PAD src0_sel:BYTE_0 src1_sel:DWORD
	v_lshrrev_b16_e32 v1, 11, v1
	v_mul_lo_u16_e32 v1, 10, v1
	v_sub_u16_e32 v0, v0, v1
	v_mul_lo_u16_sdwa v1, v37, s34 dst_sel:DWORD dst_unused:UNUSED_PAD src0_sel:BYTE_0 src1_sel:DWORD
	v_lshrrev_b16_e32 v1, 11, v1
	v_mul_lo_u16_e32 v1, 10, v1
	v_sub_u16_e32 v1, v37, v1
	v_add_u16_e32 v0, v1, v0
	v_add_u16_e32 v1, -10, v0
	v_min_u16_sdwa v37, v0, v1 dst_sel:DWORD dst_unused:UNUSED_PAD src0_sel:BYTE_0 src1_sel:BYTE_0
.LBB666_938:
	s_or_b64 exec, exec, s[30:31]
	s_mov_b64 s[30:31], exec
	v_readlane_b32 s34, v43, 52
	v_readlane_b32 s35, v43, 53
	s_and_b64 s[34:35], s[30:31], s[34:35]
	s_mov_b64 exec, s[34:35]
	s_cbranch_execz .LBB666_940
; %bb.939:
	s_movk_i32 s34, 0xff
	v_and_b32_sdwa v0, v6, s34 dst_sel:DWORD dst_unused:UNUSED_PAD src0_sel:WORD_1 src1_sel:DWORD
	s_movk_i32 s34, 0xcd
	v_mul_lo_u16_e32 v0, 0xcd, v0
	v_mul_lo_u16_sdwa v1, v37, s34 dst_sel:DWORD dst_unused:UNUSED_PAD src0_sel:BYTE_0 src1_sel:DWORD
	v_lshrrev_b16_e32 v0, 11, v0
	v_lshrrev_b16_e32 v1, 11, v1
	v_mul_lo_u16_e32 v0, 10, v0
	v_mul_lo_u16_e32 v1, 10, v1
	v_sub_u16_sdwa v0, v6, v0 dst_sel:DWORD dst_unused:UNUSED_PAD src0_sel:WORD_1 src1_sel:DWORD
	v_sub_u16_e32 v1, v37, v1
	v_add_u16_e32 v0, v1, v0
	v_add_u16_e32 v1, -10, v0
	v_min_u16_sdwa v37, v0, v1 dst_sel:DWORD dst_unused:UNUSED_PAD src0_sel:BYTE_0 src1_sel:BYTE_0
.LBB666_940:
	s_or_b64 exec, exec, s[30:31]
	s_mov_b64 s[30:31], exec
	v_readlane_b32 s34, v43, 54
	v_readlane_b32 s35, v43, 55
	s_and_b64 s[34:35], s[30:31], s[34:35]
	s_mov_b64 exec, s[34:35]
	s_cbranch_execz .LBB666_942
; %bb.941:
	v_lshrrev_b64 v[0:1], 24, v[6:7]
	s_movk_i32 s34, 0xcd
	v_mul_lo_u16_sdwa v1, v0, s34 dst_sel:DWORD dst_unused:UNUSED_PAD src0_sel:BYTE_0 src1_sel:DWORD
	v_lshrrev_b16_e32 v1, 11, v1
	v_mul_lo_u16_e32 v1, 10, v1
	v_sub_u16_e32 v0, v0, v1
	v_mul_lo_u16_sdwa v1, v37, s34 dst_sel:DWORD dst_unused:UNUSED_PAD src0_sel:BYTE_0 src1_sel:DWORD
	v_lshrrev_b16_e32 v1, 11, v1
	v_mul_lo_u16_e32 v1, 10, v1
	v_sub_u16_e32 v1, v37, v1
	v_add_u16_e32 v0, v1, v0
	v_add_u16_e32 v1, -10, v0
	v_min_u16_sdwa v37, v0, v1 dst_sel:DWORD dst_unused:UNUSED_PAD src0_sel:BYTE_0 src1_sel:BYTE_0
.LBB666_942:
	s_or_b64 exec, exec, s[30:31]
	s_mov_b64 s[30:31], exec
	v_readlane_b32 s34, v43, 56
	v_readlane_b32 s35, v43, 57
	s_and_b64 s[34:35], s[30:31], s[34:35]
	s_mov_b64 exec, s[34:35]
	s_cbranch_execz .LBB666_944
; %bb.943:
	s_movk_i32 s34, 0xcd
	v_mul_lo_u16_sdwa v0, v7, s34 dst_sel:DWORD dst_unused:UNUSED_PAD src0_sel:BYTE_0 src1_sel:DWORD
	v_mul_lo_u16_sdwa v1, v37, s34 dst_sel:DWORD dst_unused:UNUSED_PAD src0_sel:BYTE_0 src1_sel:DWORD
	v_lshrrev_b16_e32 v0, 11, v0
	v_lshrrev_b16_e32 v1, 11, v1
	v_mul_lo_u16_e32 v0, 10, v0
	v_mul_lo_u16_e32 v1, 10, v1
	v_sub_u16_e32 v0, v7, v0
	v_sub_u16_e32 v1, v37, v1
	v_add_u16_e32 v0, v1, v0
	v_add_u16_e32 v1, -10, v0
	v_min_u16_sdwa v37, v0, v1 dst_sel:DWORD dst_unused:UNUSED_PAD src0_sel:BYTE_0 src1_sel:BYTE_0
.LBB666_944:
	s_or_b64 exec, exec, s[30:31]
	s_mov_b64 s[30:31], exec
	v_readlane_b32 s34, v43, 58
	v_readlane_b32 s35, v43, 59
	s_and_b64 s[34:35], s[30:31], s[34:35]
	s_mov_b64 exec, s[34:35]
	s_cbranch_execz .LBB666_946
; %bb.945:
	v_lshrrev_b32_e32 v0, 8, v7
	s_movk_i32 s34, 0xcd
	v_mul_lo_u16_sdwa v1, v0, s34 dst_sel:DWORD dst_unused:UNUSED_PAD src0_sel:BYTE_0 src1_sel:DWORD
	v_lshrrev_b16_e32 v1, 11, v1
	v_mul_lo_u16_e32 v1, 10, v1
	v_sub_u16_e32 v0, v0, v1
	v_mul_lo_u16_sdwa v1, v37, s34 dst_sel:DWORD dst_unused:UNUSED_PAD src0_sel:BYTE_0 src1_sel:DWORD
	v_lshrrev_b16_e32 v1, 11, v1
	v_mul_lo_u16_e32 v1, 10, v1
	v_sub_u16_e32 v1, v37, v1
	v_add_u16_e32 v0, v1, v0
	v_add_u16_e32 v1, -10, v0
	v_min_u16_sdwa v37, v0, v1 dst_sel:DWORD dst_unused:UNUSED_PAD src0_sel:BYTE_0 src1_sel:BYTE_0
.LBB666_946:
	s_or_b64 exec, exec, s[30:31]
	s_mov_b64 s[30:31], exec
	v_readlane_b32 s34, v43, 60
	v_readlane_b32 s35, v43, 61
	s_and_b64 s[34:35], s[30:31], s[34:35]
	s_mov_b64 exec, s[34:35]
	s_cbranch_execz .LBB666_948
; %bb.947:
	s_movk_i32 s34, 0xff
	v_and_b32_sdwa v0, v7, s34 dst_sel:DWORD dst_unused:UNUSED_PAD src0_sel:WORD_1 src1_sel:DWORD
	s_movk_i32 s34, 0xcd
	v_mul_lo_u16_e32 v0, 0xcd, v0
	v_mul_lo_u16_sdwa v1, v37, s34 dst_sel:DWORD dst_unused:UNUSED_PAD src0_sel:BYTE_0 src1_sel:DWORD
	v_lshrrev_b16_e32 v0, 11, v0
	v_lshrrev_b16_e32 v1, 11, v1
	v_mul_lo_u16_e32 v0, 10, v0
	v_mul_lo_u16_e32 v1, 10, v1
	v_sub_u16_sdwa v0, v7, v0 dst_sel:DWORD dst_unused:UNUSED_PAD src0_sel:WORD_1 src1_sel:DWORD
	v_sub_u16_e32 v1, v37, v1
	v_add_u16_e32 v0, v1, v0
	v_add_u16_e32 v1, -10, v0
	v_min_u16_sdwa v37, v0, v1 dst_sel:DWORD dst_unused:UNUSED_PAD src0_sel:BYTE_0 src1_sel:BYTE_0
.LBB666_948:
	s_or_b64 exec, exec, s[30:31]
	s_mov_b64 s[30:31], exec
	v_readlane_b32 s34, v43, 62
	v_readlane_b32 s35, v43, 63
	s_and_b64 s[34:35], s[30:31], s[34:35]
	s_mov_b64 exec, s[34:35]
	s_cbranch_execz .LBB666_950
; %bb.949:
	s_movk_i32 s34, 0xcd
	v_mul_lo_u16_sdwa v0, v7, s34 dst_sel:DWORD dst_unused:UNUSED_PAD src0_sel:BYTE_3 src1_sel:DWORD
	v_mul_lo_u16_sdwa v1, v37, s34 dst_sel:DWORD dst_unused:UNUSED_PAD src0_sel:BYTE_0 src1_sel:DWORD
	v_lshrrev_b16_e32 v0, 11, v0
	v_lshrrev_b16_e32 v1, 11, v1
	v_mul_lo_u16_e32 v0, 10, v0
	v_mul_lo_u16_e32 v1, 10, v1
	v_sub_u16_sdwa v0, v7, v0 dst_sel:DWORD dst_unused:UNUSED_PAD src0_sel:BYTE_3 src1_sel:DWORD
	v_sub_u16_e32 v1, v37, v1
	v_add_u16_e32 v0, v1, v0
	v_add_u16_e32 v1, -10, v0
	v_min_u16_sdwa v37, v0, v1 dst_sel:DWORD dst_unused:UNUSED_PAD src0_sel:BYTE_0 src1_sel:BYTE_0
.LBB666_950:
	s_or_b64 exec, exec, s[30:31]
	s_mov_b64 s[30:31], exec
	v_readlane_b32 s34, v42, 0
	v_readlane_b32 s35, v42, 1
	s_and_b64 s[34:35], s[30:31], s[34:35]
	s_mov_b64 exec, s[34:35]
	s_cbranch_execz .LBB666_952
; %bb.951:
	s_movk_i32 s34, 0xcd
	v_mul_lo_u16_sdwa v0, v8, s34 dst_sel:DWORD dst_unused:UNUSED_PAD src0_sel:BYTE_0 src1_sel:DWORD
	v_mul_lo_u16_sdwa v1, v37, s34 dst_sel:DWORD dst_unused:UNUSED_PAD src0_sel:BYTE_0 src1_sel:DWORD
	v_lshrrev_b16_e32 v0, 11, v0
	v_lshrrev_b16_e32 v1, 11, v1
	v_mul_lo_u16_e32 v0, 10, v0
	v_mul_lo_u16_e32 v1, 10, v1
	v_sub_u16_e32 v0, v8, v0
	v_sub_u16_e32 v1, v37, v1
	v_add_u16_e32 v0, v1, v0
	v_add_u16_e32 v1, -10, v0
	v_min_u16_sdwa v37, v0, v1 dst_sel:DWORD dst_unused:UNUSED_PAD src0_sel:BYTE_0 src1_sel:BYTE_0
.LBB666_952:
	s_or_b64 exec, exec, s[30:31]
	s_mov_b64 s[30:31], exec
	v_readlane_b32 s34, v42, 2
	v_readlane_b32 s35, v42, 3
	s_and_b64 s[34:35], s[30:31], s[34:35]
	s_mov_b64 exec, s[34:35]
	s_cbranch_execz .LBB666_954
; %bb.953:
	v_lshrrev_b32_e32 v0, 8, v8
	s_movk_i32 s34, 0xcd
	v_mul_lo_u16_sdwa v1, v0, s34 dst_sel:DWORD dst_unused:UNUSED_PAD src0_sel:BYTE_0 src1_sel:DWORD
	v_lshrrev_b16_e32 v1, 11, v1
	v_mul_lo_u16_e32 v1, 10, v1
	v_sub_u16_e32 v0, v0, v1
	v_mul_lo_u16_sdwa v1, v37, s34 dst_sel:DWORD dst_unused:UNUSED_PAD src0_sel:BYTE_0 src1_sel:DWORD
	v_lshrrev_b16_e32 v1, 11, v1
	v_mul_lo_u16_e32 v1, 10, v1
	v_sub_u16_e32 v1, v37, v1
	v_add_u16_e32 v0, v1, v0
	v_add_u16_e32 v1, -10, v0
	v_min_u16_sdwa v37, v0, v1 dst_sel:DWORD dst_unused:UNUSED_PAD src0_sel:BYTE_0 src1_sel:BYTE_0
.LBB666_954:
	s_or_b64 exec, exec, s[30:31]
	s_mov_b64 s[30:31], exec
	v_readlane_b32 s34, v42, 4
	v_readlane_b32 s35, v42, 5
	s_and_b64 s[34:35], s[30:31], s[34:35]
	s_mov_b64 exec, s[34:35]
	s_cbranch_execz .LBB666_956
; %bb.955:
	s_movk_i32 s34, 0xff
	v_and_b32_sdwa v0, v8, s34 dst_sel:DWORD dst_unused:UNUSED_PAD src0_sel:WORD_1 src1_sel:DWORD
	s_movk_i32 s34, 0xcd
	v_mul_lo_u16_e32 v0, 0xcd, v0
	v_mul_lo_u16_sdwa v1, v37, s34 dst_sel:DWORD dst_unused:UNUSED_PAD src0_sel:BYTE_0 src1_sel:DWORD
	v_lshrrev_b16_e32 v0, 11, v0
	v_lshrrev_b16_e32 v1, 11, v1
	v_mul_lo_u16_e32 v0, 10, v0
	v_mul_lo_u16_e32 v1, 10, v1
	v_sub_u16_sdwa v0, v8, v0 dst_sel:DWORD dst_unused:UNUSED_PAD src0_sel:WORD_1 src1_sel:DWORD
	v_sub_u16_e32 v1, v37, v1
	v_add_u16_e32 v0, v1, v0
	v_add_u16_e32 v1, -10, v0
	v_min_u16_sdwa v37, v0, v1 dst_sel:DWORD dst_unused:UNUSED_PAD src0_sel:BYTE_0 src1_sel:BYTE_0
.LBB666_956:
	s_or_b64 exec, exec, s[30:31]
	s_mov_b64 s[30:31], exec
	v_readlane_b32 s34, v42, 6
	v_readlane_b32 s35, v42, 7
	s_and_b64 s[34:35], s[30:31], s[34:35]
	s_mov_b64 exec, s[34:35]
	s_cbranch_execz .LBB666_958
; %bb.957:
	v_lshrrev_b64 v[0:1], 24, v[8:9]
	s_movk_i32 s34, 0xcd
	v_mul_lo_u16_sdwa v1, v0, s34 dst_sel:DWORD dst_unused:UNUSED_PAD src0_sel:BYTE_0 src1_sel:DWORD
	v_lshrrev_b16_e32 v1, 11, v1
	v_mul_lo_u16_e32 v1, 10, v1
	v_sub_u16_e32 v0, v0, v1
	v_mul_lo_u16_sdwa v1, v37, s34 dst_sel:DWORD dst_unused:UNUSED_PAD src0_sel:BYTE_0 src1_sel:DWORD
	v_lshrrev_b16_e32 v1, 11, v1
	v_mul_lo_u16_e32 v1, 10, v1
	v_sub_u16_e32 v1, v37, v1
	v_add_u16_e32 v0, v1, v0
	v_add_u16_e32 v1, -10, v0
	v_min_u16_sdwa v37, v0, v1 dst_sel:DWORD dst_unused:UNUSED_PAD src0_sel:BYTE_0 src1_sel:BYTE_0
.LBB666_958:
	s_or_b64 exec, exec, s[30:31]
	s_mov_b64 s[30:31], exec
	v_readlane_b32 s34, v42, 8
	v_readlane_b32 s35, v42, 9
	s_and_b64 s[34:35], s[30:31], s[34:35]
	s_mov_b64 exec, s[34:35]
	s_cbranch_execz .LBB666_960
; %bb.959:
	s_movk_i32 s34, 0xcd
	v_mul_lo_u16_sdwa v0, v9, s34 dst_sel:DWORD dst_unused:UNUSED_PAD src0_sel:BYTE_0 src1_sel:DWORD
	v_mul_lo_u16_sdwa v1, v37, s34 dst_sel:DWORD dst_unused:UNUSED_PAD src0_sel:BYTE_0 src1_sel:DWORD
	v_lshrrev_b16_e32 v0, 11, v0
	v_lshrrev_b16_e32 v1, 11, v1
	v_mul_lo_u16_e32 v0, 10, v0
	v_mul_lo_u16_e32 v1, 10, v1
	v_sub_u16_e32 v0, v9, v0
	v_sub_u16_e32 v1, v37, v1
	v_add_u16_e32 v0, v1, v0
	v_add_u16_e32 v1, -10, v0
	v_min_u16_sdwa v37, v0, v1 dst_sel:DWORD dst_unused:UNUSED_PAD src0_sel:BYTE_0 src1_sel:BYTE_0
.LBB666_960:
	s_or_b64 exec, exec, s[30:31]
	s_mov_b64 s[30:31], exec
	v_readlane_b32 s34, v42, 10
	v_readlane_b32 s35, v42, 11
	s_and_b64 s[34:35], s[30:31], s[34:35]
	s_mov_b64 exec, s[34:35]
	s_cbranch_execz .LBB666_962
; %bb.961:
	v_lshrrev_b32_e32 v0, 8, v9
	s_movk_i32 s34, 0xcd
	v_mul_lo_u16_sdwa v1, v0, s34 dst_sel:DWORD dst_unused:UNUSED_PAD src0_sel:BYTE_0 src1_sel:DWORD
	v_lshrrev_b16_e32 v1, 11, v1
	v_mul_lo_u16_e32 v1, 10, v1
	v_sub_u16_e32 v0, v0, v1
	v_mul_lo_u16_sdwa v1, v37, s34 dst_sel:DWORD dst_unused:UNUSED_PAD src0_sel:BYTE_0 src1_sel:DWORD
	v_lshrrev_b16_e32 v1, 11, v1
	v_mul_lo_u16_e32 v1, 10, v1
	v_sub_u16_e32 v1, v37, v1
	v_add_u16_e32 v0, v1, v0
	v_add_u16_e32 v1, -10, v0
	v_min_u16_sdwa v37, v0, v1 dst_sel:DWORD dst_unused:UNUSED_PAD src0_sel:BYTE_0 src1_sel:BYTE_0
.LBB666_962:
	s_or_b64 exec, exec, s[30:31]
	s_mov_b64 s[30:31], exec
	v_readlane_b32 s34, v42, 12
	v_readlane_b32 s35, v42, 13
	s_and_b64 s[34:35], s[30:31], s[34:35]
	s_mov_b64 exec, s[34:35]
	s_cbranch_execz .LBB666_964
; %bb.963:
	s_movk_i32 s34, 0xff
	v_and_b32_sdwa v0, v9, s34 dst_sel:DWORD dst_unused:UNUSED_PAD src0_sel:WORD_1 src1_sel:DWORD
	s_movk_i32 s34, 0xcd
	v_mul_lo_u16_e32 v0, 0xcd, v0
	v_mul_lo_u16_sdwa v1, v37, s34 dst_sel:DWORD dst_unused:UNUSED_PAD src0_sel:BYTE_0 src1_sel:DWORD
	v_lshrrev_b16_e32 v0, 11, v0
	v_lshrrev_b16_e32 v1, 11, v1
	v_mul_lo_u16_e32 v0, 10, v0
	v_mul_lo_u16_e32 v1, 10, v1
	v_sub_u16_sdwa v0, v9, v0 dst_sel:DWORD dst_unused:UNUSED_PAD src0_sel:WORD_1 src1_sel:DWORD
	v_sub_u16_e32 v1, v37, v1
	v_add_u16_e32 v0, v1, v0
	v_add_u16_e32 v1, -10, v0
	v_min_u16_sdwa v37, v0, v1 dst_sel:DWORD dst_unused:UNUSED_PAD src0_sel:BYTE_0 src1_sel:BYTE_0
.LBB666_964:
	s_or_b64 exec, exec, s[30:31]
	s_mov_b64 s[30:31], exec
	v_readlane_b32 s34, v42, 14
	v_readlane_b32 s35, v42, 15
	s_and_b64 s[34:35], s[30:31], s[34:35]
	s_mov_b64 exec, s[34:35]
	s_cbranch_execz .LBB666_966
; %bb.965:
	s_movk_i32 s34, 0xcd
	v_mul_lo_u16_sdwa v0, v9, s34 dst_sel:DWORD dst_unused:UNUSED_PAD src0_sel:BYTE_3 src1_sel:DWORD
	v_mul_lo_u16_sdwa v1, v37, s34 dst_sel:DWORD dst_unused:UNUSED_PAD src0_sel:BYTE_0 src1_sel:DWORD
	v_lshrrev_b16_e32 v0, 11, v0
	v_lshrrev_b16_e32 v1, 11, v1
	v_mul_lo_u16_e32 v0, 10, v0
	v_mul_lo_u16_e32 v1, 10, v1
	v_sub_u16_sdwa v0, v9, v0 dst_sel:DWORD dst_unused:UNUSED_PAD src0_sel:BYTE_3 src1_sel:DWORD
	v_sub_u16_e32 v1, v37, v1
	v_add_u16_e32 v0, v1, v0
	v_add_u16_e32 v1, -10, v0
	v_min_u16_sdwa v37, v0, v1 dst_sel:DWORD dst_unused:UNUSED_PAD src0_sel:BYTE_0 src1_sel:BYTE_0
.LBB666_966:
	s_or_b64 exec, exec, s[30:31]
	s_mov_b64 s[30:31], exec
	v_readlane_b32 s34, v42, 16
	v_readlane_b32 s35, v42, 17
	s_and_b64 s[34:35], s[30:31], s[34:35]
	s_mov_b64 exec, s[34:35]
	s_cbranch_execz .LBB666_968
; %bb.967:
	s_movk_i32 s34, 0xcd
	v_mul_lo_u16_sdwa v0, v10, s34 dst_sel:DWORD dst_unused:UNUSED_PAD src0_sel:BYTE_0 src1_sel:DWORD
	v_mul_lo_u16_sdwa v1, v37, s34 dst_sel:DWORD dst_unused:UNUSED_PAD src0_sel:BYTE_0 src1_sel:DWORD
	v_lshrrev_b16_e32 v0, 11, v0
	v_lshrrev_b16_e32 v1, 11, v1
	v_mul_lo_u16_e32 v0, 10, v0
	v_mul_lo_u16_e32 v1, 10, v1
	v_sub_u16_e32 v0, v10, v0
	v_sub_u16_e32 v1, v37, v1
	v_add_u16_e32 v0, v1, v0
	v_add_u16_e32 v1, -10, v0
	v_min_u16_sdwa v37, v0, v1 dst_sel:DWORD dst_unused:UNUSED_PAD src0_sel:BYTE_0 src1_sel:BYTE_0
.LBB666_968:
	s_or_b64 exec, exec, s[30:31]
	s_mov_b64 s[30:31], exec
	v_readlane_b32 s34, v42, 18
	v_readlane_b32 s35, v42, 19
	s_and_b64 s[34:35], s[30:31], s[34:35]
	s_mov_b64 exec, s[34:35]
	s_cbranch_execz .LBB666_970
; %bb.969:
	v_lshrrev_b32_e32 v0, 8, v10
	s_movk_i32 s34, 0xcd
	v_mul_lo_u16_sdwa v1, v0, s34 dst_sel:DWORD dst_unused:UNUSED_PAD src0_sel:BYTE_0 src1_sel:DWORD
	v_lshrrev_b16_e32 v1, 11, v1
	v_mul_lo_u16_e32 v1, 10, v1
	v_sub_u16_e32 v0, v0, v1
	v_mul_lo_u16_sdwa v1, v37, s34 dst_sel:DWORD dst_unused:UNUSED_PAD src0_sel:BYTE_0 src1_sel:DWORD
	v_lshrrev_b16_e32 v1, 11, v1
	v_mul_lo_u16_e32 v1, 10, v1
	v_sub_u16_e32 v1, v37, v1
	v_add_u16_e32 v0, v1, v0
	v_add_u16_e32 v1, -10, v0
	v_min_u16_sdwa v37, v0, v1 dst_sel:DWORD dst_unused:UNUSED_PAD src0_sel:BYTE_0 src1_sel:BYTE_0
.LBB666_970:
	s_or_b64 exec, exec, s[30:31]
	s_mov_b64 s[30:31], exec
	v_readlane_b32 s34, v42, 20
	v_readlane_b32 s35, v42, 21
	s_and_b64 s[34:35], s[30:31], s[34:35]
	s_mov_b64 exec, s[34:35]
	s_cbranch_execz .LBB666_972
; %bb.971:
	s_movk_i32 s34, 0xff
	v_and_b32_sdwa v0, v10, s34 dst_sel:DWORD dst_unused:UNUSED_PAD src0_sel:WORD_1 src1_sel:DWORD
	s_movk_i32 s34, 0xcd
	v_mul_lo_u16_e32 v0, 0xcd, v0
	v_mul_lo_u16_sdwa v1, v37, s34 dst_sel:DWORD dst_unused:UNUSED_PAD src0_sel:BYTE_0 src1_sel:DWORD
	v_lshrrev_b16_e32 v0, 11, v0
	v_lshrrev_b16_e32 v1, 11, v1
	v_mul_lo_u16_e32 v0, 10, v0
	v_mul_lo_u16_e32 v1, 10, v1
	v_sub_u16_sdwa v0, v10, v0 dst_sel:DWORD dst_unused:UNUSED_PAD src0_sel:WORD_1 src1_sel:DWORD
	v_sub_u16_e32 v1, v37, v1
	v_add_u16_e32 v0, v1, v0
	v_add_u16_e32 v1, -10, v0
	v_min_u16_sdwa v37, v0, v1 dst_sel:DWORD dst_unused:UNUSED_PAD src0_sel:BYTE_0 src1_sel:BYTE_0
.LBB666_972:
	s_or_b64 exec, exec, s[30:31]
	s_mov_b64 s[30:31], exec
	v_readlane_b32 s34, v42, 22
	v_readlane_b32 s35, v42, 23
	s_and_b64 s[34:35], s[30:31], s[34:35]
	s_mov_b64 exec, s[34:35]
	s_cbranch_execz .LBB666_974
; %bb.973:
	v_lshrrev_b64 v[0:1], 24, v[10:11]
	s_movk_i32 s34, 0xcd
	v_mul_lo_u16_sdwa v1, v0, s34 dst_sel:DWORD dst_unused:UNUSED_PAD src0_sel:BYTE_0 src1_sel:DWORD
	v_lshrrev_b16_e32 v1, 11, v1
	v_mul_lo_u16_e32 v1, 10, v1
	v_sub_u16_e32 v0, v0, v1
	v_mul_lo_u16_sdwa v1, v37, s34 dst_sel:DWORD dst_unused:UNUSED_PAD src0_sel:BYTE_0 src1_sel:DWORD
	v_lshrrev_b16_e32 v1, 11, v1
	v_mul_lo_u16_e32 v1, 10, v1
	v_sub_u16_e32 v1, v37, v1
	v_add_u16_e32 v0, v1, v0
	v_add_u16_e32 v1, -10, v0
	v_min_u16_sdwa v37, v0, v1 dst_sel:DWORD dst_unused:UNUSED_PAD src0_sel:BYTE_0 src1_sel:BYTE_0
.LBB666_974:
	s_or_b64 exec, exec, s[30:31]
	s_mov_b64 s[30:31], exec
	v_readlane_b32 s34, v42, 24
	v_readlane_b32 s35, v42, 25
	s_and_b64 s[34:35], s[30:31], s[34:35]
	s_mov_b64 exec, s[34:35]
	s_cbranch_execz .LBB666_976
; %bb.975:
	s_movk_i32 s34, 0xcd
	v_mul_lo_u16_sdwa v0, v11, s34 dst_sel:DWORD dst_unused:UNUSED_PAD src0_sel:BYTE_0 src1_sel:DWORD
	v_mul_lo_u16_sdwa v1, v37, s34 dst_sel:DWORD dst_unused:UNUSED_PAD src0_sel:BYTE_0 src1_sel:DWORD
	v_lshrrev_b16_e32 v0, 11, v0
	v_lshrrev_b16_e32 v1, 11, v1
	v_mul_lo_u16_e32 v0, 10, v0
	v_mul_lo_u16_e32 v1, 10, v1
	v_sub_u16_e32 v0, v11, v0
	v_sub_u16_e32 v1, v37, v1
	v_add_u16_e32 v0, v1, v0
	v_add_u16_e32 v1, -10, v0
	v_min_u16_sdwa v37, v0, v1 dst_sel:DWORD dst_unused:UNUSED_PAD src0_sel:BYTE_0 src1_sel:BYTE_0
.LBB666_976:
	s_or_b64 exec, exec, s[30:31]
	s_mov_b64 s[30:31], exec
	v_readlane_b32 s34, v42, 26
	v_readlane_b32 s35, v42, 27
	s_and_b64 s[34:35], s[30:31], s[34:35]
	s_mov_b64 exec, s[34:35]
	s_cbranch_execz .LBB666_978
; %bb.977:
	v_lshrrev_b32_e32 v0, 8, v11
	s_movk_i32 s34, 0xcd
	v_mul_lo_u16_sdwa v1, v0, s34 dst_sel:DWORD dst_unused:UNUSED_PAD src0_sel:BYTE_0 src1_sel:DWORD
	v_lshrrev_b16_e32 v1, 11, v1
	v_mul_lo_u16_e32 v1, 10, v1
	v_sub_u16_e32 v0, v0, v1
	v_mul_lo_u16_sdwa v1, v37, s34 dst_sel:DWORD dst_unused:UNUSED_PAD src0_sel:BYTE_0 src1_sel:DWORD
	v_lshrrev_b16_e32 v1, 11, v1
	v_mul_lo_u16_e32 v1, 10, v1
	v_sub_u16_e32 v1, v37, v1
	v_add_u16_e32 v0, v1, v0
	v_add_u16_e32 v1, -10, v0
	v_min_u16_sdwa v37, v0, v1 dst_sel:DWORD dst_unused:UNUSED_PAD src0_sel:BYTE_0 src1_sel:BYTE_0
.LBB666_978:
	s_or_b64 exec, exec, s[30:31]
	s_mov_b64 s[30:31], exec
	v_readlane_b32 s34, v42, 28
	v_readlane_b32 s35, v42, 29
	s_and_b64 s[34:35], s[30:31], s[34:35]
	s_mov_b64 exec, s[34:35]
	s_cbranch_execz .LBB666_980
; %bb.979:
	s_movk_i32 s34, 0xff
	v_and_b32_sdwa v0, v11, s34 dst_sel:DWORD dst_unused:UNUSED_PAD src0_sel:WORD_1 src1_sel:DWORD
	s_movk_i32 s34, 0xcd
	v_mul_lo_u16_e32 v0, 0xcd, v0
	v_mul_lo_u16_sdwa v1, v37, s34 dst_sel:DWORD dst_unused:UNUSED_PAD src0_sel:BYTE_0 src1_sel:DWORD
	v_lshrrev_b16_e32 v0, 11, v0
	v_lshrrev_b16_e32 v1, 11, v1
	v_mul_lo_u16_e32 v0, 10, v0
	v_mul_lo_u16_e32 v1, 10, v1
	v_sub_u16_sdwa v0, v11, v0 dst_sel:DWORD dst_unused:UNUSED_PAD src0_sel:WORD_1 src1_sel:DWORD
	v_sub_u16_e32 v1, v37, v1
	v_add_u16_e32 v0, v1, v0
	v_add_u16_e32 v1, -10, v0
	v_min_u16_sdwa v37, v0, v1 dst_sel:DWORD dst_unused:UNUSED_PAD src0_sel:BYTE_0 src1_sel:BYTE_0
.LBB666_980:
	s_or_b64 exec, exec, s[30:31]
	s_mov_b64 s[30:31], exec
	v_readlane_b32 s34, v42, 30
	v_readlane_b32 s35, v42, 31
	s_and_b64 s[34:35], s[30:31], s[34:35]
	s_mov_b64 exec, s[34:35]
	s_cbranch_execz .LBB666_982
; %bb.981:
	s_movk_i32 s34, 0xcd
	v_mul_lo_u16_sdwa v0, v11, s34 dst_sel:DWORD dst_unused:UNUSED_PAD src0_sel:BYTE_3 src1_sel:DWORD
	v_mul_lo_u16_sdwa v1, v37, s34 dst_sel:DWORD dst_unused:UNUSED_PAD src0_sel:BYTE_0 src1_sel:DWORD
	v_lshrrev_b16_e32 v0, 11, v0
	v_lshrrev_b16_e32 v1, 11, v1
	v_mul_lo_u16_e32 v0, 10, v0
	v_mul_lo_u16_e32 v1, 10, v1
	v_sub_u16_sdwa v0, v11, v0 dst_sel:DWORD dst_unused:UNUSED_PAD src0_sel:BYTE_3 src1_sel:DWORD
	v_sub_u16_e32 v1, v37, v1
	v_add_u16_e32 v0, v1, v0
	v_add_u16_e32 v1, -10, v0
	v_min_u16_sdwa v37, v0, v1 dst_sel:DWORD dst_unused:UNUSED_PAD src0_sel:BYTE_0 src1_sel:BYTE_0
.LBB666_982:
	s_or_b64 exec, exec, s[30:31]
	s_mov_b64 s[30:31], exec
	v_readlane_b32 s34, v42, 32
	v_readlane_b32 s35, v42, 33
	s_and_b64 s[34:35], s[30:31], s[34:35]
	s_mov_b64 exec, s[34:35]
	s_cbranch_execz .LBB666_984
; %bb.983:
	s_movk_i32 s34, 0xcd
	v_mul_lo_u16_sdwa v0, v12, s34 dst_sel:DWORD dst_unused:UNUSED_PAD src0_sel:BYTE_0 src1_sel:DWORD
	v_mul_lo_u16_sdwa v1, v37, s34 dst_sel:DWORD dst_unused:UNUSED_PAD src0_sel:BYTE_0 src1_sel:DWORD
	v_lshrrev_b16_e32 v0, 11, v0
	v_lshrrev_b16_e32 v1, 11, v1
	v_mul_lo_u16_e32 v0, 10, v0
	v_mul_lo_u16_e32 v1, 10, v1
	v_sub_u16_e32 v0, v12, v0
	v_sub_u16_e32 v1, v37, v1
	v_add_u16_e32 v0, v1, v0
	v_add_u16_e32 v1, -10, v0
	v_min_u16_sdwa v37, v0, v1 dst_sel:DWORD dst_unused:UNUSED_PAD src0_sel:BYTE_0 src1_sel:BYTE_0
.LBB666_984:
	s_or_b64 exec, exec, s[30:31]
	s_mov_b64 s[30:31], exec
	v_readlane_b32 s34, v42, 34
	v_readlane_b32 s35, v42, 35
	s_and_b64 s[34:35], s[30:31], s[34:35]
	s_mov_b64 exec, s[34:35]
	s_cbranch_execz .LBB666_986
; %bb.985:
	v_lshrrev_b32_e32 v0, 8, v12
	s_movk_i32 s34, 0xcd
	v_mul_lo_u16_sdwa v1, v0, s34 dst_sel:DWORD dst_unused:UNUSED_PAD src0_sel:BYTE_0 src1_sel:DWORD
	v_lshrrev_b16_e32 v1, 11, v1
	v_mul_lo_u16_e32 v1, 10, v1
	v_sub_u16_e32 v0, v0, v1
	v_mul_lo_u16_sdwa v1, v37, s34 dst_sel:DWORD dst_unused:UNUSED_PAD src0_sel:BYTE_0 src1_sel:DWORD
	v_lshrrev_b16_e32 v1, 11, v1
	v_mul_lo_u16_e32 v1, 10, v1
	v_sub_u16_e32 v1, v37, v1
	v_add_u16_e32 v0, v1, v0
	v_add_u16_e32 v1, -10, v0
	v_min_u16_sdwa v37, v0, v1 dst_sel:DWORD dst_unused:UNUSED_PAD src0_sel:BYTE_0 src1_sel:BYTE_0
.LBB666_986:
	s_or_b64 exec, exec, s[30:31]
	s_mov_b64 s[30:31], exec
	v_readlane_b32 s34, v42, 36
	v_readlane_b32 s35, v42, 37
	s_and_b64 s[34:35], s[30:31], s[34:35]
	s_mov_b64 exec, s[34:35]
	s_cbranch_execz .LBB666_988
; %bb.987:
	s_movk_i32 s34, 0xff
	v_and_b32_sdwa v0, v12, s34 dst_sel:DWORD dst_unused:UNUSED_PAD src0_sel:WORD_1 src1_sel:DWORD
	s_movk_i32 s34, 0xcd
	v_mul_lo_u16_e32 v0, 0xcd, v0
	v_mul_lo_u16_sdwa v1, v37, s34 dst_sel:DWORD dst_unused:UNUSED_PAD src0_sel:BYTE_0 src1_sel:DWORD
	v_lshrrev_b16_e32 v0, 11, v0
	v_lshrrev_b16_e32 v1, 11, v1
	v_mul_lo_u16_e32 v0, 10, v0
	v_mul_lo_u16_e32 v1, 10, v1
	v_sub_u16_sdwa v0, v12, v0 dst_sel:DWORD dst_unused:UNUSED_PAD src0_sel:WORD_1 src1_sel:DWORD
	v_sub_u16_e32 v1, v37, v1
	v_add_u16_e32 v0, v1, v0
	v_add_u16_e32 v1, -10, v0
	v_min_u16_sdwa v37, v0, v1 dst_sel:DWORD dst_unused:UNUSED_PAD src0_sel:BYTE_0 src1_sel:BYTE_0
.LBB666_988:
	s_or_b64 exec, exec, s[30:31]
	s_mov_b64 s[30:31], exec
	v_readlane_b32 s34, v42, 38
	v_readlane_b32 s35, v42, 39
	s_and_b64 s[34:35], s[30:31], s[34:35]
	s_mov_b64 exec, s[34:35]
	s_cbranch_execz .LBB666_990
; %bb.989:
	v_lshrrev_b64 v[0:1], 24, v[12:13]
	s_movk_i32 s34, 0xcd
	v_mul_lo_u16_sdwa v1, v0, s34 dst_sel:DWORD dst_unused:UNUSED_PAD src0_sel:BYTE_0 src1_sel:DWORD
	v_lshrrev_b16_e32 v1, 11, v1
	v_mul_lo_u16_e32 v1, 10, v1
	v_sub_u16_e32 v0, v0, v1
	v_mul_lo_u16_sdwa v1, v37, s34 dst_sel:DWORD dst_unused:UNUSED_PAD src0_sel:BYTE_0 src1_sel:DWORD
	v_lshrrev_b16_e32 v1, 11, v1
	v_mul_lo_u16_e32 v1, 10, v1
	v_sub_u16_e32 v1, v37, v1
	v_add_u16_e32 v0, v1, v0
	v_add_u16_e32 v1, -10, v0
	v_min_u16_sdwa v37, v0, v1 dst_sel:DWORD dst_unused:UNUSED_PAD src0_sel:BYTE_0 src1_sel:BYTE_0
.LBB666_990:
	s_or_b64 exec, exec, s[30:31]
	s_mov_b64 s[30:31], exec
	v_readlane_b32 s34, v42, 40
	v_readlane_b32 s35, v42, 41
	s_and_b64 s[34:35], s[30:31], s[34:35]
	s_mov_b64 exec, s[34:35]
	s_cbranch_execz .LBB666_992
; %bb.991:
	s_movk_i32 s34, 0xcd
	v_mul_lo_u16_sdwa v0, v13, s34 dst_sel:DWORD dst_unused:UNUSED_PAD src0_sel:BYTE_0 src1_sel:DWORD
	v_mul_lo_u16_sdwa v1, v37, s34 dst_sel:DWORD dst_unused:UNUSED_PAD src0_sel:BYTE_0 src1_sel:DWORD
	v_lshrrev_b16_e32 v0, 11, v0
	v_lshrrev_b16_e32 v1, 11, v1
	v_mul_lo_u16_e32 v0, 10, v0
	v_mul_lo_u16_e32 v1, 10, v1
	v_sub_u16_e32 v0, v13, v0
	v_sub_u16_e32 v1, v37, v1
	v_add_u16_e32 v0, v1, v0
	v_add_u16_e32 v1, -10, v0
	v_min_u16_sdwa v37, v0, v1 dst_sel:DWORD dst_unused:UNUSED_PAD src0_sel:BYTE_0 src1_sel:BYTE_0
.LBB666_992:
	s_or_b64 exec, exec, s[30:31]
	s_mov_b64 s[30:31], exec
	v_readlane_b32 s34, v42, 42
	v_readlane_b32 s35, v42, 43
	s_and_b64 s[34:35], s[30:31], s[34:35]
	s_mov_b64 exec, s[34:35]
	s_cbranch_execz .LBB666_994
; %bb.993:
	v_lshrrev_b32_e32 v0, 8, v13
	s_movk_i32 s34, 0xcd
	v_mul_lo_u16_sdwa v1, v0, s34 dst_sel:DWORD dst_unused:UNUSED_PAD src0_sel:BYTE_0 src1_sel:DWORD
	v_lshrrev_b16_e32 v1, 11, v1
	v_mul_lo_u16_e32 v1, 10, v1
	v_sub_u16_e32 v0, v0, v1
	v_mul_lo_u16_sdwa v1, v37, s34 dst_sel:DWORD dst_unused:UNUSED_PAD src0_sel:BYTE_0 src1_sel:DWORD
	v_lshrrev_b16_e32 v1, 11, v1
	v_mul_lo_u16_e32 v1, 10, v1
	v_sub_u16_e32 v1, v37, v1
	v_add_u16_e32 v0, v1, v0
	v_add_u16_e32 v1, -10, v0
	v_min_u16_sdwa v37, v0, v1 dst_sel:DWORD dst_unused:UNUSED_PAD src0_sel:BYTE_0 src1_sel:BYTE_0
.LBB666_994:
	s_or_b64 exec, exec, s[30:31]
	s_mov_b64 s[30:31], exec
	v_readlane_b32 s34, v42, 44
	v_readlane_b32 s35, v42, 45
	s_and_b64 s[34:35], s[30:31], s[34:35]
	s_mov_b64 exec, s[34:35]
	s_cbranch_execz .LBB666_996
; %bb.995:
	s_movk_i32 s34, 0xff
	v_and_b32_sdwa v0, v13, s34 dst_sel:DWORD dst_unused:UNUSED_PAD src0_sel:WORD_1 src1_sel:DWORD
	s_movk_i32 s34, 0xcd
	v_mul_lo_u16_e32 v0, 0xcd, v0
	v_mul_lo_u16_sdwa v1, v37, s34 dst_sel:DWORD dst_unused:UNUSED_PAD src0_sel:BYTE_0 src1_sel:DWORD
	v_lshrrev_b16_e32 v0, 11, v0
	v_lshrrev_b16_e32 v1, 11, v1
	v_mul_lo_u16_e32 v0, 10, v0
	v_mul_lo_u16_e32 v1, 10, v1
	v_sub_u16_sdwa v0, v13, v0 dst_sel:DWORD dst_unused:UNUSED_PAD src0_sel:WORD_1 src1_sel:DWORD
	v_sub_u16_e32 v1, v37, v1
	v_add_u16_e32 v0, v1, v0
	v_add_u16_e32 v1, -10, v0
	v_min_u16_sdwa v37, v0, v1 dst_sel:DWORD dst_unused:UNUSED_PAD src0_sel:BYTE_0 src1_sel:BYTE_0
.LBB666_996:
	s_or_b64 exec, exec, s[30:31]
	s_mov_b64 s[30:31], exec
	v_readlane_b32 s34, v42, 46
	v_readlane_b32 s35, v42, 47
	s_and_b64 s[34:35], s[30:31], s[34:35]
	s_mov_b64 exec, s[34:35]
	s_cbranch_execz .LBB666_998
; %bb.997:
	s_movk_i32 s34, 0xcd
	v_mul_lo_u16_sdwa v0, v13, s34 dst_sel:DWORD dst_unused:UNUSED_PAD src0_sel:BYTE_3 src1_sel:DWORD
	v_mul_lo_u16_sdwa v1, v37, s34 dst_sel:DWORD dst_unused:UNUSED_PAD src0_sel:BYTE_0 src1_sel:DWORD
	v_lshrrev_b16_e32 v0, 11, v0
	v_lshrrev_b16_e32 v1, 11, v1
	v_mul_lo_u16_e32 v0, 10, v0
	v_mul_lo_u16_e32 v1, 10, v1
	v_sub_u16_sdwa v0, v13, v0 dst_sel:DWORD dst_unused:UNUSED_PAD src0_sel:BYTE_3 src1_sel:DWORD
	v_sub_u16_e32 v1, v37, v1
	v_add_u16_e32 v0, v1, v0
	v_add_u16_e32 v1, -10, v0
	v_min_u16_sdwa v37, v0, v1 dst_sel:DWORD dst_unused:UNUSED_PAD src0_sel:BYTE_0 src1_sel:BYTE_0
.LBB666_998:
	s_or_b64 exec, exec, s[30:31]
	s_mov_b64 s[30:31], exec
	v_readlane_b32 s34, v42, 48
	v_readlane_b32 s35, v42, 49
	s_and_b64 s[34:35], s[30:31], s[34:35]
	s_mov_b64 exec, s[34:35]
	s_cbranch_execz .LBB666_1000
; %bb.999:
	s_movk_i32 s34, 0xcd
	v_mul_lo_u16_sdwa v0, v14, s34 dst_sel:DWORD dst_unused:UNUSED_PAD src0_sel:BYTE_0 src1_sel:DWORD
	v_mul_lo_u16_sdwa v1, v37, s34 dst_sel:DWORD dst_unused:UNUSED_PAD src0_sel:BYTE_0 src1_sel:DWORD
	v_lshrrev_b16_e32 v0, 11, v0
	v_lshrrev_b16_e32 v1, 11, v1
	v_mul_lo_u16_e32 v0, 10, v0
	v_mul_lo_u16_e32 v1, 10, v1
	v_sub_u16_e32 v0, v14, v0
	v_sub_u16_e32 v1, v37, v1
	v_add_u16_e32 v0, v1, v0
	v_add_u16_e32 v1, -10, v0
	v_min_u16_sdwa v37, v0, v1 dst_sel:DWORD dst_unused:UNUSED_PAD src0_sel:BYTE_0 src1_sel:BYTE_0
.LBB666_1000:
	s_or_b64 exec, exec, s[30:31]
	s_mov_b64 s[30:31], exec
	v_readlane_b32 s34, v42, 50
	v_readlane_b32 s35, v42, 51
	s_and_b64 s[34:35], s[30:31], s[34:35]
	s_mov_b64 exec, s[34:35]
	s_cbranch_execz .LBB666_1002
; %bb.1001:
	v_lshrrev_b32_e32 v0, 8, v14
	s_movk_i32 s34, 0xcd
	v_mul_lo_u16_sdwa v1, v0, s34 dst_sel:DWORD dst_unused:UNUSED_PAD src0_sel:BYTE_0 src1_sel:DWORD
	v_lshrrev_b16_e32 v1, 11, v1
	v_mul_lo_u16_e32 v1, 10, v1
	v_sub_u16_e32 v0, v0, v1
	v_mul_lo_u16_sdwa v1, v37, s34 dst_sel:DWORD dst_unused:UNUSED_PAD src0_sel:BYTE_0 src1_sel:DWORD
	v_lshrrev_b16_e32 v1, 11, v1
	v_mul_lo_u16_e32 v1, 10, v1
	v_sub_u16_e32 v1, v37, v1
	v_add_u16_e32 v0, v1, v0
	v_add_u16_e32 v1, -10, v0
	v_min_u16_sdwa v37, v0, v1 dst_sel:DWORD dst_unused:UNUSED_PAD src0_sel:BYTE_0 src1_sel:BYTE_0
.LBB666_1002:
	s_or_b64 exec, exec, s[30:31]
	s_mov_b64 s[30:31], exec
	v_readlane_b32 s34, v42, 52
	v_readlane_b32 s35, v42, 53
	s_and_b64 s[34:35], s[30:31], s[34:35]
	s_mov_b64 exec, s[34:35]
	s_cbranch_execz .LBB666_1004
; %bb.1003:
	s_movk_i32 s34, 0xff
	v_and_b32_sdwa v0, v14, s34 dst_sel:DWORD dst_unused:UNUSED_PAD src0_sel:WORD_1 src1_sel:DWORD
	s_movk_i32 s34, 0xcd
	v_mul_lo_u16_e32 v0, 0xcd, v0
	v_mul_lo_u16_sdwa v1, v37, s34 dst_sel:DWORD dst_unused:UNUSED_PAD src0_sel:BYTE_0 src1_sel:DWORD
	v_lshrrev_b16_e32 v0, 11, v0
	v_lshrrev_b16_e32 v1, 11, v1
	v_mul_lo_u16_e32 v0, 10, v0
	v_mul_lo_u16_e32 v1, 10, v1
	v_sub_u16_sdwa v0, v14, v0 dst_sel:DWORD dst_unused:UNUSED_PAD src0_sel:WORD_1 src1_sel:DWORD
	v_sub_u16_e32 v1, v37, v1
	v_add_u16_e32 v0, v1, v0
	v_add_u16_e32 v1, -10, v0
	v_min_u16_sdwa v37, v0, v1 dst_sel:DWORD dst_unused:UNUSED_PAD src0_sel:BYTE_0 src1_sel:BYTE_0
.LBB666_1004:
	s_or_b64 exec, exec, s[30:31]
	s_mov_b64 s[30:31], exec
	v_readlane_b32 s34, v42, 54
	v_readlane_b32 s35, v42, 55
	s_and_b64 s[34:35], s[30:31], s[34:35]
	s_mov_b64 exec, s[34:35]
	s_cbranch_execz .LBB666_1006
; %bb.1005:
	v_lshrrev_b64 v[0:1], 24, v[14:15]
	s_movk_i32 s34, 0xcd
	v_mul_lo_u16_sdwa v1, v0, s34 dst_sel:DWORD dst_unused:UNUSED_PAD src0_sel:BYTE_0 src1_sel:DWORD
	v_lshrrev_b16_e32 v1, 11, v1
	v_mul_lo_u16_e32 v1, 10, v1
	v_sub_u16_e32 v0, v0, v1
	v_mul_lo_u16_sdwa v1, v37, s34 dst_sel:DWORD dst_unused:UNUSED_PAD src0_sel:BYTE_0 src1_sel:DWORD
	v_lshrrev_b16_e32 v1, 11, v1
	v_mul_lo_u16_e32 v1, 10, v1
	v_sub_u16_e32 v1, v37, v1
	v_add_u16_e32 v0, v1, v0
	v_add_u16_e32 v1, -10, v0
	v_min_u16_sdwa v37, v0, v1 dst_sel:DWORD dst_unused:UNUSED_PAD src0_sel:BYTE_0 src1_sel:BYTE_0
.LBB666_1006:
	s_or_b64 exec, exec, s[30:31]
	s_mov_b64 s[30:31], exec
	v_readlane_b32 s34, v42, 56
	v_readlane_b32 s35, v42, 57
	s_and_b64 s[34:35], s[30:31], s[34:35]
	s_mov_b64 exec, s[34:35]
	s_cbranch_execz .LBB666_1008
; %bb.1007:
	s_movk_i32 s34, 0xcd
	v_mul_lo_u16_sdwa v0, v15, s34 dst_sel:DWORD dst_unused:UNUSED_PAD src0_sel:BYTE_0 src1_sel:DWORD
	v_mul_lo_u16_sdwa v1, v37, s34 dst_sel:DWORD dst_unused:UNUSED_PAD src0_sel:BYTE_0 src1_sel:DWORD
	v_lshrrev_b16_e32 v0, 11, v0
	v_lshrrev_b16_e32 v1, 11, v1
	v_mul_lo_u16_e32 v0, 10, v0
	v_mul_lo_u16_e32 v1, 10, v1
	v_sub_u16_e32 v0, v15, v0
	v_sub_u16_e32 v1, v37, v1
	v_add_u16_e32 v0, v1, v0
	v_add_u16_e32 v1, -10, v0
	v_min_u16_sdwa v37, v0, v1 dst_sel:DWORD dst_unused:UNUSED_PAD src0_sel:BYTE_0 src1_sel:BYTE_0
.LBB666_1008:
	s_or_b64 exec, exec, s[30:31]
	s_mov_b64 s[30:31], exec
	v_readlane_b32 s34, v42, 58
	v_readlane_b32 s35, v42, 59
	s_and_b64 s[34:35], s[30:31], s[34:35]
	s_mov_b64 exec, s[34:35]
	s_cbranch_execz .LBB666_1010
; %bb.1009:
	v_lshrrev_b32_e32 v0, 8, v15
	s_movk_i32 s34, 0xcd
	v_mul_lo_u16_sdwa v1, v0, s34 dst_sel:DWORD dst_unused:UNUSED_PAD src0_sel:BYTE_0 src1_sel:DWORD
	v_lshrrev_b16_e32 v1, 11, v1
	v_mul_lo_u16_e32 v1, 10, v1
	v_sub_u16_e32 v0, v0, v1
	v_mul_lo_u16_sdwa v1, v37, s34 dst_sel:DWORD dst_unused:UNUSED_PAD src0_sel:BYTE_0 src1_sel:DWORD
	v_lshrrev_b16_e32 v1, 11, v1
	v_mul_lo_u16_e32 v1, 10, v1
	v_sub_u16_e32 v1, v37, v1
	v_add_u16_e32 v0, v1, v0
	v_add_u16_e32 v1, -10, v0
	v_min_u16_sdwa v37, v0, v1 dst_sel:DWORD dst_unused:UNUSED_PAD src0_sel:BYTE_0 src1_sel:BYTE_0
.LBB666_1010:
	s_or_b64 exec, exec, s[30:31]
	s_mov_b64 s[30:31], exec
	v_readlane_b32 s34, v42, 60
	v_readlane_b32 s35, v42, 61
	s_and_b64 s[34:35], s[30:31], s[34:35]
	s_mov_b64 exec, s[34:35]
	s_cbranch_execz .LBB666_1012
; %bb.1011:
	s_movk_i32 s34, 0xff
	v_and_b32_sdwa v0, v15, s34 dst_sel:DWORD dst_unused:UNUSED_PAD src0_sel:WORD_1 src1_sel:DWORD
	s_movk_i32 s34, 0xcd
	v_mul_lo_u16_e32 v0, 0xcd, v0
	v_mul_lo_u16_sdwa v1, v37, s34 dst_sel:DWORD dst_unused:UNUSED_PAD src0_sel:BYTE_0 src1_sel:DWORD
	v_lshrrev_b16_e32 v0, 11, v0
	v_lshrrev_b16_e32 v1, 11, v1
	v_mul_lo_u16_e32 v0, 10, v0
	v_mul_lo_u16_e32 v1, 10, v1
	v_sub_u16_sdwa v0, v15, v0 dst_sel:DWORD dst_unused:UNUSED_PAD src0_sel:WORD_1 src1_sel:DWORD
	v_sub_u16_e32 v1, v37, v1
	v_add_u16_e32 v0, v1, v0
	v_add_u16_e32 v1, -10, v0
	v_min_u16_sdwa v37, v0, v1 dst_sel:DWORD dst_unused:UNUSED_PAD src0_sel:BYTE_0 src1_sel:BYTE_0
.LBB666_1012:
	s_or_b64 exec, exec, s[30:31]
	s_mov_b64 s[30:31], exec
	v_readlane_b32 s34, v42, 62
	v_readlane_b32 s35, v42, 63
	s_and_b64 s[34:35], s[30:31], s[34:35]
	s_mov_b64 exec, s[34:35]
	s_cbranch_execz .LBB666_1014
; %bb.1013:
	s_movk_i32 s34, 0xcd
	v_mul_lo_u16_sdwa v0, v15, s34 dst_sel:DWORD dst_unused:UNUSED_PAD src0_sel:BYTE_3 src1_sel:DWORD
	v_mul_lo_u16_sdwa v1, v37, s34 dst_sel:DWORD dst_unused:UNUSED_PAD src0_sel:BYTE_0 src1_sel:DWORD
	v_lshrrev_b16_e32 v0, 11, v0
	v_lshrrev_b16_e32 v1, 11, v1
	v_mul_lo_u16_e32 v0, 10, v0
	v_mul_lo_u16_e32 v1, 10, v1
	v_sub_u16_sdwa v0, v15, v0 dst_sel:DWORD dst_unused:UNUSED_PAD src0_sel:BYTE_3 src1_sel:DWORD
	v_sub_u16_e32 v1, v37, v1
	v_add_u16_e32 v0, v1, v0
	v_add_u16_e32 v1, -10, v0
	v_min_u16_sdwa v37, v0, v1 dst_sel:DWORD dst_unused:UNUSED_PAD src0_sel:BYTE_0 src1_sel:BYTE_0
.LBB666_1014:
	s_or_b64 exec, exec, s[30:31]
	s_mov_b64 s[30:31], exec
	v_readlane_b32 s34, v41, 0
	v_readlane_b32 s35, v41, 1
	s_and_b64 s[34:35], s[30:31], s[34:35]
	s_mov_b64 exec, s[34:35]
	s_cbranch_execz .LBB666_1016
; %bb.1015:
	s_movk_i32 s34, 0xcd
	v_mul_lo_u16_sdwa v0, v16, s34 dst_sel:DWORD dst_unused:UNUSED_PAD src0_sel:BYTE_0 src1_sel:DWORD
	v_mul_lo_u16_sdwa v1, v37, s34 dst_sel:DWORD dst_unused:UNUSED_PAD src0_sel:BYTE_0 src1_sel:DWORD
	v_lshrrev_b16_e32 v0, 11, v0
	v_lshrrev_b16_e32 v1, 11, v1
	v_mul_lo_u16_e32 v0, 10, v0
	v_mul_lo_u16_e32 v1, 10, v1
	v_sub_u16_e32 v0, v16, v0
	v_sub_u16_e32 v1, v37, v1
	v_add_u16_e32 v0, v1, v0
	v_add_u16_e32 v1, -10, v0
	v_min_u16_sdwa v37, v0, v1 dst_sel:DWORD dst_unused:UNUSED_PAD src0_sel:BYTE_0 src1_sel:BYTE_0
.LBB666_1016:
	s_or_b64 exec, exec, s[30:31]
	s_mov_b64 s[30:31], exec
	v_readlane_b32 s34, v41, 2
	v_readlane_b32 s35, v41, 3
	s_and_b64 s[34:35], s[30:31], s[34:35]
	s_mov_b64 exec, s[34:35]
	s_cbranch_execz .LBB666_1018
; %bb.1017:
	v_lshrrev_b32_e32 v0, 8, v16
	s_movk_i32 s34, 0xcd
	v_mul_lo_u16_sdwa v1, v0, s34 dst_sel:DWORD dst_unused:UNUSED_PAD src0_sel:BYTE_0 src1_sel:DWORD
	v_lshrrev_b16_e32 v1, 11, v1
	v_mul_lo_u16_e32 v1, 10, v1
	v_sub_u16_e32 v0, v0, v1
	v_mul_lo_u16_sdwa v1, v37, s34 dst_sel:DWORD dst_unused:UNUSED_PAD src0_sel:BYTE_0 src1_sel:DWORD
	v_lshrrev_b16_e32 v1, 11, v1
	v_mul_lo_u16_e32 v1, 10, v1
	v_sub_u16_e32 v1, v37, v1
	v_add_u16_e32 v0, v1, v0
	v_add_u16_e32 v1, -10, v0
	v_min_u16_sdwa v37, v0, v1 dst_sel:DWORD dst_unused:UNUSED_PAD src0_sel:BYTE_0 src1_sel:BYTE_0
.LBB666_1018:
	s_or_b64 exec, exec, s[30:31]
	s_mov_b64 s[30:31], exec
	v_readlane_b32 s34, v41, 4
	v_readlane_b32 s35, v41, 5
	s_and_b64 s[34:35], s[30:31], s[34:35]
	s_mov_b64 exec, s[34:35]
	s_cbranch_execz .LBB666_1020
; %bb.1019:
	s_movk_i32 s34, 0xff
	v_and_b32_sdwa v0, v16, s34 dst_sel:DWORD dst_unused:UNUSED_PAD src0_sel:WORD_1 src1_sel:DWORD
	s_movk_i32 s34, 0xcd
	v_mul_lo_u16_e32 v0, 0xcd, v0
	v_mul_lo_u16_sdwa v1, v37, s34 dst_sel:DWORD dst_unused:UNUSED_PAD src0_sel:BYTE_0 src1_sel:DWORD
	v_lshrrev_b16_e32 v0, 11, v0
	v_lshrrev_b16_e32 v1, 11, v1
	v_mul_lo_u16_e32 v0, 10, v0
	v_mul_lo_u16_e32 v1, 10, v1
	v_sub_u16_sdwa v0, v16, v0 dst_sel:DWORD dst_unused:UNUSED_PAD src0_sel:WORD_1 src1_sel:DWORD
	v_sub_u16_e32 v1, v37, v1
	v_add_u16_e32 v0, v1, v0
	v_add_u16_e32 v1, -10, v0
	v_min_u16_sdwa v37, v0, v1 dst_sel:DWORD dst_unused:UNUSED_PAD src0_sel:BYTE_0 src1_sel:BYTE_0
.LBB666_1020:
	s_or_b64 exec, exec, s[30:31]
	s_mov_b64 s[30:31], exec
	v_readlane_b32 s34, v41, 6
	v_readlane_b32 s35, v41, 7
	s_and_b64 s[34:35], s[30:31], s[34:35]
	s_mov_b64 exec, s[34:35]
	s_cbranch_execz .LBB666_1022
; %bb.1021:
	v_lshrrev_b64 v[0:1], 24, v[16:17]
	s_movk_i32 s34, 0xcd
	v_mul_lo_u16_sdwa v1, v0, s34 dst_sel:DWORD dst_unused:UNUSED_PAD src0_sel:BYTE_0 src1_sel:DWORD
	v_lshrrev_b16_e32 v1, 11, v1
	v_mul_lo_u16_e32 v1, 10, v1
	v_sub_u16_e32 v0, v0, v1
	v_mul_lo_u16_sdwa v1, v37, s34 dst_sel:DWORD dst_unused:UNUSED_PAD src0_sel:BYTE_0 src1_sel:DWORD
	v_lshrrev_b16_e32 v1, 11, v1
	v_mul_lo_u16_e32 v1, 10, v1
	v_sub_u16_e32 v1, v37, v1
	v_add_u16_e32 v0, v1, v0
	v_add_u16_e32 v1, -10, v0
	v_min_u16_sdwa v37, v0, v1 dst_sel:DWORD dst_unused:UNUSED_PAD src0_sel:BYTE_0 src1_sel:BYTE_0
.LBB666_1022:
	s_or_b64 exec, exec, s[30:31]
	s_mov_b64 s[30:31], exec
	v_readlane_b32 s34, v41, 8
	v_readlane_b32 s35, v41, 9
	s_and_b64 s[34:35], s[30:31], s[34:35]
	s_mov_b64 exec, s[34:35]
	s_cbranch_execz .LBB666_1024
; %bb.1023:
	s_movk_i32 s34, 0xcd
	v_mul_lo_u16_sdwa v0, v17, s34 dst_sel:DWORD dst_unused:UNUSED_PAD src0_sel:BYTE_0 src1_sel:DWORD
	v_mul_lo_u16_sdwa v1, v37, s34 dst_sel:DWORD dst_unused:UNUSED_PAD src0_sel:BYTE_0 src1_sel:DWORD
	v_lshrrev_b16_e32 v0, 11, v0
	v_lshrrev_b16_e32 v1, 11, v1
	v_mul_lo_u16_e32 v0, 10, v0
	v_mul_lo_u16_e32 v1, 10, v1
	v_sub_u16_e32 v0, v17, v0
	v_sub_u16_e32 v1, v37, v1
	v_add_u16_e32 v0, v1, v0
	v_add_u16_e32 v1, -10, v0
	v_min_u16_sdwa v37, v0, v1 dst_sel:DWORD dst_unused:UNUSED_PAD src0_sel:BYTE_0 src1_sel:BYTE_0
.LBB666_1024:
	s_or_b64 exec, exec, s[30:31]
	s_mov_b64 s[30:31], exec
	v_readlane_b32 s34, v41, 10
	v_readlane_b32 s35, v41, 11
	s_and_b64 s[34:35], s[30:31], s[34:35]
	s_mov_b64 exec, s[34:35]
	s_cbranch_execz .LBB666_1026
; %bb.1025:
	v_lshrrev_b32_e32 v0, 8, v17
	s_movk_i32 s34, 0xcd
	v_mul_lo_u16_sdwa v1, v0, s34 dst_sel:DWORD dst_unused:UNUSED_PAD src0_sel:BYTE_0 src1_sel:DWORD
	v_lshrrev_b16_e32 v1, 11, v1
	v_mul_lo_u16_e32 v1, 10, v1
	v_sub_u16_e32 v0, v0, v1
	v_mul_lo_u16_sdwa v1, v37, s34 dst_sel:DWORD dst_unused:UNUSED_PAD src0_sel:BYTE_0 src1_sel:DWORD
	v_lshrrev_b16_e32 v1, 11, v1
	v_mul_lo_u16_e32 v1, 10, v1
	v_sub_u16_e32 v1, v37, v1
	v_add_u16_e32 v0, v1, v0
	v_add_u16_e32 v1, -10, v0
	v_min_u16_sdwa v37, v0, v1 dst_sel:DWORD dst_unused:UNUSED_PAD src0_sel:BYTE_0 src1_sel:BYTE_0
.LBB666_1026:
	s_or_b64 exec, exec, s[30:31]
	s_mov_b64 s[30:31], exec
	v_readlane_b32 s34, v41, 12
	v_readlane_b32 s35, v41, 13
	s_and_b64 s[34:35], s[30:31], s[34:35]
	s_mov_b64 exec, s[34:35]
	s_cbranch_execz .LBB666_1028
; %bb.1027:
	s_movk_i32 s34, 0xff
	v_and_b32_sdwa v0, v17, s34 dst_sel:DWORD dst_unused:UNUSED_PAD src0_sel:WORD_1 src1_sel:DWORD
	s_movk_i32 s34, 0xcd
	v_mul_lo_u16_e32 v0, 0xcd, v0
	v_mul_lo_u16_sdwa v1, v37, s34 dst_sel:DWORD dst_unused:UNUSED_PAD src0_sel:BYTE_0 src1_sel:DWORD
	v_lshrrev_b16_e32 v0, 11, v0
	v_lshrrev_b16_e32 v1, 11, v1
	v_mul_lo_u16_e32 v0, 10, v0
	v_mul_lo_u16_e32 v1, 10, v1
	v_sub_u16_sdwa v0, v17, v0 dst_sel:DWORD dst_unused:UNUSED_PAD src0_sel:WORD_1 src1_sel:DWORD
	v_sub_u16_e32 v1, v37, v1
	v_add_u16_e32 v0, v1, v0
	v_add_u16_e32 v1, -10, v0
	v_min_u16_sdwa v37, v0, v1 dst_sel:DWORD dst_unused:UNUSED_PAD src0_sel:BYTE_0 src1_sel:BYTE_0
.LBB666_1028:
	s_or_b64 exec, exec, s[30:31]
	s_mov_b64 s[30:31], exec
	v_readlane_b32 s34, v41, 14
	v_readlane_b32 s35, v41, 15
	s_and_b64 s[34:35], s[30:31], s[34:35]
	s_mov_b64 exec, s[34:35]
	s_cbranch_execz .LBB666_1030
; %bb.1029:
	s_movk_i32 s34, 0xcd
	v_mul_lo_u16_sdwa v0, v17, s34 dst_sel:DWORD dst_unused:UNUSED_PAD src0_sel:BYTE_3 src1_sel:DWORD
	v_mul_lo_u16_sdwa v1, v37, s34 dst_sel:DWORD dst_unused:UNUSED_PAD src0_sel:BYTE_0 src1_sel:DWORD
	v_lshrrev_b16_e32 v0, 11, v0
	v_lshrrev_b16_e32 v1, 11, v1
	v_mul_lo_u16_e32 v0, 10, v0
	v_mul_lo_u16_e32 v1, 10, v1
	v_sub_u16_sdwa v0, v17, v0 dst_sel:DWORD dst_unused:UNUSED_PAD src0_sel:BYTE_3 src1_sel:DWORD
	v_sub_u16_e32 v1, v37, v1
	v_add_u16_e32 v0, v1, v0
	v_add_u16_e32 v1, -10, v0
	v_min_u16_sdwa v37, v0, v1 dst_sel:DWORD dst_unused:UNUSED_PAD src0_sel:BYTE_0 src1_sel:BYTE_0
.LBB666_1030:
	s_or_b64 exec, exec, s[30:31]
	s_mov_b64 s[30:31], exec
	v_readlane_b32 s34, v41, 16
	v_readlane_b32 s35, v41, 17
	s_and_b64 s[34:35], s[30:31], s[34:35]
	s_mov_b64 exec, s[34:35]
	s_cbranch_execz .LBB666_1032
; %bb.1031:
	s_movk_i32 s34, 0xcd
	v_mul_lo_u16_sdwa v0, v18, s34 dst_sel:DWORD dst_unused:UNUSED_PAD src0_sel:BYTE_0 src1_sel:DWORD
	v_mul_lo_u16_sdwa v1, v37, s34 dst_sel:DWORD dst_unused:UNUSED_PAD src0_sel:BYTE_0 src1_sel:DWORD
	v_lshrrev_b16_e32 v0, 11, v0
	v_lshrrev_b16_e32 v1, 11, v1
	v_mul_lo_u16_e32 v0, 10, v0
	v_mul_lo_u16_e32 v1, 10, v1
	v_sub_u16_e32 v0, v18, v0
	v_sub_u16_e32 v1, v37, v1
	v_add_u16_e32 v0, v1, v0
	v_add_u16_e32 v1, -10, v0
	v_min_u16_sdwa v37, v0, v1 dst_sel:DWORD dst_unused:UNUSED_PAD src0_sel:BYTE_0 src1_sel:BYTE_0
.LBB666_1032:
	s_or_b64 exec, exec, s[30:31]
	s_mov_b64 s[30:31], exec
	v_readlane_b32 s34, v41, 18
	v_readlane_b32 s35, v41, 19
	s_and_b64 s[34:35], s[30:31], s[34:35]
	s_mov_b64 exec, s[34:35]
	s_cbranch_execz .LBB666_1034
; %bb.1033:
	v_lshrrev_b32_e32 v0, 8, v18
	s_movk_i32 s34, 0xcd
	v_mul_lo_u16_sdwa v1, v0, s34 dst_sel:DWORD dst_unused:UNUSED_PAD src0_sel:BYTE_0 src1_sel:DWORD
	v_lshrrev_b16_e32 v1, 11, v1
	v_mul_lo_u16_e32 v1, 10, v1
	v_sub_u16_e32 v0, v0, v1
	v_mul_lo_u16_sdwa v1, v37, s34 dst_sel:DWORD dst_unused:UNUSED_PAD src0_sel:BYTE_0 src1_sel:DWORD
	v_lshrrev_b16_e32 v1, 11, v1
	v_mul_lo_u16_e32 v1, 10, v1
	v_sub_u16_e32 v1, v37, v1
	v_add_u16_e32 v0, v1, v0
	v_add_u16_e32 v1, -10, v0
	v_min_u16_sdwa v37, v0, v1 dst_sel:DWORD dst_unused:UNUSED_PAD src0_sel:BYTE_0 src1_sel:BYTE_0
.LBB666_1034:
	s_or_b64 exec, exec, s[30:31]
	s_mov_b64 s[30:31], exec
	v_readlane_b32 s34, v41, 20
	v_readlane_b32 s35, v41, 21
	s_and_b64 s[34:35], s[30:31], s[34:35]
	s_mov_b64 exec, s[34:35]
	s_cbranch_execz .LBB666_1036
; %bb.1035:
	s_movk_i32 s34, 0xff
	v_and_b32_sdwa v0, v18, s34 dst_sel:DWORD dst_unused:UNUSED_PAD src0_sel:WORD_1 src1_sel:DWORD
	s_movk_i32 s34, 0xcd
	v_mul_lo_u16_e32 v0, 0xcd, v0
	v_mul_lo_u16_sdwa v1, v37, s34 dst_sel:DWORD dst_unused:UNUSED_PAD src0_sel:BYTE_0 src1_sel:DWORD
	v_lshrrev_b16_e32 v0, 11, v0
	v_lshrrev_b16_e32 v1, 11, v1
	v_mul_lo_u16_e32 v0, 10, v0
	v_mul_lo_u16_e32 v1, 10, v1
	v_sub_u16_sdwa v0, v18, v0 dst_sel:DWORD dst_unused:UNUSED_PAD src0_sel:WORD_1 src1_sel:DWORD
	v_sub_u16_e32 v1, v37, v1
	v_add_u16_e32 v0, v1, v0
	v_add_u16_e32 v1, -10, v0
	v_min_u16_sdwa v37, v0, v1 dst_sel:DWORD dst_unused:UNUSED_PAD src0_sel:BYTE_0 src1_sel:BYTE_0
.LBB666_1036:
	s_or_b64 exec, exec, s[30:31]
	s_mov_b64 s[30:31], exec
	v_readlane_b32 s34, v41, 22
	v_readlane_b32 s35, v41, 23
	s_and_b64 s[34:35], s[30:31], s[34:35]
	s_mov_b64 exec, s[34:35]
	s_cbranch_execz .LBB666_1038
; %bb.1037:
	v_lshrrev_b64 v[0:1], 24, v[18:19]
	s_movk_i32 s34, 0xcd
	v_mul_lo_u16_sdwa v1, v0, s34 dst_sel:DWORD dst_unused:UNUSED_PAD src0_sel:BYTE_0 src1_sel:DWORD
	v_lshrrev_b16_e32 v1, 11, v1
	v_mul_lo_u16_e32 v1, 10, v1
	v_sub_u16_e32 v0, v0, v1
	v_mul_lo_u16_sdwa v1, v37, s34 dst_sel:DWORD dst_unused:UNUSED_PAD src0_sel:BYTE_0 src1_sel:DWORD
	v_lshrrev_b16_e32 v1, 11, v1
	v_mul_lo_u16_e32 v1, 10, v1
	v_sub_u16_e32 v1, v37, v1
	v_add_u16_e32 v0, v1, v0
	v_add_u16_e32 v1, -10, v0
	v_min_u16_sdwa v37, v0, v1 dst_sel:DWORD dst_unused:UNUSED_PAD src0_sel:BYTE_0 src1_sel:BYTE_0
.LBB666_1038:
	s_or_b64 exec, exec, s[30:31]
	s_mov_b64 s[30:31], exec
	v_readlane_b32 s34, v41, 24
	v_readlane_b32 s35, v41, 25
	s_and_b64 s[34:35], s[30:31], s[34:35]
	s_mov_b64 exec, s[34:35]
	s_cbranch_execz .LBB666_1040
; %bb.1039:
	s_movk_i32 s34, 0xcd
	v_mul_lo_u16_sdwa v0, v19, s34 dst_sel:DWORD dst_unused:UNUSED_PAD src0_sel:BYTE_0 src1_sel:DWORD
	v_mul_lo_u16_sdwa v1, v37, s34 dst_sel:DWORD dst_unused:UNUSED_PAD src0_sel:BYTE_0 src1_sel:DWORD
	v_lshrrev_b16_e32 v0, 11, v0
	v_lshrrev_b16_e32 v1, 11, v1
	v_mul_lo_u16_e32 v0, 10, v0
	v_mul_lo_u16_e32 v1, 10, v1
	v_sub_u16_e32 v0, v19, v0
	v_sub_u16_e32 v1, v37, v1
	v_add_u16_e32 v0, v1, v0
	v_add_u16_e32 v1, -10, v0
	v_min_u16_sdwa v37, v0, v1 dst_sel:DWORD dst_unused:UNUSED_PAD src0_sel:BYTE_0 src1_sel:BYTE_0
.LBB666_1040:
	s_or_b64 exec, exec, s[30:31]
	s_mov_b64 s[30:31], exec
	v_readlane_b32 s34, v41, 26
	v_readlane_b32 s35, v41, 27
	s_and_b64 s[34:35], s[30:31], s[34:35]
	s_mov_b64 exec, s[34:35]
	s_cbranch_execz .LBB666_1042
; %bb.1041:
	v_lshrrev_b32_e32 v0, 8, v19
	s_movk_i32 s34, 0xcd
	v_mul_lo_u16_sdwa v1, v0, s34 dst_sel:DWORD dst_unused:UNUSED_PAD src0_sel:BYTE_0 src1_sel:DWORD
	v_lshrrev_b16_e32 v1, 11, v1
	v_mul_lo_u16_e32 v1, 10, v1
	v_sub_u16_e32 v0, v0, v1
	v_mul_lo_u16_sdwa v1, v37, s34 dst_sel:DWORD dst_unused:UNUSED_PAD src0_sel:BYTE_0 src1_sel:DWORD
	v_lshrrev_b16_e32 v1, 11, v1
	v_mul_lo_u16_e32 v1, 10, v1
	v_sub_u16_e32 v1, v37, v1
	v_add_u16_e32 v0, v1, v0
	v_add_u16_e32 v1, -10, v0
	v_min_u16_sdwa v37, v0, v1 dst_sel:DWORD dst_unused:UNUSED_PAD src0_sel:BYTE_0 src1_sel:BYTE_0
.LBB666_1042:
	s_or_b64 exec, exec, s[30:31]
	s_mov_b64 s[30:31], exec
	v_readlane_b32 s34, v41, 28
	v_readlane_b32 s35, v41, 29
	s_and_b64 s[34:35], s[30:31], s[34:35]
	s_mov_b64 exec, s[34:35]
	s_cbranch_execz .LBB666_1044
; %bb.1043:
	s_movk_i32 s34, 0xff
	v_and_b32_sdwa v0, v19, s34 dst_sel:DWORD dst_unused:UNUSED_PAD src0_sel:WORD_1 src1_sel:DWORD
	s_movk_i32 s34, 0xcd
	v_mul_lo_u16_e32 v0, 0xcd, v0
	v_mul_lo_u16_sdwa v1, v37, s34 dst_sel:DWORD dst_unused:UNUSED_PAD src0_sel:BYTE_0 src1_sel:DWORD
	v_lshrrev_b16_e32 v0, 11, v0
	v_lshrrev_b16_e32 v1, 11, v1
	v_mul_lo_u16_e32 v0, 10, v0
	v_mul_lo_u16_e32 v1, 10, v1
	v_sub_u16_sdwa v0, v19, v0 dst_sel:DWORD dst_unused:UNUSED_PAD src0_sel:WORD_1 src1_sel:DWORD
	v_sub_u16_e32 v1, v37, v1
	v_add_u16_e32 v0, v1, v0
	v_add_u16_e32 v1, -10, v0
	v_min_u16_sdwa v37, v0, v1 dst_sel:DWORD dst_unused:UNUSED_PAD src0_sel:BYTE_0 src1_sel:BYTE_0
.LBB666_1044:
	s_or_b64 exec, exec, s[30:31]
	s_mov_b64 s[30:31], exec
	v_readlane_b32 s34, v41, 30
	v_readlane_b32 s35, v41, 31
	s_and_b64 s[34:35], s[30:31], s[34:35]
	s_mov_b64 exec, s[34:35]
	s_cbranch_execz .LBB666_1046
; %bb.1045:
	s_movk_i32 s34, 0xcd
	v_mul_lo_u16_sdwa v0, v19, s34 dst_sel:DWORD dst_unused:UNUSED_PAD src0_sel:BYTE_3 src1_sel:DWORD
	v_mul_lo_u16_sdwa v1, v37, s34 dst_sel:DWORD dst_unused:UNUSED_PAD src0_sel:BYTE_0 src1_sel:DWORD
	v_lshrrev_b16_e32 v0, 11, v0
	v_lshrrev_b16_e32 v1, 11, v1
	v_mul_lo_u16_e32 v0, 10, v0
	v_mul_lo_u16_e32 v1, 10, v1
	v_sub_u16_sdwa v0, v19, v0 dst_sel:DWORD dst_unused:UNUSED_PAD src0_sel:BYTE_3 src1_sel:DWORD
	v_sub_u16_e32 v1, v37, v1
	v_add_u16_e32 v0, v1, v0
	v_add_u16_e32 v1, -10, v0
	v_min_u16_sdwa v37, v0, v1 dst_sel:DWORD dst_unused:UNUSED_PAD src0_sel:BYTE_0 src1_sel:BYTE_0
.LBB666_1046:
	s_or_b64 exec, exec, s[30:31]
	s_mov_b64 s[30:31], exec
	v_readlane_b32 s34, v41, 32
	v_readlane_b32 s35, v41, 33
	s_and_b64 s[34:35], s[30:31], s[34:35]
	s_mov_b64 exec, s[34:35]
	s_cbranch_execz .LBB666_1048
; %bb.1047:
	s_movk_i32 s34, 0xcd
	v_mul_lo_u16_sdwa v0, v20, s34 dst_sel:DWORD dst_unused:UNUSED_PAD src0_sel:BYTE_0 src1_sel:DWORD
	v_mul_lo_u16_sdwa v1, v37, s34 dst_sel:DWORD dst_unused:UNUSED_PAD src0_sel:BYTE_0 src1_sel:DWORD
	v_lshrrev_b16_e32 v0, 11, v0
	v_lshrrev_b16_e32 v1, 11, v1
	v_mul_lo_u16_e32 v0, 10, v0
	v_mul_lo_u16_e32 v1, 10, v1
	v_sub_u16_e32 v0, v20, v0
	v_sub_u16_e32 v1, v37, v1
	v_add_u16_e32 v0, v1, v0
	v_add_u16_e32 v1, -10, v0
	v_min_u16_sdwa v37, v0, v1 dst_sel:DWORD dst_unused:UNUSED_PAD src0_sel:BYTE_0 src1_sel:BYTE_0
.LBB666_1048:
	s_or_b64 exec, exec, s[30:31]
	s_mov_b64 s[30:31], exec
	v_readlane_b32 s34, v41, 34
	v_readlane_b32 s35, v41, 35
	s_and_b64 s[34:35], s[30:31], s[34:35]
	s_mov_b64 exec, s[34:35]
	s_cbranch_execnz .LBB666_1223
; %bb.1049:
	s_or_b64 exec, exec, s[30:31]
	s_and_saveexec_b64 s[30:31], s[36:37]
	s_cbranch_execnz .LBB666_1224
.LBB666_1050:
	s_or_b64 exec, exec, s[30:31]
	s_and_saveexec_b64 s[30:31], s[38:39]
	s_cbranch_execnz .LBB666_1225
.LBB666_1051:
	s_or_b64 exec, exec, s[30:31]
	s_and_saveexec_b64 s[30:31], s[48:49]
	s_cbranch_execnz .LBB666_1226
.LBB666_1052:
	s_or_b64 exec, exec, s[30:31]
	s_and_saveexec_b64 s[30:31], s[50:51]
	s_cbranch_execnz .LBB666_1227
.LBB666_1053:
	s_or_b64 exec, exec, s[30:31]
	s_and_saveexec_b64 s[30:31], s[52:53]
	s_cbranch_execnz .LBB666_1228
.LBB666_1054:
	s_or_b64 exec, exec, s[30:31]
	s_and_saveexec_b64 s[30:31], s[54:55]
	s_cbranch_execnz .LBB666_1229
.LBB666_1055:
	s_or_b64 exec, exec, s[30:31]
	s_and_saveexec_b64 s[30:31], s[64:65]
	s_cbranch_execnz .LBB666_1230
.LBB666_1056:
	s_or_b64 exec, exec, s[30:31]
	s_and_saveexec_b64 s[30:31], s[66:67]
	s_cbranch_execnz .LBB666_1231
.LBB666_1057:
	s_or_b64 exec, exec, s[30:31]
	s_and_saveexec_b64 s[30:31], s[68:69]
	s_cbranch_execnz .LBB666_1232
.LBB666_1058:
	s_or_b64 exec, exec, s[30:31]
	s_and_saveexec_b64 s[30:31], s[70:71]
	s_cbranch_execnz .LBB666_1233
.LBB666_1059:
	s_or_b64 exec, exec, s[30:31]
	s_and_saveexec_b64 s[30:31], s[80:81]
	s_cbranch_execnz .LBB666_1234
.LBB666_1060:
	s_or_b64 exec, exec, s[30:31]
	s_and_saveexec_b64 s[30:31], s[82:83]
	s_cbranch_execnz .LBB666_1235
.LBB666_1061:
	s_or_b64 exec, exec, s[30:31]
	s_and_saveexec_b64 s[30:31], s[84:85]
	s_cbranch_execnz .LBB666_1236
.LBB666_1062:
	s_or_b64 exec, exec, s[30:31]
	s_and_saveexec_b64 s[30:31], s[86:87]
	s_cbranch_execnz .LBB666_1237
.LBB666_1063:
	s_or_b64 exec, exec, s[30:31]
	s_and_saveexec_b64 s[30:31], s[96:97]
	s_cbranch_execnz .LBB666_1238
.LBB666_1064:
	s_or_b64 exec, exec, s[30:31]
	s_and_saveexec_b64 s[30:31], s[98:99]
	s_cbranch_execnz .LBB666_1239
.LBB666_1065:
	s_or_b64 exec, exec, s[30:31]
	s_and_saveexec_b64 s[30:31], s[0:1]
	s_cbranch_execnz .LBB666_1240
.LBB666_1066:
	s_or_b64 exec, exec, s[30:31]
	s_and_saveexec_b64 s[0:1], s[2:3]
	s_cbranch_execnz .LBB666_1241
.LBB666_1067:
	s_or_b64 exec, exec, s[0:1]
	s_and_saveexec_b64 s[0:1], s[4:5]
	s_cbranch_execnz .LBB666_1242
.LBB666_1068:
	s_or_b64 exec, exec, s[0:1]
	s_and_saveexec_b64 s[0:1], s[6:7]
	s_cbranch_execnz .LBB666_1243
.LBB666_1069:
	s_or_b64 exec, exec, s[0:1]
	s_and_saveexec_b64 s[0:1], s[8:9]
	s_cbranch_execnz .LBB666_1244
.LBB666_1070:
	s_or_b64 exec, exec, s[0:1]
	s_and_saveexec_b64 s[0:1], s[10:11]
	s_cbranch_execnz .LBB666_1245
.LBB666_1071:
	s_or_b64 exec, exec, s[0:1]
	s_and_saveexec_b64 s[0:1], s[14:15]
	s_cbranch_execnz .LBB666_1246
.LBB666_1072:
	s_or_b64 exec, exec, s[0:1]
	s_and_saveexec_b64 s[0:1], s[16:17]
	s_cbranch_execnz .LBB666_1247
.LBB666_1073:
	s_or_b64 exec, exec, s[0:1]
	s_and_saveexec_b64 s[0:1], s[18:19]
	s_cbranch_execnz .LBB666_1248
.LBB666_1074:
	s_or_b64 exec, exec, s[0:1]
	s_and_saveexec_b64 s[0:1], s[20:21]
	s_cbranch_execnz .LBB666_1249
.LBB666_1075:
	s_or_b64 exec, exec, s[0:1]
	s_and_saveexec_b64 s[0:1], s[22:23]
	s_cbranch_execnz .LBB666_1250
.LBB666_1076:
	s_or_b64 exec, exec, s[0:1]
	s_and_saveexec_b64 s[0:1], s[24:25]
	s_cbranch_execnz .LBB666_1251
.LBB666_1077:
	s_or_b64 exec, exec, s[0:1]
	s_and_saveexec_b64 s[0:1], s[26:27]
	s_cbranch_execnz .LBB666_1252
.LBB666_1078:
	s_or_b64 exec, exec, s[0:1]
	s_and_saveexec_b64 s[0:1], s[28:29]
	s_cbranch_execnz .LBB666_1253
.LBB666_1079:
	s_or_b64 exec, exec, s[0:1]
	s_and_saveexec_b64 s[0:1], s[40:41]
	s_cbranch_execnz .LBB666_1254
.LBB666_1080:
	s_or_b64 exec, exec, s[0:1]
	s_and_saveexec_b64 s[0:1], s[42:43]
	s_cbranch_execnz .LBB666_1255
.LBB666_1081:
	s_or_b64 exec, exec, s[0:1]
	s_and_saveexec_b64 s[0:1], s[44:45]
	s_cbranch_execnz .LBB666_1256
.LBB666_1082:
	s_or_b64 exec, exec, s[0:1]
	s_and_saveexec_b64 s[0:1], s[46:47]
	s_cbranch_execnz .LBB666_1257
.LBB666_1083:
	s_or_b64 exec, exec, s[0:1]
	s_and_saveexec_b64 s[0:1], s[56:57]
	s_cbranch_execnz .LBB666_1258
.LBB666_1084:
	s_or_b64 exec, exec, s[0:1]
	s_and_saveexec_b64 s[0:1], s[58:59]
	s_cbranch_execnz .LBB666_1259
.LBB666_1085:
	s_or_b64 exec, exec, s[0:1]
	s_and_saveexec_b64 s[0:1], s[60:61]
	s_cbranch_execnz .LBB666_1260
.LBB666_1086:
	s_or_b64 exec, exec, s[0:1]
	s_and_saveexec_b64 s[0:1], s[62:63]
	s_cbranch_execnz .LBB666_1261
.LBB666_1087:
	s_or_b64 exec, exec, s[0:1]
	s_and_saveexec_b64 s[0:1], s[72:73]
	s_cbranch_execnz .LBB666_1262
.LBB666_1088:
	s_or_b64 exec, exec, s[0:1]
	s_and_saveexec_b64 s[0:1], s[74:75]
	s_cbranch_execnz .LBB666_1263
.LBB666_1089:
	s_or_b64 exec, exec, s[0:1]
	s_and_saveexec_b64 s[0:1], s[76:77]
	s_cbranch_execnz .LBB666_1264
.LBB666_1090:
	s_or_b64 exec, exec, s[0:1]
	s_and_saveexec_b64 s[0:1], s[78:79]
	s_cbranch_execnz .LBB666_1265
.LBB666_1091:
	s_or_b64 exec, exec, s[0:1]
	s_and_saveexec_b64 s[0:1], s[88:89]
	s_cbranch_execnz .LBB666_1266
.LBB666_1092:
	s_or_b64 exec, exec, s[0:1]
	s_and_saveexec_b64 s[0:1], s[90:91]
	s_cbranch_execnz .LBB666_1267
.LBB666_1093:
	s_or_b64 exec, exec, s[0:1]
	s_and_saveexec_b64 s[0:1], s[92:93]
	s_cbranch_execnz .LBB666_1268
.LBB666_1094:
	s_or_b64 exec, exec, s[0:1]
	s_and_saveexec_b64 s[0:1], vcc
	s_cbranch_execz .LBB666_1096
.LBB666_1095:
	s_movk_i32 s2, 0xcd
	v_mul_lo_u16_sdwa v0, v31, s2 dst_sel:DWORD dst_unused:UNUSED_PAD src0_sel:BYTE_3 src1_sel:DWORD
	v_mul_lo_u16_sdwa v1, v37, s2 dst_sel:DWORD dst_unused:UNUSED_PAD src0_sel:BYTE_0 src1_sel:DWORD
	v_lshrrev_b16_e32 v0, 11, v0
	v_lshrrev_b16_e32 v1, 11, v1
	v_mul_lo_u16_e32 v0, 10, v0
	v_mul_lo_u16_e32 v1, 10, v1
	v_sub_u16_sdwa v0, v31, v0 dst_sel:DWORD dst_unused:UNUSED_PAD src0_sel:BYTE_3 src1_sel:DWORD
	v_sub_u16_e32 v1, v37, v1
	v_add_u16_e32 v0, v1, v0
	v_add_u16_e32 v1, -10, v0
	v_min_u16_sdwa v37, v0, v1 dst_sel:DWORD dst_unused:UNUSED_PAD src0_sel:BYTE_0 src1_sel:BYTE_0
.LBB666_1096:
	s_or_b64 exec, exec, s[0:1]
	v_mbcnt_lo_u32_b32 v1, -1, 0
	v_mbcnt_hi_u32_b32 v1, -1, v1
	v_and_b32_e32 v2, 63, v1
	v_cmp_ne_u32_e32 vcc, 63, v2
	v_and_b32_e32 v4, 0xff, v37
	v_min_u32_e32 v0, 0x100, v51
	v_addc_co_u32_e32 v3, vcc, 0, v1, vcc
	v_lshlrev_b32_e32 v3, 2, v3
	ds_bpermute_b32 v5, v3, v4
	v_and_b32_e32 v3, 0x3c0, v36
	v_sub_u32_e64 v3, v0, v3 clamp
	v_add_u32_e32 v6, 1, v2
	v_cmp_lt_u32_e32 vcc, v6, v3
	s_and_saveexec_b64 s[0:1], vcc
	s_xor_b64 s[0:1], exec, s[0:1]
	s_cbranch_execz .LBB666_1098
; %bb.1097:
	s_movk_i32 s2, 0xcd
	s_waitcnt lgkmcnt(0)
	v_mul_lo_u16_sdwa v4, v5, s2 dst_sel:DWORD dst_unused:UNUSED_PAD src0_sel:BYTE_0 src1_sel:DWORD
	v_lshrrev_b16_e32 v4, 11, v4
	v_mul_lo_u16_e32 v4, 10, v4
	v_sub_u16_e32 v4, v5, v4
	v_mul_lo_u16_sdwa v5, v37, s2 dst_sel:DWORD dst_unused:UNUSED_PAD src0_sel:BYTE_0 src1_sel:DWORD
	v_lshrrev_b16_e32 v5, 11, v5
	v_mul_lo_u16_e32 v5, 10, v5
	v_sub_u16_e32 v5, v37, v5
	v_add_u16_e32 v4, v4, v5
	v_add_u16_e32 v5, -10, v4
	v_min_u16_sdwa v37, v4, v5 dst_sel:DWORD dst_unused:UNUSED_PAD src0_sel:BYTE_0 src1_sel:BYTE_0
	v_min_u16_sdwa v4, v4, v5 dst_sel:DWORD dst_unused:UNUSED_PAD src0_sel:BYTE_0 src1_sel:BYTE_0
.LBB666_1098:
	s_or_b64 exec, exec, s[0:1]
	v_cmp_gt_u32_e32 vcc, 62, v2
	v_add_u32_e32 v6, 2, v2
	s_waitcnt lgkmcnt(0)
	v_cndmask_b32_e64 v5, 0, 2, vcc
	v_add_lshl_u32 v5, v5, v1, 2
	ds_bpermute_b32 v5, v5, v4
	v_cmp_lt_u32_e32 vcc, v6, v3
	s_and_saveexec_b64 s[0:1], vcc
	s_cbranch_execz .LBB666_1100
; %bb.1099:
	s_movk_i32 s2, 0xcd
	s_waitcnt lgkmcnt(0)
	v_mul_lo_u16_sdwa v4, v5, s2 dst_sel:DWORD dst_unused:UNUSED_PAD src0_sel:BYTE_0 src1_sel:DWORD
	v_lshrrev_b16_e32 v4, 11, v4
	v_mul_lo_u16_e32 v4, 10, v4
	v_sub_u16_e32 v4, v5, v4
	v_mul_lo_u16_sdwa v5, v37, s2 dst_sel:DWORD dst_unused:UNUSED_PAD src0_sel:BYTE_0 src1_sel:DWORD
	v_lshrrev_b16_e32 v5, 11, v5
	v_mul_lo_u16_e32 v5, 10, v5
	v_sub_u16_e32 v5, v37, v5
	v_add_u16_e32 v4, v4, v5
	v_add_u16_e32 v5, -10, v4
	v_min_u16_sdwa v37, v4, v5 dst_sel:DWORD dst_unused:UNUSED_PAD src0_sel:BYTE_0 src1_sel:BYTE_0
	v_min_u16_sdwa v4, v4, v5 dst_sel:DWORD dst_unused:UNUSED_PAD src0_sel:BYTE_0 src1_sel:BYTE_0
.LBB666_1100:
	s_or_b64 exec, exec, s[0:1]
	v_cmp_gt_u32_e32 vcc, 60, v2
	v_add_u32_e32 v6, 4, v2
	s_waitcnt lgkmcnt(0)
	v_cndmask_b32_e64 v5, 0, 4, vcc
	v_add_lshl_u32 v5, v5, v1, 2
	ds_bpermute_b32 v5, v5, v4
	v_cmp_lt_u32_e32 vcc, v6, v3
	s_and_saveexec_b64 s[0:1], vcc
	s_cbranch_execz .LBB666_1102
; %bb.1101:
	s_movk_i32 s2, 0xcd
	s_waitcnt lgkmcnt(0)
	v_mul_lo_u16_sdwa v4, v5, s2 dst_sel:DWORD dst_unused:UNUSED_PAD src0_sel:BYTE_0 src1_sel:DWORD
	v_lshrrev_b16_e32 v4, 11, v4
	v_mul_lo_u16_e32 v4, 10, v4
	v_sub_u16_e32 v4, v5, v4
	v_mul_lo_u16_sdwa v5, v37, s2 dst_sel:DWORD dst_unused:UNUSED_PAD src0_sel:BYTE_0 src1_sel:DWORD
	v_lshrrev_b16_e32 v5, 11, v5
	v_mul_lo_u16_e32 v5, 10, v5
	v_sub_u16_e32 v5, v37, v5
	v_add_u16_e32 v4, v4, v5
	v_add_u16_e32 v5, -10, v4
	v_min_u16_sdwa v37, v4, v5 dst_sel:DWORD dst_unused:UNUSED_PAD src0_sel:BYTE_0 src1_sel:BYTE_0
	v_min_u16_sdwa v4, v4, v5 dst_sel:DWORD dst_unused:UNUSED_PAD src0_sel:BYTE_0 src1_sel:BYTE_0
.LBB666_1102:
	s_or_b64 exec, exec, s[0:1]
	v_cmp_gt_u32_e32 vcc, 56, v2
	v_add_u32_e32 v6, 8, v2
	s_waitcnt lgkmcnt(0)
	v_cndmask_b32_e64 v5, 0, 8, vcc
	v_add_lshl_u32 v5, v5, v1, 2
	ds_bpermute_b32 v5, v5, v4
	v_cmp_lt_u32_e32 vcc, v6, v3
	s_and_saveexec_b64 s[0:1], vcc
	s_cbranch_execz .LBB666_1104
; %bb.1103:
	s_movk_i32 s2, 0xcd
	s_waitcnt lgkmcnt(0)
	v_mul_lo_u16_sdwa v4, v5, s2 dst_sel:DWORD dst_unused:UNUSED_PAD src0_sel:BYTE_0 src1_sel:DWORD
	v_lshrrev_b16_e32 v4, 11, v4
	v_mul_lo_u16_e32 v4, 10, v4
	v_sub_u16_e32 v4, v5, v4
	v_mul_lo_u16_sdwa v5, v37, s2 dst_sel:DWORD dst_unused:UNUSED_PAD src0_sel:BYTE_0 src1_sel:DWORD
	v_lshrrev_b16_e32 v5, 11, v5
	v_mul_lo_u16_e32 v5, 10, v5
	v_sub_u16_e32 v5, v37, v5
	v_add_u16_e32 v4, v4, v5
	v_add_u16_e32 v5, -10, v4
	v_min_u16_sdwa v37, v4, v5 dst_sel:DWORD dst_unused:UNUSED_PAD src0_sel:BYTE_0 src1_sel:BYTE_0
	v_min_u16_sdwa v4, v4, v5 dst_sel:DWORD dst_unused:UNUSED_PAD src0_sel:BYTE_0 src1_sel:BYTE_0
.LBB666_1104:
	s_or_b64 exec, exec, s[0:1]
	v_cmp_gt_u32_e32 vcc, 48, v2
	v_add_u32_e32 v6, 16, v2
	s_waitcnt lgkmcnt(0)
	v_cndmask_b32_e64 v5, 0, 16, vcc
	v_add_lshl_u32 v5, v5, v1, 2
	ds_bpermute_b32 v5, v5, v4
	v_cmp_lt_u32_e32 vcc, v6, v3
	s_and_saveexec_b64 s[0:1], vcc
	s_cbranch_execz .LBB666_1106
; %bb.1105:
	s_movk_i32 s2, 0xcd
	s_waitcnt lgkmcnt(0)
	v_mul_lo_u16_sdwa v4, v5, s2 dst_sel:DWORD dst_unused:UNUSED_PAD src0_sel:BYTE_0 src1_sel:DWORD
	v_lshrrev_b16_e32 v4, 11, v4
	v_mul_lo_u16_e32 v4, 10, v4
	v_sub_u16_e32 v4, v5, v4
	v_mul_lo_u16_sdwa v5, v37, s2 dst_sel:DWORD dst_unused:UNUSED_PAD src0_sel:BYTE_0 src1_sel:DWORD
	v_lshrrev_b16_e32 v5, 11, v5
	v_mul_lo_u16_e32 v5, 10, v5
	v_sub_u16_e32 v5, v37, v5
	v_add_u16_e32 v4, v4, v5
	v_add_u16_e32 v5, -10, v4
	v_min_u16_sdwa v37, v4, v5 dst_sel:DWORD dst_unused:UNUSED_PAD src0_sel:BYTE_0 src1_sel:BYTE_0
	v_min_u16_sdwa v4, v4, v5 dst_sel:DWORD dst_unused:UNUSED_PAD src0_sel:BYTE_0 src1_sel:BYTE_0
.LBB666_1106:
	s_or_b64 exec, exec, s[0:1]
	s_waitcnt lgkmcnt(0)
	v_lshlrev_b32_e32 v5, 2, v1
	v_or_b32_e32 v6, 0x80, v5
	ds_bpermute_b32 v4, v6, v4
	v_add_u32_e32 v2, 32, v2
	v_cmp_lt_u32_e32 vcc, v2, v3
	s_and_saveexec_b64 s[0:1], vcc
	s_cbranch_execz .LBB666_1108
; %bb.1107:
	s_movk_i32 s2, 0xcd
	s_waitcnt lgkmcnt(0)
	v_mul_lo_u16_sdwa v2, v4, s2 dst_sel:DWORD dst_unused:UNUSED_PAD src0_sel:BYTE_0 src1_sel:DWORD
	v_mul_lo_u16_sdwa v3, v37, s2 dst_sel:DWORD dst_unused:UNUSED_PAD src0_sel:BYTE_0 src1_sel:DWORD
	v_lshrrev_b16_e32 v2, 11, v2
	v_lshrrev_b16_e32 v3, 11, v3
	v_mul_lo_u16_e32 v2, 10, v2
	v_mul_lo_u16_e32 v3, 10, v3
	v_sub_u16_e32 v2, v4, v2
	v_sub_u16_e32 v3, v37, v3
	v_add_u16_e32 v2, v2, v3
	v_add_u16_e32 v3, -10, v2
	v_min_u16_sdwa v37, v2, v3 dst_sel:DWORD dst_unused:UNUSED_PAD src0_sel:BYTE_0 src1_sel:BYTE_0
.LBB666_1108:
	s_or_b64 exec, exec, s[0:1]
	v_cmp_eq_u32_e32 vcc, 0, v1
	s_and_saveexec_b64 s[0:1], vcc
; %bb.1109:
	v_lshrrev_b32_e32 v2, 6, v36
	ds_write_b8 v2, v37
; %bb.1110:
	s_or_b64 exec, exec, s[0:1]
	v_cmp_gt_u32_e32 vcc, 4, v36
	s_waitcnt lgkmcnt(0)
	s_barrier
	s_and_saveexec_b64 s[0:1], vcc
	s_cbranch_execz .LBB666_1116
; %bb.1111:
	ds_read_u8 v37, v1
	v_and_b32_e32 v2, 3, v1
	v_cmp_ne_u32_e32 vcc, 3, v2
	v_add_u32_e32 v0, 63, v0
	v_lshrrev_b32_e32 v0, 6, v0
	v_addc_co_u32_e32 v1, vcc, 0, v1, vcc
	v_lshlrev_b32_e32 v3, 2, v1
	s_waitcnt lgkmcnt(0)
	v_and_b32_e32 v1, 0xff, v37
	ds_bpermute_b32 v3, v3, v1
	v_add_u32_e32 v4, 1, v2
	v_cmp_lt_u32_e32 vcc, v4, v0
	s_and_saveexec_b64 s[2:3], vcc
	s_cbranch_execz .LBB666_1113
; %bb.1112:
	s_movk_i32 s4, 0xcd
	s_waitcnt lgkmcnt(0)
	v_mul_lo_u16_sdwa v1, v3, s4 dst_sel:DWORD dst_unused:UNUSED_PAD src0_sel:BYTE_0 src1_sel:DWORD
	v_lshrrev_b16_e32 v1, 11, v1
	v_mul_lo_u16_e32 v1, 10, v1
	v_sub_u16_e32 v1, v3, v1
	v_mul_lo_u16_sdwa v3, v37, s4 dst_sel:DWORD dst_unused:UNUSED_PAD src0_sel:BYTE_0 src1_sel:DWORD
	v_lshrrev_b16_e32 v3, 11, v3
	v_mul_lo_u16_e32 v3, 10, v3
	v_sub_u16_e32 v3, v37, v3
	v_add_u16_e32 v1, v1, v3
	v_add_u16_e32 v3, -10, v1
	v_min_u16_sdwa v37, v1, v3 dst_sel:DWORD dst_unused:UNUSED_PAD src0_sel:BYTE_0 src1_sel:BYTE_0
	v_min_u16_sdwa v1, v1, v3 dst_sel:DWORD dst_unused:UNUSED_PAD src0_sel:BYTE_0 src1_sel:BYTE_0
.LBB666_1113:
	s_or_b64 exec, exec, s[2:3]
	s_waitcnt lgkmcnt(0)
	v_or_b32_e32 v3, 8, v5
	ds_bpermute_b32 v1, v3, v1
	v_add_u32_e32 v2, 2, v2
	v_cmp_lt_u32_e32 vcc, v2, v0
	s_and_saveexec_b64 s[2:3], vcc
	s_cbranch_execz .LBB666_1115
; %bb.1114:
	s_movk_i32 s4, 0xcd
	s_waitcnt lgkmcnt(0)
	v_mul_lo_u16_sdwa v0, v1, s4 dst_sel:DWORD dst_unused:UNUSED_PAD src0_sel:BYTE_0 src1_sel:DWORD
	v_lshrrev_b16_e32 v0, 11, v0
	v_mul_lo_u16_e32 v0, 10, v0
	v_sub_u16_e32 v0, v1, v0
	v_mul_lo_u16_sdwa v1, v37, s4 dst_sel:DWORD dst_unused:UNUSED_PAD src0_sel:BYTE_0 src1_sel:DWORD
	v_lshrrev_b16_e32 v1, 11, v1
	v_mul_lo_u16_e32 v1, 10, v1
	v_sub_u16_e32 v1, v37, v1
	v_add_u16_e32 v0, v0, v1
	v_add_u16_e32 v1, -10, v0
	v_min_u16_sdwa v37, v0, v1 dst_sel:DWORD dst_unused:UNUSED_PAD src0_sel:BYTE_0 src1_sel:BYTE_0
.LBB666_1115:
	s_or_b64 exec, exec, s[2:3]
.LBB666_1116:
	s_or_b64 exec, exec, s[0:1]
.LBB666_1117:
	v_readlane_b32 s0, v43, 0
	v_readlane_b32 s1, v43, 1
	s_or_b64 exec, exec, s[0:1]
	v_cmp_eq_u32_e32 vcc, 0, v36
	s_and_b64 exec, exec, vcc
	s_cbranch_execz .LBB666_1121
; %bb.1118:
	v_cmp_ne_u64_e32 vcc, 0, v[34:35]
	s_and_saveexec_b64 s[0:1], vcc
	s_cbranch_execz .LBB666_1120
; %bb.1119:
	s_movk_i32 s2, 0xcd
	v_mul_lo_u16_sdwa v0, v37, s2 dst_sel:DWORD dst_unused:UNUSED_PAD src0_sel:BYTE_0 src1_sel:DWORD
	s_waitcnt lgkmcnt(0)
	v_mul_lo_u16_sdwa v1, v50, s2 dst_sel:DWORD dst_unused:UNUSED_PAD src0_sel:BYTE_0 src1_sel:DWORD
	v_lshrrev_b16_e32 v0, 11, v0
	v_lshrrev_b16_e32 v1, 11, v1
	v_mul_lo_u16_e32 v0, 10, v0
	v_mul_lo_u16_e32 v1, 10, v1
	v_sub_u16_e32 v0, v37, v0
	v_sub_u16_e32 v1, v50, v1
	v_add_u16_e32 v0, v0, v1
	v_add_u16_e32 v1, -10, v0
	v_min_u16_sdwa v50, v0, v1 dst_sel:DWORD dst_unused:UNUSED_PAD src0_sel:BYTE_0 src1_sel:BYTE_0
.LBB666_1120:
	s_or_b64 exec, exec, s[0:1]
	s_waitcnt lgkmcnt(0)
	v_lshl_add_u64 v[0:1], v[32:33], 0, s[12:13]
	flat_store_byte v[0:1], v50
.LBB666_1121:
	s_or_b64 exec, exec, s[94:95]
	v_readlane_b32 s30, v40, 0
	v_readlane_b32 s31, v40, 1
	s_or_saveexec_b64 s[0:1], -1
	scratch_load_dword v40, off, s32        ; 4-byte Folded Reload
	scratch_load_dword v41, off, s32 offset:4 ; 4-byte Folded Reload
	scratch_load_dword v42, off, s32 offset:8 ; 4-byte Folded Reload
	;; [unrolled: 1-line block ×3, first 2 shown]
	s_mov_b64 exec, s[0:1]
	s_waitcnt vmcnt(0) lgkmcnt(0)
	s_setpc_b64 s[30:31]
.LBB666_1122:
	v_mov_b32_e32 v7, 0
	v_lshl_add_u64 v[8:9], v[8:9], 0, v[6:7]
	flat_load_ubyte v7, v[8:9] offset:768
	s_mov_b32 s10, 0xffff
	s_waitcnt vmcnt(0) lgkmcnt(0)
	v_lshlrev_b16_e32 v7, 8, v7
	v_or_b32_sdwa v7, v12, v7 dst_sel:WORD_1 dst_unused:UNUSED_PAD src0_sel:WORD_1 src1_sel:DWORD
	s_nop 0
	v_and_or_b32 v12, v12, s10, v7
	s_or_b64 exec, exec, s[8:9]
	v_mov_b32_e32 v7, v12
	s_and_saveexec_b64 s[8:9], s[2:3]
	s_cbranch_execz .LBB666_91
.LBB666_1123:
	v_lshrrev_b32_e32 v7, 8, v12
	s_movk_i32 s2, 0xcd
	v_mul_lo_u16_sdwa v8, v7, s2 dst_sel:DWORD dst_unused:UNUSED_PAD src0_sel:BYTE_0 src1_sel:DWORD
	v_lshrrev_b16_e32 v8, 11, v8
	v_mul_lo_u16_e32 v8, 10, v8
	v_sub_u16_e32 v7, v7, v8
	v_mul_lo_u16_sdwa v8, v12, s2 dst_sel:DWORD dst_unused:UNUSED_PAD src0_sel:BYTE_0 src1_sel:DWORD
	v_lshrrev_b16_e32 v8, 11, v8
	v_mul_lo_u16_e32 v8, 10, v8
	v_sub_u16_e32 v8, v12, v8
	v_add_u16_e32 v7, v7, v8
	v_add_u16_e32 v8, -10, v7
	v_min_u16_sdwa v7, v7, v8 dst_sel:DWORD dst_unused:UNUSED_PAD src0_sel:BYTE_0 src1_sel:BYTE_0
	s_or_b64 exec, exec, s[8:9]
	s_and_saveexec_b64 s[2:3], s[0:1]
	s_cbranch_execz .LBB666_92
.LBB666_1124:
	s_movk_i32 s0, 0xff
	v_and_b32_sdwa v8, v12, s0 dst_sel:DWORD dst_unused:UNUSED_PAD src0_sel:WORD_1 src1_sel:DWORD
	s_movk_i32 s0, 0xcd
	v_mul_lo_u16_e32 v8, 0xcd, v8
	v_mul_lo_u16_sdwa v9, v7, s0 dst_sel:DWORD dst_unused:UNUSED_PAD src0_sel:BYTE_0 src1_sel:DWORD
	v_lshrrev_b16_e32 v8, 11, v8
	v_lshrrev_b16_e32 v9, 11, v9
	v_mul_lo_u16_e32 v8, 10, v8
	v_mul_lo_u16_e32 v9, 10, v9
	v_sub_u16_sdwa v8, v12, v8 dst_sel:DWORD dst_unused:UNUSED_PAD src0_sel:WORD_1 src1_sel:DWORD
	v_sub_u16_e32 v7, v7, v9
	v_add_u16_e32 v7, v7, v8
	v_add_u16_e32 v8, -10, v7
	v_min_u16_sdwa v7, v7, v8 dst_sel:DWORD dst_unused:UNUSED_PAD src0_sel:BYTE_0 src1_sel:BYTE_0
	s_or_b64 exec, exec, s[2:3]
	s_and_saveexec_b64 s[0:1], vcc
	s_cbranch_execnz .LBB666_93
	s_branch .LBB666_94
.LBB666_1125:
	v_mov_b32_e32 v7, 0
	v_lshl_add_u64 v[10:11], v[10:11], 0, v[6:7]
	flat_load_ubyte v7, v[10:11] offset:1792
	s_mov_b32 s20, 0x60504
	s_waitcnt vmcnt(0) lgkmcnt(0)
	v_perm_b32 v9, v9, v7, s20
	s_or_b64 exec, exec, s[18:19]
	v_mov_b32_e32 v7, v8
	s_and_saveexec_b64 s[18:19], s[0:1]
	s_cbranch_execz .LBB666_143
.LBB666_1126:
	v_lshrrev_b32_e32 v7, 8, v8
	s_movk_i32 s0, 0xcd
	v_mul_lo_u16_sdwa v10, v7, s0 dst_sel:DWORD dst_unused:UNUSED_PAD src0_sel:BYTE_0 src1_sel:DWORD
	v_lshrrev_b16_e32 v10, 11, v10
	v_mul_lo_u16_e32 v10, 10, v10
	v_sub_u16_e32 v7, v7, v10
	v_mul_lo_u16_sdwa v10, v8, s0 dst_sel:DWORD dst_unused:UNUSED_PAD src0_sel:BYTE_0 src1_sel:DWORD
	v_lshrrev_b16_e32 v10, 11, v10
	v_mul_lo_u16_e32 v10, 10, v10
	v_sub_u16_e32 v10, v8, v10
	v_add_u16_e32 v7, v7, v10
	v_add_u16_e32 v10, -10, v7
	v_min_u16_sdwa v7, v7, v10 dst_sel:DWORD dst_unused:UNUSED_PAD src0_sel:BYTE_0 src1_sel:BYTE_0
	s_or_b64 exec, exec, s[18:19]
	s_and_saveexec_b64 s[0:1], vcc
	s_cbranch_execz .LBB666_144
.LBB666_1127:
	s_movk_i32 s18, 0xff
	v_and_b32_sdwa v10, v8, s18 dst_sel:DWORD dst_unused:UNUSED_PAD src0_sel:WORD_1 src1_sel:DWORD
	s_movk_i32 s18, 0xcd
	v_mul_lo_u16_e32 v10, 0xcd, v10
	v_mul_lo_u16_sdwa v11, v7, s18 dst_sel:DWORD dst_unused:UNUSED_PAD src0_sel:BYTE_0 src1_sel:DWORD
	v_lshrrev_b16_e32 v10, 11, v10
	v_lshrrev_b16_e32 v11, 11, v11
	v_mul_lo_u16_e32 v10, 10, v10
	v_mul_lo_u16_e32 v11, 10, v11
	v_sub_u16_sdwa v10, v8, v10 dst_sel:DWORD dst_unused:UNUSED_PAD src0_sel:WORD_1 src1_sel:DWORD
	v_sub_u16_e32 v7, v7, v11
	v_add_u16_e32 v7, v7, v10
	v_add_u16_e32 v10, -10, v7
	v_min_u16_sdwa v7, v7, v10 dst_sel:DWORD dst_unused:UNUSED_PAD src0_sel:BYTE_0 src1_sel:BYTE_0
	s_or_b64 exec, exec, s[0:1]
	s_and_saveexec_b64 s[0:1], s[2:3]
	s_cbranch_execz .LBB666_145
.LBB666_1128:
	v_lshrrev_b64 v[10:11], 24, v[8:9]
	s_movk_i32 s2, 0xcd
	v_mul_lo_u16_sdwa v8, v10, s2 dst_sel:DWORD dst_unused:UNUSED_PAD src0_sel:BYTE_0 src1_sel:DWORD
	v_lshrrev_b16_e32 v8, 11, v8
	v_mul_lo_u16_e32 v8, 10, v8
	v_sub_u16_e32 v8, v10, v8
	v_mul_lo_u16_sdwa v10, v7, s2 dst_sel:DWORD dst_unused:UNUSED_PAD src0_sel:BYTE_0 src1_sel:DWORD
	v_lshrrev_b16_e32 v10, 11, v10
	v_mul_lo_u16_e32 v10, 10, v10
	v_sub_u16_e32 v7, v7, v10
	v_add_u16_e32 v7, v7, v8
	v_add_u16_e32 v8, -10, v7
	v_min_u16_sdwa v7, v7, v8 dst_sel:DWORD dst_unused:UNUSED_PAD src0_sel:BYTE_0 src1_sel:BYTE_0
	s_or_b64 exec, exec, s[0:1]
	s_and_saveexec_b64 s[0:1], s[4:5]
	s_cbranch_execz .LBB666_146
.LBB666_1129:
	s_movk_i32 s2, 0xcd
	v_mul_lo_u16_sdwa v8, v9, s2 dst_sel:DWORD dst_unused:UNUSED_PAD src0_sel:BYTE_0 src1_sel:DWORD
	v_mul_lo_u16_sdwa v10, v7, s2 dst_sel:DWORD dst_unused:UNUSED_PAD src0_sel:BYTE_0 src1_sel:DWORD
	v_lshrrev_b16_e32 v8, 11, v8
	v_lshrrev_b16_e32 v10, 11, v10
	v_mul_lo_u16_e32 v8, 10, v8
	v_mul_lo_u16_e32 v10, 10, v10
	v_sub_u16_e32 v8, v9, v8
	v_sub_u16_e32 v7, v7, v10
	v_add_u16_e32 v7, v7, v8
	v_add_u16_e32 v8, -10, v7
	v_min_u16_sdwa v7, v7, v8 dst_sel:DWORD dst_unused:UNUSED_PAD src0_sel:BYTE_0 src1_sel:BYTE_0
	s_or_b64 exec, exec, s[0:1]
	s_and_saveexec_b64 s[0:1], s[8:9]
	s_cbranch_execz .LBB666_147
.LBB666_1130:
	v_lshrrev_b32_e32 v8, 8, v9
	s_movk_i32 s2, 0xcd
	v_mul_lo_u16_sdwa v10, v8, s2 dst_sel:DWORD dst_unused:UNUSED_PAD src0_sel:BYTE_0 src1_sel:DWORD
	v_lshrrev_b16_e32 v10, 11, v10
	v_mul_lo_u16_e32 v10, 10, v10
	v_sub_u16_e32 v8, v8, v10
	v_mul_lo_u16_sdwa v10, v7, s2 dst_sel:DWORD dst_unused:UNUSED_PAD src0_sel:BYTE_0 src1_sel:DWORD
	v_lshrrev_b16_e32 v10, 11, v10
	v_mul_lo_u16_e32 v10, 10, v10
	v_sub_u16_e32 v7, v7, v10
	v_add_u16_e32 v7, v7, v8
	v_add_u16_e32 v8, -10, v7
	v_min_u16_sdwa v7, v7, v8 dst_sel:DWORD dst_unused:UNUSED_PAD src0_sel:BYTE_0 src1_sel:BYTE_0
	s_or_b64 exec, exec, s[0:1]
	s_and_saveexec_b64 s[0:1], s[10:11]
	s_cbranch_execz .LBB666_148
.LBB666_1131:
	s_movk_i32 s2, 0xff
	v_and_b32_sdwa v8, v9, s2 dst_sel:DWORD dst_unused:UNUSED_PAD src0_sel:WORD_1 src1_sel:DWORD
	s_movk_i32 s2, 0xcd
	v_mul_lo_u16_e32 v8, 0xcd, v8
	v_mul_lo_u16_sdwa v10, v7, s2 dst_sel:DWORD dst_unused:UNUSED_PAD src0_sel:BYTE_0 src1_sel:DWORD
	v_lshrrev_b16_e32 v8, 11, v8
	v_lshrrev_b16_e32 v10, 11, v10
	v_mul_lo_u16_e32 v8, 10, v8
	v_mul_lo_u16_e32 v10, 10, v10
	v_sub_u16_sdwa v8, v9, v8 dst_sel:DWORD dst_unused:UNUSED_PAD src0_sel:WORD_1 src1_sel:DWORD
	v_sub_u16_e32 v7, v7, v10
	v_add_u16_e32 v7, v7, v8
	v_add_u16_e32 v8, -10, v7
	v_min_u16_sdwa v7, v7, v8 dst_sel:DWORD dst_unused:UNUSED_PAD src0_sel:BYTE_0 src1_sel:BYTE_0
	s_or_b64 exec, exec, s[0:1]
	s_and_saveexec_b64 s[0:1], s[6:7]
	s_cbranch_execnz .LBB666_149
	s_branch .LBB666_150
.LBB666_1132:
	v_mov_b32_e32 v11, 0
	v_lshl_add_u64 v[12:13], v[12:13], 0, v[10:11]
	flat_load_ubyte v11, v[12:13] offset:3840
	s_mov_b32 s46, 0x60504
	s_waitcnt vmcnt(0) lgkmcnt(0)
	v_perm_b32 v5, v5, v11, s46
	s_or_b64 exec, exec, s[44:45]
	v_mov_b32_e32 v11, v2
	s_and_saveexec_b64 s[44:45], vcc
	s_cbranch_execz .LBB666_215
.LBB666_1133:
	v_lshrrev_b32_e32 v11, 8, v2
	s_movk_i32 s46, 0xcd
	v_mul_lo_u16_sdwa v12, v11, s46 dst_sel:DWORD dst_unused:UNUSED_PAD src0_sel:BYTE_0 src1_sel:DWORD
	v_lshrrev_b16_e32 v12, 11, v12
	v_mul_lo_u16_e32 v12, 10, v12
	v_sub_u16_e32 v11, v11, v12
	v_mul_lo_u16_sdwa v12, v2, s46 dst_sel:DWORD dst_unused:UNUSED_PAD src0_sel:BYTE_0 src1_sel:DWORD
	v_lshrrev_b16_e32 v12, 11, v12
	v_mul_lo_u16_e32 v12, 10, v12
	v_sub_u16_e32 v12, v2, v12
	v_add_u16_e32 v11, v11, v12
	v_add_u16_e32 v12, -10, v11
	v_min_u16_sdwa v11, v11, v12 dst_sel:DWORD dst_unused:UNUSED_PAD src0_sel:BYTE_0 src1_sel:BYTE_0
	s_or_b64 exec, exec, s[44:45]
	s_and_saveexec_b64 s[44:45], s[2:3]
	s_cbranch_execz .LBB666_216
.LBB666_1134:
	s_movk_i32 s2, 0xff
	v_and_b32_sdwa v12, v2, s2 dst_sel:DWORD dst_unused:UNUSED_PAD src0_sel:WORD_1 src1_sel:DWORD
	s_movk_i32 s2, 0xcd
	v_mul_lo_u16_e32 v12, 0xcd, v12
	v_mul_lo_u16_sdwa v13, v11, s2 dst_sel:DWORD dst_unused:UNUSED_PAD src0_sel:BYTE_0 src1_sel:DWORD
	v_lshrrev_b16_e32 v12, 11, v12
	v_lshrrev_b16_e32 v13, 11, v13
	v_mul_lo_u16_e32 v12, 10, v12
	v_mul_lo_u16_e32 v13, 10, v13
	v_sub_u16_sdwa v12, v2, v12 dst_sel:DWORD dst_unused:UNUSED_PAD src0_sel:WORD_1 src1_sel:DWORD
	v_sub_u16_e32 v11, v11, v13
	v_add_u16_e32 v11, v11, v12
	v_add_u16_e32 v12, -10, v11
	v_min_u16_sdwa v11, v11, v12 dst_sel:DWORD dst_unused:UNUSED_PAD src0_sel:BYTE_0 src1_sel:BYTE_0
	s_or_b64 exec, exec, s[44:45]
	s_and_saveexec_b64 s[2:3], s[4:5]
	s_cbranch_execz .LBB666_217
.LBB666_1135:
	v_lshrrev_b64 v[12:13], 24, v[2:3]
	s_movk_i32 s4, 0xcd
	v_mul_lo_u16_sdwa v2, v12, s4 dst_sel:DWORD dst_unused:UNUSED_PAD src0_sel:BYTE_0 src1_sel:DWORD
	v_lshrrev_b16_e32 v2, 11, v2
	v_mul_lo_u16_e32 v2, 10, v2
	v_sub_u16_e32 v2, v12, v2
	v_mul_lo_u16_sdwa v12, v11, s4 dst_sel:DWORD dst_unused:UNUSED_PAD src0_sel:BYTE_0 src1_sel:DWORD
	v_lshrrev_b16_e32 v12, 11, v12
	v_mul_lo_u16_e32 v12, 10, v12
	v_sub_u16_e32 v11, v11, v12
	v_add_u16_e32 v2, v11, v2
	v_add_u16_e32 v11, -10, v2
	v_min_u16_sdwa v11, v2, v11 dst_sel:DWORD dst_unused:UNUSED_PAD src0_sel:BYTE_0 src1_sel:BYTE_0
	s_or_b64 exec, exec, s[2:3]
	s_and_saveexec_b64 s[2:3], s[0:1]
	s_cbranch_execz .LBB666_218
.LBB666_1136:
	s_movk_i32 s0, 0xcd
	v_mul_lo_u16_sdwa v2, v3, s0 dst_sel:DWORD dst_unused:UNUSED_PAD src0_sel:BYTE_0 src1_sel:DWORD
	v_mul_lo_u16_sdwa v12, v11, s0 dst_sel:DWORD dst_unused:UNUSED_PAD src0_sel:BYTE_0 src1_sel:DWORD
	v_lshrrev_b16_e32 v2, 11, v2
	v_lshrrev_b16_e32 v12, 11, v12
	v_mul_lo_u16_e32 v2, 10, v2
	v_mul_lo_u16_e32 v12, 10, v12
	v_sub_u16_e32 v2, v3, v2
	v_sub_u16_e32 v11, v11, v12
	v_add_u16_e32 v2, v11, v2
	v_add_u16_e32 v11, -10, v2
	v_min_u16_sdwa v11, v2, v11 dst_sel:DWORD dst_unused:UNUSED_PAD src0_sel:BYTE_0 src1_sel:BYTE_0
	s_or_b64 exec, exec, s[2:3]
	s_and_saveexec_b64 s[0:1], s[6:7]
	s_cbranch_execz .LBB666_219
.LBB666_1137:
	v_lshrrev_b32_e32 v2, 8, v3
	s_movk_i32 s2, 0xcd
	v_mul_lo_u16_sdwa v12, v2, s2 dst_sel:DWORD dst_unused:UNUSED_PAD src0_sel:BYTE_0 src1_sel:DWORD
	v_lshrrev_b16_e32 v12, 11, v12
	v_mul_lo_u16_e32 v12, 10, v12
	v_sub_u16_e32 v2, v2, v12
	v_mul_lo_u16_sdwa v12, v11, s2 dst_sel:DWORD dst_unused:UNUSED_PAD src0_sel:BYTE_0 src1_sel:DWORD
	v_lshrrev_b16_e32 v12, 11, v12
	v_mul_lo_u16_e32 v12, 10, v12
	v_sub_u16_e32 v11, v11, v12
	v_add_u16_e32 v2, v11, v2
	v_add_u16_e32 v11, -10, v2
	v_min_u16_sdwa v11, v2, v11 dst_sel:DWORD dst_unused:UNUSED_PAD src0_sel:BYTE_0 src1_sel:BYTE_0
	s_or_b64 exec, exec, s[0:1]
	s_and_saveexec_b64 s[0:1], s[8:9]
	s_cbranch_execz .LBB666_220
.LBB666_1138:
	s_movk_i32 s2, 0xff
	v_and_b32_sdwa v2, v3, s2 dst_sel:DWORD dst_unused:UNUSED_PAD src0_sel:WORD_1 src1_sel:DWORD
	s_movk_i32 s2, 0xcd
	v_mul_lo_u16_e32 v2, 0xcd, v2
	v_mul_lo_u16_sdwa v12, v11, s2 dst_sel:DWORD dst_unused:UNUSED_PAD src0_sel:BYTE_0 src1_sel:DWORD
	v_lshrrev_b16_e32 v2, 11, v2
	v_lshrrev_b16_e32 v12, 11, v12
	v_mul_lo_u16_e32 v2, 10, v2
	v_mul_lo_u16_e32 v12, 10, v12
	v_sub_u16_sdwa v2, v3, v2 dst_sel:DWORD dst_unused:UNUSED_PAD src0_sel:WORD_1 src1_sel:DWORD
	v_sub_u16_e32 v11, v11, v12
	v_add_u16_e32 v2, v11, v2
	v_add_u16_e32 v11, -10, v2
	v_min_u16_sdwa v11, v2, v11 dst_sel:DWORD dst_unused:UNUSED_PAD src0_sel:BYTE_0 src1_sel:BYTE_0
	s_or_b64 exec, exec, s[0:1]
	s_and_saveexec_b64 s[0:1], s[10:11]
	s_cbranch_execz .LBB666_221
.LBB666_1139:
	s_movk_i32 s2, 0xcd
	v_mul_lo_u16_sdwa v2, v3, s2 dst_sel:DWORD dst_unused:UNUSED_PAD src0_sel:BYTE_3 src1_sel:DWORD
	v_lshrrev_b16_e32 v2, 11, v2
	v_mul_lo_u16_e32 v2, 10, v2
	v_sub_u16_sdwa v2, v3, v2 dst_sel:DWORD dst_unused:UNUSED_PAD src0_sel:BYTE_3 src1_sel:DWORD
	v_mul_lo_u16_sdwa v3, v11, s2 dst_sel:DWORD dst_unused:UNUSED_PAD src0_sel:BYTE_0 src1_sel:DWORD
	v_lshrrev_b16_e32 v3, 11, v3
	v_mul_lo_u16_e32 v3, 10, v3
	v_sub_u16_e32 v3, v11, v3
	v_add_u16_e32 v2, v3, v2
	v_add_u16_e32 v3, -10, v2
	v_min_u16_sdwa v11, v2, v3 dst_sel:DWORD dst_unused:UNUSED_PAD src0_sel:BYTE_0 src1_sel:BYTE_0
	s_or_b64 exec, exec, s[0:1]
	s_and_saveexec_b64 s[0:1], s[14:15]
	s_cbranch_execz .LBB666_222
.LBB666_1140:
	s_movk_i32 s2, 0xcd
	v_mul_lo_u16_sdwa v2, v4, s2 dst_sel:DWORD dst_unused:UNUSED_PAD src0_sel:BYTE_0 src1_sel:DWORD
	v_mul_lo_u16_sdwa v3, v11, s2 dst_sel:DWORD dst_unused:UNUSED_PAD src0_sel:BYTE_0 src1_sel:DWORD
	v_lshrrev_b16_e32 v2, 11, v2
	v_lshrrev_b16_e32 v3, 11, v3
	v_mul_lo_u16_e32 v2, 10, v2
	v_mul_lo_u16_e32 v3, 10, v3
	v_sub_u16_e32 v2, v4, v2
	v_sub_u16_e32 v3, v11, v3
	v_add_u16_e32 v2, v3, v2
	v_add_u16_e32 v3, -10, v2
	v_min_u16_sdwa v11, v2, v3 dst_sel:DWORD dst_unused:UNUSED_PAD src0_sel:BYTE_0 src1_sel:BYTE_0
	s_or_b64 exec, exec, s[0:1]
	s_and_saveexec_b64 s[0:1], s[16:17]
	s_cbranch_execz .LBB666_223
.LBB666_1141:
	v_lshrrev_b32_e32 v2, 8, v4
	s_movk_i32 s2, 0xcd
	v_mul_lo_u16_sdwa v3, v2, s2 dst_sel:DWORD dst_unused:UNUSED_PAD src0_sel:BYTE_0 src1_sel:DWORD
	v_lshrrev_b16_e32 v3, 11, v3
	v_mul_lo_u16_e32 v3, 10, v3
	v_sub_u16_e32 v2, v2, v3
	v_mul_lo_u16_sdwa v3, v11, s2 dst_sel:DWORD dst_unused:UNUSED_PAD src0_sel:BYTE_0 src1_sel:DWORD
	v_lshrrev_b16_e32 v3, 11, v3
	v_mul_lo_u16_e32 v3, 10, v3
	v_sub_u16_e32 v3, v11, v3
	v_add_u16_e32 v2, v3, v2
	v_add_u16_e32 v3, -10, v2
	v_min_u16_sdwa v11, v2, v3 dst_sel:DWORD dst_unused:UNUSED_PAD src0_sel:BYTE_0 src1_sel:BYTE_0
	s_or_b64 exec, exec, s[0:1]
	s_and_saveexec_b64 s[0:1], s[20:21]
	s_cbranch_execz .LBB666_224
.LBB666_1142:
	s_movk_i32 s2, 0xff
	v_and_b32_sdwa v2, v4, s2 dst_sel:DWORD dst_unused:UNUSED_PAD src0_sel:WORD_1 src1_sel:DWORD
	s_movk_i32 s2, 0xcd
	v_mul_lo_u16_e32 v2, 0xcd, v2
	v_mul_lo_u16_sdwa v3, v11, s2 dst_sel:DWORD dst_unused:UNUSED_PAD src0_sel:BYTE_0 src1_sel:DWORD
	v_lshrrev_b16_e32 v2, 11, v2
	v_lshrrev_b16_e32 v3, 11, v3
	v_mul_lo_u16_e32 v2, 10, v2
	v_mul_lo_u16_e32 v3, 10, v3
	v_sub_u16_sdwa v2, v4, v2 dst_sel:DWORD dst_unused:UNUSED_PAD src0_sel:WORD_1 src1_sel:DWORD
	v_sub_u16_e32 v3, v11, v3
	v_add_u16_e32 v2, v3, v2
	v_add_u16_e32 v3, -10, v2
	v_min_u16_sdwa v11, v2, v3 dst_sel:DWORD dst_unused:UNUSED_PAD src0_sel:BYTE_0 src1_sel:BYTE_0
	s_or_b64 exec, exec, s[0:1]
	s_and_saveexec_b64 s[0:1], s[22:23]
	s_cbranch_execz .LBB666_225
.LBB666_1143:
	v_lshrrev_b64 v[2:3], 24, v[4:5]
	s_movk_i32 s2, 0xcd
	v_mul_lo_u16_sdwa v3, v2, s2 dst_sel:DWORD dst_unused:UNUSED_PAD src0_sel:BYTE_0 src1_sel:DWORD
	v_lshrrev_b16_e32 v3, 11, v3
	v_mul_lo_u16_e32 v3, 10, v3
	v_sub_u16_e32 v2, v2, v3
	v_mul_lo_u16_sdwa v3, v11, s2 dst_sel:DWORD dst_unused:UNUSED_PAD src0_sel:BYTE_0 src1_sel:DWORD
	v_lshrrev_b16_e32 v3, 11, v3
	v_mul_lo_u16_e32 v3, 10, v3
	v_sub_u16_e32 v3, v11, v3
	v_add_u16_e32 v2, v3, v2
	v_add_u16_e32 v3, -10, v2
	v_min_u16_sdwa v11, v2, v3 dst_sel:DWORD dst_unused:UNUSED_PAD src0_sel:BYTE_0 src1_sel:BYTE_0
	s_or_b64 exec, exec, s[0:1]
	s_and_saveexec_b64 s[0:1], s[18:19]
	s_cbranch_execz .LBB666_226
.LBB666_1144:
	s_movk_i32 s2, 0xcd
	v_mul_lo_u16_sdwa v2, v5, s2 dst_sel:DWORD dst_unused:UNUSED_PAD src0_sel:BYTE_0 src1_sel:DWORD
	v_mul_lo_u16_sdwa v3, v11, s2 dst_sel:DWORD dst_unused:UNUSED_PAD src0_sel:BYTE_0 src1_sel:DWORD
	v_lshrrev_b16_e32 v2, 11, v2
	v_lshrrev_b16_e32 v3, 11, v3
	v_mul_lo_u16_e32 v2, 10, v2
	v_mul_lo_u16_e32 v3, 10, v3
	v_sub_u16_e32 v2, v5, v2
	v_sub_u16_e32 v3, v11, v3
	v_add_u16_e32 v2, v3, v2
	v_add_u16_e32 v3, -10, v2
	v_min_u16_sdwa v11, v2, v3 dst_sel:DWORD dst_unused:UNUSED_PAD src0_sel:BYTE_0 src1_sel:BYTE_0
	s_or_b64 exec, exec, s[0:1]
	s_and_saveexec_b64 s[0:1], s[24:25]
	s_cbranch_execz .LBB666_227
.LBB666_1145:
	v_lshrrev_b32_e32 v2, 8, v5
	s_movk_i32 s2, 0xcd
	v_mul_lo_u16_sdwa v3, v2, s2 dst_sel:DWORD dst_unused:UNUSED_PAD src0_sel:BYTE_0 src1_sel:DWORD
	v_lshrrev_b16_e32 v3, 11, v3
	v_mul_lo_u16_e32 v3, 10, v3
	v_sub_u16_e32 v2, v2, v3
	v_mul_lo_u16_sdwa v3, v11, s2 dst_sel:DWORD dst_unused:UNUSED_PAD src0_sel:BYTE_0 src1_sel:DWORD
	v_lshrrev_b16_e32 v3, 11, v3
	v_mul_lo_u16_e32 v3, 10, v3
	v_sub_u16_e32 v3, v11, v3
	v_add_u16_e32 v2, v3, v2
	v_add_u16_e32 v3, -10, v2
	v_min_u16_sdwa v11, v2, v3 dst_sel:DWORD dst_unused:UNUSED_PAD src0_sel:BYTE_0 src1_sel:BYTE_0
	s_or_b64 exec, exec, s[0:1]
	s_and_saveexec_b64 s[0:1], s[26:27]
	s_cbranch_execz .LBB666_228
.LBB666_1146:
	s_movk_i32 s2, 0xff
	v_and_b32_sdwa v2, v5, s2 dst_sel:DWORD dst_unused:UNUSED_PAD src0_sel:WORD_1 src1_sel:DWORD
	s_movk_i32 s2, 0xcd
	v_mul_lo_u16_e32 v2, 0xcd, v2
	v_mul_lo_u16_sdwa v3, v11, s2 dst_sel:DWORD dst_unused:UNUSED_PAD src0_sel:BYTE_0 src1_sel:DWORD
	v_lshrrev_b16_e32 v2, 11, v2
	v_lshrrev_b16_e32 v3, 11, v3
	v_mul_lo_u16_e32 v2, 10, v2
	v_mul_lo_u16_e32 v3, 10, v3
	v_sub_u16_sdwa v2, v5, v2 dst_sel:DWORD dst_unused:UNUSED_PAD src0_sel:WORD_1 src1_sel:DWORD
	v_sub_u16_e32 v3, v11, v3
	v_add_u16_e32 v2, v3, v2
	v_add_u16_e32 v3, -10, v2
	v_min_u16_sdwa v11, v2, v3 dst_sel:DWORD dst_unused:UNUSED_PAD src0_sel:BYTE_0 src1_sel:BYTE_0
	s_or_b64 exec, exec, s[0:1]
	s_and_saveexec_b64 s[0:1], s[28:29]
	s_cbranch_execnz .LBB666_229
	s_branch .LBB666_230
.LBB666_1147:
	v_mov_b32_e32 v19, 0
	v_lshl_add_u64 v[16:17], v[16:17], 0, v[18:19]
	flat_load_ubyte v15, v[16:17]
	s_mov_b32 s38, 0x60504
	s_waitcnt vmcnt(0) lgkmcnt(0)
	v_perm_b32 v9, v9, v15, s38
	s_or_b64 exec, exec, s[36:37]
	v_mov_b32_e32 v15, v2
	s_and_saveexec_b64 s[36:37], vcc
	s_cbranch_execz .LBB666_327
.LBB666_1148:
	v_lshrrev_b32_e32 v15, 8, v2
	s_movk_i32 vcc_lo, 0xcd
	v_mul_lo_u16_sdwa v16, v15, vcc_lo dst_sel:DWORD dst_unused:UNUSED_PAD src0_sel:BYTE_0 src1_sel:DWORD
	v_lshrrev_b16_e32 v16, 11, v16
	v_mul_lo_u16_e32 v16, 10, v16
	v_sub_u16_e32 v15, v15, v16
	v_mul_lo_u16_sdwa v16, v2, vcc_lo dst_sel:DWORD dst_unused:UNUSED_PAD src0_sel:BYTE_0 src1_sel:DWORD
	v_lshrrev_b16_e32 v16, 11, v16
	v_mul_lo_u16_e32 v16, 10, v16
	v_sub_u16_e32 v16, v2, v16
	v_add_u16_e32 v15, v15, v16
	v_add_u16_e32 v16, -10, v15
	v_min_u16_sdwa v15, v15, v16 dst_sel:DWORD dst_unused:UNUSED_PAD src0_sel:BYTE_0 src1_sel:BYTE_0
	s_or_b64 exec, exec, s[36:37]
	s_and_saveexec_b64 vcc, s[0:1]
	s_cbranch_execz .LBB666_328
.LBB666_1149:
	s_movk_i32 s0, 0xff
	v_and_b32_sdwa v16, v2, s0 dst_sel:DWORD dst_unused:UNUSED_PAD src0_sel:WORD_1 src1_sel:DWORD
	s_movk_i32 s0, 0xcd
	v_mul_lo_u16_e32 v16, 0xcd, v16
	v_mul_lo_u16_sdwa v17, v15, s0 dst_sel:DWORD dst_unused:UNUSED_PAD src0_sel:BYTE_0 src1_sel:DWORD
	v_lshrrev_b16_e32 v16, 11, v16
	v_lshrrev_b16_e32 v17, 11, v17
	v_mul_lo_u16_e32 v16, 10, v16
	v_mul_lo_u16_e32 v17, 10, v17
	v_sub_u16_sdwa v16, v2, v16 dst_sel:DWORD dst_unused:UNUSED_PAD src0_sel:WORD_1 src1_sel:DWORD
	v_sub_u16_e32 v15, v15, v17
	v_add_u16_e32 v15, v15, v16
	v_add_u16_e32 v16, -10, v15
	v_min_u16_sdwa v15, v15, v16 dst_sel:DWORD dst_unused:UNUSED_PAD src0_sel:BYTE_0 src1_sel:BYTE_0
	s_or_b64 exec, exec, vcc
	s_and_saveexec_b64 s[0:1], s[2:3]
	s_cbranch_execz .LBB666_329
.LBB666_1150:
	v_lshrrev_b64 v[16:17], 24, v[2:3]
	s_movk_i32 s2, 0xcd
	v_mul_lo_u16_sdwa v2, v16, s2 dst_sel:DWORD dst_unused:UNUSED_PAD src0_sel:BYTE_0 src1_sel:DWORD
	v_lshrrev_b16_e32 v2, 11, v2
	v_mul_lo_u16_e32 v2, 10, v2
	v_sub_u16_e32 v2, v16, v2
	v_mul_lo_u16_sdwa v16, v15, s2 dst_sel:DWORD dst_unused:UNUSED_PAD src0_sel:BYTE_0 src1_sel:DWORD
	v_lshrrev_b16_e32 v16, 11, v16
	v_mul_lo_u16_e32 v16, 10, v16
	v_sub_u16_e32 v15, v15, v16
	v_add_u16_e32 v2, v15, v2
	v_add_u16_e32 v15, -10, v2
	v_min_u16_sdwa v15, v2, v15 dst_sel:DWORD dst_unused:UNUSED_PAD src0_sel:BYTE_0 src1_sel:BYTE_0
	s_or_b64 exec, exec, s[0:1]
	s_and_saveexec_b64 s[0:1], s[4:5]
	s_cbranch_execz .LBB666_330
.LBB666_1151:
	s_movk_i32 s2, 0xcd
	v_mul_lo_u16_sdwa v2, v3, s2 dst_sel:DWORD dst_unused:UNUSED_PAD src0_sel:BYTE_0 src1_sel:DWORD
	v_mul_lo_u16_sdwa v16, v15, s2 dst_sel:DWORD dst_unused:UNUSED_PAD src0_sel:BYTE_0 src1_sel:DWORD
	v_lshrrev_b16_e32 v2, 11, v2
	v_lshrrev_b16_e32 v16, 11, v16
	v_mul_lo_u16_e32 v2, 10, v2
	v_mul_lo_u16_e32 v16, 10, v16
	v_sub_u16_e32 v2, v3, v2
	v_sub_u16_e32 v15, v15, v16
	v_add_u16_e32 v2, v15, v2
	v_add_u16_e32 v15, -10, v2
	v_min_u16_sdwa v15, v2, v15 dst_sel:DWORD dst_unused:UNUSED_PAD src0_sel:BYTE_0 src1_sel:BYTE_0
	s_or_b64 exec, exec, s[0:1]
	s_and_saveexec_b64 s[0:1], s[6:7]
	s_cbranch_execz .LBB666_331
.LBB666_1152:
	v_lshrrev_b32_e32 v2, 8, v3
	s_movk_i32 s2, 0xcd
	v_mul_lo_u16_sdwa v16, v2, s2 dst_sel:DWORD dst_unused:UNUSED_PAD src0_sel:BYTE_0 src1_sel:DWORD
	v_lshrrev_b16_e32 v16, 11, v16
	v_mul_lo_u16_e32 v16, 10, v16
	v_sub_u16_e32 v2, v2, v16
	v_mul_lo_u16_sdwa v16, v15, s2 dst_sel:DWORD dst_unused:UNUSED_PAD src0_sel:BYTE_0 src1_sel:DWORD
	v_lshrrev_b16_e32 v16, 11, v16
	v_mul_lo_u16_e32 v16, 10, v16
	v_sub_u16_e32 v15, v15, v16
	v_add_u16_e32 v2, v15, v2
	v_add_u16_e32 v15, -10, v2
	v_min_u16_sdwa v15, v2, v15 dst_sel:DWORD dst_unused:UNUSED_PAD src0_sel:BYTE_0 src1_sel:BYTE_0
	s_or_b64 exec, exec, s[0:1]
	s_and_saveexec_b64 s[0:1], s[8:9]
	s_cbranch_execz .LBB666_332
.LBB666_1153:
	s_movk_i32 s2, 0xff
	v_and_b32_sdwa v2, v3, s2 dst_sel:DWORD dst_unused:UNUSED_PAD src0_sel:WORD_1 src1_sel:DWORD
	s_movk_i32 s2, 0xcd
	v_mul_lo_u16_e32 v2, 0xcd, v2
	v_mul_lo_u16_sdwa v16, v15, s2 dst_sel:DWORD dst_unused:UNUSED_PAD src0_sel:BYTE_0 src1_sel:DWORD
	v_lshrrev_b16_e32 v2, 11, v2
	v_lshrrev_b16_e32 v16, 11, v16
	v_mul_lo_u16_e32 v2, 10, v2
	v_mul_lo_u16_e32 v16, 10, v16
	v_sub_u16_sdwa v2, v3, v2 dst_sel:DWORD dst_unused:UNUSED_PAD src0_sel:WORD_1 src1_sel:DWORD
	v_sub_u16_e32 v15, v15, v16
	v_add_u16_e32 v2, v15, v2
	v_add_u16_e32 v15, -10, v2
	v_min_u16_sdwa v15, v2, v15 dst_sel:DWORD dst_unused:UNUSED_PAD src0_sel:BYTE_0 src1_sel:BYTE_0
	s_or_b64 exec, exec, s[0:1]
	s_and_saveexec_b64 s[0:1], s[10:11]
	s_cbranch_execz .LBB666_333
.LBB666_1154:
	s_movk_i32 s2, 0xcd
	v_mul_lo_u16_sdwa v2, v3, s2 dst_sel:DWORD dst_unused:UNUSED_PAD src0_sel:BYTE_3 src1_sel:DWORD
	v_lshrrev_b16_e32 v2, 11, v2
	v_mul_lo_u16_e32 v2, 10, v2
	v_sub_u16_sdwa v2, v3, v2 dst_sel:DWORD dst_unused:UNUSED_PAD src0_sel:BYTE_3 src1_sel:DWORD
	v_mul_lo_u16_sdwa v3, v15, s2 dst_sel:DWORD dst_unused:UNUSED_PAD src0_sel:BYTE_0 src1_sel:DWORD
	v_lshrrev_b16_e32 v3, 11, v3
	v_mul_lo_u16_e32 v3, 10, v3
	v_sub_u16_e32 v3, v15, v3
	v_add_u16_e32 v2, v3, v2
	v_add_u16_e32 v3, -10, v2
	v_min_u16_sdwa v15, v2, v3 dst_sel:DWORD dst_unused:UNUSED_PAD src0_sel:BYTE_0 src1_sel:BYTE_0
	s_or_b64 exec, exec, s[0:1]
	s_and_saveexec_b64 s[0:1], s[14:15]
	s_cbranch_execz .LBB666_334
.LBB666_1155:
	s_movk_i32 s2, 0xcd
	v_mul_lo_u16_sdwa v2, v4, s2 dst_sel:DWORD dst_unused:UNUSED_PAD src0_sel:BYTE_0 src1_sel:DWORD
	v_mul_lo_u16_sdwa v3, v15, s2 dst_sel:DWORD dst_unused:UNUSED_PAD src0_sel:BYTE_0 src1_sel:DWORD
	v_lshrrev_b16_e32 v2, 11, v2
	v_lshrrev_b16_e32 v3, 11, v3
	v_mul_lo_u16_e32 v2, 10, v2
	v_mul_lo_u16_e32 v3, 10, v3
	v_sub_u16_e32 v2, v4, v2
	v_sub_u16_e32 v3, v15, v3
	v_add_u16_e32 v2, v3, v2
	v_add_u16_e32 v3, -10, v2
	v_min_u16_sdwa v15, v2, v3 dst_sel:DWORD dst_unused:UNUSED_PAD src0_sel:BYTE_0 src1_sel:BYTE_0
	s_or_b64 exec, exec, s[0:1]
	s_and_saveexec_b64 s[0:1], s[16:17]
	s_cbranch_execz .LBB666_335
.LBB666_1156:
	v_lshrrev_b32_e32 v2, 8, v4
	s_movk_i32 s2, 0xcd
	v_mul_lo_u16_sdwa v3, v2, s2 dst_sel:DWORD dst_unused:UNUSED_PAD src0_sel:BYTE_0 src1_sel:DWORD
	v_lshrrev_b16_e32 v3, 11, v3
	v_mul_lo_u16_e32 v3, 10, v3
	v_sub_u16_e32 v2, v2, v3
	v_mul_lo_u16_sdwa v3, v15, s2 dst_sel:DWORD dst_unused:UNUSED_PAD src0_sel:BYTE_0 src1_sel:DWORD
	v_lshrrev_b16_e32 v3, 11, v3
	v_mul_lo_u16_e32 v3, 10, v3
	v_sub_u16_e32 v3, v15, v3
	v_add_u16_e32 v2, v3, v2
	v_add_u16_e32 v3, -10, v2
	v_min_u16_sdwa v15, v2, v3 dst_sel:DWORD dst_unused:UNUSED_PAD src0_sel:BYTE_0 src1_sel:BYTE_0
	s_or_b64 exec, exec, s[0:1]
	s_and_saveexec_b64 s[0:1], s[18:19]
	s_cbranch_execz .LBB666_336
.LBB666_1157:
	s_movk_i32 s2, 0xff
	v_and_b32_sdwa v2, v4, s2 dst_sel:DWORD dst_unused:UNUSED_PAD src0_sel:WORD_1 src1_sel:DWORD
	s_movk_i32 s2, 0xcd
	v_mul_lo_u16_e32 v2, 0xcd, v2
	v_mul_lo_u16_sdwa v3, v15, s2 dst_sel:DWORD dst_unused:UNUSED_PAD src0_sel:BYTE_0 src1_sel:DWORD
	v_lshrrev_b16_e32 v2, 11, v2
	v_lshrrev_b16_e32 v3, 11, v3
	v_mul_lo_u16_e32 v2, 10, v2
	v_mul_lo_u16_e32 v3, 10, v3
	v_sub_u16_sdwa v2, v4, v2 dst_sel:DWORD dst_unused:UNUSED_PAD src0_sel:WORD_1 src1_sel:DWORD
	v_sub_u16_e32 v3, v15, v3
	v_add_u16_e32 v2, v3, v2
	v_add_u16_e32 v3, -10, v2
	v_min_u16_sdwa v15, v2, v3 dst_sel:DWORD dst_unused:UNUSED_PAD src0_sel:BYTE_0 src1_sel:BYTE_0
	s_or_b64 exec, exec, s[0:1]
	s_and_saveexec_b64 s[0:1], s[20:21]
	s_cbranch_execz .LBB666_337
.LBB666_1158:
	v_lshrrev_b64 v[2:3], 24, v[4:5]
	s_movk_i32 s2, 0xcd
	v_mul_lo_u16_sdwa v3, v2, s2 dst_sel:DWORD dst_unused:UNUSED_PAD src0_sel:BYTE_0 src1_sel:DWORD
	v_lshrrev_b16_e32 v3, 11, v3
	v_mul_lo_u16_e32 v3, 10, v3
	v_sub_u16_e32 v2, v2, v3
	v_mul_lo_u16_sdwa v3, v15, s2 dst_sel:DWORD dst_unused:UNUSED_PAD src0_sel:BYTE_0 src1_sel:DWORD
	v_lshrrev_b16_e32 v3, 11, v3
	v_mul_lo_u16_e32 v3, 10, v3
	v_sub_u16_e32 v3, v15, v3
	v_add_u16_e32 v2, v3, v2
	v_add_u16_e32 v3, -10, v2
	v_min_u16_sdwa v15, v2, v3 dst_sel:DWORD dst_unused:UNUSED_PAD src0_sel:BYTE_0 src1_sel:BYTE_0
	s_or_b64 exec, exec, s[0:1]
	s_and_saveexec_b64 s[0:1], s[22:23]
	s_cbranch_execz .LBB666_338
.LBB666_1159:
	s_movk_i32 s2, 0xcd
	v_mul_lo_u16_sdwa v2, v5, s2 dst_sel:DWORD dst_unused:UNUSED_PAD src0_sel:BYTE_0 src1_sel:DWORD
	v_mul_lo_u16_sdwa v3, v15, s2 dst_sel:DWORD dst_unused:UNUSED_PAD src0_sel:BYTE_0 src1_sel:DWORD
	v_lshrrev_b16_e32 v2, 11, v2
	v_lshrrev_b16_e32 v3, 11, v3
	v_mul_lo_u16_e32 v2, 10, v2
	v_mul_lo_u16_e32 v3, 10, v3
	v_sub_u16_e32 v2, v5, v2
	v_sub_u16_e32 v3, v15, v3
	v_add_u16_e32 v2, v3, v2
	v_add_u16_e32 v3, -10, v2
	v_min_u16_sdwa v15, v2, v3 dst_sel:DWORD dst_unused:UNUSED_PAD src0_sel:BYTE_0 src1_sel:BYTE_0
	s_or_b64 exec, exec, s[0:1]
	s_and_saveexec_b64 s[0:1], s[24:25]
	s_cbranch_execz .LBB666_339
.LBB666_1160:
	v_lshrrev_b32_e32 v2, 8, v5
	s_movk_i32 s2, 0xcd
	v_mul_lo_u16_sdwa v3, v2, s2 dst_sel:DWORD dst_unused:UNUSED_PAD src0_sel:BYTE_0 src1_sel:DWORD
	v_lshrrev_b16_e32 v3, 11, v3
	v_mul_lo_u16_e32 v3, 10, v3
	v_sub_u16_e32 v2, v2, v3
	v_mul_lo_u16_sdwa v3, v15, s2 dst_sel:DWORD dst_unused:UNUSED_PAD src0_sel:BYTE_0 src1_sel:DWORD
	v_lshrrev_b16_e32 v3, 11, v3
	v_mul_lo_u16_e32 v3, 10, v3
	v_sub_u16_e32 v3, v15, v3
	v_add_u16_e32 v2, v3, v2
	v_add_u16_e32 v3, -10, v2
	v_min_u16_sdwa v15, v2, v3 dst_sel:DWORD dst_unused:UNUSED_PAD src0_sel:BYTE_0 src1_sel:BYTE_0
	s_or_b64 exec, exec, s[0:1]
	s_and_saveexec_b64 s[0:1], s[26:27]
	s_cbranch_execz .LBB666_340
.LBB666_1161:
	s_movk_i32 s2, 0xff
	v_and_b32_sdwa v2, v5, s2 dst_sel:DWORD dst_unused:UNUSED_PAD src0_sel:WORD_1 src1_sel:DWORD
	s_movk_i32 s2, 0xcd
	v_mul_lo_u16_e32 v2, 0xcd, v2
	v_mul_lo_u16_sdwa v3, v15, s2 dst_sel:DWORD dst_unused:UNUSED_PAD src0_sel:BYTE_0 src1_sel:DWORD
	v_lshrrev_b16_e32 v2, 11, v2
	v_lshrrev_b16_e32 v3, 11, v3
	v_mul_lo_u16_e32 v2, 10, v2
	v_mul_lo_u16_e32 v3, 10, v3
	v_sub_u16_sdwa v2, v5, v2 dst_sel:DWORD dst_unused:UNUSED_PAD src0_sel:WORD_1 src1_sel:DWORD
	v_sub_u16_e32 v3, v15, v3
	v_add_u16_e32 v2, v3, v2
	v_add_u16_e32 v3, -10, v2
	v_min_u16_sdwa v15, v2, v3 dst_sel:DWORD dst_unused:UNUSED_PAD src0_sel:BYTE_0 src1_sel:BYTE_0
	s_or_b64 exec, exec, s[0:1]
	s_and_saveexec_b64 s[0:1], s[28:29]
	s_cbranch_execz .LBB666_341
.LBB666_1162:
	s_movk_i32 s2, 0xcd
	v_mul_lo_u16_sdwa v2, v5, s2 dst_sel:DWORD dst_unused:UNUSED_PAD src0_sel:BYTE_3 src1_sel:DWORD
	v_mul_lo_u16_sdwa v3, v15, s2 dst_sel:DWORD dst_unused:UNUSED_PAD src0_sel:BYTE_0 src1_sel:DWORD
	v_lshrrev_b16_e32 v2, 11, v2
	v_lshrrev_b16_e32 v3, 11, v3
	v_mul_lo_u16_e32 v2, 10, v2
	v_mul_lo_u16_e32 v3, 10, v3
	v_sub_u16_sdwa v2, v5, v2 dst_sel:DWORD dst_unused:UNUSED_PAD src0_sel:BYTE_3 src1_sel:DWORD
	v_sub_u16_e32 v3, v15, v3
	v_add_u16_e32 v2, v3, v2
	v_add_u16_e32 v3, -10, v2
	v_min_u16_sdwa v15, v2, v3 dst_sel:DWORD dst_unused:UNUSED_PAD src0_sel:BYTE_0 src1_sel:BYTE_0
	s_or_b64 exec, exec, s[0:1]
	s_and_saveexec_b64 s[0:1], s[40:41]
	s_cbranch_execz .LBB666_342
.LBB666_1163:
	s_movk_i32 s2, 0xcd
	v_mul_lo_u16_sdwa v2, v6, s2 dst_sel:DWORD dst_unused:UNUSED_PAD src0_sel:BYTE_0 src1_sel:DWORD
	v_mul_lo_u16_sdwa v3, v15, s2 dst_sel:DWORD dst_unused:UNUSED_PAD src0_sel:BYTE_0 src1_sel:DWORD
	v_lshrrev_b16_e32 v2, 11, v2
	v_lshrrev_b16_e32 v3, 11, v3
	v_mul_lo_u16_e32 v2, 10, v2
	v_mul_lo_u16_e32 v3, 10, v3
	v_sub_u16_e32 v2, v6, v2
	v_sub_u16_e32 v3, v15, v3
	v_add_u16_e32 v2, v3, v2
	v_add_u16_e32 v3, -10, v2
	v_min_u16_sdwa v15, v2, v3 dst_sel:DWORD dst_unused:UNUSED_PAD src0_sel:BYTE_0 src1_sel:BYTE_0
	s_or_b64 exec, exec, s[0:1]
	s_and_saveexec_b64 s[0:1], s[42:43]
	s_cbranch_execz .LBB666_343
.LBB666_1164:
	v_lshrrev_b32_e32 v2, 8, v6
	s_movk_i32 s2, 0xcd
	v_mul_lo_u16_sdwa v3, v2, s2 dst_sel:DWORD dst_unused:UNUSED_PAD src0_sel:BYTE_0 src1_sel:DWORD
	v_lshrrev_b16_e32 v3, 11, v3
	v_mul_lo_u16_e32 v3, 10, v3
	v_sub_u16_e32 v2, v2, v3
	v_mul_lo_u16_sdwa v3, v15, s2 dst_sel:DWORD dst_unused:UNUSED_PAD src0_sel:BYTE_0 src1_sel:DWORD
	v_lshrrev_b16_e32 v3, 11, v3
	v_mul_lo_u16_e32 v3, 10, v3
	v_sub_u16_e32 v3, v15, v3
	v_add_u16_e32 v2, v3, v2
	v_add_u16_e32 v3, -10, v2
	v_min_u16_sdwa v15, v2, v3 dst_sel:DWORD dst_unused:UNUSED_PAD src0_sel:BYTE_0 src1_sel:BYTE_0
	s_or_b64 exec, exec, s[0:1]
	s_and_saveexec_b64 s[0:1], s[44:45]
	s_cbranch_execz .LBB666_344
.LBB666_1165:
	s_movk_i32 s2, 0xff
	v_and_b32_sdwa v2, v6, s2 dst_sel:DWORD dst_unused:UNUSED_PAD src0_sel:WORD_1 src1_sel:DWORD
	s_movk_i32 s2, 0xcd
	v_mul_lo_u16_e32 v2, 0xcd, v2
	v_mul_lo_u16_sdwa v3, v15, s2 dst_sel:DWORD dst_unused:UNUSED_PAD src0_sel:BYTE_0 src1_sel:DWORD
	v_lshrrev_b16_e32 v2, 11, v2
	v_lshrrev_b16_e32 v3, 11, v3
	v_mul_lo_u16_e32 v2, 10, v2
	v_mul_lo_u16_e32 v3, 10, v3
	v_sub_u16_sdwa v2, v6, v2 dst_sel:DWORD dst_unused:UNUSED_PAD src0_sel:WORD_1 src1_sel:DWORD
	v_sub_u16_e32 v3, v15, v3
	v_add_u16_e32 v2, v3, v2
	v_add_u16_e32 v3, -10, v2
	v_min_u16_sdwa v15, v2, v3 dst_sel:DWORD dst_unused:UNUSED_PAD src0_sel:BYTE_0 src1_sel:BYTE_0
	s_or_b64 exec, exec, s[0:1]
	s_and_saveexec_b64 s[0:1], s[46:47]
	s_cbranch_execz .LBB666_345
.LBB666_1166:
	v_lshrrev_b64 v[2:3], 24, v[6:7]
	s_movk_i32 s2, 0xcd
	v_mul_lo_u16_sdwa v3, v2, s2 dst_sel:DWORD dst_unused:UNUSED_PAD src0_sel:BYTE_0 src1_sel:DWORD
	v_lshrrev_b16_e32 v3, 11, v3
	v_mul_lo_u16_e32 v3, 10, v3
	v_sub_u16_e32 v2, v2, v3
	v_mul_lo_u16_sdwa v3, v15, s2 dst_sel:DWORD dst_unused:UNUSED_PAD src0_sel:BYTE_0 src1_sel:DWORD
	v_lshrrev_b16_e32 v3, 11, v3
	v_mul_lo_u16_e32 v3, 10, v3
	v_sub_u16_e32 v3, v15, v3
	v_add_u16_e32 v2, v3, v2
	v_add_u16_e32 v3, -10, v2
	v_min_u16_sdwa v15, v2, v3 dst_sel:DWORD dst_unused:UNUSED_PAD src0_sel:BYTE_0 src1_sel:BYTE_0
	s_or_b64 exec, exec, s[0:1]
	s_and_saveexec_b64 s[0:1], s[56:57]
	s_cbranch_execz .LBB666_346
.LBB666_1167:
	s_movk_i32 s2, 0xcd
	v_mul_lo_u16_sdwa v2, v7, s2 dst_sel:DWORD dst_unused:UNUSED_PAD src0_sel:BYTE_0 src1_sel:DWORD
	v_mul_lo_u16_sdwa v3, v15, s2 dst_sel:DWORD dst_unused:UNUSED_PAD src0_sel:BYTE_0 src1_sel:DWORD
	v_lshrrev_b16_e32 v2, 11, v2
	v_lshrrev_b16_e32 v3, 11, v3
	v_mul_lo_u16_e32 v2, 10, v2
	v_mul_lo_u16_e32 v3, 10, v3
	v_sub_u16_e32 v2, v7, v2
	v_sub_u16_e32 v3, v15, v3
	v_add_u16_e32 v2, v3, v2
	v_add_u16_e32 v3, -10, v2
	v_min_u16_sdwa v15, v2, v3 dst_sel:DWORD dst_unused:UNUSED_PAD src0_sel:BYTE_0 src1_sel:BYTE_0
	s_or_b64 exec, exec, s[0:1]
	s_and_saveexec_b64 s[0:1], s[58:59]
	s_cbranch_execz .LBB666_347
.LBB666_1168:
	v_lshrrev_b32_e32 v2, 8, v7
	s_movk_i32 s2, 0xcd
	v_mul_lo_u16_sdwa v3, v2, s2 dst_sel:DWORD dst_unused:UNUSED_PAD src0_sel:BYTE_0 src1_sel:DWORD
	v_lshrrev_b16_e32 v3, 11, v3
	v_mul_lo_u16_e32 v3, 10, v3
	v_sub_u16_e32 v2, v2, v3
	v_mul_lo_u16_sdwa v3, v15, s2 dst_sel:DWORD dst_unused:UNUSED_PAD src0_sel:BYTE_0 src1_sel:DWORD
	v_lshrrev_b16_e32 v3, 11, v3
	v_mul_lo_u16_e32 v3, 10, v3
	v_sub_u16_e32 v3, v15, v3
	v_add_u16_e32 v2, v3, v2
	v_add_u16_e32 v3, -10, v2
	v_min_u16_sdwa v15, v2, v3 dst_sel:DWORD dst_unused:UNUSED_PAD src0_sel:BYTE_0 src1_sel:BYTE_0
	s_or_b64 exec, exec, s[0:1]
	s_and_saveexec_b64 s[0:1], s[60:61]
	s_cbranch_execz .LBB666_348
.LBB666_1169:
	s_movk_i32 s2, 0xff
	v_and_b32_sdwa v2, v7, s2 dst_sel:DWORD dst_unused:UNUSED_PAD src0_sel:WORD_1 src1_sel:DWORD
	s_movk_i32 s2, 0xcd
	v_mul_lo_u16_e32 v2, 0xcd, v2
	v_mul_lo_u16_sdwa v3, v15, s2 dst_sel:DWORD dst_unused:UNUSED_PAD src0_sel:BYTE_0 src1_sel:DWORD
	v_lshrrev_b16_e32 v2, 11, v2
	v_lshrrev_b16_e32 v3, 11, v3
	v_mul_lo_u16_e32 v2, 10, v2
	v_mul_lo_u16_e32 v3, 10, v3
	v_sub_u16_sdwa v2, v7, v2 dst_sel:DWORD dst_unused:UNUSED_PAD src0_sel:WORD_1 src1_sel:DWORD
	v_sub_u16_e32 v3, v15, v3
	v_add_u16_e32 v2, v3, v2
	v_add_u16_e32 v3, -10, v2
	v_min_u16_sdwa v15, v2, v3 dst_sel:DWORD dst_unused:UNUSED_PAD src0_sel:BYTE_0 src1_sel:BYTE_0
	s_or_b64 exec, exec, s[0:1]
	s_and_saveexec_b64 s[0:1], s[62:63]
	s_cbranch_execz .LBB666_349
.LBB666_1170:
	s_movk_i32 s2, 0xcd
	v_mul_lo_u16_sdwa v2, v7, s2 dst_sel:DWORD dst_unused:UNUSED_PAD src0_sel:BYTE_3 src1_sel:DWORD
	v_mul_lo_u16_sdwa v3, v15, s2 dst_sel:DWORD dst_unused:UNUSED_PAD src0_sel:BYTE_0 src1_sel:DWORD
	v_lshrrev_b16_e32 v2, 11, v2
	v_lshrrev_b16_e32 v3, 11, v3
	v_mul_lo_u16_e32 v2, 10, v2
	v_mul_lo_u16_e32 v3, 10, v3
	v_sub_u16_sdwa v2, v7, v2 dst_sel:DWORD dst_unused:UNUSED_PAD src0_sel:BYTE_3 src1_sel:DWORD
	v_sub_u16_e32 v3, v15, v3
	v_add_u16_e32 v2, v3, v2
	v_add_u16_e32 v3, -10, v2
	v_min_u16_sdwa v15, v2, v3 dst_sel:DWORD dst_unused:UNUSED_PAD src0_sel:BYTE_0 src1_sel:BYTE_0
	s_or_b64 exec, exec, s[0:1]
	s_and_saveexec_b64 s[0:1], s[72:73]
	s_cbranch_execz .LBB666_350
.LBB666_1171:
	s_movk_i32 s2, 0xcd
	v_mul_lo_u16_sdwa v2, v8, s2 dst_sel:DWORD dst_unused:UNUSED_PAD src0_sel:BYTE_0 src1_sel:DWORD
	v_mul_lo_u16_sdwa v3, v15, s2 dst_sel:DWORD dst_unused:UNUSED_PAD src0_sel:BYTE_0 src1_sel:DWORD
	v_lshrrev_b16_e32 v2, 11, v2
	v_lshrrev_b16_e32 v3, 11, v3
	v_mul_lo_u16_e32 v2, 10, v2
	v_mul_lo_u16_e32 v3, 10, v3
	v_sub_u16_e32 v2, v8, v2
	v_sub_u16_e32 v3, v15, v3
	v_add_u16_e32 v2, v3, v2
	v_add_u16_e32 v3, -10, v2
	v_min_u16_sdwa v15, v2, v3 dst_sel:DWORD dst_unused:UNUSED_PAD src0_sel:BYTE_0 src1_sel:BYTE_0
	s_or_b64 exec, exec, s[0:1]
	s_and_saveexec_b64 s[0:1], s[74:75]
	s_cbranch_execz .LBB666_351
.LBB666_1172:
	v_lshrrev_b32_e32 v2, 8, v8
	s_movk_i32 s2, 0xcd
	v_mul_lo_u16_sdwa v3, v2, s2 dst_sel:DWORD dst_unused:UNUSED_PAD src0_sel:BYTE_0 src1_sel:DWORD
	v_lshrrev_b16_e32 v3, 11, v3
	v_mul_lo_u16_e32 v3, 10, v3
	v_sub_u16_e32 v2, v2, v3
	v_mul_lo_u16_sdwa v3, v15, s2 dst_sel:DWORD dst_unused:UNUSED_PAD src0_sel:BYTE_0 src1_sel:DWORD
	v_lshrrev_b16_e32 v3, 11, v3
	v_mul_lo_u16_e32 v3, 10, v3
	v_sub_u16_e32 v3, v15, v3
	v_add_u16_e32 v2, v3, v2
	v_add_u16_e32 v3, -10, v2
	v_min_u16_sdwa v15, v2, v3 dst_sel:DWORD dst_unused:UNUSED_PAD src0_sel:BYTE_0 src1_sel:BYTE_0
	s_or_b64 exec, exec, s[0:1]
	s_and_saveexec_b64 s[0:1], s[76:77]
	s_cbranch_execz .LBB666_352
.LBB666_1173:
	s_movk_i32 s2, 0xff
	v_and_b32_sdwa v2, v8, s2 dst_sel:DWORD dst_unused:UNUSED_PAD src0_sel:WORD_1 src1_sel:DWORD
	s_movk_i32 s2, 0xcd
	v_mul_lo_u16_e32 v2, 0xcd, v2
	v_mul_lo_u16_sdwa v3, v15, s2 dst_sel:DWORD dst_unused:UNUSED_PAD src0_sel:BYTE_0 src1_sel:DWORD
	v_lshrrev_b16_e32 v2, 11, v2
	v_lshrrev_b16_e32 v3, 11, v3
	v_mul_lo_u16_e32 v2, 10, v2
	v_mul_lo_u16_e32 v3, 10, v3
	v_sub_u16_sdwa v2, v8, v2 dst_sel:DWORD dst_unused:UNUSED_PAD src0_sel:WORD_1 src1_sel:DWORD
	v_sub_u16_e32 v3, v15, v3
	v_add_u16_e32 v2, v3, v2
	v_add_u16_e32 v3, -10, v2
	v_min_u16_sdwa v15, v2, v3 dst_sel:DWORD dst_unused:UNUSED_PAD src0_sel:BYTE_0 src1_sel:BYTE_0
	s_or_b64 exec, exec, s[0:1]
	s_and_saveexec_b64 s[0:1], s[78:79]
	s_cbranch_execz .LBB666_353
.LBB666_1174:
	v_lshrrev_b64 v[2:3], 24, v[8:9]
	s_movk_i32 s2, 0xcd
	v_mul_lo_u16_sdwa v3, v2, s2 dst_sel:DWORD dst_unused:UNUSED_PAD src0_sel:BYTE_0 src1_sel:DWORD
	v_lshrrev_b16_e32 v3, 11, v3
	v_mul_lo_u16_e32 v3, 10, v3
	v_sub_u16_e32 v2, v2, v3
	v_mul_lo_u16_sdwa v3, v15, s2 dst_sel:DWORD dst_unused:UNUSED_PAD src0_sel:BYTE_0 src1_sel:DWORD
	v_lshrrev_b16_e32 v3, 11, v3
	v_mul_lo_u16_e32 v3, 10, v3
	v_sub_u16_e32 v3, v15, v3
	v_add_u16_e32 v2, v3, v2
	v_add_u16_e32 v3, -10, v2
	v_min_u16_sdwa v15, v2, v3 dst_sel:DWORD dst_unused:UNUSED_PAD src0_sel:BYTE_0 src1_sel:BYTE_0
	s_or_b64 exec, exec, s[0:1]
	s_and_saveexec_b64 s[0:1], s[88:89]
	s_cbranch_execz .LBB666_354
.LBB666_1175:
	s_movk_i32 s2, 0xcd
	v_mul_lo_u16_sdwa v2, v9, s2 dst_sel:DWORD dst_unused:UNUSED_PAD src0_sel:BYTE_0 src1_sel:DWORD
	v_mul_lo_u16_sdwa v3, v15, s2 dst_sel:DWORD dst_unused:UNUSED_PAD src0_sel:BYTE_0 src1_sel:DWORD
	v_lshrrev_b16_e32 v2, 11, v2
	v_lshrrev_b16_e32 v3, 11, v3
	v_mul_lo_u16_e32 v2, 10, v2
	v_mul_lo_u16_e32 v3, 10, v3
	v_sub_u16_e32 v2, v9, v2
	v_sub_u16_e32 v3, v15, v3
	v_add_u16_e32 v2, v3, v2
	v_add_u16_e32 v3, -10, v2
	v_min_u16_sdwa v15, v2, v3 dst_sel:DWORD dst_unused:UNUSED_PAD src0_sel:BYTE_0 src1_sel:BYTE_0
	s_or_b64 exec, exec, s[0:1]
	s_and_saveexec_b64 s[0:1], s[90:91]
	s_cbranch_execz .LBB666_355
.LBB666_1176:
	v_lshrrev_b32_e32 v2, 8, v9
	s_movk_i32 s2, 0xcd
	v_mul_lo_u16_sdwa v3, v2, s2 dst_sel:DWORD dst_unused:UNUSED_PAD src0_sel:BYTE_0 src1_sel:DWORD
	v_lshrrev_b16_e32 v3, 11, v3
	v_mul_lo_u16_e32 v3, 10, v3
	v_sub_u16_e32 v2, v2, v3
	v_mul_lo_u16_sdwa v3, v15, s2 dst_sel:DWORD dst_unused:UNUSED_PAD src0_sel:BYTE_0 src1_sel:DWORD
	v_lshrrev_b16_e32 v3, 11, v3
	v_mul_lo_u16_e32 v3, 10, v3
	v_sub_u16_e32 v3, v15, v3
	v_add_u16_e32 v2, v3, v2
	v_add_u16_e32 v3, -10, v2
	v_min_u16_sdwa v15, v2, v3 dst_sel:DWORD dst_unused:UNUSED_PAD src0_sel:BYTE_0 src1_sel:BYTE_0
	s_or_b64 exec, exec, s[0:1]
	s_and_saveexec_b64 s[0:1], s[92:93]
	s_cbranch_execz .LBB666_356
.LBB666_1177:
	s_movk_i32 s2, 0xff
	v_and_b32_sdwa v2, v9, s2 dst_sel:DWORD dst_unused:UNUSED_PAD src0_sel:WORD_1 src1_sel:DWORD
	s_movk_i32 s2, 0xcd
	v_mul_lo_u16_e32 v2, 0xcd, v2
	v_mul_lo_u16_sdwa v3, v15, s2 dst_sel:DWORD dst_unused:UNUSED_PAD src0_sel:BYTE_0 src1_sel:DWORD
	v_lshrrev_b16_e32 v2, 11, v2
	v_lshrrev_b16_e32 v3, 11, v3
	v_mul_lo_u16_e32 v2, 10, v2
	v_mul_lo_u16_e32 v3, 10, v3
	v_sub_u16_sdwa v2, v9, v2 dst_sel:DWORD dst_unused:UNUSED_PAD src0_sel:WORD_1 src1_sel:DWORD
	v_sub_u16_e32 v3, v15, v3
	v_add_u16_e32 v2, v3, v2
	v_add_u16_e32 v3, -10, v2
	v_min_u16_sdwa v15, v2, v3 dst_sel:DWORD dst_unused:UNUSED_PAD src0_sel:BYTE_0 src1_sel:BYTE_0
	s_or_b64 exec, exec, s[0:1]
	s_and_saveexec_b64 s[0:1], s[94:95]
	s_cbranch_execnz .LBB666_357
	s_branch .LBB666_358
.LBB666_1178:
	s_movk_i32 s44, 0xff
	v_and_b32_sdwa v2, v6, s44 dst_sel:DWORD dst_unused:UNUSED_PAD src0_sel:WORD_1 src1_sel:DWORD
	s_movk_i32 s44, 0xcd
	v_mul_lo_u16_e32 v2, 0xcd, v2
	v_mul_lo_u16_sdwa v3, v23, s44 dst_sel:DWORD dst_unused:UNUSED_PAD src0_sel:BYTE_0 src1_sel:DWORD
	v_lshrrev_b16_e32 v2, 11, v2
	v_lshrrev_b16_e32 v3, 11, v3
	v_mul_lo_u16_e32 v2, 10, v2
	v_mul_lo_u16_e32 v3, 10, v3
	v_sub_u16_sdwa v2, v6, v2 dst_sel:DWORD dst_unused:UNUSED_PAD src0_sel:WORD_1 src1_sel:DWORD
	v_sub_u16_e32 v3, v23, v3
	v_add_u16_e32 v2, v3, v2
	v_add_u16_e32 v3, -10, v2
	v_min_u16_sdwa v23, v2, v3 dst_sel:DWORD dst_unused:UNUSED_PAD src0_sel:BYTE_0 src1_sel:BYTE_0
	s_or_b64 exec, exec, s[42:43]
	s_and_saveexec_b64 s[42:43], s[46:47]
	s_cbranch_execz .LBB666_555
.LBB666_1179:
	v_lshrrev_b64 v[2:3], 24, v[6:7]
	s_movk_i32 s44, 0xcd
	v_mul_lo_u16_sdwa v3, v2, s44 dst_sel:DWORD dst_unused:UNUSED_PAD src0_sel:BYTE_0 src1_sel:DWORD
	v_lshrrev_b16_e32 v3, 11, v3
	v_mul_lo_u16_e32 v3, 10, v3
	v_sub_u16_e32 v2, v2, v3
	v_mul_lo_u16_sdwa v3, v23, s44 dst_sel:DWORD dst_unused:UNUSED_PAD src0_sel:BYTE_0 src1_sel:DWORD
	v_lshrrev_b16_e32 v3, 11, v3
	v_mul_lo_u16_e32 v3, 10, v3
	v_sub_u16_e32 v3, v23, v3
	v_add_u16_e32 v2, v3, v2
	v_add_u16_e32 v3, -10, v2
	v_min_u16_sdwa v23, v2, v3 dst_sel:DWORD dst_unused:UNUSED_PAD src0_sel:BYTE_0 src1_sel:BYTE_0
	s_or_b64 exec, exec, s[42:43]
	s_and_saveexec_b64 s[42:43], s[56:57]
	s_cbranch_execz .LBB666_556
.LBB666_1180:
	s_movk_i32 s44, 0xcd
	v_mul_lo_u16_sdwa v2, v7, s44 dst_sel:DWORD dst_unused:UNUSED_PAD src0_sel:BYTE_0 src1_sel:DWORD
	v_mul_lo_u16_sdwa v3, v23, s44 dst_sel:DWORD dst_unused:UNUSED_PAD src0_sel:BYTE_0 src1_sel:DWORD
	v_lshrrev_b16_e32 v2, 11, v2
	v_lshrrev_b16_e32 v3, 11, v3
	v_mul_lo_u16_e32 v2, 10, v2
	v_mul_lo_u16_e32 v3, 10, v3
	v_sub_u16_e32 v2, v7, v2
	v_sub_u16_e32 v3, v23, v3
	v_add_u16_e32 v2, v3, v2
	v_add_u16_e32 v3, -10, v2
	v_min_u16_sdwa v23, v2, v3 dst_sel:DWORD dst_unused:UNUSED_PAD src0_sel:BYTE_0 src1_sel:BYTE_0
	s_or_b64 exec, exec, s[42:43]
	s_and_saveexec_b64 s[42:43], s[58:59]
	s_cbranch_execz .LBB666_557
.LBB666_1181:
	v_lshrrev_b32_e32 v2, 8, v7
	s_movk_i32 s44, 0xcd
	v_mul_lo_u16_sdwa v3, v2, s44 dst_sel:DWORD dst_unused:UNUSED_PAD src0_sel:BYTE_0 src1_sel:DWORD
	v_lshrrev_b16_e32 v3, 11, v3
	v_mul_lo_u16_e32 v3, 10, v3
	v_sub_u16_e32 v2, v2, v3
	v_mul_lo_u16_sdwa v3, v23, s44 dst_sel:DWORD dst_unused:UNUSED_PAD src0_sel:BYTE_0 src1_sel:DWORD
	v_lshrrev_b16_e32 v3, 11, v3
	v_mul_lo_u16_e32 v3, 10, v3
	v_sub_u16_e32 v3, v23, v3
	v_add_u16_e32 v2, v3, v2
	v_add_u16_e32 v3, -10, v2
	v_min_u16_sdwa v23, v2, v3 dst_sel:DWORD dst_unused:UNUSED_PAD src0_sel:BYTE_0 src1_sel:BYTE_0
	s_or_b64 exec, exec, s[42:43]
	s_and_saveexec_b64 s[42:43], s[60:61]
	s_cbranch_execz .LBB666_558
.LBB666_1182:
	s_movk_i32 s44, 0xff
	v_and_b32_sdwa v2, v7, s44 dst_sel:DWORD dst_unused:UNUSED_PAD src0_sel:WORD_1 src1_sel:DWORD
	s_movk_i32 s44, 0xcd
	v_mul_lo_u16_e32 v2, 0xcd, v2
	v_mul_lo_u16_sdwa v3, v23, s44 dst_sel:DWORD dst_unused:UNUSED_PAD src0_sel:BYTE_0 src1_sel:DWORD
	v_lshrrev_b16_e32 v2, 11, v2
	v_lshrrev_b16_e32 v3, 11, v3
	v_mul_lo_u16_e32 v2, 10, v2
	v_mul_lo_u16_e32 v3, 10, v3
	v_sub_u16_sdwa v2, v7, v2 dst_sel:DWORD dst_unused:UNUSED_PAD src0_sel:WORD_1 src1_sel:DWORD
	v_sub_u16_e32 v3, v23, v3
	v_add_u16_e32 v2, v3, v2
	v_add_u16_e32 v3, -10, v2
	v_min_u16_sdwa v23, v2, v3 dst_sel:DWORD dst_unused:UNUSED_PAD src0_sel:BYTE_0 src1_sel:BYTE_0
	s_or_b64 exec, exec, s[42:43]
	s_and_saveexec_b64 s[42:43], s[62:63]
	s_cbranch_execz .LBB666_559
.LBB666_1183:
	s_movk_i32 s44, 0xcd
	v_mul_lo_u16_sdwa v2, v7, s44 dst_sel:DWORD dst_unused:UNUSED_PAD src0_sel:BYTE_3 src1_sel:DWORD
	v_mul_lo_u16_sdwa v3, v23, s44 dst_sel:DWORD dst_unused:UNUSED_PAD src0_sel:BYTE_0 src1_sel:DWORD
	v_lshrrev_b16_e32 v2, 11, v2
	v_lshrrev_b16_e32 v3, 11, v3
	v_mul_lo_u16_e32 v2, 10, v2
	v_mul_lo_u16_e32 v3, 10, v3
	v_sub_u16_sdwa v2, v7, v2 dst_sel:DWORD dst_unused:UNUSED_PAD src0_sel:BYTE_3 src1_sel:DWORD
	v_sub_u16_e32 v3, v23, v3
	v_add_u16_e32 v2, v3, v2
	v_add_u16_e32 v3, -10, v2
	v_min_u16_sdwa v23, v2, v3 dst_sel:DWORD dst_unused:UNUSED_PAD src0_sel:BYTE_0 src1_sel:BYTE_0
	s_or_b64 exec, exec, s[42:43]
	s_and_saveexec_b64 s[42:43], s[72:73]
	s_cbranch_execz .LBB666_560
.LBB666_1184:
	s_movk_i32 s44, 0xcd
	v_mul_lo_u16_sdwa v2, v8, s44 dst_sel:DWORD dst_unused:UNUSED_PAD src0_sel:BYTE_0 src1_sel:DWORD
	v_mul_lo_u16_sdwa v3, v23, s44 dst_sel:DWORD dst_unused:UNUSED_PAD src0_sel:BYTE_0 src1_sel:DWORD
	v_lshrrev_b16_e32 v2, 11, v2
	v_lshrrev_b16_e32 v3, 11, v3
	v_mul_lo_u16_e32 v2, 10, v2
	v_mul_lo_u16_e32 v3, 10, v3
	v_sub_u16_e32 v2, v8, v2
	v_sub_u16_e32 v3, v23, v3
	v_add_u16_e32 v2, v3, v2
	v_add_u16_e32 v3, -10, v2
	v_min_u16_sdwa v23, v2, v3 dst_sel:DWORD dst_unused:UNUSED_PAD src0_sel:BYTE_0 src1_sel:BYTE_0
	s_or_b64 exec, exec, s[42:43]
	s_and_saveexec_b64 s[42:43], s[74:75]
	s_cbranch_execz .LBB666_561
.LBB666_1185:
	v_lshrrev_b32_e32 v2, 8, v8
	s_movk_i32 s44, 0xcd
	v_mul_lo_u16_sdwa v3, v2, s44 dst_sel:DWORD dst_unused:UNUSED_PAD src0_sel:BYTE_0 src1_sel:DWORD
	v_lshrrev_b16_e32 v3, 11, v3
	v_mul_lo_u16_e32 v3, 10, v3
	v_sub_u16_e32 v2, v2, v3
	v_mul_lo_u16_sdwa v3, v23, s44 dst_sel:DWORD dst_unused:UNUSED_PAD src0_sel:BYTE_0 src1_sel:DWORD
	v_lshrrev_b16_e32 v3, 11, v3
	v_mul_lo_u16_e32 v3, 10, v3
	v_sub_u16_e32 v3, v23, v3
	v_add_u16_e32 v2, v3, v2
	v_add_u16_e32 v3, -10, v2
	v_min_u16_sdwa v23, v2, v3 dst_sel:DWORD dst_unused:UNUSED_PAD src0_sel:BYTE_0 src1_sel:BYTE_0
	s_or_b64 exec, exec, s[42:43]
	s_and_saveexec_b64 s[42:43], s[76:77]
	s_cbranch_execz .LBB666_562
.LBB666_1186:
	s_movk_i32 s44, 0xff
	v_and_b32_sdwa v2, v8, s44 dst_sel:DWORD dst_unused:UNUSED_PAD src0_sel:WORD_1 src1_sel:DWORD
	s_movk_i32 s44, 0xcd
	v_mul_lo_u16_e32 v2, 0xcd, v2
	v_mul_lo_u16_sdwa v3, v23, s44 dst_sel:DWORD dst_unused:UNUSED_PAD src0_sel:BYTE_0 src1_sel:DWORD
	v_lshrrev_b16_e32 v2, 11, v2
	v_lshrrev_b16_e32 v3, 11, v3
	v_mul_lo_u16_e32 v2, 10, v2
	v_mul_lo_u16_e32 v3, 10, v3
	v_sub_u16_sdwa v2, v8, v2 dst_sel:DWORD dst_unused:UNUSED_PAD src0_sel:WORD_1 src1_sel:DWORD
	v_sub_u16_e32 v3, v23, v3
	v_add_u16_e32 v2, v3, v2
	v_add_u16_e32 v3, -10, v2
	v_min_u16_sdwa v23, v2, v3 dst_sel:DWORD dst_unused:UNUSED_PAD src0_sel:BYTE_0 src1_sel:BYTE_0
	s_or_b64 exec, exec, s[42:43]
	s_and_saveexec_b64 s[42:43], s[78:79]
	s_cbranch_execz .LBB666_563
.LBB666_1187:
	v_lshrrev_b64 v[2:3], 24, v[8:9]
	s_movk_i32 s44, 0xcd
	v_mul_lo_u16_sdwa v3, v2, s44 dst_sel:DWORD dst_unused:UNUSED_PAD src0_sel:BYTE_0 src1_sel:DWORD
	v_lshrrev_b16_e32 v3, 11, v3
	v_mul_lo_u16_e32 v3, 10, v3
	v_sub_u16_e32 v2, v2, v3
	v_mul_lo_u16_sdwa v3, v23, s44 dst_sel:DWORD dst_unused:UNUSED_PAD src0_sel:BYTE_0 src1_sel:DWORD
	v_lshrrev_b16_e32 v3, 11, v3
	v_mul_lo_u16_e32 v3, 10, v3
	v_sub_u16_e32 v3, v23, v3
	v_add_u16_e32 v2, v3, v2
	v_add_u16_e32 v3, -10, v2
	v_min_u16_sdwa v23, v2, v3 dst_sel:DWORD dst_unused:UNUSED_PAD src0_sel:BYTE_0 src1_sel:BYTE_0
	s_or_b64 exec, exec, s[42:43]
	s_and_saveexec_b64 s[42:43], s[88:89]
	s_cbranch_execz .LBB666_564
.LBB666_1188:
	s_movk_i32 s44, 0xcd
	v_mul_lo_u16_sdwa v2, v9, s44 dst_sel:DWORD dst_unused:UNUSED_PAD src0_sel:BYTE_0 src1_sel:DWORD
	v_mul_lo_u16_sdwa v3, v23, s44 dst_sel:DWORD dst_unused:UNUSED_PAD src0_sel:BYTE_0 src1_sel:DWORD
	v_lshrrev_b16_e32 v2, 11, v2
	v_lshrrev_b16_e32 v3, 11, v3
	v_mul_lo_u16_e32 v2, 10, v2
	v_mul_lo_u16_e32 v3, 10, v3
	v_sub_u16_e32 v2, v9, v2
	v_sub_u16_e32 v3, v23, v3
	v_add_u16_e32 v2, v3, v2
	v_add_u16_e32 v3, -10, v2
	v_min_u16_sdwa v23, v2, v3 dst_sel:DWORD dst_unused:UNUSED_PAD src0_sel:BYTE_0 src1_sel:BYTE_0
	s_or_b64 exec, exec, s[42:43]
	s_and_saveexec_b64 s[42:43], s[90:91]
	s_cbranch_execz .LBB666_565
.LBB666_1189:
	v_lshrrev_b32_e32 v2, 8, v9
	s_movk_i32 s44, 0xcd
	v_mul_lo_u16_sdwa v3, v2, s44 dst_sel:DWORD dst_unused:UNUSED_PAD src0_sel:BYTE_0 src1_sel:DWORD
	v_lshrrev_b16_e32 v3, 11, v3
	v_mul_lo_u16_e32 v3, 10, v3
	v_sub_u16_e32 v2, v2, v3
	v_mul_lo_u16_sdwa v3, v23, s44 dst_sel:DWORD dst_unused:UNUSED_PAD src0_sel:BYTE_0 src1_sel:DWORD
	v_lshrrev_b16_e32 v3, 11, v3
	v_mul_lo_u16_e32 v3, 10, v3
	v_sub_u16_e32 v3, v23, v3
	v_add_u16_e32 v2, v3, v2
	v_add_u16_e32 v3, -10, v2
	v_min_u16_sdwa v23, v2, v3 dst_sel:DWORD dst_unused:UNUSED_PAD src0_sel:BYTE_0 src1_sel:BYTE_0
	s_or_b64 exec, exec, s[42:43]
	s_and_saveexec_b64 s[42:43], s[92:93]
	s_cbranch_execz .LBB666_566
.LBB666_1190:
	s_movk_i32 s44, 0xff
	v_and_b32_sdwa v2, v9, s44 dst_sel:DWORD dst_unused:UNUSED_PAD src0_sel:WORD_1 src1_sel:DWORD
	s_movk_i32 s44, 0xcd
	v_mul_lo_u16_e32 v2, 0xcd, v2
	v_mul_lo_u16_sdwa v3, v23, s44 dst_sel:DWORD dst_unused:UNUSED_PAD src0_sel:BYTE_0 src1_sel:DWORD
	v_lshrrev_b16_e32 v2, 11, v2
	v_lshrrev_b16_e32 v3, 11, v3
	v_mul_lo_u16_e32 v2, 10, v2
	v_mul_lo_u16_e32 v3, 10, v3
	v_sub_u16_sdwa v2, v9, v2 dst_sel:DWORD dst_unused:UNUSED_PAD src0_sel:WORD_1 src1_sel:DWORD
	v_sub_u16_e32 v3, v23, v3
	v_add_u16_e32 v2, v3, v2
	v_add_u16_e32 v3, -10, v2
	v_min_u16_sdwa v23, v2, v3 dst_sel:DWORD dst_unused:UNUSED_PAD src0_sel:BYTE_0 src1_sel:BYTE_0
	s_or_b64 exec, exec, s[42:43]
	s_and_saveexec_b64 s[42:43], s[94:95]
	s_cbranch_execz .LBB666_567
.LBB666_1191:
	s_movk_i32 s44, 0xcd
	v_mul_lo_u16_sdwa v2, v9, s44 dst_sel:DWORD dst_unused:UNUSED_PAD src0_sel:BYTE_3 src1_sel:DWORD
	v_mul_lo_u16_sdwa v3, v23, s44 dst_sel:DWORD dst_unused:UNUSED_PAD src0_sel:BYTE_0 src1_sel:DWORD
	v_lshrrev_b16_e32 v2, 11, v2
	v_lshrrev_b16_e32 v3, 11, v3
	v_mul_lo_u16_e32 v2, 10, v2
	v_mul_lo_u16_e32 v3, 10, v3
	v_sub_u16_sdwa v2, v9, v2 dst_sel:DWORD dst_unused:UNUSED_PAD src0_sel:BYTE_3 src1_sel:DWORD
	v_sub_u16_e32 v3, v23, v3
	v_add_u16_e32 v2, v3, v2
	v_add_u16_e32 v3, -10, v2
	v_min_u16_sdwa v23, v2, v3 dst_sel:DWORD dst_unused:UNUSED_PAD src0_sel:BYTE_0 src1_sel:BYTE_0
	s_or_b64 exec, exec, s[42:43]
	s_and_saveexec_b64 s[42:43], s[30:31]
	s_cbranch_execz .LBB666_568
.LBB666_1192:
	s_movk_i32 s44, 0xcd
	v_mul_lo_u16_sdwa v2, v10, s44 dst_sel:DWORD dst_unused:UNUSED_PAD src0_sel:BYTE_0 src1_sel:DWORD
	v_mul_lo_u16_sdwa v3, v23, s44 dst_sel:DWORD dst_unused:UNUSED_PAD src0_sel:BYTE_0 src1_sel:DWORD
	v_lshrrev_b16_e32 v2, 11, v2
	v_lshrrev_b16_e32 v3, 11, v3
	v_mul_lo_u16_e32 v2, 10, v2
	v_mul_lo_u16_e32 v3, 10, v3
	v_sub_u16_e32 v2, v10, v2
	v_sub_u16_e32 v3, v23, v3
	v_add_u16_e32 v2, v3, v2
	v_add_u16_e32 v3, -10, v2
	v_min_u16_sdwa v23, v2, v3 dst_sel:DWORD dst_unused:UNUSED_PAD src0_sel:BYTE_0 src1_sel:BYTE_0
	s_or_b64 exec, exec, s[42:43]
	s_and_saveexec_b64 s[42:43], s[34:35]
	s_cbranch_execz .LBB666_569
.LBB666_1193:
	v_lshrrev_b32_e32 v2, 8, v10
	s_movk_i32 s44, 0xcd
	v_mul_lo_u16_sdwa v3, v2, s44 dst_sel:DWORD dst_unused:UNUSED_PAD src0_sel:BYTE_0 src1_sel:DWORD
	v_lshrrev_b16_e32 v3, 11, v3
	v_mul_lo_u16_e32 v3, 10, v3
	v_sub_u16_e32 v2, v2, v3
	v_mul_lo_u16_sdwa v3, v23, s44 dst_sel:DWORD dst_unused:UNUSED_PAD src0_sel:BYTE_0 src1_sel:DWORD
	v_lshrrev_b16_e32 v3, 11, v3
	v_mul_lo_u16_e32 v3, 10, v3
	v_sub_u16_e32 v3, v23, v3
	v_add_u16_e32 v2, v3, v2
	v_add_u16_e32 v3, -10, v2
	v_min_u16_sdwa v23, v2, v3 dst_sel:DWORD dst_unused:UNUSED_PAD src0_sel:BYTE_0 src1_sel:BYTE_0
	s_or_b64 exec, exec, s[42:43]
	s_and_saveexec_b64 s[42:43], s[36:37]
	s_cbranch_execz .LBB666_570
.LBB666_1194:
	s_movk_i32 s44, 0xff
	v_and_b32_sdwa v2, v10, s44 dst_sel:DWORD dst_unused:UNUSED_PAD src0_sel:WORD_1 src1_sel:DWORD
	s_movk_i32 s44, 0xcd
	v_mul_lo_u16_e32 v2, 0xcd, v2
	v_mul_lo_u16_sdwa v3, v23, s44 dst_sel:DWORD dst_unused:UNUSED_PAD src0_sel:BYTE_0 src1_sel:DWORD
	v_lshrrev_b16_e32 v2, 11, v2
	v_lshrrev_b16_e32 v3, 11, v3
	v_mul_lo_u16_e32 v2, 10, v2
	v_mul_lo_u16_e32 v3, 10, v3
	v_sub_u16_sdwa v2, v10, v2 dst_sel:DWORD dst_unused:UNUSED_PAD src0_sel:WORD_1 src1_sel:DWORD
	v_sub_u16_e32 v3, v23, v3
	v_add_u16_e32 v2, v3, v2
	v_add_u16_e32 v3, -10, v2
	v_min_u16_sdwa v23, v2, v3 dst_sel:DWORD dst_unused:UNUSED_PAD src0_sel:BYTE_0 src1_sel:BYTE_0
	s_or_b64 exec, exec, s[42:43]
	s_and_saveexec_b64 s[42:43], s[38:39]
	s_cbranch_execz .LBB666_571
.LBB666_1195:
	v_lshrrev_b64 v[2:3], 24, v[10:11]
	s_movk_i32 s44, 0xcd
	v_mul_lo_u16_sdwa v3, v2, s44 dst_sel:DWORD dst_unused:UNUSED_PAD src0_sel:BYTE_0 src1_sel:DWORD
	v_lshrrev_b16_e32 v3, 11, v3
	v_mul_lo_u16_e32 v3, 10, v3
	v_sub_u16_e32 v2, v2, v3
	v_mul_lo_u16_sdwa v3, v23, s44 dst_sel:DWORD dst_unused:UNUSED_PAD src0_sel:BYTE_0 src1_sel:DWORD
	v_lshrrev_b16_e32 v3, 11, v3
	v_mul_lo_u16_e32 v3, 10, v3
	v_sub_u16_e32 v3, v23, v3
	v_add_u16_e32 v2, v3, v2
	v_add_u16_e32 v3, -10, v2
	v_min_u16_sdwa v23, v2, v3 dst_sel:DWORD dst_unused:UNUSED_PAD src0_sel:BYTE_0 src1_sel:BYTE_0
	s_or_b64 exec, exec, s[42:43]
	s_and_saveexec_b64 s[42:43], s[48:49]
	s_cbranch_execz .LBB666_572
.LBB666_1196:
	s_movk_i32 s44, 0xcd
	v_mul_lo_u16_sdwa v2, v11, s44 dst_sel:DWORD dst_unused:UNUSED_PAD src0_sel:BYTE_0 src1_sel:DWORD
	v_mul_lo_u16_sdwa v3, v23, s44 dst_sel:DWORD dst_unused:UNUSED_PAD src0_sel:BYTE_0 src1_sel:DWORD
	v_lshrrev_b16_e32 v2, 11, v2
	v_lshrrev_b16_e32 v3, 11, v3
	v_mul_lo_u16_e32 v2, 10, v2
	v_mul_lo_u16_e32 v3, 10, v3
	v_sub_u16_e32 v2, v11, v2
	v_sub_u16_e32 v3, v23, v3
	v_add_u16_e32 v2, v3, v2
	v_add_u16_e32 v3, -10, v2
	v_min_u16_sdwa v23, v2, v3 dst_sel:DWORD dst_unused:UNUSED_PAD src0_sel:BYTE_0 src1_sel:BYTE_0
	s_or_b64 exec, exec, s[42:43]
	s_and_saveexec_b64 s[42:43], s[50:51]
	s_cbranch_execz .LBB666_573
.LBB666_1197:
	v_lshrrev_b32_e32 v2, 8, v11
	s_movk_i32 s44, 0xcd
	v_mul_lo_u16_sdwa v3, v2, s44 dst_sel:DWORD dst_unused:UNUSED_PAD src0_sel:BYTE_0 src1_sel:DWORD
	v_lshrrev_b16_e32 v3, 11, v3
	v_mul_lo_u16_e32 v3, 10, v3
	v_sub_u16_e32 v2, v2, v3
	v_mul_lo_u16_sdwa v3, v23, s44 dst_sel:DWORD dst_unused:UNUSED_PAD src0_sel:BYTE_0 src1_sel:DWORD
	v_lshrrev_b16_e32 v3, 11, v3
	v_mul_lo_u16_e32 v3, 10, v3
	v_sub_u16_e32 v3, v23, v3
	v_add_u16_e32 v2, v3, v2
	v_add_u16_e32 v3, -10, v2
	v_min_u16_sdwa v23, v2, v3 dst_sel:DWORD dst_unused:UNUSED_PAD src0_sel:BYTE_0 src1_sel:BYTE_0
	s_or_b64 exec, exec, s[42:43]
	s_and_saveexec_b64 s[42:43], s[52:53]
	s_cbranch_execz .LBB666_574
.LBB666_1198:
	s_movk_i32 s44, 0xff
	v_and_b32_sdwa v2, v11, s44 dst_sel:DWORD dst_unused:UNUSED_PAD src0_sel:WORD_1 src1_sel:DWORD
	s_movk_i32 s44, 0xcd
	v_mul_lo_u16_e32 v2, 0xcd, v2
	v_mul_lo_u16_sdwa v3, v23, s44 dst_sel:DWORD dst_unused:UNUSED_PAD src0_sel:BYTE_0 src1_sel:DWORD
	v_lshrrev_b16_e32 v2, 11, v2
	v_lshrrev_b16_e32 v3, 11, v3
	v_mul_lo_u16_e32 v2, 10, v2
	v_mul_lo_u16_e32 v3, 10, v3
	v_sub_u16_sdwa v2, v11, v2 dst_sel:DWORD dst_unused:UNUSED_PAD src0_sel:WORD_1 src1_sel:DWORD
	v_sub_u16_e32 v3, v23, v3
	v_add_u16_e32 v2, v3, v2
	v_add_u16_e32 v3, -10, v2
	v_min_u16_sdwa v23, v2, v3 dst_sel:DWORD dst_unused:UNUSED_PAD src0_sel:BYTE_0 src1_sel:BYTE_0
	s_or_b64 exec, exec, s[42:43]
	s_and_saveexec_b64 s[42:43], s[54:55]
	s_cbranch_execz .LBB666_575
.LBB666_1199:
	s_movk_i32 s44, 0xcd
	v_mul_lo_u16_sdwa v2, v11, s44 dst_sel:DWORD dst_unused:UNUSED_PAD src0_sel:BYTE_3 src1_sel:DWORD
	v_mul_lo_u16_sdwa v3, v23, s44 dst_sel:DWORD dst_unused:UNUSED_PAD src0_sel:BYTE_0 src1_sel:DWORD
	v_lshrrev_b16_e32 v2, 11, v2
	v_lshrrev_b16_e32 v3, 11, v3
	v_mul_lo_u16_e32 v2, 10, v2
	v_mul_lo_u16_e32 v3, 10, v3
	v_sub_u16_sdwa v2, v11, v2 dst_sel:DWORD dst_unused:UNUSED_PAD src0_sel:BYTE_3 src1_sel:DWORD
	v_sub_u16_e32 v3, v23, v3
	v_add_u16_e32 v2, v3, v2
	v_add_u16_e32 v3, -10, v2
	v_min_u16_sdwa v23, v2, v3 dst_sel:DWORD dst_unused:UNUSED_PAD src0_sel:BYTE_0 src1_sel:BYTE_0
	s_or_b64 exec, exec, s[42:43]
	s_and_saveexec_b64 s[42:43], s[64:65]
	s_cbranch_execz .LBB666_576
.LBB666_1200:
	s_movk_i32 s44, 0xcd
	v_mul_lo_u16_sdwa v2, v12, s44 dst_sel:DWORD dst_unused:UNUSED_PAD src0_sel:BYTE_0 src1_sel:DWORD
	v_mul_lo_u16_sdwa v3, v23, s44 dst_sel:DWORD dst_unused:UNUSED_PAD src0_sel:BYTE_0 src1_sel:DWORD
	v_lshrrev_b16_e32 v2, 11, v2
	v_lshrrev_b16_e32 v3, 11, v3
	v_mul_lo_u16_e32 v2, 10, v2
	v_mul_lo_u16_e32 v3, 10, v3
	v_sub_u16_e32 v2, v12, v2
	v_sub_u16_e32 v3, v23, v3
	v_add_u16_e32 v2, v3, v2
	v_add_u16_e32 v3, -10, v2
	v_min_u16_sdwa v23, v2, v3 dst_sel:DWORD dst_unused:UNUSED_PAD src0_sel:BYTE_0 src1_sel:BYTE_0
	s_or_b64 exec, exec, s[42:43]
	s_and_saveexec_b64 s[42:43], s[66:67]
	s_cbranch_execz .LBB666_577
.LBB666_1201:
	v_lshrrev_b32_e32 v2, 8, v12
	s_movk_i32 s44, 0xcd
	v_mul_lo_u16_sdwa v3, v2, s44 dst_sel:DWORD dst_unused:UNUSED_PAD src0_sel:BYTE_0 src1_sel:DWORD
	v_lshrrev_b16_e32 v3, 11, v3
	v_mul_lo_u16_e32 v3, 10, v3
	v_sub_u16_e32 v2, v2, v3
	v_mul_lo_u16_sdwa v3, v23, s44 dst_sel:DWORD dst_unused:UNUSED_PAD src0_sel:BYTE_0 src1_sel:DWORD
	v_lshrrev_b16_e32 v3, 11, v3
	v_mul_lo_u16_e32 v3, 10, v3
	v_sub_u16_e32 v3, v23, v3
	v_add_u16_e32 v2, v3, v2
	v_add_u16_e32 v3, -10, v2
	v_min_u16_sdwa v23, v2, v3 dst_sel:DWORD dst_unused:UNUSED_PAD src0_sel:BYTE_0 src1_sel:BYTE_0
	s_or_b64 exec, exec, s[42:43]
	s_and_saveexec_b64 s[42:43], s[68:69]
	s_cbranch_execz .LBB666_578
.LBB666_1202:
	s_movk_i32 s44, 0xff
	v_and_b32_sdwa v2, v12, s44 dst_sel:DWORD dst_unused:UNUSED_PAD src0_sel:WORD_1 src1_sel:DWORD
	s_movk_i32 s44, 0xcd
	v_mul_lo_u16_e32 v2, 0xcd, v2
	v_mul_lo_u16_sdwa v3, v23, s44 dst_sel:DWORD dst_unused:UNUSED_PAD src0_sel:BYTE_0 src1_sel:DWORD
	v_lshrrev_b16_e32 v2, 11, v2
	v_lshrrev_b16_e32 v3, 11, v3
	v_mul_lo_u16_e32 v2, 10, v2
	v_mul_lo_u16_e32 v3, 10, v3
	v_sub_u16_sdwa v2, v12, v2 dst_sel:DWORD dst_unused:UNUSED_PAD src0_sel:WORD_1 src1_sel:DWORD
	v_sub_u16_e32 v3, v23, v3
	v_add_u16_e32 v2, v3, v2
	v_add_u16_e32 v3, -10, v2
	v_min_u16_sdwa v23, v2, v3 dst_sel:DWORD dst_unused:UNUSED_PAD src0_sel:BYTE_0 src1_sel:BYTE_0
	s_or_b64 exec, exec, s[42:43]
	s_and_saveexec_b64 s[42:43], s[70:71]
	s_cbranch_execz .LBB666_579
.LBB666_1203:
	v_lshrrev_b64 v[2:3], 24, v[12:13]
	s_movk_i32 s44, 0xcd
	v_mul_lo_u16_sdwa v3, v2, s44 dst_sel:DWORD dst_unused:UNUSED_PAD src0_sel:BYTE_0 src1_sel:DWORD
	v_lshrrev_b16_e32 v3, 11, v3
	v_mul_lo_u16_e32 v3, 10, v3
	v_sub_u16_e32 v2, v2, v3
	v_mul_lo_u16_sdwa v3, v23, s44 dst_sel:DWORD dst_unused:UNUSED_PAD src0_sel:BYTE_0 src1_sel:DWORD
	v_lshrrev_b16_e32 v3, 11, v3
	v_mul_lo_u16_e32 v3, 10, v3
	v_sub_u16_e32 v3, v23, v3
	v_add_u16_e32 v2, v3, v2
	v_add_u16_e32 v3, -10, v2
	v_min_u16_sdwa v23, v2, v3 dst_sel:DWORD dst_unused:UNUSED_PAD src0_sel:BYTE_0 src1_sel:BYTE_0
	s_or_b64 exec, exec, s[42:43]
	s_and_saveexec_b64 s[42:43], s[80:81]
	s_cbranch_execz .LBB666_580
.LBB666_1204:
	s_movk_i32 s44, 0xcd
	v_mul_lo_u16_sdwa v2, v13, s44 dst_sel:DWORD dst_unused:UNUSED_PAD src0_sel:BYTE_0 src1_sel:DWORD
	v_mul_lo_u16_sdwa v3, v23, s44 dst_sel:DWORD dst_unused:UNUSED_PAD src0_sel:BYTE_0 src1_sel:DWORD
	v_lshrrev_b16_e32 v2, 11, v2
	v_lshrrev_b16_e32 v3, 11, v3
	v_mul_lo_u16_e32 v2, 10, v2
	v_mul_lo_u16_e32 v3, 10, v3
	v_sub_u16_e32 v2, v13, v2
	v_sub_u16_e32 v3, v23, v3
	v_add_u16_e32 v2, v3, v2
	v_add_u16_e32 v3, -10, v2
	v_min_u16_sdwa v23, v2, v3 dst_sel:DWORD dst_unused:UNUSED_PAD src0_sel:BYTE_0 src1_sel:BYTE_0
	s_or_b64 exec, exec, s[42:43]
	s_and_saveexec_b64 s[42:43], s[82:83]
	s_cbranch_execz .LBB666_581
.LBB666_1205:
	v_lshrrev_b32_e32 v2, 8, v13
	s_movk_i32 s44, 0xcd
	v_mul_lo_u16_sdwa v3, v2, s44 dst_sel:DWORD dst_unused:UNUSED_PAD src0_sel:BYTE_0 src1_sel:DWORD
	v_lshrrev_b16_e32 v3, 11, v3
	v_mul_lo_u16_e32 v3, 10, v3
	v_sub_u16_e32 v2, v2, v3
	v_mul_lo_u16_sdwa v3, v23, s44 dst_sel:DWORD dst_unused:UNUSED_PAD src0_sel:BYTE_0 src1_sel:DWORD
	v_lshrrev_b16_e32 v3, 11, v3
	v_mul_lo_u16_e32 v3, 10, v3
	v_sub_u16_e32 v3, v23, v3
	v_add_u16_e32 v2, v3, v2
	v_add_u16_e32 v3, -10, v2
	v_min_u16_sdwa v23, v2, v3 dst_sel:DWORD dst_unused:UNUSED_PAD src0_sel:BYTE_0 src1_sel:BYTE_0
	s_or_b64 exec, exec, s[42:43]
	s_and_saveexec_b64 s[42:43], s[84:85]
	s_cbranch_execz .LBB666_582
.LBB666_1206:
	s_movk_i32 s44, 0xff
	v_and_b32_sdwa v2, v13, s44 dst_sel:DWORD dst_unused:UNUSED_PAD src0_sel:WORD_1 src1_sel:DWORD
	s_movk_i32 s44, 0xcd
	v_mul_lo_u16_e32 v2, 0xcd, v2
	v_mul_lo_u16_sdwa v3, v23, s44 dst_sel:DWORD dst_unused:UNUSED_PAD src0_sel:BYTE_0 src1_sel:DWORD
	v_lshrrev_b16_e32 v2, 11, v2
	v_lshrrev_b16_e32 v3, 11, v3
	v_mul_lo_u16_e32 v2, 10, v2
	v_mul_lo_u16_e32 v3, 10, v3
	v_sub_u16_sdwa v2, v13, v2 dst_sel:DWORD dst_unused:UNUSED_PAD src0_sel:WORD_1 src1_sel:DWORD
	v_sub_u16_e32 v3, v23, v3
	v_add_u16_e32 v2, v3, v2
	v_add_u16_e32 v3, -10, v2
	v_min_u16_sdwa v23, v2, v3 dst_sel:DWORD dst_unused:UNUSED_PAD src0_sel:BYTE_0 src1_sel:BYTE_0
	s_or_b64 exec, exec, s[42:43]
	s_and_saveexec_b64 s[42:43], s[86:87]
	s_cbranch_execz .LBB666_583
.LBB666_1207:
	s_movk_i32 s44, 0xcd
	v_mul_lo_u16_sdwa v2, v13, s44 dst_sel:DWORD dst_unused:UNUSED_PAD src0_sel:BYTE_3 src1_sel:DWORD
	v_mul_lo_u16_sdwa v3, v23, s44 dst_sel:DWORD dst_unused:UNUSED_PAD src0_sel:BYTE_0 src1_sel:DWORD
	v_lshrrev_b16_e32 v2, 11, v2
	v_lshrrev_b16_e32 v3, 11, v3
	v_mul_lo_u16_e32 v2, 10, v2
	v_mul_lo_u16_e32 v3, 10, v3
	v_sub_u16_sdwa v2, v13, v2 dst_sel:DWORD dst_unused:UNUSED_PAD src0_sel:BYTE_3 src1_sel:DWORD
	v_sub_u16_e32 v3, v23, v3
	v_add_u16_e32 v2, v3, v2
	v_add_u16_e32 v3, -10, v2
	v_min_u16_sdwa v23, v2, v3 dst_sel:DWORD dst_unused:UNUSED_PAD src0_sel:BYTE_0 src1_sel:BYTE_0
	s_or_b64 exec, exec, s[42:43]
	s_and_saveexec_b64 s[42:43], s[96:97]
	s_cbranch_execz .LBB666_584
.LBB666_1208:
	s_movk_i32 s44, 0xcd
	v_mul_lo_u16_sdwa v2, v14, s44 dst_sel:DWORD dst_unused:UNUSED_PAD src0_sel:BYTE_0 src1_sel:DWORD
	v_mul_lo_u16_sdwa v3, v23, s44 dst_sel:DWORD dst_unused:UNUSED_PAD src0_sel:BYTE_0 src1_sel:DWORD
	v_lshrrev_b16_e32 v2, 11, v2
	v_lshrrev_b16_e32 v3, 11, v3
	v_mul_lo_u16_e32 v2, 10, v2
	v_mul_lo_u16_e32 v3, 10, v3
	v_sub_u16_e32 v2, v14, v2
	v_sub_u16_e32 v3, v23, v3
	v_add_u16_e32 v2, v3, v2
	v_add_u16_e32 v3, -10, v2
	v_min_u16_sdwa v23, v2, v3 dst_sel:DWORD dst_unused:UNUSED_PAD src0_sel:BYTE_0 src1_sel:BYTE_0
	s_or_b64 exec, exec, s[42:43]
	s_and_saveexec_b64 s[42:43], s[98:99]
	s_cbranch_execz .LBB666_585
.LBB666_1209:
	v_lshrrev_b32_e32 v2, 8, v14
	s_movk_i32 s44, 0xcd
	v_mul_lo_u16_sdwa v3, v2, s44 dst_sel:DWORD dst_unused:UNUSED_PAD src0_sel:BYTE_0 src1_sel:DWORD
	v_lshrrev_b16_e32 v3, 11, v3
	v_mul_lo_u16_e32 v3, 10, v3
	v_sub_u16_e32 v2, v2, v3
	v_mul_lo_u16_sdwa v3, v23, s44 dst_sel:DWORD dst_unused:UNUSED_PAD src0_sel:BYTE_0 src1_sel:DWORD
	v_lshrrev_b16_e32 v3, 11, v3
	v_mul_lo_u16_e32 v3, 10, v3
	v_sub_u16_e32 v3, v23, v3
	v_add_u16_e32 v2, v3, v2
	v_add_u16_e32 v3, -10, v2
	v_min_u16_sdwa v23, v2, v3 dst_sel:DWORD dst_unused:UNUSED_PAD src0_sel:BYTE_0 src1_sel:BYTE_0
	s_or_b64 exec, exec, s[42:43]
	s_and_saveexec_b64 s[42:43], s[0:1]
	s_cbranch_execz .LBB666_586
.LBB666_1210:
	s_movk_i32 s0, 0xff
	v_and_b32_sdwa v2, v14, s0 dst_sel:DWORD dst_unused:UNUSED_PAD src0_sel:WORD_1 src1_sel:DWORD
	s_movk_i32 s0, 0xcd
	v_mul_lo_u16_e32 v2, 0xcd, v2
	v_mul_lo_u16_sdwa v3, v23, s0 dst_sel:DWORD dst_unused:UNUSED_PAD src0_sel:BYTE_0 src1_sel:DWORD
	v_lshrrev_b16_e32 v2, 11, v2
	v_lshrrev_b16_e32 v3, 11, v3
	v_mul_lo_u16_e32 v2, 10, v2
	v_mul_lo_u16_e32 v3, 10, v3
	v_sub_u16_sdwa v2, v14, v2 dst_sel:DWORD dst_unused:UNUSED_PAD src0_sel:WORD_1 src1_sel:DWORD
	v_sub_u16_e32 v3, v23, v3
	v_add_u16_e32 v2, v3, v2
	v_add_u16_e32 v3, -10, v2
	v_min_u16_sdwa v23, v2, v3 dst_sel:DWORD dst_unused:UNUSED_PAD src0_sel:BYTE_0 src1_sel:BYTE_0
	s_or_b64 exec, exec, s[42:43]
	s_and_saveexec_b64 s[0:1], s[2:3]
	s_cbranch_execz .LBB666_587
.LBB666_1211:
	v_lshrrev_b64 v[2:3], 24, v[14:15]
	s_movk_i32 s2, 0xcd
	v_mul_lo_u16_sdwa v3, v2, s2 dst_sel:DWORD dst_unused:UNUSED_PAD src0_sel:BYTE_0 src1_sel:DWORD
	v_lshrrev_b16_e32 v3, 11, v3
	v_mul_lo_u16_e32 v3, 10, v3
	v_sub_u16_e32 v2, v2, v3
	v_mul_lo_u16_sdwa v3, v23, s2 dst_sel:DWORD dst_unused:UNUSED_PAD src0_sel:BYTE_0 src1_sel:DWORD
	v_lshrrev_b16_e32 v3, 11, v3
	v_mul_lo_u16_e32 v3, 10, v3
	v_sub_u16_e32 v3, v23, v3
	v_add_u16_e32 v2, v3, v2
	v_add_u16_e32 v3, -10, v2
	v_min_u16_sdwa v23, v2, v3 dst_sel:DWORD dst_unused:UNUSED_PAD src0_sel:BYTE_0 src1_sel:BYTE_0
	s_or_b64 exec, exec, s[0:1]
	s_and_saveexec_b64 s[0:1], s[4:5]
	s_cbranch_execz .LBB666_588
.LBB666_1212:
	s_movk_i32 s2, 0xcd
	v_mul_lo_u16_sdwa v2, v15, s2 dst_sel:DWORD dst_unused:UNUSED_PAD src0_sel:BYTE_0 src1_sel:DWORD
	v_mul_lo_u16_sdwa v3, v23, s2 dst_sel:DWORD dst_unused:UNUSED_PAD src0_sel:BYTE_0 src1_sel:DWORD
	v_lshrrev_b16_e32 v2, 11, v2
	v_lshrrev_b16_e32 v3, 11, v3
	v_mul_lo_u16_e32 v2, 10, v2
	v_mul_lo_u16_e32 v3, 10, v3
	v_sub_u16_e32 v2, v15, v2
	v_sub_u16_e32 v3, v23, v3
	v_add_u16_e32 v2, v3, v2
	v_add_u16_e32 v3, -10, v2
	v_min_u16_sdwa v23, v2, v3 dst_sel:DWORD dst_unused:UNUSED_PAD src0_sel:BYTE_0 src1_sel:BYTE_0
	s_or_b64 exec, exec, s[0:1]
	s_and_saveexec_b64 s[0:1], s[6:7]
	s_cbranch_execz .LBB666_589
.LBB666_1213:
	v_lshrrev_b32_e32 v2, 8, v15
	s_movk_i32 s2, 0xcd
	v_mul_lo_u16_sdwa v3, v2, s2 dst_sel:DWORD dst_unused:UNUSED_PAD src0_sel:BYTE_0 src1_sel:DWORD
	v_lshrrev_b16_e32 v3, 11, v3
	v_mul_lo_u16_e32 v3, 10, v3
	v_sub_u16_e32 v2, v2, v3
	v_mul_lo_u16_sdwa v3, v23, s2 dst_sel:DWORD dst_unused:UNUSED_PAD src0_sel:BYTE_0 src1_sel:DWORD
	v_lshrrev_b16_e32 v3, 11, v3
	v_mul_lo_u16_e32 v3, 10, v3
	v_sub_u16_e32 v3, v23, v3
	v_add_u16_e32 v2, v3, v2
	v_add_u16_e32 v3, -10, v2
	v_min_u16_sdwa v23, v2, v3 dst_sel:DWORD dst_unused:UNUSED_PAD src0_sel:BYTE_0 src1_sel:BYTE_0
	s_or_b64 exec, exec, s[0:1]
	s_and_saveexec_b64 s[0:1], s[8:9]
	s_cbranch_execz .LBB666_590
.LBB666_1214:
	s_movk_i32 s2, 0xff
	v_and_b32_sdwa v2, v15, s2 dst_sel:DWORD dst_unused:UNUSED_PAD src0_sel:WORD_1 src1_sel:DWORD
	s_movk_i32 s2, 0xcd
	v_mul_lo_u16_e32 v2, 0xcd, v2
	v_mul_lo_u16_sdwa v3, v23, s2 dst_sel:DWORD dst_unused:UNUSED_PAD src0_sel:BYTE_0 src1_sel:DWORD
	v_lshrrev_b16_e32 v2, 11, v2
	v_lshrrev_b16_e32 v3, 11, v3
	v_mul_lo_u16_e32 v2, 10, v2
	v_mul_lo_u16_e32 v3, 10, v3
	v_sub_u16_sdwa v2, v15, v2 dst_sel:DWORD dst_unused:UNUSED_PAD src0_sel:WORD_1 src1_sel:DWORD
	v_sub_u16_e32 v3, v23, v3
	v_add_u16_e32 v2, v3, v2
	v_add_u16_e32 v3, -10, v2
	v_min_u16_sdwa v23, v2, v3 dst_sel:DWORD dst_unused:UNUSED_PAD src0_sel:BYTE_0 src1_sel:BYTE_0
	s_or_b64 exec, exec, s[0:1]
	s_and_saveexec_b64 s[0:1], s[10:11]
	s_cbranch_execz .LBB666_591
.LBB666_1215:
	s_movk_i32 s2, 0xcd
	v_mul_lo_u16_sdwa v2, v15, s2 dst_sel:DWORD dst_unused:UNUSED_PAD src0_sel:BYTE_3 src1_sel:DWORD
	v_mul_lo_u16_sdwa v3, v23, s2 dst_sel:DWORD dst_unused:UNUSED_PAD src0_sel:BYTE_0 src1_sel:DWORD
	v_lshrrev_b16_e32 v2, 11, v2
	v_lshrrev_b16_e32 v3, 11, v3
	v_mul_lo_u16_e32 v2, 10, v2
	v_mul_lo_u16_e32 v3, 10, v3
	v_sub_u16_sdwa v2, v15, v2 dst_sel:DWORD dst_unused:UNUSED_PAD src0_sel:BYTE_3 src1_sel:DWORD
	v_sub_u16_e32 v3, v23, v3
	v_add_u16_e32 v2, v3, v2
	v_add_u16_e32 v3, -10, v2
	v_min_u16_sdwa v23, v2, v3 dst_sel:DWORD dst_unused:UNUSED_PAD src0_sel:BYTE_0 src1_sel:BYTE_0
	s_or_b64 exec, exec, s[0:1]
	s_and_saveexec_b64 s[0:1], s[14:15]
	s_cbranch_execz .LBB666_592
.LBB666_1216:
	s_movk_i32 s2, 0xcd
	v_mul_lo_u16_sdwa v2, v16, s2 dst_sel:DWORD dst_unused:UNUSED_PAD src0_sel:BYTE_0 src1_sel:DWORD
	v_mul_lo_u16_sdwa v3, v23, s2 dst_sel:DWORD dst_unused:UNUSED_PAD src0_sel:BYTE_0 src1_sel:DWORD
	v_lshrrev_b16_e32 v2, 11, v2
	v_lshrrev_b16_e32 v3, 11, v3
	v_mul_lo_u16_e32 v2, 10, v2
	v_mul_lo_u16_e32 v3, 10, v3
	v_sub_u16_e32 v2, v16, v2
	v_sub_u16_e32 v3, v23, v3
	v_add_u16_e32 v2, v3, v2
	v_add_u16_e32 v3, -10, v2
	v_min_u16_sdwa v23, v2, v3 dst_sel:DWORD dst_unused:UNUSED_PAD src0_sel:BYTE_0 src1_sel:BYTE_0
	s_or_b64 exec, exec, s[0:1]
	s_and_saveexec_b64 s[0:1], s[16:17]
	s_cbranch_execz .LBB666_593
.LBB666_1217:
	v_lshrrev_b32_e32 v2, 8, v16
	s_movk_i32 s2, 0xcd
	v_mul_lo_u16_sdwa v3, v2, s2 dst_sel:DWORD dst_unused:UNUSED_PAD src0_sel:BYTE_0 src1_sel:DWORD
	v_lshrrev_b16_e32 v3, 11, v3
	v_mul_lo_u16_e32 v3, 10, v3
	v_sub_u16_e32 v2, v2, v3
	v_mul_lo_u16_sdwa v3, v23, s2 dst_sel:DWORD dst_unused:UNUSED_PAD src0_sel:BYTE_0 src1_sel:DWORD
	v_lshrrev_b16_e32 v3, 11, v3
	v_mul_lo_u16_e32 v3, 10, v3
	v_sub_u16_e32 v3, v23, v3
	v_add_u16_e32 v2, v3, v2
	v_add_u16_e32 v3, -10, v2
	v_min_u16_sdwa v23, v2, v3 dst_sel:DWORD dst_unused:UNUSED_PAD src0_sel:BYTE_0 src1_sel:BYTE_0
	s_or_b64 exec, exec, s[0:1]
	s_and_saveexec_b64 s[0:1], s[18:19]
	s_cbranch_execz .LBB666_594
.LBB666_1218:
	s_movk_i32 s2, 0xff
	v_and_b32_sdwa v2, v16, s2 dst_sel:DWORD dst_unused:UNUSED_PAD src0_sel:WORD_1 src1_sel:DWORD
	s_movk_i32 s2, 0xcd
	v_mul_lo_u16_e32 v2, 0xcd, v2
	v_mul_lo_u16_sdwa v3, v23, s2 dst_sel:DWORD dst_unused:UNUSED_PAD src0_sel:BYTE_0 src1_sel:DWORD
	v_lshrrev_b16_e32 v2, 11, v2
	v_lshrrev_b16_e32 v3, 11, v3
	v_mul_lo_u16_e32 v2, 10, v2
	v_mul_lo_u16_e32 v3, 10, v3
	v_sub_u16_sdwa v2, v16, v2 dst_sel:DWORD dst_unused:UNUSED_PAD src0_sel:WORD_1 src1_sel:DWORD
	v_sub_u16_e32 v3, v23, v3
	v_add_u16_e32 v2, v3, v2
	v_add_u16_e32 v3, -10, v2
	v_min_u16_sdwa v23, v2, v3 dst_sel:DWORD dst_unused:UNUSED_PAD src0_sel:BYTE_0 src1_sel:BYTE_0
	s_or_b64 exec, exec, s[0:1]
	s_and_saveexec_b64 s[0:1], s[20:21]
	s_cbranch_execz .LBB666_595
.LBB666_1219:
	v_lshrrev_b64 v[2:3], 24, v[16:17]
	s_movk_i32 s2, 0xcd
	v_mul_lo_u16_sdwa v3, v2, s2 dst_sel:DWORD dst_unused:UNUSED_PAD src0_sel:BYTE_0 src1_sel:DWORD
	v_lshrrev_b16_e32 v3, 11, v3
	v_mul_lo_u16_e32 v3, 10, v3
	v_sub_u16_e32 v2, v2, v3
	v_mul_lo_u16_sdwa v3, v23, s2 dst_sel:DWORD dst_unused:UNUSED_PAD src0_sel:BYTE_0 src1_sel:DWORD
	v_lshrrev_b16_e32 v3, 11, v3
	v_mul_lo_u16_e32 v3, 10, v3
	v_sub_u16_e32 v3, v23, v3
	v_add_u16_e32 v2, v3, v2
	v_add_u16_e32 v3, -10, v2
	v_min_u16_sdwa v23, v2, v3 dst_sel:DWORD dst_unused:UNUSED_PAD src0_sel:BYTE_0 src1_sel:BYTE_0
	s_or_b64 exec, exec, s[0:1]
	s_and_saveexec_b64 s[0:1], s[22:23]
	s_cbranch_execz .LBB666_596
.LBB666_1220:
	s_movk_i32 s2, 0xcd
	v_mul_lo_u16_sdwa v2, v17, s2 dst_sel:DWORD dst_unused:UNUSED_PAD src0_sel:BYTE_0 src1_sel:DWORD
	v_mul_lo_u16_sdwa v3, v23, s2 dst_sel:DWORD dst_unused:UNUSED_PAD src0_sel:BYTE_0 src1_sel:DWORD
	v_lshrrev_b16_e32 v2, 11, v2
	v_lshrrev_b16_e32 v3, 11, v3
	v_mul_lo_u16_e32 v2, 10, v2
	v_mul_lo_u16_e32 v3, 10, v3
	v_sub_u16_e32 v2, v17, v2
	v_sub_u16_e32 v3, v23, v3
	v_add_u16_e32 v2, v3, v2
	v_add_u16_e32 v3, -10, v2
	v_min_u16_sdwa v23, v2, v3 dst_sel:DWORD dst_unused:UNUSED_PAD src0_sel:BYTE_0 src1_sel:BYTE_0
	s_or_b64 exec, exec, s[0:1]
	s_and_saveexec_b64 s[0:1], s[24:25]
	s_cbranch_execz .LBB666_597
.LBB666_1221:
	v_lshrrev_b32_e32 v2, 8, v17
	s_movk_i32 s2, 0xcd
	v_mul_lo_u16_sdwa v3, v2, s2 dst_sel:DWORD dst_unused:UNUSED_PAD src0_sel:BYTE_0 src1_sel:DWORD
	v_lshrrev_b16_e32 v3, 11, v3
	v_mul_lo_u16_e32 v3, 10, v3
	v_sub_u16_e32 v2, v2, v3
	v_mul_lo_u16_sdwa v3, v23, s2 dst_sel:DWORD dst_unused:UNUSED_PAD src0_sel:BYTE_0 src1_sel:DWORD
	v_lshrrev_b16_e32 v3, 11, v3
	v_mul_lo_u16_e32 v3, 10, v3
	v_sub_u16_e32 v3, v23, v3
	v_add_u16_e32 v2, v3, v2
	v_add_u16_e32 v3, -10, v2
	v_min_u16_sdwa v23, v2, v3 dst_sel:DWORD dst_unused:UNUSED_PAD src0_sel:BYTE_0 src1_sel:BYTE_0
	s_or_b64 exec, exec, s[0:1]
	s_and_saveexec_b64 s[0:1], s[26:27]
	s_cbranch_execz .LBB666_598
.LBB666_1222:
	s_movk_i32 s2, 0xff
	v_and_b32_sdwa v2, v17, s2 dst_sel:DWORD dst_unused:UNUSED_PAD src0_sel:WORD_1 src1_sel:DWORD
	s_movk_i32 s2, 0xcd
	v_mul_lo_u16_e32 v2, 0xcd, v2
	v_mul_lo_u16_sdwa v3, v23, s2 dst_sel:DWORD dst_unused:UNUSED_PAD src0_sel:BYTE_0 src1_sel:DWORD
	v_lshrrev_b16_e32 v2, 11, v2
	v_lshrrev_b16_e32 v3, 11, v3
	v_mul_lo_u16_e32 v2, 10, v2
	v_mul_lo_u16_e32 v3, 10, v3
	v_sub_u16_sdwa v2, v17, v2 dst_sel:DWORD dst_unused:UNUSED_PAD src0_sel:WORD_1 src1_sel:DWORD
	v_sub_u16_e32 v3, v23, v3
	v_add_u16_e32 v2, v3, v2
	v_add_u16_e32 v3, -10, v2
	v_min_u16_sdwa v23, v2, v3 dst_sel:DWORD dst_unused:UNUSED_PAD src0_sel:BYTE_0 src1_sel:BYTE_0
	s_or_b64 exec, exec, s[0:1]
	s_and_saveexec_b64 s[0:1], vcc
	s_cbranch_execnz .LBB666_599
	s_branch .LBB666_600
.LBB666_1223:
	v_lshrrev_b32_e32 v0, 8, v20
	s_movk_i32 s34, 0xcd
	v_mul_lo_u16_sdwa v1, v0, s34 dst_sel:DWORD dst_unused:UNUSED_PAD src0_sel:BYTE_0 src1_sel:DWORD
	v_lshrrev_b16_e32 v1, 11, v1
	v_mul_lo_u16_e32 v1, 10, v1
	v_sub_u16_e32 v0, v0, v1
	v_mul_lo_u16_sdwa v1, v37, s34 dst_sel:DWORD dst_unused:UNUSED_PAD src0_sel:BYTE_0 src1_sel:DWORD
	v_lshrrev_b16_e32 v1, 11, v1
	v_mul_lo_u16_e32 v1, 10, v1
	v_sub_u16_e32 v1, v37, v1
	v_add_u16_e32 v0, v1, v0
	v_add_u16_e32 v1, -10, v0
	v_min_u16_sdwa v37, v0, v1 dst_sel:DWORD dst_unused:UNUSED_PAD src0_sel:BYTE_0 src1_sel:BYTE_0
	s_or_b64 exec, exec, s[30:31]
	s_and_saveexec_b64 s[30:31], s[36:37]
	s_cbranch_execz .LBB666_1050
.LBB666_1224:
	s_movk_i32 s34, 0xff
	v_and_b32_sdwa v0, v20, s34 dst_sel:DWORD dst_unused:UNUSED_PAD src0_sel:WORD_1 src1_sel:DWORD
	s_movk_i32 s34, 0xcd
	v_mul_lo_u16_e32 v0, 0xcd, v0
	v_mul_lo_u16_sdwa v1, v37, s34 dst_sel:DWORD dst_unused:UNUSED_PAD src0_sel:BYTE_0 src1_sel:DWORD
	v_lshrrev_b16_e32 v0, 11, v0
	v_lshrrev_b16_e32 v1, 11, v1
	v_mul_lo_u16_e32 v0, 10, v0
	v_mul_lo_u16_e32 v1, 10, v1
	v_sub_u16_sdwa v0, v20, v0 dst_sel:DWORD dst_unused:UNUSED_PAD src0_sel:WORD_1 src1_sel:DWORD
	v_sub_u16_e32 v1, v37, v1
	v_add_u16_e32 v0, v1, v0
	v_add_u16_e32 v1, -10, v0
	v_min_u16_sdwa v37, v0, v1 dst_sel:DWORD dst_unused:UNUSED_PAD src0_sel:BYTE_0 src1_sel:BYTE_0
	s_or_b64 exec, exec, s[30:31]
	s_and_saveexec_b64 s[30:31], s[38:39]
	s_cbranch_execz .LBB666_1051
.LBB666_1225:
	v_lshrrev_b64 v[0:1], 24, v[20:21]
	s_movk_i32 s34, 0xcd
	v_mul_lo_u16_sdwa v1, v0, s34 dst_sel:DWORD dst_unused:UNUSED_PAD src0_sel:BYTE_0 src1_sel:DWORD
	v_lshrrev_b16_e32 v1, 11, v1
	v_mul_lo_u16_e32 v1, 10, v1
	v_sub_u16_e32 v0, v0, v1
	v_mul_lo_u16_sdwa v1, v37, s34 dst_sel:DWORD dst_unused:UNUSED_PAD src0_sel:BYTE_0 src1_sel:DWORD
	v_lshrrev_b16_e32 v1, 11, v1
	v_mul_lo_u16_e32 v1, 10, v1
	v_sub_u16_e32 v1, v37, v1
	v_add_u16_e32 v0, v1, v0
	v_add_u16_e32 v1, -10, v0
	v_min_u16_sdwa v37, v0, v1 dst_sel:DWORD dst_unused:UNUSED_PAD src0_sel:BYTE_0 src1_sel:BYTE_0
	s_or_b64 exec, exec, s[30:31]
	s_and_saveexec_b64 s[30:31], s[48:49]
	s_cbranch_execz .LBB666_1052
.LBB666_1226:
	s_movk_i32 s34, 0xcd
	v_mul_lo_u16_sdwa v0, v21, s34 dst_sel:DWORD dst_unused:UNUSED_PAD src0_sel:BYTE_0 src1_sel:DWORD
	v_mul_lo_u16_sdwa v1, v37, s34 dst_sel:DWORD dst_unused:UNUSED_PAD src0_sel:BYTE_0 src1_sel:DWORD
	v_lshrrev_b16_e32 v0, 11, v0
	v_lshrrev_b16_e32 v1, 11, v1
	v_mul_lo_u16_e32 v0, 10, v0
	v_mul_lo_u16_e32 v1, 10, v1
	v_sub_u16_e32 v0, v21, v0
	v_sub_u16_e32 v1, v37, v1
	v_add_u16_e32 v0, v1, v0
	v_add_u16_e32 v1, -10, v0
	v_min_u16_sdwa v37, v0, v1 dst_sel:DWORD dst_unused:UNUSED_PAD src0_sel:BYTE_0 src1_sel:BYTE_0
	s_or_b64 exec, exec, s[30:31]
	s_and_saveexec_b64 s[30:31], s[50:51]
	s_cbranch_execz .LBB666_1053
.LBB666_1227:
	v_lshrrev_b32_e32 v0, 8, v21
	s_movk_i32 s34, 0xcd
	v_mul_lo_u16_sdwa v1, v0, s34 dst_sel:DWORD dst_unused:UNUSED_PAD src0_sel:BYTE_0 src1_sel:DWORD
	v_lshrrev_b16_e32 v1, 11, v1
	v_mul_lo_u16_e32 v1, 10, v1
	v_sub_u16_e32 v0, v0, v1
	v_mul_lo_u16_sdwa v1, v37, s34 dst_sel:DWORD dst_unused:UNUSED_PAD src0_sel:BYTE_0 src1_sel:DWORD
	v_lshrrev_b16_e32 v1, 11, v1
	v_mul_lo_u16_e32 v1, 10, v1
	v_sub_u16_e32 v1, v37, v1
	v_add_u16_e32 v0, v1, v0
	v_add_u16_e32 v1, -10, v0
	v_min_u16_sdwa v37, v0, v1 dst_sel:DWORD dst_unused:UNUSED_PAD src0_sel:BYTE_0 src1_sel:BYTE_0
	s_or_b64 exec, exec, s[30:31]
	s_and_saveexec_b64 s[30:31], s[52:53]
	s_cbranch_execz .LBB666_1054
.LBB666_1228:
	s_movk_i32 s34, 0xff
	v_and_b32_sdwa v0, v21, s34 dst_sel:DWORD dst_unused:UNUSED_PAD src0_sel:WORD_1 src1_sel:DWORD
	s_movk_i32 s34, 0xcd
	v_mul_lo_u16_e32 v0, 0xcd, v0
	v_mul_lo_u16_sdwa v1, v37, s34 dst_sel:DWORD dst_unused:UNUSED_PAD src0_sel:BYTE_0 src1_sel:DWORD
	v_lshrrev_b16_e32 v0, 11, v0
	v_lshrrev_b16_e32 v1, 11, v1
	v_mul_lo_u16_e32 v0, 10, v0
	v_mul_lo_u16_e32 v1, 10, v1
	v_sub_u16_sdwa v0, v21, v0 dst_sel:DWORD dst_unused:UNUSED_PAD src0_sel:WORD_1 src1_sel:DWORD
	v_sub_u16_e32 v1, v37, v1
	v_add_u16_e32 v0, v1, v0
	v_add_u16_e32 v1, -10, v0
	v_min_u16_sdwa v37, v0, v1 dst_sel:DWORD dst_unused:UNUSED_PAD src0_sel:BYTE_0 src1_sel:BYTE_0
	s_or_b64 exec, exec, s[30:31]
	s_and_saveexec_b64 s[30:31], s[54:55]
	s_cbranch_execz .LBB666_1055
.LBB666_1229:
	s_movk_i32 s34, 0xcd
	v_mul_lo_u16_sdwa v0, v21, s34 dst_sel:DWORD dst_unused:UNUSED_PAD src0_sel:BYTE_3 src1_sel:DWORD
	v_mul_lo_u16_sdwa v1, v37, s34 dst_sel:DWORD dst_unused:UNUSED_PAD src0_sel:BYTE_0 src1_sel:DWORD
	v_lshrrev_b16_e32 v0, 11, v0
	v_lshrrev_b16_e32 v1, 11, v1
	v_mul_lo_u16_e32 v0, 10, v0
	v_mul_lo_u16_e32 v1, 10, v1
	v_sub_u16_sdwa v0, v21, v0 dst_sel:DWORD dst_unused:UNUSED_PAD src0_sel:BYTE_3 src1_sel:DWORD
	v_sub_u16_e32 v1, v37, v1
	v_add_u16_e32 v0, v1, v0
	v_add_u16_e32 v1, -10, v0
	v_min_u16_sdwa v37, v0, v1 dst_sel:DWORD dst_unused:UNUSED_PAD src0_sel:BYTE_0 src1_sel:BYTE_0
	s_or_b64 exec, exec, s[30:31]
	s_and_saveexec_b64 s[30:31], s[64:65]
	s_cbranch_execz .LBB666_1056
.LBB666_1230:
	s_movk_i32 s34, 0xcd
	v_mul_lo_u16_sdwa v0, v22, s34 dst_sel:DWORD dst_unused:UNUSED_PAD src0_sel:BYTE_0 src1_sel:DWORD
	v_mul_lo_u16_sdwa v1, v37, s34 dst_sel:DWORD dst_unused:UNUSED_PAD src0_sel:BYTE_0 src1_sel:DWORD
	v_lshrrev_b16_e32 v0, 11, v0
	v_lshrrev_b16_e32 v1, 11, v1
	v_mul_lo_u16_e32 v0, 10, v0
	v_mul_lo_u16_e32 v1, 10, v1
	v_sub_u16_e32 v0, v22, v0
	v_sub_u16_e32 v1, v37, v1
	v_add_u16_e32 v0, v1, v0
	v_add_u16_e32 v1, -10, v0
	v_min_u16_sdwa v37, v0, v1 dst_sel:DWORD dst_unused:UNUSED_PAD src0_sel:BYTE_0 src1_sel:BYTE_0
	s_or_b64 exec, exec, s[30:31]
	s_and_saveexec_b64 s[30:31], s[66:67]
	s_cbranch_execz .LBB666_1057
.LBB666_1231:
	v_lshrrev_b32_e32 v0, 8, v22
	s_movk_i32 s34, 0xcd
	v_mul_lo_u16_sdwa v1, v0, s34 dst_sel:DWORD dst_unused:UNUSED_PAD src0_sel:BYTE_0 src1_sel:DWORD
	v_lshrrev_b16_e32 v1, 11, v1
	v_mul_lo_u16_e32 v1, 10, v1
	v_sub_u16_e32 v0, v0, v1
	v_mul_lo_u16_sdwa v1, v37, s34 dst_sel:DWORD dst_unused:UNUSED_PAD src0_sel:BYTE_0 src1_sel:DWORD
	v_lshrrev_b16_e32 v1, 11, v1
	v_mul_lo_u16_e32 v1, 10, v1
	v_sub_u16_e32 v1, v37, v1
	v_add_u16_e32 v0, v1, v0
	v_add_u16_e32 v1, -10, v0
	v_min_u16_sdwa v37, v0, v1 dst_sel:DWORD dst_unused:UNUSED_PAD src0_sel:BYTE_0 src1_sel:BYTE_0
	s_or_b64 exec, exec, s[30:31]
	s_and_saveexec_b64 s[30:31], s[68:69]
	s_cbranch_execz .LBB666_1058
.LBB666_1232:
	s_movk_i32 s34, 0xff
	v_and_b32_sdwa v0, v22, s34 dst_sel:DWORD dst_unused:UNUSED_PAD src0_sel:WORD_1 src1_sel:DWORD
	s_movk_i32 s34, 0xcd
	v_mul_lo_u16_e32 v0, 0xcd, v0
	v_mul_lo_u16_sdwa v1, v37, s34 dst_sel:DWORD dst_unused:UNUSED_PAD src0_sel:BYTE_0 src1_sel:DWORD
	v_lshrrev_b16_e32 v0, 11, v0
	v_lshrrev_b16_e32 v1, 11, v1
	v_mul_lo_u16_e32 v0, 10, v0
	v_mul_lo_u16_e32 v1, 10, v1
	v_sub_u16_sdwa v0, v22, v0 dst_sel:DWORD dst_unused:UNUSED_PAD src0_sel:WORD_1 src1_sel:DWORD
	v_sub_u16_e32 v1, v37, v1
	v_add_u16_e32 v0, v1, v0
	v_add_u16_e32 v1, -10, v0
	v_min_u16_sdwa v37, v0, v1 dst_sel:DWORD dst_unused:UNUSED_PAD src0_sel:BYTE_0 src1_sel:BYTE_0
	s_or_b64 exec, exec, s[30:31]
	s_and_saveexec_b64 s[30:31], s[70:71]
	s_cbranch_execz .LBB666_1059
.LBB666_1233:
	v_lshrrev_b64 v[0:1], 24, v[22:23]
	s_movk_i32 s34, 0xcd
	v_mul_lo_u16_sdwa v1, v0, s34 dst_sel:DWORD dst_unused:UNUSED_PAD src0_sel:BYTE_0 src1_sel:DWORD
	v_lshrrev_b16_e32 v1, 11, v1
	v_mul_lo_u16_e32 v1, 10, v1
	v_sub_u16_e32 v0, v0, v1
	v_mul_lo_u16_sdwa v1, v37, s34 dst_sel:DWORD dst_unused:UNUSED_PAD src0_sel:BYTE_0 src1_sel:DWORD
	v_lshrrev_b16_e32 v1, 11, v1
	v_mul_lo_u16_e32 v1, 10, v1
	v_sub_u16_e32 v1, v37, v1
	v_add_u16_e32 v0, v1, v0
	v_add_u16_e32 v1, -10, v0
	v_min_u16_sdwa v37, v0, v1 dst_sel:DWORD dst_unused:UNUSED_PAD src0_sel:BYTE_0 src1_sel:BYTE_0
	s_or_b64 exec, exec, s[30:31]
	s_and_saveexec_b64 s[30:31], s[80:81]
	s_cbranch_execz .LBB666_1060
.LBB666_1234:
	s_movk_i32 s34, 0xcd
	v_mul_lo_u16_sdwa v0, v23, s34 dst_sel:DWORD dst_unused:UNUSED_PAD src0_sel:BYTE_0 src1_sel:DWORD
	v_mul_lo_u16_sdwa v1, v37, s34 dst_sel:DWORD dst_unused:UNUSED_PAD src0_sel:BYTE_0 src1_sel:DWORD
	v_lshrrev_b16_e32 v0, 11, v0
	v_lshrrev_b16_e32 v1, 11, v1
	v_mul_lo_u16_e32 v0, 10, v0
	v_mul_lo_u16_e32 v1, 10, v1
	v_sub_u16_e32 v0, v23, v0
	v_sub_u16_e32 v1, v37, v1
	v_add_u16_e32 v0, v1, v0
	v_add_u16_e32 v1, -10, v0
	v_min_u16_sdwa v37, v0, v1 dst_sel:DWORD dst_unused:UNUSED_PAD src0_sel:BYTE_0 src1_sel:BYTE_0
	s_or_b64 exec, exec, s[30:31]
	s_and_saveexec_b64 s[30:31], s[82:83]
	s_cbranch_execz .LBB666_1061
.LBB666_1235:
	v_lshrrev_b32_e32 v0, 8, v23
	s_movk_i32 s34, 0xcd
	v_mul_lo_u16_sdwa v1, v0, s34 dst_sel:DWORD dst_unused:UNUSED_PAD src0_sel:BYTE_0 src1_sel:DWORD
	v_lshrrev_b16_e32 v1, 11, v1
	v_mul_lo_u16_e32 v1, 10, v1
	v_sub_u16_e32 v0, v0, v1
	v_mul_lo_u16_sdwa v1, v37, s34 dst_sel:DWORD dst_unused:UNUSED_PAD src0_sel:BYTE_0 src1_sel:DWORD
	v_lshrrev_b16_e32 v1, 11, v1
	v_mul_lo_u16_e32 v1, 10, v1
	v_sub_u16_e32 v1, v37, v1
	v_add_u16_e32 v0, v1, v0
	v_add_u16_e32 v1, -10, v0
	v_min_u16_sdwa v37, v0, v1 dst_sel:DWORD dst_unused:UNUSED_PAD src0_sel:BYTE_0 src1_sel:BYTE_0
	s_or_b64 exec, exec, s[30:31]
	s_and_saveexec_b64 s[30:31], s[84:85]
	s_cbranch_execz .LBB666_1062
.LBB666_1236:
	s_movk_i32 s34, 0xff
	v_and_b32_sdwa v0, v23, s34 dst_sel:DWORD dst_unused:UNUSED_PAD src0_sel:WORD_1 src1_sel:DWORD
	s_movk_i32 s34, 0xcd
	v_mul_lo_u16_e32 v0, 0xcd, v0
	v_mul_lo_u16_sdwa v1, v37, s34 dst_sel:DWORD dst_unused:UNUSED_PAD src0_sel:BYTE_0 src1_sel:DWORD
	v_lshrrev_b16_e32 v0, 11, v0
	v_lshrrev_b16_e32 v1, 11, v1
	v_mul_lo_u16_e32 v0, 10, v0
	v_mul_lo_u16_e32 v1, 10, v1
	v_sub_u16_sdwa v0, v23, v0 dst_sel:DWORD dst_unused:UNUSED_PAD src0_sel:WORD_1 src1_sel:DWORD
	v_sub_u16_e32 v1, v37, v1
	v_add_u16_e32 v0, v1, v0
	v_add_u16_e32 v1, -10, v0
	v_min_u16_sdwa v37, v0, v1 dst_sel:DWORD dst_unused:UNUSED_PAD src0_sel:BYTE_0 src1_sel:BYTE_0
	s_or_b64 exec, exec, s[30:31]
	s_and_saveexec_b64 s[30:31], s[86:87]
	s_cbranch_execz .LBB666_1063
.LBB666_1237:
	s_movk_i32 s34, 0xcd
	v_mul_lo_u16_sdwa v0, v23, s34 dst_sel:DWORD dst_unused:UNUSED_PAD src0_sel:BYTE_3 src1_sel:DWORD
	v_mul_lo_u16_sdwa v1, v37, s34 dst_sel:DWORD dst_unused:UNUSED_PAD src0_sel:BYTE_0 src1_sel:DWORD
	v_lshrrev_b16_e32 v0, 11, v0
	v_lshrrev_b16_e32 v1, 11, v1
	v_mul_lo_u16_e32 v0, 10, v0
	v_mul_lo_u16_e32 v1, 10, v1
	v_sub_u16_sdwa v0, v23, v0 dst_sel:DWORD dst_unused:UNUSED_PAD src0_sel:BYTE_3 src1_sel:DWORD
	v_sub_u16_e32 v1, v37, v1
	v_add_u16_e32 v0, v1, v0
	v_add_u16_e32 v1, -10, v0
	v_min_u16_sdwa v37, v0, v1 dst_sel:DWORD dst_unused:UNUSED_PAD src0_sel:BYTE_0 src1_sel:BYTE_0
	s_or_b64 exec, exec, s[30:31]
	s_and_saveexec_b64 s[30:31], s[96:97]
	s_cbranch_execz .LBB666_1064
.LBB666_1238:
	s_movk_i32 s34, 0xcd
	v_mul_lo_u16_sdwa v0, v24, s34 dst_sel:DWORD dst_unused:UNUSED_PAD src0_sel:BYTE_0 src1_sel:DWORD
	v_mul_lo_u16_sdwa v1, v37, s34 dst_sel:DWORD dst_unused:UNUSED_PAD src0_sel:BYTE_0 src1_sel:DWORD
	v_lshrrev_b16_e32 v0, 11, v0
	v_lshrrev_b16_e32 v1, 11, v1
	v_mul_lo_u16_e32 v0, 10, v0
	v_mul_lo_u16_e32 v1, 10, v1
	v_sub_u16_e32 v0, v24, v0
	v_sub_u16_e32 v1, v37, v1
	v_add_u16_e32 v0, v1, v0
	v_add_u16_e32 v1, -10, v0
	v_min_u16_sdwa v37, v0, v1 dst_sel:DWORD dst_unused:UNUSED_PAD src0_sel:BYTE_0 src1_sel:BYTE_0
	s_or_b64 exec, exec, s[30:31]
	s_and_saveexec_b64 s[30:31], s[98:99]
	s_cbranch_execz .LBB666_1065
.LBB666_1239:
	v_lshrrev_b32_e32 v0, 8, v24
	s_movk_i32 s34, 0xcd
	v_mul_lo_u16_sdwa v1, v0, s34 dst_sel:DWORD dst_unused:UNUSED_PAD src0_sel:BYTE_0 src1_sel:DWORD
	v_lshrrev_b16_e32 v1, 11, v1
	v_mul_lo_u16_e32 v1, 10, v1
	v_sub_u16_e32 v0, v0, v1
	v_mul_lo_u16_sdwa v1, v37, s34 dst_sel:DWORD dst_unused:UNUSED_PAD src0_sel:BYTE_0 src1_sel:DWORD
	v_lshrrev_b16_e32 v1, 11, v1
	v_mul_lo_u16_e32 v1, 10, v1
	v_sub_u16_e32 v1, v37, v1
	v_add_u16_e32 v0, v1, v0
	v_add_u16_e32 v1, -10, v0
	v_min_u16_sdwa v37, v0, v1 dst_sel:DWORD dst_unused:UNUSED_PAD src0_sel:BYTE_0 src1_sel:BYTE_0
	s_or_b64 exec, exec, s[30:31]
	s_and_saveexec_b64 s[30:31], s[0:1]
	s_cbranch_execz .LBB666_1066
.LBB666_1240:
	s_movk_i32 s0, 0xff
	v_and_b32_sdwa v0, v24, s0 dst_sel:DWORD dst_unused:UNUSED_PAD src0_sel:WORD_1 src1_sel:DWORD
	s_movk_i32 s0, 0xcd
	v_mul_lo_u16_e32 v0, 0xcd, v0
	v_mul_lo_u16_sdwa v1, v37, s0 dst_sel:DWORD dst_unused:UNUSED_PAD src0_sel:BYTE_0 src1_sel:DWORD
	v_lshrrev_b16_e32 v0, 11, v0
	v_lshrrev_b16_e32 v1, 11, v1
	v_mul_lo_u16_e32 v0, 10, v0
	v_mul_lo_u16_e32 v1, 10, v1
	v_sub_u16_sdwa v0, v24, v0 dst_sel:DWORD dst_unused:UNUSED_PAD src0_sel:WORD_1 src1_sel:DWORD
	v_sub_u16_e32 v1, v37, v1
	v_add_u16_e32 v0, v1, v0
	v_add_u16_e32 v1, -10, v0
	v_min_u16_sdwa v37, v0, v1 dst_sel:DWORD dst_unused:UNUSED_PAD src0_sel:BYTE_0 src1_sel:BYTE_0
	s_or_b64 exec, exec, s[30:31]
	s_and_saveexec_b64 s[0:1], s[2:3]
	s_cbranch_execz .LBB666_1067
.LBB666_1241:
	v_lshrrev_b64 v[0:1], 24, v[24:25]
	s_movk_i32 s2, 0xcd
	v_mul_lo_u16_sdwa v1, v0, s2 dst_sel:DWORD dst_unused:UNUSED_PAD src0_sel:BYTE_0 src1_sel:DWORD
	v_lshrrev_b16_e32 v1, 11, v1
	v_mul_lo_u16_e32 v1, 10, v1
	v_sub_u16_e32 v0, v0, v1
	v_mul_lo_u16_sdwa v1, v37, s2 dst_sel:DWORD dst_unused:UNUSED_PAD src0_sel:BYTE_0 src1_sel:DWORD
	v_lshrrev_b16_e32 v1, 11, v1
	v_mul_lo_u16_e32 v1, 10, v1
	v_sub_u16_e32 v1, v37, v1
	v_add_u16_e32 v0, v1, v0
	v_add_u16_e32 v1, -10, v0
	v_min_u16_sdwa v37, v0, v1 dst_sel:DWORD dst_unused:UNUSED_PAD src0_sel:BYTE_0 src1_sel:BYTE_0
	s_or_b64 exec, exec, s[0:1]
	s_and_saveexec_b64 s[0:1], s[4:5]
	s_cbranch_execz .LBB666_1068
.LBB666_1242:
	s_movk_i32 s2, 0xcd
	v_mul_lo_u16_sdwa v0, v25, s2 dst_sel:DWORD dst_unused:UNUSED_PAD src0_sel:BYTE_0 src1_sel:DWORD
	v_mul_lo_u16_sdwa v1, v37, s2 dst_sel:DWORD dst_unused:UNUSED_PAD src0_sel:BYTE_0 src1_sel:DWORD
	v_lshrrev_b16_e32 v0, 11, v0
	v_lshrrev_b16_e32 v1, 11, v1
	v_mul_lo_u16_e32 v0, 10, v0
	v_mul_lo_u16_e32 v1, 10, v1
	v_sub_u16_e32 v0, v25, v0
	v_sub_u16_e32 v1, v37, v1
	v_add_u16_e32 v0, v1, v0
	v_add_u16_e32 v1, -10, v0
	v_min_u16_sdwa v37, v0, v1 dst_sel:DWORD dst_unused:UNUSED_PAD src0_sel:BYTE_0 src1_sel:BYTE_0
	s_or_b64 exec, exec, s[0:1]
	s_and_saveexec_b64 s[0:1], s[6:7]
	s_cbranch_execz .LBB666_1069
.LBB666_1243:
	v_lshrrev_b32_e32 v0, 8, v25
	s_movk_i32 s2, 0xcd
	v_mul_lo_u16_sdwa v1, v0, s2 dst_sel:DWORD dst_unused:UNUSED_PAD src0_sel:BYTE_0 src1_sel:DWORD
	v_lshrrev_b16_e32 v1, 11, v1
	v_mul_lo_u16_e32 v1, 10, v1
	v_sub_u16_e32 v0, v0, v1
	v_mul_lo_u16_sdwa v1, v37, s2 dst_sel:DWORD dst_unused:UNUSED_PAD src0_sel:BYTE_0 src1_sel:DWORD
	v_lshrrev_b16_e32 v1, 11, v1
	v_mul_lo_u16_e32 v1, 10, v1
	v_sub_u16_e32 v1, v37, v1
	v_add_u16_e32 v0, v1, v0
	v_add_u16_e32 v1, -10, v0
	v_min_u16_sdwa v37, v0, v1 dst_sel:DWORD dst_unused:UNUSED_PAD src0_sel:BYTE_0 src1_sel:BYTE_0
	s_or_b64 exec, exec, s[0:1]
	s_and_saveexec_b64 s[0:1], s[8:9]
	s_cbranch_execz .LBB666_1070
.LBB666_1244:
	s_movk_i32 s2, 0xff
	v_and_b32_sdwa v0, v25, s2 dst_sel:DWORD dst_unused:UNUSED_PAD src0_sel:WORD_1 src1_sel:DWORD
	s_movk_i32 s2, 0xcd
	v_mul_lo_u16_e32 v0, 0xcd, v0
	v_mul_lo_u16_sdwa v1, v37, s2 dst_sel:DWORD dst_unused:UNUSED_PAD src0_sel:BYTE_0 src1_sel:DWORD
	v_lshrrev_b16_e32 v0, 11, v0
	v_lshrrev_b16_e32 v1, 11, v1
	v_mul_lo_u16_e32 v0, 10, v0
	v_mul_lo_u16_e32 v1, 10, v1
	v_sub_u16_sdwa v0, v25, v0 dst_sel:DWORD dst_unused:UNUSED_PAD src0_sel:WORD_1 src1_sel:DWORD
	v_sub_u16_e32 v1, v37, v1
	v_add_u16_e32 v0, v1, v0
	v_add_u16_e32 v1, -10, v0
	v_min_u16_sdwa v37, v0, v1 dst_sel:DWORD dst_unused:UNUSED_PAD src0_sel:BYTE_0 src1_sel:BYTE_0
	s_or_b64 exec, exec, s[0:1]
	s_and_saveexec_b64 s[0:1], s[10:11]
	s_cbranch_execz .LBB666_1071
.LBB666_1245:
	s_movk_i32 s2, 0xcd
	v_mul_lo_u16_sdwa v0, v25, s2 dst_sel:DWORD dst_unused:UNUSED_PAD src0_sel:BYTE_3 src1_sel:DWORD
	v_mul_lo_u16_sdwa v1, v37, s2 dst_sel:DWORD dst_unused:UNUSED_PAD src0_sel:BYTE_0 src1_sel:DWORD
	v_lshrrev_b16_e32 v0, 11, v0
	v_lshrrev_b16_e32 v1, 11, v1
	v_mul_lo_u16_e32 v0, 10, v0
	v_mul_lo_u16_e32 v1, 10, v1
	v_sub_u16_sdwa v0, v25, v0 dst_sel:DWORD dst_unused:UNUSED_PAD src0_sel:BYTE_3 src1_sel:DWORD
	v_sub_u16_e32 v1, v37, v1
	v_add_u16_e32 v0, v1, v0
	v_add_u16_e32 v1, -10, v0
	v_min_u16_sdwa v37, v0, v1 dst_sel:DWORD dst_unused:UNUSED_PAD src0_sel:BYTE_0 src1_sel:BYTE_0
	s_or_b64 exec, exec, s[0:1]
	s_and_saveexec_b64 s[0:1], s[14:15]
	s_cbranch_execz .LBB666_1072
.LBB666_1246:
	s_movk_i32 s2, 0xcd
	v_mul_lo_u16_sdwa v0, v26, s2 dst_sel:DWORD dst_unused:UNUSED_PAD src0_sel:BYTE_0 src1_sel:DWORD
	v_mul_lo_u16_sdwa v1, v37, s2 dst_sel:DWORD dst_unused:UNUSED_PAD src0_sel:BYTE_0 src1_sel:DWORD
	v_lshrrev_b16_e32 v0, 11, v0
	v_lshrrev_b16_e32 v1, 11, v1
	v_mul_lo_u16_e32 v0, 10, v0
	v_mul_lo_u16_e32 v1, 10, v1
	v_sub_u16_e32 v0, v26, v0
	v_sub_u16_e32 v1, v37, v1
	v_add_u16_e32 v0, v1, v0
	v_add_u16_e32 v1, -10, v0
	v_min_u16_sdwa v37, v0, v1 dst_sel:DWORD dst_unused:UNUSED_PAD src0_sel:BYTE_0 src1_sel:BYTE_0
	s_or_b64 exec, exec, s[0:1]
	s_and_saveexec_b64 s[0:1], s[16:17]
	s_cbranch_execz .LBB666_1073
.LBB666_1247:
	v_lshrrev_b32_e32 v0, 8, v26
	s_movk_i32 s2, 0xcd
	v_mul_lo_u16_sdwa v1, v0, s2 dst_sel:DWORD dst_unused:UNUSED_PAD src0_sel:BYTE_0 src1_sel:DWORD
	v_lshrrev_b16_e32 v1, 11, v1
	v_mul_lo_u16_e32 v1, 10, v1
	v_sub_u16_e32 v0, v0, v1
	v_mul_lo_u16_sdwa v1, v37, s2 dst_sel:DWORD dst_unused:UNUSED_PAD src0_sel:BYTE_0 src1_sel:DWORD
	v_lshrrev_b16_e32 v1, 11, v1
	v_mul_lo_u16_e32 v1, 10, v1
	v_sub_u16_e32 v1, v37, v1
	v_add_u16_e32 v0, v1, v0
	v_add_u16_e32 v1, -10, v0
	v_min_u16_sdwa v37, v0, v1 dst_sel:DWORD dst_unused:UNUSED_PAD src0_sel:BYTE_0 src1_sel:BYTE_0
	s_or_b64 exec, exec, s[0:1]
	s_and_saveexec_b64 s[0:1], s[18:19]
	s_cbranch_execz .LBB666_1074
.LBB666_1248:
	s_movk_i32 s2, 0xff
	v_and_b32_sdwa v0, v26, s2 dst_sel:DWORD dst_unused:UNUSED_PAD src0_sel:WORD_1 src1_sel:DWORD
	s_movk_i32 s2, 0xcd
	v_mul_lo_u16_e32 v0, 0xcd, v0
	v_mul_lo_u16_sdwa v1, v37, s2 dst_sel:DWORD dst_unused:UNUSED_PAD src0_sel:BYTE_0 src1_sel:DWORD
	v_lshrrev_b16_e32 v0, 11, v0
	v_lshrrev_b16_e32 v1, 11, v1
	v_mul_lo_u16_e32 v0, 10, v0
	v_mul_lo_u16_e32 v1, 10, v1
	v_sub_u16_sdwa v0, v26, v0 dst_sel:DWORD dst_unused:UNUSED_PAD src0_sel:WORD_1 src1_sel:DWORD
	v_sub_u16_e32 v1, v37, v1
	v_add_u16_e32 v0, v1, v0
	v_add_u16_e32 v1, -10, v0
	v_min_u16_sdwa v37, v0, v1 dst_sel:DWORD dst_unused:UNUSED_PAD src0_sel:BYTE_0 src1_sel:BYTE_0
	s_or_b64 exec, exec, s[0:1]
	s_and_saveexec_b64 s[0:1], s[20:21]
	s_cbranch_execz .LBB666_1075
.LBB666_1249:
	v_lshrrev_b64 v[0:1], 24, v[26:27]
	s_movk_i32 s2, 0xcd
	v_mul_lo_u16_sdwa v1, v0, s2 dst_sel:DWORD dst_unused:UNUSED_PAD src0_sel:BYTE_0 src1_sel:DWORD
	v_lshrrev_b16_e32 v1, 11, v1
	v_mul_lo_u16_e32 v1, 10, v1
	v_sub_u16_e32 v0, v0, v1
	v_mul_lo_u16_sdwa v1, v37, s2 dst_sel:DWORD dst_unused:UNUSED_PAD src0_sel:BYTE_0 src1_sel:DWORD
	v_lshrrev_b16_e32 v1, 11, v1
	v_mul_lo_u16_e32 v1, 10, v1
	v_sub_u16_e32 v1, v37, v1
	v_add_u16_e32 v0, v1, v0
	v_add_u16_e32 v1, -10, v0
	v_min_u16_sdwa v37, v0, v1 dst_sel:DWORD dst_unused:UNUSED_PAD src0_sel:BYTE_0 src1_sel:BYTE_0
	s_or_b64 exec, exec, s[0:1]
	s_and_saveexec_b64 s[0:1], s[22:23]
	s_cbranch_execz .LBB666_1076
.LBB666_1250:
	s_movk_i32 s2, 0xcd
	v_mul_lo_u16_sdwa v0, v27, s2 dst_sel:DWORD dst_unused:UNUSED_PAD src0_sel:BYTE_0 src1_sel:DWORD
	v_mul_lo_u16_sdwa v1, v37, s2 dst_sel:DWORD dst_unused:UNUSED_PAD src0_sel:BYTE_0 src1_sel:DWORD
	v_lshrrev_b16_e32 v0, 11, v0
	v_lshrrev_b16_e32 v1, 11, v1
	v_mul_lo_u16_e32 v0, 10, v0
	v_mul_lo_u16_e32 v1, 10, v1
	v_sub_u16_e32 v0, v27, v0
	v_sub_u16_e32 v1, v37, v1
	v_add_u16_e32 v0, v1, v0
	v_add_u16_e32 v1, -10, v0
	v_min_u16_sdwa v37, v0, v1 dst_sel:DWORD dst_unused:UNUSED_PAD src0_sel:BYTE_0 src1_sel:BYTE_0
	s_or_b64 exec, exec, s[0:1]
	s_and_saveexec_b64 s[0:1], s[24:25]
	s_cbranch_execz .LBB666_1077
.LBB666_1251:
	v_lshrrev_b32_e32 v0, 8, v27
	s_movk_i32 s2, 0xcd
	v_mul_lo_u16_sdwa v1, v0, s2 dst_sel:DWORD dst_unused:UNUSED_PAD src0_sel:BYTE_0 src1_sel:DWORD
	v_lshrrev_b16_e32 v1, 11, v1
	v_mul_lo_u16_e32 v1, 10, v1
	v_sub_u16_e32 v0, v0, v1
	v_mul_lo_u16_sdwa v1, v37, s2 dst_sel:DWORD dst_unused:UNUSED_PAD src0_sel:BYTE_0 src1_sel:DWORD
	v_lshrrev_b16_e32 v1, 11, v1
	v_mul_lo_u16_e32 v1, 10, v1
	v_sub_u16_e32 v1, v37, v1
	v_add_u16_e32 v0, v1, v0
	v_add_u16_e32 v1, -10, v0
	v_min_u16_sdwa v37, v0, v1 dst_sel:DWORD dst_unused:UNUSED_PAD src0_sel:BYTE_0 src1_sel:BYTE_0
	s_or_b64 exec, exec, s[0:1]
	s_and_saveexec_b64 s[0:1], s[26:27]
	s_cbranch_execz .LBB666_1078
.LBB666_1252:
	s_movk_i32 s2, 0xff
	v_and_b32_sdwa v0, v27, s2 dst_sel:DWORD dst_unused:UNUSED_PAD src0_sel:WORD_1 src1_sel:DWORD
	s_movk_i32 s2, 0xcd
	v_mul_lo_u16_e32 v0, 0xcd, v0
	v_mul_lo_u16_sdwa v1, v37, s2 dst_sel:DWORD dst_unused:UNUSED_PAD src0_sel:BYTE_0 src1_sel:DWORD
	v_lshrrev_b16_e32 v0, 11, v0
	v_lshrrev_b16_e32 v1, 11, v1
	v_mul_lo_u16_e32 v0, 10, v0
	v_mul_lo_u16_e32 v1, 10, v1
	v_sub_u16_sdwa v0, v27, v0 dst_sel:DWORD dst_unused:UNUSED_PAD src0_sel:WORD_1 src1_sel:DWORD
	v_sub_u16_e32 v1, v37, v1
	v_add_u16_e32 v0, v1, v0
	v_add_u16_e32 v1, -10, v0
	v_min_u16_sdwa v37, v0, v1 dst_sel:DWORD dst_unused:UNUSED_PAD src0_sel:BYTE_0 src1_sel:BYTE_0
	s_or_b64 exec, exec, s[0:1]
	s_and_saveexec_b64 s[0:1], s[28:29]
	s_cbranch_execz .LBB666_1079
.LBB666_1253:
	s_movk_i32 s2, 0xcd
	v_mul_lo_u16_sdwa v0, v27, s2 dst_sel:DWORD dst_unused:UNUSED_PAD src0_sel:BYTE_3 src1_sel:DWORD
	v_mul_lo_u16_sdwa v1, v37, s2 dst_sel:DWORD dst_unused:UNUSED_PAD src0_sel:BYTE_0 src1_sel:DWORD
	v_lshrrev_b16_e32 v0, 11, v0
	v_lshrrev_b16_e32 v1, 11, v1
	v_mul_lo_u16_e32 v0, 10, v0
	v_mul_lo_u16_e32 v1, 10, v1
	v_sub_u16_sdwa v0, v27, v0 dst_sel:DWORD dst_unused:UNUSED_PAD src0_sel:BYTE_3 src1_sel:DWORD
	v_sub_u16_e32 v1, v37, v1
	v_add_u16_e32 v0, v1, v0
	v_add_u16_e32 v1, -10, v0
	v_min_u16_sdwa v37, v0, v1 dst_sel:DWORD dst_unused:UNUSED_PAD src0_sel:BYTE_0 src1_sel:BYTE_0
	s_or_b64 exec, exec, s[0:1]
	s_and_saveexec_b64 s[0:1], s[40:41]
	s_cbranch_execz .LBB666_1080
.LBB666_1254:
	s_movk_i32 s2, 0xcd
	v_mul_lo_u16_sdwa v0, v28, s2 dst_sel:DWORD dst_unused:UNUSED_PAD src0_sel:BYTE_0 src1_sel:DWORD
	v_mul_lo_u16_sdwa v1, v37, s2 dst_sel:DWORD dst_unused:UNUSED_PAD src0_sel:BYTE_0 src1_sel:DWORD
	v_lshrrev_b16_e32 v0, 11, v0
	v_lshrrev_b16_e32 v1, 11, v1
	v_mul_lo_u16_e32 v0, 10, v0
	v_mul_lo_u16_e32 v1, 10, v1
	v_sub_u16_e32 v0, v28, v0
	v_sub_u16_e32 v1, v37, v1
	v_add_u16_e32 v0, v1, v0
	v_add_u16_e32 v1, -10, v0
	v_min_u16_sdwa v37, v0, v1 dst_sel:DWORD dst_unused:UNUSED_PAD src0_sel:BYTE_0 src1_sel:BYTE_0
	s_or_b64 exec, exec, s[0:1]
	s_and_saveexec_b64 s[0:1], s[42:43]
	s_cbranch_execz .LBB666_1081
.LBB666_1255:
	v_lshrrev_b32_e32 v0, 8, v28
	s_movk_i32 s2, 0xcd
	v_mul_lo_u16_sdwa v1, v0, s2 dst_sel:DWORD dst_unused:UNUSED_PAD src0_sel:BYTE_0 src1_sel:DWORD
	v_lshrrev_b16_e32 v1, 11, v1
	v_mul_lo_u16_e32 v1, 10, v1
	v_sub_u16_e32 v0, v0, v1
	v_mul_lo_u16_sdwa v1, v37, s2 dst_sel:DWORD dst_unused:UNUSED_PAD src0_sel:BYTE_0 src1_sel:DWORD
	v_lshrrev_b16_e32 v1, 11, v1
	v_mul_lo_u16_e32 v1, 10, v1
	v_sub_u16_e32 v1, v37, v1
	v_add_u16_e32 v0, v1, v0
	v_add_u16_e32 v1, -10, v0
	v_min_u16_sdwa v37, v0, v1 dst_sel:DWORD dst_unused:UNUSED_PAD src0_sel:BYTE_0 src1_sel:BYTE_0
	s_or_b64 exec, exec, s[0:1]
	s_and_saveexec_b64 s[0:1], s[44:45]
	s_cbranch_execz .LBB666_1082
.LBB666_1256:
	s_movk_i32 s2, 0xff
	v_and_b32_sdwa v0, v28, s2 dst_sel:DWORD dst_unused:UNUSED_PAD src0_sel:WORD_1 src1_sel:DWORD
	s_movk_i32 s2, 0xcd
	v_mul_lo_u16_e32 v0, 0xcd, v0
	v_mul_lo_u16_sdwa v1, v37, s2 dst_sel:DWORD dst_unused:UNUSED_PAD src0_sel:BYTE_0 src1_sel:DWORD
	v_lshrrev_b16_e32 v0, 11, v0
	v_lshrrev_b16_e32 v1, 11, v1
	v_mul_lo_u16_e32 v0, 10, v0
	v_mul_lo_u16_e32 v1, 10, v1
	v_sub_u16_sdwa v0, v28, v0 dst_sel:DWORD dst_unused:UNUSED_PAD src0_sel:WORD_1 src1_sel:DWORD
	v_sub_u16_e32 v1, v37, v1
	v_add_u16_e32 v0, v1, v0
	v_add_u16_e32 v1, -10, v0
	v_min_u16_sdwa v37, v0, v1 dst_sel:DWORD dst_unused:UNUSED_PAD src0_sel:BYTE_0 src1_sel:BYTE_0
	s_or_b64 exec, exec, s[0:1]
	s_and_saveexec_b64 s[0:1], s[46:47]
	s_cbranch_execz .LBB666_1083
.LBB666_1257:
	v_lshrrev_b64 v[0:1], 24, v[28:29]
	s_movk_i32 s2, 0xcd
	v_mul_lo_u16_sdwa v1, v0, s2 dst_sel:DWORD dst_unused:UNUSED_PAD src0_sel:BYTE_0 src1_sel:DWORD
	v_lshrrev_b16_e32 v1, 11, v1
	v_mul_lo_u16_e32 v1, 10, v1
	v_sub_u16_e32 v0, v0, v1
	v_mul_lo_u16_sdwa v1, v37, s2 dst_sel:DWORD dst_unused:UNUSED_PAD src0_sel:BYTE_0 src1_sel:DWORD
	v_lshrrev_b16_e32 v1, 11, v1
	v_mul_lo_u16_e32 v1, 10, v1
	v_sub_u16_e32 v1, v37, v1
	v_add_u16_e32 v0, v1, v0
	v_add_u16_e32 v1, -10, v0
	v_min_u16_sdwa v37, v0, v1 dst_sel:DWORD dst_unused:UNUSED_PAD src0_sel:BYTE_0 src1_sel:BYTE_0
	s_or_b64 exec, exec, s[0:1]
	s_and_saveexec_b64 s[0:1], s[56:57]
	s_cbranch_execz .LBB666_1084
.LBB666_1258:
	s_movk_i32 s2, 0xcd
	v_mul_lo_u16_sdwa v0, v29, s2 dst_sel:DWORD dst_unused:UNUSED_PAD src0_sel:BYTE_0 src1_sel:DWORD
	v_mul_lo_u16_sdwa v1, v37, s2 dst_sel:DWORD dst_unused:UNUSED_PAD src0_sel:BYTE_0 src1_sel:DWORD
	v_lshrrev_b16_e32 v0, 11, v0
	v_lshrrev_b16_e32 v1, 11, v1
	v_mul_lo_u16_e32 v0, 10, v0
	v_mul_lo_u16_e32 v1, 10, v1
	v_sub_u16_e32 v0, v29, v0
	v_sub_u16_e32 v1, v37, v1
	v_add_u16_e32 v0, v1, v0
	v_add_u16_e32 v1, -10, v0
	v_min_u16_sdwa v37, v0, v1 dst_sel:DWORD dst_unused:UNUSED_PAD src0_sel:BYTE_0 src1_sel:BYTE_0
	s_or_b64 exec, exec, s[0:1]
	s_and_saveexec_b64 s[0:1], s[58:59]
	s_cbranch_execz .LBB666_1085
.LBB666_1259:
	v_lshrrev_b32_e32 v0, 8, v29
	s_movk_i32 s2, 0xcd
	v_mul_lo_u16_sdwa v1, v0, s2 dst_sel:DWORD dst_unused:UNUSED_PAD src0_sel:BYTE_0 src1_sel:DWORD
	v_lshrrev_b16_e32 v1, 11, v1
	v_mul_lo_u16_e32 v1, 10, v1
	v_sub_u16_e32 v0, v0, v1
	v_mul_lo_u16_sdwa v1, v37, s2 dst_sel:DWORD dst_unused:UNUSED_PAD src0_sel:BYTE_0 src1_sel:DWORD
	v_lshrrev_b16_e32 v1, 11, v1
	v_mul_lo_u16_e32 v1, 10, v1
	v_sub_u16_e32 v1, v37, v1
	v_add_u16_e32 v0, v1, v0
	v_add_u16_e32 v1, -10, v0
	v_min_u16_sdwa v37, v0, v1 dst_sel:DWORD dst_unused:UNUSED_PAD src0_sel:BYTE_0 src1_sel:BYTE_0
	s_or_b64 exec, exec, s[0:1]
	s_and_saveexec_b64 s[0:1], s[60:61]
	s_cbranch_execz .LBB666_1086
.LBB666_1260:
	s_movk_i32 s2, 0xff
	v_and_b32_sdwa v0, v29, s2 dst_sel:DWORD dst_unused:UNUSED_PAD src0_sel:WORD_1 src1_sel:DWORD
	s_movk_i32 s2, 0xcd
	v_mul_lo_u16_e32 v0, 0xcd, v0
	v_mul_lo_u16_sdwa v1, v37, s2 dst_sel:DWORD dst_unused:UNUSED_PAD src0_sel:BYTE_0 src1_sel:DWORD
	v_lshrrev_b16_e32 v0, 11, v0
	v_lshrrev_b16_e32 v1, 11, v1
	v_mul_lo_u16_e32 v0, 10, v0
	v_mul_lo_u16_e32 v1, 10, v1
	v_sub_u16_sdwa v0, v29, v0 dst_sel:DWORD dst_unused:UNUSED_PAD src0_sel:WORD_1 src1_sel:DWORD
	v_sub_u16_e32 v1, v37, v1
	v_add_u16_e32 v0, v1, v0
	v_add_u16_e32 v1, -10, v0
	v_min_u16_sdwa v37, v0, v1 dst_sel:DWORD dst_unused:UNUSED_PAD src0_sel:BYTE_0 src1_sel:BYTE_0
	s_or_b64 exec, exec, s[0:1]
	s_and_saveexec_b64 s[0:1], s[62:63]
	s_cbranch_execz .LBB666_1087
.LBB666_1261:
	s_movk_i32 s2, 0xcd
	v_mul_lo_u16_sdwa v0, v29, s2 dst_sel:DWORD dst_unused:UNUSED_PAD src0_sel:BYTE_3 src1_sel:DWORD
	v_mul_lo_u16_sdwa v1, v37, s2 dst_sel:DWORD dst_unused:UNUSED_PAD src0_sel:BYTE_0 src1_sel:DWORD
	v_lshrrev_b16_e32 v0, 11, v0
	v_lshrrev_b16_e32 v1, 11, v1
	v_mul_lo_u16_e32 v0, 10, v0
	v_mul_lo_u16_e32 v1, 10, v1
	v_sub_u16_sdwa v0, v29, v0 dst_sel:DWORD dst_unused:UNUSED_PAD src0_sel:BYTE_3 src1_sel:DWORD
	v_sub_u16_e32 v1, v37, v1
	v_add_u16_e32 v0, v1, v0
	v_add_u16_e32 v1, -10, v0
	v_min_u16_sdwa v37, v0, v1 dst_sel:DWORD dst_unused:UNUSED_PAD src0_sel:BYTE_0 src1_sel:BYTE_0
	s_or_b64 exec, exec, s[0:1]
	s_and_saveexec_b64 s[0:1], s[72:73]
	s_cbranch_execz .LBB666_1088
.LBB666_1262:
	s_movk_i32 s2, 0xcd
	v_mul_lo_u16_sdwa v0, v30, s2 dst_sel:DWORD dst_unused:UNUSED_PAD src0_sel:BYTE_0 src1_sel:DWORD
	v_mul_lo_u16_sdwa v1, v37, s2 dst_sel:DWORD dst_unused:UNUSED_PAD src0_sel:BYTE_0 src1_sel:DWORD
	v_lshrrev_b16_e32 v0, 11, v0
	v_lshrrev_b16_e32 v1, 11, v1
	v_mul_lo_u16_e32 v0, 10, v0
	v_mul_lo_u16_e32 v1, 10, v1
	v_sub_u16_e32 v0, v30, v0
	v_sub_u16_e32 v1, v37, v1
	v_add_u16_e32 v0, v1, v0
	v_add_u16_e32 v1, -10, v0
	v_min_u16_sdwa v37, v0, v1 dst_sel:DWORD dst_unused:UNUSED_PAD src0_sel:BYTE_0 src1_sel:BYTE_0
	s_or_b64 exec, exec, s[0:1]
	s_and_saveexec_b64 s[0:1], s[74:75]
	s_cbranch_execz .LBB666_1089
.LBB666_1263:
	v_lshrrev_b32_e32 v0, 8, v30
	s_movk_i32 s2, 0xcd
	v_mul_lo_u16_sdwa v1, v0, s2 dst_sel:DWORD dst_unused:UNUSED_PAD src0_sel:BYTE_0 src1_sel:DWORD
	v_lshrrev_b16_e32 v1, 11, v1
	v_mul_lo_u16_e32 v1, 10, v1
	v_sub_u16_e32 v0, v0, v1
	v_mul_lo_u16_sdwa v1, v37, s2 dst_sel:DWORD dst_unused:UNUSED_PAD src0_sel:BYTE_0 src1_sel:DWORD
	v_lshrrev_b16_e32 v1, 11, v1
	v_mul_lo_u16_e32 v1, 10, v1
	v_sub_u16_e32 v1, v37, v1
	v_add_u16_e32 v0, v1, v0
	v_add_u16_e32 v1, -10, v0
	v_min_u16_sdwa v37, v0, v1 dst_sel:DWORD dst_unused:UNUSED_PAD src0_sel:BYTE_0 src1_sel:BYTE_0
	s_or_b64 exec, exec, s[0:1]
	s_and_saveexec_b64 s[0:1], s[76:77]
	s_cbranch_execz .LBB666_1090
.LBB666_1264:
	s_movk_i32 s2, 0xff
	v_and_b32_sdwa v0, v30, s2 dst_sel:DWORD dst_unused:UNUSED_PAD src0_sel:WORD_1 src1_sel:DWORD
	s_movk_i32 s2, 0xcd
	v_mul_lo_u16_e32 v0, 0xcd, v0
	v_mul_lo_u16_sdwa v1, v37, s2 dst_sel:DWORD dst_unused:UNUSED_PAD src0_sel:BYTE_0 src1_sel:DWORD
	v_lshrrev_b16_e32 v0, 11, v0
	v_lshrrev_b16_e32 v1, 11, v1
	v_mul_lo_u16_e32 v0, 10, v0
	v_mul_lo_u16_e32 v1, 10, v1
	v_sub_u16_sdwa v0, v30, v0 dst_sel:DWORD dst_unused:UNUSED_PAD src0_sel:WORD_1 src1_sel:DWORD
	v_sub_u16_e32 v1, v37, v1
	v_add_u16_e32 v0, v1, v0
	v_add_u16_e32 v1, -10, v0
	v_min_u16_sdwa v37, v0, v1 dst_sel:DWORD dst_unused:UNUSED_PAD src0_sel:BYTE_0 src1_sel:BYTE_0
	s_or_b64 exec, exec, s[0:1]
	s_and_saveexec_b64 s[0:1], s[78:79]
	s_cbranch_execz .LBB666_1091
.LBB666_1265:
	v_lshrrev_b64 v[0:1], 24, v[30:31]
	s_movk_i32 s2, 0xcd
	v_mul_lo_u16_sdwa v1, v0, s2 dst_sel:DWORD dst_unused:UNUSED_PAD src0_sel:BYTE_0 src1_sel:DWORD
	v_lshrrev_b16_e32 v1, 11, v1
	v_mul_lo_u16_e32 v1, 10, v1
	v_sub_u16_e32 v0, v0, v1
	v_mul_lo_u16_sdwa v1, v37, s2 dst_sel:DWORD dst_unused:UNUSED_PAD src0_sel:BYTE_0 src1_sel:DWORD
	v_lshrrev_b16_e32 v1, 11, v1
	v_mul_lo_u16_e32 v1, 10, v1
	v_sub_u16_e32 v1, v37, v1
	v_add_u16_e32 v0, v1, v0
	v_add_u16_e32 v1, -10, v0
	v_min_u16_sdwa v37, v0, v1 dst_sel:DWORD dst_unused:UNUSED_PAD src0_sel:BYTE_0 src1_sel:BYTE_0
	s_or_b64 exec, exec, s[0:1]
	s_and_saveexec_b64 s[0:1], s[88:89]
	s_cbranch_execz .LBB666_1092
.LBB666_1266:
	s_movk_i32 s2, 0xcd
	v_mul_lo_u16_sdwa v0, v31, s2 dst_sel:DWORD dst_unused:UNUSED_PAD src0_sel:BYTE_0 src1_sel:DWORD
	v_mul_lo_u16_sdwa v1, v37, s2 dst_sel:DWORD dst_unused:UNUSED_PAD src0_sel:BYTE_0 src1_sel:DWORD
	v_lshrrev_b16_e32 v0, 11, v0
	v_lshrrev_b16_e32 v1, 11, v1
	v_mul_lo_u16_e32 v0, 10, v0
	v_mul_lo_u16_e32 v1, 10, v1
	v_sub_u16_e32 v0, v31, v0
	v_sub_u16_e32 v1, v37, v1
	v_add_u16_e32 v0, v1, v0
	v_add_u16_e32 v1, -10, v0
	v_min_u16_sdwa v37, v0, v1 dst_sel:DWORD dst_unused:UNUSED_PAD src0_sel:BYTE_0 src1_sel:BYTE_0
	s_or_b64 exec, exec, s[0:1]
	s_and_saveexec_b64 s[0:1], s[90:91]
	s_cbranch_execz .LBB666_1093
.LBB666_1267:
	v_lshrrev_b32_e32 v0, 8, v31
	s_movk_i32 s2, 0xcd
	v_mul_lo_u16_sdwa v1, v0, s2 dst_sel:DWORD dst_unused:UNUSED_PAD src0_sel:BYTE_0 src1_sel:DWORD
	v_lshrrev_b16_e32 v1, 11, v1
	v_mul_lo_u16_e32 v1, 10, v1
	v_sub_u16_e32 v0, v0, v1
	v_mul_lo_u16_sdwa v1, v37, s2 dst_sel:DWORD dst_unused:UNUSED_PAD src0_sel:BYTE_0 src1_sel:DWORD
	v_lshrrev_b16_e32 v1, 11, v1
	v_mul_lo_u16_e32 v1, 10, v1
	v_sub_u16_e32 v1, v37, v1
	v_add_u16_e32 v0, v1, v0
	v_add_u16_e32 v1, -10, v0
	v_min_u16_sdwa v37, v0, v1 dst_sel:DWORD dst_unused:UNUSED_PAD src0_sel:BYTE_0 src1_sel:BYTE_0
	s_or_b64 exec, exec, s[0:1]
	s_and_saveexec_b64 s[0:1], s[92:93]
	s_cbranch_execz .LBB666_1094
.LBB666_1268:
	s_movk_i32 s2, 0xff
	v_and_b32_sdwa v0, v31, s2 dst_sel:DWORD dst_unused:UNUSED_PAD src0_sel:WORD_1 src1_sel:DWORD
	s_movk_i32 s2, 0xcd
	v_mul_lo_u16_e32 v0, 0xcd, v0
	v_mul_lo_u16_sdwa v1, v37, s2 dst_sel:DWORD dst_unused:UNUSED_PAD src0_sel:BYTE_0 src1_sel:DWORD
	v_lshrrev_b16_e32 v0, 11, v0
	v_lshrrev_b16_e32 v1, 11, v1
	v_mul_lo_u16_e32 v0, 10, v0
	v_mul_lo_u16_e32 v1, 10, v1
	v_sub_u16_sdwa v0, v31, v0 dst_sel:DWORD dst_unused:UNUSED_PAD src0_sel:WORD_1 src1_sel:DWORD
	v_sub_u16_e32 v1, v37, v1
	v_add_u16_e32 v0, v1, v0
	v_add_u16_e32 v1, -10, v0
	v_min_u16_sdwa v37, v0, v1 dst_sel:DWORD dst_unused:UNUSED_PAD src0_sel:BYTE_0 src1_sel:BYTE_0
	s_or_b64 exec, exec, s[0:1]
	s_and_saveexec_b64 s[0:1], vcc
	s_cbranch_execnz .LBB666_1095
	s_branch .LBB666_1096
.Lfunc_end666:
	.size	_ZN7rocprim17ROCPRIM_400000_NS6detail18constexpr_for_implIZZNS1_11reduce_implILb1ENS0_14default_configEPhS5_h11plus_mod_10IhEEE10hipError_tPvRmT1_T2_T3_mT4_P12ihipStream_tbENUlT_E1_clINS1_13target_configIS4_NS1_22reduce_config_selectorIhEENS1_11comp_targetILNS1_3genE0ELNS1_11target_archE4294967295ELNS1_3gpuE0ELNS1_3repE0EEELNS0_4arch9wavefront6targetE1EEEEEDaSH_EUlSH_E_TnDaLi0ETnDaLi1EJLm0ELm1ELm2ELm3ELm4ELm5ELm6ELm7EEEEvOSH_St16integer_sequenceImJXspT2_EEE, .Lfunc_end666-_ZN7rocprim17ROCPRIM_400000_NS6detail18constexpr_for_implIZZNS1_11reduce_implILb1ENS0_14default_configEPhS5_h11plus_mod_10IhEEE10hipError_tPvRmT1_T2_T3_mT4_P12ihipStream_tbENUlT_E1_clINS1_13target_configIS4_NS1_22reduce_config_selectorIhEENS1_11comp_targetILNS1_3genE0ELNS1_11target_archE4294967295ELNS1_3gpuE0ELNS1_3repE0EEELNS0_4arch9wavefront6targetE1EEEEEDaSH_EUlSH_E_TnDaLi0ETnDaLi1EJLm0ELm1ELm2ELm3ELm4ELm5ELm6ELm7EEEEvOSH_St16integer_sequenceImJXspT2_EEE
                                        ; -- End function
	.set .L_ZN7rocprim17ROCPRIM_400000_NS6detail18constexpr_for_implIZZNS1_11reduce_implILb1ENS0_14default_configEPhS5_h11plus_mod_10IhEEE10hipError_tPvRmT1_T2_T3_mT4_P12ihipStream_tbENUlT_E1_clINS1_13target_configIS4_NS1_22reduce_config_selectorIhEENS1_11comp_targetILNS1_3genE0ELNS1_11target_archE4294967295ELNS1_3gpuE0ELNS1_3repE0EEELNS0_4arch9wavefront6targetE1EEEEEDaSH_EUlSH_E_TnDaLi0ETnDaLi1EJLm0ELm1ELm2ELm3ELm4ELm5ELm6ELm7EEEEvOSH_St16integer_sequenceImJXspT2_EEE.num_vgpr, 232
	.set .L_ZN7rocprim17ROCPRIM_400000_NS6detail18constexpr_for_implIZZNS1_11reduce_implILb1ENS0_14default_configEPhS5_h11plus_mod_10IhEEE10hipError_tPvRmT1_T2_T3_mT4_P12ihipStream_tbENUlT_E1_clINS1_13target_configIS4_NS1_22reduce_config_selectorIhEENS1_11comp_targetILNS1_3genE0ELNS1_11target_archE4294967295ELNS1_3gpuE0ELNS1_3repE0EEELNS0_4arch9wavefront6targetE1EEEEEDaSH_EUlSH_E_TnDaLi0ETnDaLi1EJLm0ELm1ELm2ELm3ELm4ELm5ELm6ELm7EEEEvOSH_St16integer_sequenceImJXspT2_EEE.num_agpr, 32
	.set .L_ZN7rocprim17ROCPRIM_400000_NS6detail18constexpr_for_implIZZNS1_11reduce_implILb1ENS0_14default_configEPhS5_h11plus_mod_10IhEEE10hipError_tPvRmT1_T2_T3_mT4_P12ihipStream_tbENUlT_E1_clINS1_13target_configIS4_NS1_22reduce_config_selectorIhEENS1_11comp_targetILNS1_3genE0ELNS1_11target_archE4294967295ELNS1_3gpuE0ELNS1_3repE0EEELNS0_4arch9wavefront6targetE1EEEEEDaSH_EUlSH_E_TnDaLi0ETnDaLi1EJLm0ELm1ELm2ELm3ELm4ELm5ELm6ELm7EEEEvOSH_St16integer_sequenceImJXspT2_EEE.numbered_sgpr, 100
	.set .L_ZN7rocprim17ROCPRIM_400000_NS6detail18constexpr_for_implIZZNS1_11reduce_implILb1ENS0_14default_configEPhS5_h11plus_mod_10IhEEE10hipError_tPvRmT1_T2_T3_mT4_P12ihipStream_tbENUlT_E1_clINS1_13target_configIS4_NS1_22reduce_config_selectorIhEENS1_11comp_targetILNS1_3genE0ELNS1_11target_archE4294967295ELNS1_3gpuE0ELNS1_3repE0EEELNS0_4arch9wavefront6targetE1EEEEEDaSH_EUlSH_E_TnDaLi0ETnDaLi1EJLm0ELm1ELm2ELm3ELm4ELm5ELm6ELm7EEEEvOSH_St16integer_sequenceImJXspT2_EEE.num_named_barrier, 0
	.set .L_ZN7rocprim17ROCPRIM_400000_NS6detail18constexpr_for_implIZZNS1_11reduce_implILb1ENS0_14default_configEPhS5_h11plus_mod_10IhEEE10hipError_tPvRmT1_T2_T3_mT4_P12ihipStream_tbENUlT_E1_clINS1_13target_configIS4_NS1_22reduce_config_selectorIhEENS1_11comp_targetILNS1_3genE0ELNS1_11target_archE4294967295ELNS1_3gpuE0ELNS1_3repE0EEELNS0_4arch9wavefront6targetE1EEEEEDaSH_EUlSH_E_TnDaLi0ETnDaLi1EJLm0ELm1ELm2ELm3ELm4ELm5ELm6ELm7EEEEvOSH_St16integer_sequenceImJXspT2_EEE.private_seg_size, 20
	.set .L_ZN7rocprim17ROCPRIM_400000_NS6detail18constexpr_for_implIZZNS1_11reduce_implILb1ENS0_14default_configEPhS5_h11plus_mod_10IhEEE10hipError_tPvRmT1_T2_T3_mT4_P12ihipStream_tbENUlT_E1_clINS1_13target_configIS4_NS1_22reduce_config_selectorIhEENS1_11comp_targetILNS1_3genE0ELNS1_11target_archE4294967295ELNS1_3gpuE0ELNS1_3repE0EEELNS0_4arch9wavefront6targetE1EEEEEDaSH_EUlSH_E_TnDaLi0ETnDaLi1EJLm0ELm1ELm2ELm3ELm4ELm5ELm6ELm7EEEEvOSH_St16integer_sequenceImJXspT2_EEE.uses_vcc, 1
	.set .L_ZN7rocprim17ROCPRIM_400000_NS6detail18constexpr_for_implIZZNS1_11reduce_implILb1ENS0_14default_configEPhS5_h11plus_mod_10IhEEE10hipError_tPvRmT1_T2_T3_mT4_P12ihipStream_tbENUlT_E1_clINS1_13target_configIS4_NS1_22reduce_config_selectorIhEENS1_11comp_targetILNS1_3genE0ELNS1_11target_archE4294967295ELNS1_3gpuE0ELNS1_3repE0EEELNS0_4arch9wavefront6targetE1EEEEEDaSH_EUlSH_E_TnDaLi0ETnDaLi1EJLm0ELm1ELm2ELm3ELm4ELm5ELm6ELm7EEEEvOSH_St16integer_sequenceImJXspT2_EEE.uses_flat_scratch, 0
	.set .L_ZN7rocprim17ROCPRIM_400000_NS6detail18constexpr_for_implIZZNS1_11reduce_implILb1ENS0_14default_configEPhS5_h11plus_mod_10IhEEE10hipError_tPvRmT1_T2_T3_mT4_P12ihipStream_tbENUlT_E1_clINS1_13target_configIS4_NS1_22reduce_config_selectorIhEENS1_11comp_targetILNS1_3genE0ELNS1_11target_archE4294967295ELNS1_3gpuE0ELNS1_3repE0EEELNS0_4arch9wavefront6targetE1EEEEEDaSH_EUlSH_E_TnDaLi0ETnDaLi1EJLm0ELm1ELm2ELm3ELm4ELm5ELm6ELm7EEEEvOSH_St16integer_sequenceImJXspT2_EEE.has_dyn_sized_stack, 0
	.set .L_ZN7rocprim17ROCPRIM_400000_NS6detail18constexpr_for_implIZZNS1_11reduce_implILb1ENS0_14default_configEPhS5_h11plus_mod_10IhEEE10hipError_tPvRmT1_T2_T3_mT4_P12ihipStream_tbENUlT_E1_clINS1_13target_configIS4_NS1_22reduce_config_selectorIhEENS1_11comp_targetILNS1_3genE0ELNS1_11target_archE4294967295ELNS1_3gpuE0ELNS1_3repE0EEELNS0_4arch9wavefront6targetE1EEEEEDaSH_EUlSH_E_TnDaLi0ETnDaLi1EJLm0ELm1ELm2ELm3ELm4ELm5ELm6ELm7EEEEvOSH_St16integer_sequenceImJXspT2_EEE.has_recursion, 0
	.set .L_ZN7rocprim17ROCPRIM_400000_NS6detail18constexpr_for_implIZZNS1_11reduce_implILb1ENS0_14default_configEPhS5_h11plus_mod_10IhEEE10hipError_tPvRmT1_T2_T3_mT4_P12ihipStream_tbENUlT_E1_clINS1_13target_configIS4_NS1_22reduce_config_selectorIhEENS1_11comp_targetILNS1_3genE0ELNS1_11target_archE4294967295ELNS1_3gpuE0ELNS1_3repE0EEELNS0_4arch9wavefront6targetE1EEEEEDaSH_EUlSH_E_TnDaLi0ETnDaLi1EJLm0ELm1ELm2ELm3ELm4ELm5ELm6ELm7EEEEvOSH_St16integer_sequenceImJXspT2_EEE.has_indirect_call, 0
	.section	.AMDGPU.csdata,"",@progbits
; Function info:
; codeLenInByte = 77272
; TotalNumSgprs: 106
; NumVgprs: 232
; NumAgprs: 32
; TotalNumVgprs: 264
; ScratchSize: 20
; MemoryBound: 0
	.section	.text._ZN7rocprim17ROCPRIM_400000_NS6detail17trampoline_kernelINS0_14default_configENS1_22reduce_config_selectorIhEEZNS1_11reduce_implILb1ES3_PhS7_h11plus_mod_10IhEEE10hipError_tPvRmT1_T2_T3_mT4_P12ihipStream_tbEUlT_E1_NS1_11comp_targetILNS1_3genE0ELNS1_11target_archE4294967295ELNS1_3gpuE0ELNS1_3repE0EEENS1_30default_config_static_selectorELNS0_4arch9wavefront6targetE1EEEvSD_,"axG",@progbits,_ZN7rocprim17ROCPRIM_400000_NS6detail17trampoline_kernelINS0_14default_configENS1_22reduce_config_selectorIhEEZNS1_11reduce_implILb1ES3_PhS7_h11plus_mod_10IhEEE10hipError_tPvRmT1_T2_T3_mT4_P12ihipStream_tbEUlT_E1_NS1_11comp_targetILNS1_3genE0ELNS1_11target_archE4294967295ELNS1_3gpuE0ELNS1_3repE0EEENS1_30default_config_static_selectorELNS0_4arch9wavefront6targetE1EEEvSD_,comdat
	.protected	_ZN7rocprim17ROCPRIM_400000_NS6detail17trampoline_kernelINS0_14default_configENS1_22reduce_config_selectorIhEEZNS1_11reduce_implILb1ES3_PhS7_h11plus_mod_10IhEEE10hipError_tPvRmT1_T2_T3_mT4_P12ihipStream_tbEUlT_E1_NS1_11comp_targetILNS1_3genE0ELNS1_11target_archE4294967295ELNS1_3gpuE0ELNS1_3repE0EEENS1_30default_config_static_selectorELNS0_4arch9wavefront6targetE1EEEvSD_ ; -- Begin function _ZN7rocprim17ROCPRIM_400000_NS6detail17trampoline_kernelINS0_14default_configENS1_22reduce_config_selectorIhEEZNS1_11reduce_implILb1ES3_PhS7_h11plus_mod_10IhEEE10hipError_tPvRmT1_T2_T3_mT4_P12ihipStream_tbEUlT_E1_NS1_11comp_targetILNS1_3genE0ELNS1_11target_archE4294967295ELNS1_3gpuE0ELNS1_3repE0EEENS1_30default_config_static_selectorELNS0_4arch9wavefront6targetE1EEEvSD_
	.globl	_ZN7rocprim17ROCPRIM_400000_NS6detail17trampoline_kernelINS0_14default_configENS1_22reduce_config_selectorIhEEZNS1_11reduce_implILb1ES3_PhS7_h11plus_mod_10IhEEE10hipError_tPvRmT1_T2_T3_mT4_P12ihipStream_tbEUlT_E1_NS1_11comp_targetILNS1_3genE0ELNS1_11target_archE4294967295ELNS1_3gpuE0ELNS1_3repE0EEENS1_30default_config_static_selectorELNS0_4arch9wavefront6targetE1EEEvSD_
	.p2align	8
	.type	_ZN7rocprim17ROCPRIM_400000_NS6detail17trampoline_kernelINS0_14default_configENS1_22reduce_config_selectorIhEEZNS1_11reduce_implILb1ES3_PhS7_h11plus_mod_10IhEEE10hipError_tPvRmT1_T2_T3_mT4_P12ihipStream_tbEUlT_E1_NS1_11comp_targetILNS1_3genE0ELNS1_11target_archE4294967295ELNS1_3gpuE0ELNS1_3repE0EEENS1_30default_config_static_selectorELNS0_4arch9wavefront6targetE1EEEvSD_,@function
_ZN7rocprim17ROCPRIM_400000_NS6detail17trampoline_kernelINS0_14default_configENS1_22reduce_config_selectorIhEEZNS1_11reduce_implILb1ES3_PhS7_h11plus_mod_10IhEEE10hipError_tPvRmT1_T2_T3_mT4_P12ihipStream_tbEUlT_E1_NS1_11comp_targetILNS1_3genE0ELNS1_11target_archE4294967295ELNS1_3gpuE0ELNS1_3repE0EEENS1_30default_config_static_selectorELNS0_4arch9wavefront6targetE1EEEvSD_: ; @_ZN7rocprim17ROCPRIM_400000_NS6detail17trampoline_kernelINS0_14default_configENS1_22reduce_config_selectorIhEEZNS1_11reduce_implILb1ES3_PhS7_h11plus_mod_10IhEEE10hipError_tPvRmT1_T2_T3_mT4_P12ihipStream_tbEUlT_E1_NS1_11comp_targetILNS1_3genE0ELNS1_11target_archE4294967295ELNS1_3gpuE0ELNS1_3repE0EEENS1_30default_config_static_selectorELNS0_4arch9wavefront6targetE1EEEvSD_
; %bb.0:
	s_load_dwordx8 s[4:11], s[0:1], 0x0
	s_load_dwordx4 s[12:15], s[0:1], 0x18
	s_mov_b64 s[16:17], src_private_base
	s_add_u32 s3, 0, 56
	v_mov_b32_e32 v31, v0
	s_waitcnt lgkmcnt(0)
	v_mov_b64_e32 v[2:3], s[4:5]
	v_mov_b64_e32 v[4:5], s[6:7]
	scratch_store_dwordx4 off, v[2:5], off offset:48
	s_addc_u32 s4, s17, 0
	v_mov_b32_e32 v0, 0
	v_mov_b64_e32 v[2:3], s[8:9]
	v_mov_b64_e32 v[4:5], s[10:11]
	scratch_store_dwordx4 off, v[2:5], off offset:64
	v_mov_b32_e32 v1, s17
	s_movk_i32 s32, 0x60
	v_mov_b64_e32 v[2:3], s[12:13]
	v_mov_b64_e32 v[4:5], s[14:15]
	scratch_store_dwordx4 off, v[2:5], off offset:72
	s_mov_b32 s12, s2
	s_nop 0
	v_mov_b32_e32 v4, s3
	s_add_u32 s3, 0, 64
	v_mov_b32_e32 v5, s4
	s_addc_u32 s4, s17, 0
	s_add_u32 s5, 0, 0x48
	v_or_b32_e64 v2, 48, 4
	v_mov_b32_e32 v3, s17
	s_addc_u32 s6, s17, 0
	scratch_store_dwordx4 off, v[2:5], off
	s_nop 1
	v_mov_b32_e32 v2, s3
	s_add_u32 s3, 0, 0x50
	v_mov_b32_e32 v3, s4
	s_addc_u32 s4, s17, 0
	v_mov_b32_e32 v4, s5
	s_add_u32 s5, 0, 0x51
	v_mov_b32_e32 v5, s6
	s_addc_u32 s6, s17, 0
	s_add_u32 s8, s0, 40
	s_addc_u32 s9, s1, 0
	scratch_store_dwordx4 off, v[2:5], off offset:16
	s_getpc_b64 s[0:1]
	s_add_u32 s0, s0, _ZN7rocprim17ROCPRIM_400000_NS6detail18constexpr_for_implIZZNS1_11reduce_implILb1ENS0_14default_configEPhS5_h11plus_mod_10IhEEE10hipError_tPvRmT1_T2_T3_mT4_P12ihipStream_tbENUlT_E1_clINS1_13target_configIS4_NS1_22reduce_config_selectorIhEENS1_11comp_targetILNS1_3genE0ELNS1_11target_archE4294967295ELNS1_3gpuE0ELNS1_3repE0EEELNS0_4arch9wavefront6targetE1EEEEEDaSH_EUlSH_E_TnDaLi0ETnDaLi1EJLm0ELm1ELm2ELm3ELm4ELm5ELm6ELm7EEEEvOSH_St16integer_sequenceImJXspT2_EEE@rel32@lo+4
	s_addc_u32 s1, s1, _ZN7rocprim17ROCPRIM_400000_NS6detail18constexpr_for_implIZZNS1_11reduce_implILb1ENS0_14default_configEPhS5_h11plus_mod_10IhEEE10hipError_tPvRmT1_T2_T3_mT4_P12ihipStream_tbENUlT_E1_clINS1_13target_configIS4_NS1_22reduce_config_selectorIhEENS1_11comp_targetILNS1_3genE0ELNS1_11target_archE4294967295ELNS1_3gpuE0ELNS1_3repE0EEELNS0_4arch9wavefront6targetE1EEEEEDaSH_EUlSH_E_TnDaLi0ETnDaLi1EJLm0ELm1ELm2ELm3ELm4ELm5ELm6ELm7EEEEvOSH_St16integer_sequenceImJXspT2_EEE@rel32@hi+12
	v_mov_b32_e32 v2, s3
	v_mov_b32_e32 v3, s4
	;; [unrolled: 1-line block ×4, first 2 shown]
	scratch_store_dwordx4 off, v[2:5], off offset:32
	s_swappc_b64 s[30:31], s[0:1]
	s_endpgm
	.section	.rodata,"a",@progbits
	.p2align	6, 0x0
	.amdhsa_kernel _ZN7rocprim17ROCPRIM_400000_NS6detail17trampoline_kernelINS0_14default_configENS1_22reduce_config_selectorIhEEZNS1_11reduce_implILb1ES3_PhS7_h11plus_mod_10IhEEE10hipError_tPvRmT1_T2_T3_mT4_P12ihipStream_tbEUlT_E1_NS1_11comp_targetILNS1_3genE0ELNS1_11target_archE4294967295ELNS1_3gpuE0ELNS1_3repE0EEENS1_30default_config_static_selectorELNS0_4arch9wavefront6targetE1EEEvSD_
		.amdhsa_group_segment_fixed_size 36
		.amdhsa_private_segment_fixed_size 116
		.amdhsa_kernarg_size 296
		.amdhsa_user_sgpr_count 2
		.amdhsa_user_sgpr_dispatch_ptr 0
		.amdhsa_user_sgpr_queue_ptr 0
		.amdhsa_user_sgpr_kernarg_segment_ptr 1
		.amdhsa_user_sgpr_dispatch_id 0
		.amdhsa_user_sgpr_kernarg_preload_length 0
		.amdhsa_user_sgpr_kernarg_preload_offset 0
		.amdhsa_user_sgpr_private_segment_size 0
		.amdhsa_uses_dynamic_stack 0
		.amdhsa_enable_private_segment 1
		.amdhsa_system_sgpr_workgroup_id_x 1
		.amdhsa_system_sgpr_workgroup_id_y 0
		.amdhsa_system_sgpr_workgroup_id_z 0
		.amdhsa_system_sgpr_workgroup_info 0
		.amdhsa_system_vgpr_workitem_id 0
		.amdhsa_next_free_vgpr 264
		.amdhsa_next_free_sgpr 100
		.amdhsa_accum_offset 232
		.amdhsa_reserve_vcc 1
		.amdhsa_float_round_mode_32 0
		.amdhsa_float_round_mode_16_64 0
		.amdhsa_float_denorm_mode_32 3
		.amdhsa_float_denorm_mode_16_64 3
		.amdhsa_dx10_clamp 1
		.amdhsa_ieee_mode 1
		.amdhsa_fp16_overflow 0
		.amdhsa_tg_split 0
		.amdhsa_exception_fp_ieee_invalid_op 0
		.amdhsa_exception_fp_denorm_src 0
		.amdhsa_exception_fp_ieee_div_zero 0
		.amdhsa_exception_fp_ieee_overflow 0
		.amdhsa_exception_fp_ieee_underflow 0
		.amdhsa_exception_fp_ieee_inexact 0
		.amdhsa_exception_int_div_zero 0
	.end_amdhsa_kernel
	.section	.text._ZN7rocprim17ROCPRIM_400000_NS6detail17trampoline_kernelINS0_14default_configENS1_22reduce_config_selectorIhEEZNS1_11reduce_implILb1ES3_PhS7_h11plus_mod_10IhEEE10hipError_tPvRmT1_T2_T3_mT4_P12ihipStream_tbEUlT_E1_NS1_11comp_targetILNS1_3genE0ELNS1_11target_archE4294967295ELNS1_3gpuE0ELNS1_3repE0EEENS1_30default_config_static_selectorELNS0_4arch9wavefront6targetE1EEEvSD_,"axG",@progbits,_ZN7rocprim17ROCPRIM_400000_NS6detail17trampoline_kernelINS0_14default_configENS1_22reduce_config_selectorIhEEZNS1_11reduce_implILb1ES3_PhS7_h11plus_mod_10IhEEE10hipError_tPvRmT1_T2_T3_mT4_P12ihipStream_tbEUlT_E1_NS1_11comp_targetILNS1_3genE0ELNS1_11target_archE4294967295ELNS1_3gpuE0ELNS1_3repE0EEENS1_30default_config_static_selectorELNS0_4arch9wavefront6targetE1EEEvSD_,comdat
.Lfunc_end667:
	.size	_ZN7rocprim17ROCPRIM_400000_NS6detail17trampoline_kernelINS0_14default_configENS1_22reduce_config_selectorIhEEZNS1_11reduce_implILb1ES3_PhS7_h11plus_mod_10IhEEE10hipError_tPvRmT1_T2_T3_mT4_P12ihipStream_tbEUlT_E1_NS1_11comp_targetILNS1_3genE0ELNS1_11target_archE4294967295ELNS1_3gpuE0ELNS1_3repE0EEENS1_30default_config_static_selectorELNS0_4arch9wavefront6targetE1EEEvSD_, .Lfunc_end667-_ZN7rocprim17ROCPRIM_400000_NS6detail17trampoline_kernelINS0_14default_configENS1_22reduce_config_selectorIhEEZNS1_11reduce_implILb1ES3_PhS7_h11plus_mod_10IhEEE10hipError_tPvRmT1_T2_T3_mT4_P12ihipStream_tbEUlT_E1_NS1_11comp_targetILNS1_3genE0ELNS1_11target_archE4294967295ELNS1_3gpuE0ELNS1_3repE0EEENS1_30default_config_static_selectorELNS0_4arch9wavefront6targetE1EEEvSD_
                                        ; -- End function
	.set _ZN7rocprim17ROCPRIM_400000_NS6detail17trampoline_kernelINS0_14default_configENS1_22reduce_config_selectorIhEEZNS1_11reduce_implILb1ES3_PhS7_h11plus_mod_10IhEEE10hipError_tPvRmT1_T2_T3_mT4_P12ihipStream_tbEUlT_E1_NS1_11comp_targetILNS1_3genE0ELNS1_11target_archE4294967295ELNS1_3gpuE0ELNS1_3repE0EEENS1_30default_config_static_selectorELNS0_4arch9wavefront6targetE1EEEvSD_.num_vgpr, max(32, .L_ZN7rocprim17ROCPRIM_400000_NS6detail18constexpr_for_implIZZNS1_11reduce_implILb1ENS0_14default_configEPhS5_h11plus_mod_10IhEEE10hipError_tPvRmT1_T2_T3_mT4_P12ihipStream_tbENUlT_E1_clINS1_13target_configIS4_NS1_22reduce_config_selectorIhEENS1_11comp_targetILNS1_3genE0ELNS1_11target_archE4294967295ELNS1_3gpuE0ELNS1_3repE0EEELNS0_4arch9wavefront6targetE1EEEEEDaSH_EUlSH_E_TnDaLi0ETnDaLi1EJLm0ELm1ELm2ELm3ELm4ELm5ELm6ELm7EEEEvOSH_St16integer_sequenceImJXspT2_EEE.num_vgpr)
	.set _ZN7rocprim17ROCPRIM_400000_NS6detail17trampoline_kernelINS0_14default_configENS1_22reduce_config_selectorIhEEZNS1_11reduce_implILb1ES3_PhS7_h11plus_mod_10IhEEE10hipError_tPvRmT1_T2_T3_mT4_P12ihipStream_tbEUlT_E1_NS1_11comp_targetILNS1_3genE0ELNS1_11target_archE4294967295ELNS1_3gpuE0ELNS1_3repE0EEENS1_30default_config_static_selectorELNS0_4arch9wavefront6targetE1EEEvSD_.num_agpr, max(0, .L_ZN7rocprim17ROCPRIM_400000_NS6detail18constexpr_for_implIZZNS1_11reduce_implILb1ENS0_14default_configEPhS5_h11plus_mod_10IhEEE10hipError_tPvRmT1_T2_T3_mT4_P12ihipStream_tbENUlT_E1_clINS1_13target_configIS4_NS1_22reduce_config_selectorIhEENS1_11comp_targetILNS1_3genE0ELNS1_11target_archE4294967295ELNS1_3gpuE0ELNS1_3repE0EEELNS0_4arch9wavefront6targetE1EEEEEDaSH_EUlSH_E_TnDaLi0ETnDaLi1EJLm0ELm1ELm2ELm3ELm4ELm5ELm6ELm7EEEEvOSH_St16integer_sequenceImJXspT2_EEE.num_agpr)
	.set _ZN7rocprim17ROCPRIM_400000_NS6detail17trampoline_kernelINS0_14default_configENS1_22reduce_config_selectorIhEEZNS1_11reduce_implILb1ES3_PhS7_h11plus_mod_10IhEEE10hipError_tPvRmT1_T2_T3_mT4_P12ihipStream_tbEUlT_E1_NS1_11comp_targetILNS1_3genE0ELNS1_11target_archE4294967295ELNS1_3gpuE0ELNS1_3repE0EEENS1_30default_config_static_selectorELNS0_4arch9wavefront6targetE1EEEvSD_.numbered_sgpr, max(33, .L_ZN7rocprim17ROCPRIM_400000_NS6detail18constexpr_for_implIZZNS1_11reduce_implILb1ENS0_14default_configEPhS5_h11plus_mod_10IhEEE10hipError_tPvRmT1_T2_T3_mT4_P12ihipStream_tbENUlT_E1_clINS1_13target_configIS4_NS1_22reduce_config_selectorIhEENS1_11comp_targetILNS1_3genE0ELNS1_11target_archE4294967295ELNS1_3gpuE0ELNS1_3repE0EEELNS0_4arch9wavefront6targetE1EEEEEDaSH_EUlSH_E_TnDaLi0ETnDaLi1EJLm0ELm1ELm2ELm3ELm4ELm5ELm6ELm7EEEEvOSH_St16integer_sequenceImJXspT2_EEE.numbered_sgpr)
	.set _ZN7rocprim17ROCPRIM_400000_NS6detail17trampoline_kernelINS0_14default_configENS1_22reduce_config_selectorIhEEZNS1_11reduce_implILb1ES3_PhS7_h11plus_mod_10IhEEE10hipError_tPvRmT1_T2_T3_mT4_P12ihipStream_tbEUlT_E1_NS1_11comp_targetILNS1_3genE0ELNS1_11target_archE4294967295ELNS1_3gpuE0ELNS1_3repE0EEENS1_30default_config_static_selectorELNS0_4arch9wavefront6targetE1EEEvSD_.num_named_barrier, max(0, .L_ZN7rocprim17ROCPRIM_400000_NS6detail18constexpr_for_implIZZNS1_11reduce_implILb1ENS0_14default_configEPhS5_h11plus_mod_10IhEEE10hipError_tPvRmT1_T2_T3_mT4_P12ihipStream_tbENUlT_E1_clINS1_13target_configIS4_NS1_22reduce_config_selectorIhEENS1_11comp_targetILNS1_3genE0ELNS1_11target_archE4294967295ELNS1_3gpuE0ELNS1_3repE0EEELNS0_4arch9wavefront6targetE1EEEEEDaSH_EUlSH_E_TnDaLi0ETnDaLi1EJLm0ELm1ELm2ELm3ELm4ELm5ELm6ELm7EEEEvOSH_St16integer_sequenceImJXspT2_EEE.num_named_barrier)
	.set _ZN7rocprim17ROCPRIM_400000_NS6detail17trampoline_kernelINS0_14default_configENS1_22reduce_config_selectorIhEEZNS1_11reduce_implILb1ES3_PhS7_h11plus_mod_10IhEEE10hipError_tPvRmT1_T2_T3_mT4_P12ihipStream_tbEUlT_E1_NS1_11comp_targetILNS1_3genE0ELNS1_11target_archE4294967295ELNS1_3gpuE0ELNS1_3repE0EEENS1_30default_config_static_selectorELNS0_4arch9wavefront6targetE1EEEvSD_.private_seg_size, 96+max(.L_ZN7rocprim17ROCPRIM_400000_NS6detail18constexpr_for_implIZZNS1_11reduce_implILb1ENS0_14default_configEPhS5_h11plus_mod_10IhEEE10hipError_tPvRmT1_T2_T3_mT4_P12ihipStream_tbENUlT_E1_clINS1_13target_configIS4_NS1_22reduce_config_selectorIhEENS1_11comp_targetILNS1_3genE0ELNS1_11target_archE4294967295ELNS1_3gpuE0ELNS1_3repE0EEELNS0_4arch9wavefront6targetE1EEEEEDaSH_EUlSH_E_TnDaLi0ETnDaLi1EJLm0ELm1ELm2ELm3ELm4ELm5ELm6ELm7EEEEvOSH_St16integer_sequenceImJXspT2_EEE.private_seg_size)
	.set _ZN7rocprim17ROCPRIM_400000_NS6detail17trampoline_kernelINS0_14default_configENS1_22reduce_config_selectorIhEEZNS1_11reduce_implILb1ES3_PhS7_h11plus_mod_10IhEEE10hipError_tPvRmT1_T2_T3_mT4_P12ihipStream_tbEUlT_E1_NS1_11comp_targetILNS1_3genE0ELNS1_11target_archE4294967295ELNS1_3gpuE0ELNS1_3repE0EEENS1_30default_config_static_selectorELNS0_4arch9wavefront6targetE1EEEvSD_.uses_vcc, or(1, .L_ZN7rocprim17ROCPRIM_400000_NS6detail18constexpr_for_implIZZNS1_11reduce_implILb1ENS0_14default_configEPhS5_h11plus_mod_10IhEEE10hipError_tPvRmT1_T2_T3_mT4_P12ihipStream_tbENUlT_E1_clINS1_13target_configIS4_NS1_22reduce_config_selectorIhEENS1_11comp_targetILNS1_3genE0ELNS1_11target_archE4294967295ELNS1_3gpuE0ELNS1_3repE0EEELNS0_4arch9wavefront6targetE1EEEEEDaSH_EUlSH_E_TnDaLi0ETnDaLi1EJLm0ELm1ELm2ELm3ELm4ELm5ELm6ELm7EEEEvOSH_St16integer_sequenceImJXspT2_EEE.uses_vcc)
	.set _ZN7rocprim17ROCPRIM_400000_NS6detail17trampoline_kernelINS0_14default_configENS1_22reduce_config_selectorIhEEZNS1_11reduce_implILb1ES3_PhS7_h11plus_mod_10IhEEE10hipError_tPvRmT1_T2_T3_mT4_P12ihipStream_tbEUlT_E1_NS1_11comp_targetILNS1_3genE0ELNS1_11target_archE4294967295ELNS1_3gpuE0ELNS1_3repE0EEENS1_30default_config_static_selectorELNS0_4arch9wavefront6targetE1EEEvSD_.uses_flat_scratch, or(0, .L_ZN7rocprim17ROCPRIM_400000_NS6detail18constexpr_for_implIZZNS1_11reduce_implILb1ENS0_14default_configEPhS5_h11plus_mod_10IhEEE10hipError_tPvRmT1_T2_T3_mT4_P12ihipStream_tbENUlT_E1_clINS1_13target_configIS4_NS1_22reduce_config_selectorIhEENS1_11comp_targetILNS1_3genE0ELNS1_11target_archE4294967295ELNS1_3gpuE0ELNS1_3repE0EEELNS0_4arch9wavefront6targetE1EEEEEDaSH_EUlSH_E_TnDaLi0ETnDaLi1EJLm0ELm1ELm2ELm3ELm4ELm5ELm6ELm7EEEEvOSH_St16integer_sequenceImJXspT2_EEE.uses_flat_scratch)
	.set _ZN7rocprim17ROCPRIM_400000_NS6detail17trampoline_kernelINS0_14default_configENS1_22reduce_config_selectorIhEEZNS1_11reduce_implILb1ES3_PhS7_h11plus_mod_10IhEEE10hipError_tPvRmT1_T2_T3_mT4_P12ihipStream_tbEUlT_E1_NS1_11comp_targetILNS1_3genE0ELNS1_11target_archE4294967295ELNS1_3gpuE0ELNS1_3repE0EEENS1_30default_config_static_selectorELNS0_4arch9wavefront6targetE1EEEvSD_.has_dyn_sized_stack, or(0, .L_ZN7rocprim17ROCPRIM_400000_NS6detail18constexpr_for_implIZZNS1_11reduce_implILb1ENS0_14default_configEPhS5_h11plus_mod_10IhEEE10hipError_tPvRmT1_T2_T3_mT4_P12ihipStream_tbENUlT_E1_clINS1_13target_configIS4_NS1_22reduce_config_selectorIhEENS1_11comp_targetILNS1_3genE0ELNS1_11target_archE4294967295ELNS1_3gpuE0ELNS1_3repE0EEELNS0_4arch9wavefront6targetE1EEEEEDaSH_EUlSH_E_TnDaLi0ETnDaLi1EJLm0ELm1ELm2ELm3ELm4ELm5ELm6ELm7EEEEvOSH_St16integer_sequenceImJXspT2_EEE.has_dyn_sized_stack)
	.set _ZN7rocprim17ROCPRIM_400000_NS6detail17trampoline_kernelINS0_14default_configENS1_22reduce_config_selectorIhEEZNS1_11reduce_implILb1ES3_PhS7_h11plus_mod_10IhEEE10hipError_tPvRmT1_T2_T3_mT4_P12ihipStream_tbEUlT_E1_NS1_11comp_targetILNS1_3genE0ELNS1_11target_archE4294967295ELNS1_3gpuE0ELNS1_3repE0EEENS1_30default_config_static_selectorELNS0_4arch9wavefront6targetE1EEEvSD_.has_recursion, or(0, .L_ZN7rocprim17ROCPRIM_400000_NS6detail18constexpr_for_implIZZNS1_11reduce_implILb1ENS0_14default_configEPhS5_h11plus_mod_10IhEEE10hipError_tPvRmT1_T2_T3_mT4_P12ihipStream_tbENUlT_E1_clINS1_13target_configIS4_NS1_22reduce_config_selectorIhEENS1_11comp_targetILNS1_3genE0ELNS1_11target_archE4294967295ELNS1_3gpuE0ELNS1_3repE0EEELNS0_4arch9wavefront6targetE1EEEEEDaSH_EUlSH_E_TnDaLi0ETnDaLi1EJLm0ELm1ELm2ELm3ELm4ELm5ELm6ELm7EEEEvOSH_St16integer_sequenceImJXspT2_EEE.has_recursion)
	.set _ZN7rocprim17ROCPRIM_400000_NS6detail17trampoline_kernelINS0_14default_configENS1_22reduce_config_selectorIhEEZNS1_11reduce_implILb1ES3_PhS7_h11plus_mod_10IhEEE10hipError_tPvRmT1_T2_T3_mT4_P12ihipStream_tbEUlT_E1_NS1_11comp_targetILNS1_3genE0ELNS1_11target_archE4294967295ELNS1_3gpuE0ELNS1_3repE0EEENS1_30default_config_static_selectorELNS0_4arch9wavefront6targetE1EEEvSD_.has_indirect_call, or(0, .L_ZN7rocprim17ROCPRIM_400000_NS6detail18constexpr_for_implIZZNS1_11reduce_implILb1ENS0_14default_configEPhS5_h11plus_mod_10IhEEE10hipError_tPvRmT1_T2_T3_mT4_P12ihipStream_tbENUlT_E1_clINS1_13target_configIS4_NS1_22reduce_config_selectorIhEENS1_11comp_targetILNS1_3genE0ELNS1_11target_archE4294967295ELNS1_3gpuE0ELNS1_3repE0EEELNS0_4arch9wavefront6targetE1EEEEEDaSH_EUlSH_E_TnDaLi0ETnDaLi1EJLm0ELm1ELm2ELm3ELm4ELm5ELm6ELm7EEEEvOSH_St16integer_sequenceImJXspT2_EEE.has_indirect_call)
	.section	.AMDGPU.csdata,"",@progbits
; Kernel info:
; codeLenInByte = 264
; TotalNumSgprs: 106
; NumVgprs: 232
; NumAgprs: 32
; TotalNumVgprs: 264
; ScratchSize: 116
; MemoryBound: 0
; FloatMode: 240
; IeeeMode: 1
; LDSByteSize: 36 bytes/workgroup (compile time only)
; SGPRBlocks: 13
; VGPRBlocks: 32
; NumSGPRsForWavesPerEU: 106
; NumVGPRsForWavesPerEU: 264
; AccumOffset: 232
; Occupancy: 1
; WaveLimiterHint : 1
; COMPUTE_PGM_RSRC2:SCRATCH_EN: 1
; COMPUTE_PGM_RSRC2:USER_SGPR: 2
; COMPUTE_PGM_RSRC2:TRAP_HANDLER: 0
; COMPUTE_PGM_RSRC2:TGID_X_EN: 1
; COMPUTE_PGM_RSRC2:TGID_Y_EN: 0
; COMPUTE_PGM_RSRC2:TGID_Z_EN: 0
; COMPUTE_PGM_RSRC2:TIDIG_COMP_CNT: 0
; COMPUTE_PGM_RSRC3_GFX90A:ACCUM_OFFSET: 57
; COMPUTE_PGM_RSRC3_GFX90A:TG_SPLIT: 0
	.section	.text._ZN7rocprim17ROCPRIM_400000_NS6detail17trampoline_kernelINS0_14default_configENS1_22reduce_config_selectorIhEEZNS1_11reduce_implILb1ES3_PhS7_h11plus_mod_10IhEEE10hipError_tPvRmT1_T2_T3_mT4_P12ihipStream_tbEUlT_E1_NS1_11comp_targetILNS1_3genE5ELNS1_11target_archE942ELNS1_3gpuE9ELNS1_3repE0EEENS1_30default_config_static_selectorELNS0_4arch9wavefront6targetE1EEEvSD_,"axG",@progbits,_ZN7rocprim17ROCPRIM_400000_NS6detail17trampoline_kernelINS0_14default_configENS1_22reduce_config_selectorIhEEZNS1_11reduce_implILb1ES3_PhS7_h11plus_mod_10IhEEE10hipError_tPvRmT1_T2_T3_mT4_P12ihipStream_tbEUlT_E1_NS1_11comp_targetILNS1_3genE5ELNS1_11target_archE942ELNS1_3gpuE9ELNS1_3repE0EEENS1_30default_config_static_selectorELNS0_4arch9wavefront6targetE1EEEvSD_,comdat
	.protected	_ZN7rocprim17ROCPRIM_400000_NS6detail17trampoline_kernelINS0_14default_configENS1_22reduce_config_selectorIhEEZNS1_11reduce_implILb1ES3_PhS7_h11plus_mod_10IhEEE10hipError_tPvRmT1_T2_T3_mT4_P12ihipStream_tbEUlT_E1_NS1_11comp_targetILNS1_3genE5ELNS1_11target_archE942ELNS1_3gpuE9ELNS1_3repE0EEENS1_30default_config_static_selectorELNS0_4arch9wavefront6targetE1EEEvSD_ ; -- Begin function _ZN7rocprim17ROCPRIM_400000_NS6detail17trampoline_kernelINS0_14default_configENS1_22reduce_config_selectorIhEEZNS1_11reduce_implILb1ES3_PhS7_h11plus_mod_10IhEEE10hipError_tPvRmT1_T2_T3_mT4_P12ihipStream_tbEUlT_E1_NS1_11comp_targetILNS1_3genE5ELNS1_11target_archE942ELNS1_3gpuE9ELNS1_3repE0EEENS1_30default_config_static_selectorELNS0_4arch9wavefront6targetE1EEEvSD_
	.globl	_ZN7rocprim17ROCPRIM_400000_NS6detail17trampoline_kernelINS0_14default_configENS1_22reduce_config_selectorIhEEZNS1_11reduce_implILb1ES3_PhS7_h11plus_mod_10IhEEE10hipError_tPvRmT1_T2_T3_mT4_P12ihipStream_tbEUlT_E1_NS1_11comp_targetILNS1_3genE5ELNS1_11target_archE942ELNS1_3gpuE9ELNS1_3repE0EEENS1_30default_config_static_selectorELNS0_4arch9wavefront6targetE1EEEvSD_
	.p2align	8
	.type	_ZN7rocprim17ROCPRIM_400000_NS6detail17trampoline_kernelINS0_14default_configENS1_22reduce_config_selectorIhEEZNS1_11reduce_implILb1ES3_PhS7_h11plus_mod_10IhEEE10hipError_tPvRmT1_T2_T3_mT4_P12ihipStream_tbEUlT_E1_NS1_11comp_targetILNS1_3genE5ELNS1_11target_archE942ELNS1_3gpuE9ELNS1_3repE0EEENS1_30default_config_static_selectorELNS0_4arch9wavefront6targetE1EEEvSD_,@function
_ZN7rocprim17ROCPRIM_400000_NS6detail17trampoline_kernelINS0_14default_configENS1_22reduce_config_selectorIhEEZNS1_11reduce_implILb1ES3_PhS7_h11plus_mod_10IhEEE10hipError_tPvRmT1_T2_T3_mT4_P12ihipStream_tbEUlT_E1_NS1_11comp_targetILNS1_3genE5ELNS1_11target_archE942ELNS1_3gpuE9ELNS1_3repE0EEENS1_30default_config_static_selectorELNS0_4arch9wavefront6targetE1EEEvSD_: ; @_ZN7rocprim17ROCPRIM_400000_NS6detail17trampoline_kernelINS0_14default_configENS1_22reduce_config_selectorIhEEZNS1_11reduce_implILb1ES3_PhS7_h11plus_mod_10IhEEE10hipError_tPvRmT1_T2_T3_mT4_P12ihipStream_tbEUlT_E1_NS1_11comp_targetILNS1_3genE5ELNS1_11target_archE942ELNS1_3gpuE9ELNS1_3repE0EEENS1_30default_config_static_selectorELNS0_4arch9wavefront6targetE1EEEvSD_
; %bb.0:
	.section	.rodata,"a",@progbits
	.p2align	6, 0x0
	.amdhsa_kernel _ZN7rocprim17ROCPRIM_400000_NS6detail17trampoline_kernelINS0_14default_configENS1_22reduce_config_selectorIhEEZNS1_11reduce_implILb1ES3_PhS7_h11plus_mod_10IhEEE10hipError_tPvRmT1_T2_T3_mT4_P12ihipStream_tbEUlT_E1_NS1_11comp_targetILNS1_3genE5ELNS1_11target_archE942ELNS1_3gpuE9ELNS1_3repE0EEENS1_30default_config_static_selectorELNS0_4arch9wavefront6targetE1EEEvSD_
		.amdhsa_group_segment_fixed_size 0
		.amdhsa_private_segment_fixed_size 0
		.amdhsa_kernarg_size 40
		.amdhsa_user_sgpr_count 2
		.amdhsa_user_sgpr_dispatch_ptr 0
		.amdhsa_user_sgpr_queue_ptr 0
		.amdhsa_user_sgpr_kernarg_segment_ptr 1
		.amdhsa_user_sgpr_dispatch_id 0
		.amdhsa_user_sgpr_kernarg_preload_length 0
		.amdhsa_user_sgpr_kernarg_preload_offset 0
		.amdhsa_user_sgpr_private_segment_size 0
		.amdhsa_uses_dynamic_stack 0
		.amdhsa_enable_private_segment 0
		.amdhsa_system_sgpr_workgroup_id_x 1
		.amdhsa_system_sgpr_workgroup_id_y 0
		.amdhsa_system_sgpr_workgroup_id_z 0
		.amdhsa_system_sgpr_workgroup_info 0
		.amdhsa_system_vgpr_workitem_id 0
		.amdhsa_next_free_vgpr 1
		.amdhsa_next_free_sgpr 0
		.amdhsa_accum_offset 4
		.amdhsa_reserve_vcc 0
		.amdhsa_float_round_mode_32 0
		.amdhsa_float_round_mode_16_64 0
		.amdhsa_float_denorm_mode_32 3
		.amdhsa_float_denorm_mode_16_64 3
		.amdhsa_dx10_clamp 1
		.amdhsa_ieee_mode 1
		.amdhsa_fp16_overflow 0
		.amdhsa_tg_split 0
		.amdhsa_exception_fp_ieee_invalid_op 0
		.amdhsa_exception_fp_denorm_src 0
		.amdhsa_exception_fp_ieee_div_zero 0
		.amdhsa_exception_fp_ieee_overflow 0
		.amdhsa_exception_fp_ieee_underflow 0
		.amdhsa_exception_fp_ieee_inexact 0
		.amdhsa_exception_int_div_zero 0
	.end_amdhsa_kernel
	.section	.text._ZN7rocprim17ROCPRIM_400000_NS6detail17trampoline_kernelINS0_14default_configENS1_22reduce_config_selectorIhEEZNS1_11reduce_implILb1ES3_PhS7_h11plus_mod_10IhEEE10hipError_tPvRmT1_T2_T3_mT4_P12ihipStream_tbEUlT_E1_NS1_11comp_targetILNS1_3genE5ELNS1_11target_archE942ELNS1_3gpuE9ELNS1_3repE0EEENS1_30default_config_static_selectorELNS0_4arch9wavefront6targetE1EEEvSD_,"axG",@progbits,_ZN7rocprim17ROCPRIM_400000_NS6detail17trampoline_kernelINS0_14default_configENS1_22reduce_config_selectorIhEEZNS1_11reduce_implILb1ES3_PhS7_h11plus_mod_10IhEEE10hipError_tPvRmT1_T2_T3_mT4_P12ihipStream_tbEUlT_E1_NS1_11comp_targetILNS1_3genE5ELNS1_11target_archE942ELNS1_3gpuE9ELNS1_3repE0EEENS1_30default_config_static_selectorELNS0_4arch9wavefront6targetE1EEEvSD_,comdat
.Lfunc_end668:
	.size	_ZN7rocprim17ROCPRIM_400000_NS6detail17trampoline_kernelINS0_14default_configENS1_22reduce_config_selectorIhEEZNS1_11reduce_implILb1ES3_PhS7_h11plus_mod_10IhEEE10hipError_tPvRmT1_T2_T3_mT4_P12ihipStream_tbEUlT_E1_NS1_11comp_targetILNS1_3genE5ELNS1_11target_archE942ELNS1_3gpuE9ELNS1_3repE0EEENS1_30default_config_static_selectorELNS0_4arch9wavefront6targetE1EEEvSD_, .Lfunc_end668-_ZN7rocprim17ROCPRIM_400000_NS6detail17trampoline_kernelINS0_14default_configENS1_22reduce_config_selectorIhEEZNS1_11reduce_implILb1ES3_PhS7_h11plus_mod_10IhEEE10hipError_tPvRmT1_T2_T3_mT4_P12ihipStream_tbEUlT_E1_NS1_11comp_targetILNS1_3genE5ELNS1_11target_archE942ELNS1_3gpuE9ELNS1_3repE0EEENS1_30default_config_static_selectorELNS0_4arch9wavefront6targetE1EEEvSD_
                                        ; -- End function
	.set _ZN7rocprim17ROCPRIM_400000_NS6detail17trampoline_kernelINS0_14default_configENS1_22reduce_config_selectorIhEEZNS1_11reduce_implILb1ES3_PhS7_h11plus_mod_10IhEEE10hipError_tPvRmT1_T2_T3_mT4_P12ihipStream_tbEUlT_E1_NS1_11comp_targetILNS1_3genE5ELNS1_11target_archE942ELNS1_3gpuE9ELNS1_3repE0EEENS1_30default_config_static_selectorELNS0_4arch9wavefront6targetE1EEEvSD_.num_vgpr, 0
	.set _ZN7rocprim17ROCPRIM_400000_NS6detail17trampoline_kernelINS0_14default_configENS1_22reduce_config_selectorIhEEZNS1_11reduce_implILb1ES3_PhS7_h11plus_mod_10IhEEE10hipError_tPvRmT1_T2_T3_mT4_P12ihipStream_tbEUlT_E1_NS1_11comp_targetILNS1_3genE5ELNS1_11target_archE942ELNS1_3gpuE9ELNS1_3repE0EEENS1_30default_config_static_selectorELNS0_4arch9wavefront6targetE1EEEvSD_.num_agpr, 0
	.set _ZN7rocprim17ROCPRIM_400000_NS6detail17trampoline_kernelINS0_14default_configENS1_22reduce_config_selectorIhEEZNS1_11reduce_implILb1ES3_PhS7_h11plus_mod_10IhEEE10hipError_tPvRmT1_T2_T3_mT4_P12ihipStream_tbEUlT_E1_NS1_11comp_targetILNS1_3genE5ELNS1_11target_archE942ELNS1_3gpuE9ELNS1_3repE0EEENS1_30default_config_static_selectorELNS0_4arch9wavefront6targetE1EEEvSD_.numbered_sgpr, 0
	.set _ZN7rocprim17ROCPRIM_400000_NS6detail17trampoline_kernelINS0_14default_configENS1_22reduce_config_selectorIhEEZNS1_11reduce_implILb1ES3_PhS7_h11plus_mod_10IhEEE10hipError_tPvRmT1_T2_T3_mT4_P12ihipStream_tbEUlT_E1_NS1_11comp_targetILNS1_3genE5ELNS1_11target_archE942ELNS1_3gpuE9ELNS1_3repE0EEENS1_30default_config_static_selectorELNS0_4arch9wavefront6targetE1EEEvSD_.num_named_barrier, 0
	.set _ZN7rocprim17ROCPRIM_400000_NS6detail17trampoline_kernelINS0_14default_configENS1_22reduce_config_selectorIhEEZNS1_11reduce_implILb1ES3_PhS7_h11plus_mod_10IhEEE10hipError_tPvRmT1_T2_T3_mT4_P12ihipStream_tbEUlT_E1_NS1_11comp_targetILNS1_3genE5ELNS1_11target_archE942ELNS1_3gpuE9ELNS1_3repE0EEENS1_30default_config_static_selectorELNS0_4arch9wavefront6targetE1EEEvSD_.private_seg_size, 0
	.set _ZN7rocprim17ROCPRIM_400000_NS6detail17trampoline_kernelINS0_14default_configENS1_22reduce_config_selectorIhEEZNS1_11reduce_implILb1ES3_PhS7_h11plus_mod_10IhEEE10hipError_tPvRmT1_T2_T3_mT4_P12ihipStream_tbEUlT_E1_NS1_11comp_targetILNS1_3genE5ELNS1_11target_archE942ELNS1_3gpuE9ELNS1_3repE0EEENS1_30default_config_static_selectorELNS0_4arch9wavefront6targetE1EEEvSD_.uses_vcc, 0
	.set _ZN7rocprim17ROCPRIM_400000_NS6detail17trampoline_kernelINS0_14default_configENS1_22reduce_config_selectorIhEEZNS1_11reduce_implILb1ES3_PhS7_h11plus_mod_10IhEEE10hipError_tPvRmT1_T2_T3_mT4_P12ihipStream_tbEUlT_E1_NS1_11comp_targetILNS1_3genE5ELNS1_11target_archE942ELNS1_3gpuE9ELNS1_3repE0EEENS1_30default_config_static_selectorELNS0_4arch9wavefront6targetE1EEEvSD_.uses_flat_scratch, 0
	.set _ZN7rocprim17ROCPRIM_400000_NS6detail17trampoline_kernelINS0_14default_configENS1_22reduce_config_selectorIhEEZNS1_11reduce_implILb1ES3_PhS7_h11plus_mod_10IhEEE10hipError_tPvRmT1_T2_T3_mT4_P12ihipStream_tbEUlT_E1_NS1_11comp_targetILNS1_3genE5ELNS1_11target_archE942ELNS1_3gpuE9ELNS1_3repE0EEENS1_30default_config_static_selectorELNS0_4arch9wavefront6targetE1EEEvSD_.has_dyn_sized_stack, 0
	.set _ZN7rocprim17ROCPRIM_400000_NS6detail17trampoline_kernelINS0_14default_configENS1_22reduce_config_selectorIhEEZNS1_11reduce_implILb1ES3_PhS7_h11plus_mod_10IhEEE10hipError_tPvRmT1_T2_T3_mT4_P12ihipStream_tbEUlT_E1_NS1_11comp_targetILNS1_3genE5ELNS1_11target_archE942ELNS1_3gpuE9ELNS1_3repE0EEENS1_30default_config_static_selectorELNS0_4arch9wavefront6targetE1EEEvSD_.has_recursion, 0
	.set _ZN7rocprim17ROCPRIM_400000_NS6detail17trampoline_kernelINS0_14default_configENS1_22reduce_config_selectorIhEEZNS1_11reduce_implILb1ES3_PhS7_h11plus_mod_10IhEEE10hipError_tPvRmT1_T2_T3_mT4_P12ihipStream_tbEUlT_E1_NS1_11comp_targetILNS1_3genE5ELNS1_11target_archE942ELNS1_3gpuE9ELNS1_3repE0EEENS1_30default_config_static_selectorELNS0_4arch9wavefront6targetE1EEEvSD_.has_indirect_call, 0
	.section	.AMDGPU.csdata,"",@progbits
; Kernel info:
; codeLenInByte = 0
; TotalNumSgprs: 6
; NumVgprs: 0
; NumAgprs: 0
; TotalNumVgprs: 0
; ScratchSize: 0
; MemoryBound: 0
; FloatMode: 240
; IeeeMode: 1
; LDSByteSize: 0 bytes/workgroup (compile time only)
; SGPRBlocks: 0
; VGPRBlocks: 0
; NumSGPRsForWavesPerEU: 6
; NumVGPRsForWavesPerEU: 1
; AccumOffset: 4
; Occupancy: 8
; WaveLimiterHint : 0
; COMPUTE_PGM_RSRC2:SCRATCH_EN: 0
; COMPUTE_PGM_RSRC2:USER_SGPR: 2
; COMPUTE_PGM_RSRC2:TRAP_HANDLER: 0
; COMPUTE_PGM_RSRC2:TGID_X_EN: 1
; COMPUTE_PGM_RSRC2:TGID_Y_EN: 0
; COMPUTE_PGM_RSRC2:TGID_Z_EN: 0
; COMPUTE_PGM_RSRC2:TIDIG_COMP_CNT: 0
; COMPUTE_PGM_RSRC3_GFX90A:ACCUM_OFFSET: 0
; COMPUTE_PGM_RSRC3_GFX90A:TG_SPLIT: 0
	.section	.text._ZN7rocprim17ROCPRIM_400000_NS6detail17trampoline_kernelINS0_14default_configENS1_22reduce_config_selectorIhEEZNS1_11reduce_implILb1ES3_PhS7_h11plus_mod_10IhEEE10hipError_tPvRmT1_T2_T3_mT4_P12ihipStream_tbEUlT_E1_NS1_11comp_targetILNS1_3genE4ELNS1_11target_archE910ELNS1_3gpuE8ELNS1_3repE0EEENS1_30default_config_static_selectorELNS0_4arch9wavefront6targetE1EEEvSD_,"axG",@progbits,_ZN7rocprim17ROCPRIM_400000_NS6detail17trampoline_kernelINS0_14default_configENS1_22reduce_config_selectorIhEEZNS1_11reduce_implILb1ES3_PhS7_h11plus_mod_10IhEEE10hipError_tPvRmT1_T2_T3_mT4_P12ihipStream_tbEUlT_E1_NS1_11comp_targetILNS1_3genE4ELNS1_11target_archE910ELNS1_3gpuE8ELNS1_3repE0EEENS1_30default_config_static_selectorELNS0_4arch9wavefront6targetE1EEEvSD_,comdat
	.protected	_ZN7rocprim17ROCPRIM_400000_NS6detail17trampoline_kernelINS0_14default_configENS1_22reduce_config_selectorIhEEZNS1_11reduce_implILb1ES3_PhS7_h11plus_mod_10IhEEE10hipError_tPvRmT1_T2_T3_mT4_P12ihipStream_tbEUlT_E1_NS1_11comp_targetILNS1_3genE4ELNS1_11target_archE910ELNS1_3gpuE8ELNS1_3repE0EEENS1_30default_config_static_selectorELNS0_4arch9wavefront6targetE1EEEvSD_ ; -- Begin function _ZN7rocprim17ROCPRIM_400000_NS6detail17trampoline_kernelINS0_14default_configENS1_22reduce_config_selectorIhEEZNS1_11reduce_implILb1ES3_PhS7_h11plus_mod_10IhEEE10hipError_tPvRmT1_T2_T3_mT4_P12ihipStream_tbEUlT_E1_NS1_11comp_targetILNS1_3genE4ELNS1_11target_archE910ELNS1_3gpuE8ELNS1_3repE0EEENS1_30default_config_static_selectorELNS0_4arch9wavefront6targetE1EEEvSD_
	.globl	_ZN7rocprim17ROCPRIM_400000_NS6detail17trampoline_kernelINS0_14default_configENS1_22reduce_config_selectorIhEEZNS1_11reduce_implILb1ES3_PhS7_h11plus_mod_10IhEEE10hipError_tPvRmT1_T2_T3_mT4_P12ihipStream_tbEUlT_E1_NS1_11comp_targetILNS1_3genE4ELNS1_11target_archE910ELNS1_3gpuE8ELNS1_3repE0EEENS1_30default_config_static_selectorELNS0_4arch9wavefront6targetE1EEEvSD_
	.p2align	8
	.type	_ZN7rocprim17ROCPRIM_400000_NS6detail17trampoline_kernelINS0_14default_configENS1_22reduce_config_selectorIhEEZNS1_11reduce_implILb1ES3_PhS7_h11plus_mod_10IhEEE10hipError_tPvRmT1_T2_T3_mT4_P12ihipStream_tbEUlT_E1_NS1_11comp_targetILNS1_3genE4ELNS1_11target_archE910ELNS1_3gpuE8ELNS1_3repE0EEENS1_30default_config_static_selectorELNS0_4arch9wavefront6targetE1EEEvSD_,@function
_ZN7rocprim17ROCPRIM_400000_NS6detail17trampoline_kernelINS0_14default_configENS1_22reduce_config_selectorIhEEZNS1_11reduce_implILb1ES3_PhS7_h11plus_mod_10IhEEE10hipError_tPvRmT1_T2_T3_mT4_P12ihipStream_tbEUlT_E1_NS1_11comp_targetILNS1_3genE4ELNS1_11target_archE910ELNS1_3gpuE8ELNS1_3repE0EEENS1_30default_config_static_selectorELNS0_4arch9wavefront6targetE1EEEvSD_: ; @_ZN7rocprim17ROCPRIM_400000_NS6detail17trampoline_kernelINS0_14default_configENS1_22reduce_config_selectorIhEEZNS1_11reduce_implILb1ES3_PhS7_h11plus_mod_10IhEEE10hipError_tPvRmT1_T2_T3_mT4_P12ihipStream_tbEUlT_E1_NS1_11comp_targetILNS1_3genE4ELNS1_11target_archE910ELNS1_3gpuE8ELNS1_3repE0EEENS1_30default_config_static_selectorELNS0_4arch9wavefront6targetE1EEEvSD_
; %bb.0:
	.section	.rodata,"a",@progbits
	.p2align	6, 0x0
	.amdhsa_kernel _ZN7rocprim17ROCPRIM_400000_NS6detail17trampoline_kernelINS0_14default_configENS1_22reduce_config_selectorIhEEZNS1_11reduce_implILb1ES3_PhS7_h11plus_mod_10IhEEE10hipError_tPvRmT1_T2_T3_mT4_P12ihipStream_tbEUlT_E1_NS1_11comp_targetILNS1_3genE4ELNS1_11target_archE910ELNS1_3gpuE8ELNS1_3repE0EEENS1_30default_config_static_selectorELNS0_4arch9wavefront6targetE1EEEvSD_
		.amdhsa_group_segment_fixed_size 0
		.amdhsa_private_segment_fixed_size 0
		.amdhsa_kernarg_size 40
		.amdhsa_user_sgpr_count 2
		.amdhsa_user_sgpr_dispatch_ptr 0
		.amdhsa_user_sgpr_queue_ptr 0
		.amdhsa_user_sgpr_kernarg_segment_ptr 1
		.amdhsa_user_sgpr_dispatch_id 0
		.amdhsa_user_sgpr_kernarg_preload_length 0
		.amdhsa_user_sgpr_kernarg_preload_offset 0
		.amdhsa_user_sgpr_private_segment_size 0
		.amdhsa_uses_dynamic_stack 0
		.amdhsa_enable_private_segment 0
		.amdhsa_system_sgpr_workgroup_id_x 1
		.amdhsa_system_sgpr_workgroup_id_y 0
		.amdhsa_system_sgpr_workgroup_id_z 0
		.amdhsa_system_sgpr_workgroup_info 0
		.amdhsa_system_vgpr_workitem_id 0
		.amdhsa_next_free_vgpr 1
		.amdhsa_next_free_sgpr 0
		.amdhsa_accum_offset 4
		.amdhsa_reserve_vcc 0
		.amdhsa_float_round_mode_32 0
		.amdhsa_float_round_mode_16_64 0
		.amdhsa_float_denorm_mode_32 3
		.amdhsa_float_denorm_mode_16_64 3
		.amdhsa_dx10_clamp 1
		.amdhsa_ieee_mode 1
		.amdhsa_fp16_overflow 0
		.amdhsa_tg_split 0
		.amdhsa_exception_fp_ieee_invalid_op 0
		.amdhsa_exception_fp_denorm_src 0
		.amdhsa_exception_fp_ieee_div_zero 0
		.amdhsa_exception_fp_ieee_overflow 0
		.amdhsa_exception_fp_ieee_underflow 0
		.amdhsa_exception_fp_ieee_inexact 0
		.amdhsa_exception_int_div_zero 0
	.end_amdhsa_kernel
	.section	.text._ZN7rocprim17ROCPRIM_400000_NS6detail17trampoline_kernelINS0_14default_configENS1_22reduce_config_selectorIhEEZNS1_11reduce_implILb1ES3_PhS7_h11plus_mod_10IhEEE10hipError_tPvRmT1_T2_T3_mT4_P12ihipStream_tbEUlT_E1_NS1_11comp_targetILNS1_3genE4ELNS1_11target_archE910ELNS1_3gpuE8ELNS1_3repE0EEENS1_30default_config_static_selectorELNS0_4arch9wavefront6targetE1EEEvSD_,"axG",@progbits,_ZN7rocprim17ROCPRIM_400000_NS6detail17trampoline_kernelINS0_14default_configENS1_22reduce_config_selectorIhEEZNS1_11reduce_implILb1ES3_PhS7_h11plus_mod_10IhEEE10hipError_tPvRmT1_T2_T3_mT4_P12ihipStream_tbEUlT_E1_NS1_11comp_targetILNS1_3genE4ELNS1_11target_archE910ELNS1_3gpuE8ELNS1_3repE0EEENS1_30default_config_static_selectorELNS0_4arch9wavefront6targetE1EEEvSD_,comdat
.Lfunc_end669:
	.size	_ZN7rocprim17ROCPRIM_400000_NS6detail17trampoline_kernelINS0_14default_configENS1_22reduce_config_selectorIhEEZNS1_11reduce_implILb1ES3_PhS7_h11plus_mod_10IhEEE10hipError_tPvRmT1_T2_T3_mT4_P12ihipStream_tbEUlT_E1_NS1_11comp_targetILNS1_3genE4ELNS1_11target_archE910ELNS1_3gpuE8ELNS1_3repE0EEENS1_30default_config_static_selectorELNS0_4arch9wavefront6targetE1EEEvSD_, .Lfunc_end669-_ZN7rocprim17ROCPRIM_400000_NS6detail17trampoline_kernelINS0_14default_configENS1_22reduce_config_selectorIhEEZNS1_11reduce_implILb1ES3_PhS7_h11plus_mod_10IhEEE10hipError_tPvRmT1_T2_T3_mT4_P12ihipStream_tbEUlT_E1_NS1_11comp_targetILNS1_3genE4ELNS1_11target_archE910ELNS1_3gpuE8ELNS1_3repE0EEENS1_30default_config_static_selectorELNS0_4arch9wavefront6targetE1EEEvSD_
                                        ; -- End function
	.set _ZN7rocprim17ROCPRIM_400000_NS6detail17trampoline_kernelINS0_14default_configENS1_22reduce_config_selectorIhEEZNS1_11reduce_implILb1ES3_PhS7_h11plus_mod_10IhEEE10hipError_tPvRmT1_T2_T3_mT4_P12ihipStream_tbEUlT_E1_NS1_11comp_targetILNS1_3genE4ELNS1_11target_archE910ELNS1_3gpuE8ELNS1_3repE0EEENS1_30default_config_static_selectorELNS0_4arch9wavefront6targetE1EEEvSD_.num_vgpr, 0
	.set _ZN7rocprim17ROCPRIM_400000_NS6detail17trampoline_kernelINS0_14default_configENS1_22reduce_config_selectorIhEEZNS1_11reduce_implILb1ES3_PhS7_h11plus_mod_10IhEEE10hipError_tPvRmT1_T2_T3_mT4_P12ihipStream_tbEUlT_E1_NS1_11comp_targetILNS1_3genE4ELNS1_11target_archE910ELNS1_3gpuE8ELNS1_3repE0EEENS1_30default_config_static_selectorELNS0_4arch9wavefront6targetE1EEEvSD_.num_agpr, 0
	.set _ZN7rocprim17ROCPRIM_400000_NS6detail17trampoline_kernelINS0_14default_configENS1_22reduce_config_selectorIhEEZNS1_11reduce_implILb1ES3_PhS7_h11plus_mod_10IhEEE10hipError_tPvRmT1_T2_T3_mT4_P12ihipStream_tbEUlT_E1_NS1_11comp_targetILNS1_3genE4ELNS1_11target_archE910ELNS1_3gpuE8ELNS1_3repE0EEENS1_30default_config_static_selectorELNS0_4arch9wavefront6targetE1EEEvSD_.numbered_sgpr, 0
	.set _ZN7rocprim17ROCPRIM_400000_NS6detail17trampoline_kernelINS0_14default_configENS1_22reduce_config_selectorIhEEZNS1_11reduce_implILb1ES3_PhS7_h11plus_mod_10IhEEE10hipError_tPvRmT1_T2_T3_mT4_P12ihipStream_tbEUlT_E1_NS1_11comp_targetILNS1_3genE4ELNS1_11target_archE910ELNS1_3gpuE8ELNS1_3repE0EEENS1_30default_config_static_selectorELNS0_4arch9wavefront6targetE1EEEvSD_.num_named_barrier, 0
	.set _ZN7rocprim17ROCPRIM_400000_NS6detail17trampoline_kernelINS0_14default_configENS1_22reduce_config_selectorIhEEZNS1_11reduce_implILb1ES3_PhS7_h11plus_mod_10IhEEE10hipError_tPvRmT1_T2_T3_mT4_P12ihipStream_tbEUlT_E1_NS1_11comp_targetILNS1_3genE4ELNS1_11target_archE910ELNS1_3gpuE8ELNS1_3repE0EEENS1_30default_config_static_selectorELNS0_4arch9wavefront6targetE1EEEvSD_.private_seg_size, 0
	.set _ZN7rocprim17ROCPRIM_400000_NS6detail17trampoline_kernelINS0_14default_configENS1_22reduce_config_selectorIhEEZNS1_11reduce_implILb1ES3_PhS7_h11plus_mod_10IhEEE10hipError_tPvRmT1_T2_T3_mT4_P12ihipStream_tbEUlT_E1_NS1_11comp_targetILNS1_3genE4ELNS1_11target_archE910ELNS1_3gpuE8ELNS1_3repE0EEENS1_30default_config_static_selectorELNS0_4arch9wavefront6targetE1EEEvSD_.uses_vcc, 0
	.set _ZN7rocprim17ROCPRIM_400000_NS6detail17trampoline_kernelINS0_14default_configENS1_22reduce_config_selectorIhEEZNS1_11reduce_implILb1ES3_PhS7_h11plus_mod_10IhEEE10hipError_tPvRmT1_T2_T3_mT4_P12ihipStream_tbEUlT_E1_NS1_11comp_targetILNS1_3genE4ELNS1_11target_archE910ELNS1_3gpuE8ELNS1_3repE0EEENS1_30default_config_static_selectorELNS0_4arch9wavefront6targetE1EEEvSD_.uses_flat_scratch, 0
	.set _ZN7rocprim17ROCPRIM_400000_NS6detail17trampoline_kernelINS0_14default_configENS1_22reduce_config_selectorIhEEZNS1_11reduce_implILb1ES3_PhS7_h11plus_mod_10IhEEE10hipError_tPvRmT1_T2_T3_mT4_P12ihipStream_tbEUlT_E1_NS1_11comp_targetILNS1_3genE4ELNS1_11target_archE910ELNS1_3gpuE8ELNS1_3repE0EEENS1_30default_config_static_selectorELNS0_4arch9wavefront6targetE1EEEvSD_.has_dyn_sized_stack, 0
	.set _ZN7rocprim17ROCPRIM_400000_NS6detail17trampoline_kernelINS0_14default_configENS1_22reduce_config_selectorIhEEZNS1_11reduce_implILb1ES3_PhS7_h11plus_mod_10IhEEE10hipError_tPvRmT1_T2_T3_mT4_P12ihipStream_tbEUlT_E1_NS1_11comp_targetILNS1_3genE4ELNS1_11target_archE910ELNS1_3gpuE8ELNS1_3repE0EEENS1_30default_config_static_selectorELNS0_4arch9wavefront6targetE1EEEvSD_.has_recursion, 0
	.set _ZN7rocprim17ROCPRIM_400000_NS6detail17trampoline_kernelINS0_14default_configENS1_22reduce_config_selectorIhEEZNS1_11reduce_implILb1ES3_PhS7_h11plus_mod_10IhEEE10hipError_tPvRmT1_T2_T3_mT4_P12ihipStream_tbEUlT_E1_NS1_11comp_targetILNS1_3genE4ELNS1_11target_archE910ELNS1_3gpuE8ELNS1_3repE0EEENS1_30default_config_static_selectorELNS0_4arch9wavefront6targetE1EEEvSD_.has_indirect_call, 0
	.section	.AMDGPU.csdata,"",@progbits
; Kernel info:
; codeLenInByte = 0
; TotalNumSgprs: 6
; NumVgprs: 0
; NumAgprs: 0
; TotalNumVgprs: 0
; ScratchSize: 0
; MemoryBound: 0
; FloatMode: 240
; IeeeMode: 1
; LDSByteSize: 0 bytes/workgroup (compile time only)
; SGPRBlocks: 0
; VGPRBlocks: 0
; NumSGPRsForWavesPerEU: 6
; NumVGPRsForWavesPerEU: 1
; AccumOffset: 4
; Occupancy: 8
; WaveLimiterHint : 0
; COMPUTE_PGM_RSRC2:SCRATCH_EN: 0
; COMPUTE_PGM_RSRC2:USER_SGPR: 2
; COMPUTE_PGM_RSRC2:TRAP_HANDLER: 0
; COMPUTE_PGM_RSRC2:TGID_X_EN: 1
; COMPUTE_PGM_RSRC2:TGID_Y_EN: 0
; COMPUTE_PGM_RSRC2:TGID_Z_EN: 0
; COMPUTE_PGM_RSRC2:TIDIG_COMP_CNT: 0
; COMPUTE_PGM_RSRC3_GFX90A:ACCUM_OFFSET: 0
; COMPUTE_PGM_RSRC3_GFX90A:TG_SPLIT: 0
	.section	.text._ZN7rocprim17ROCPRIM_400000_NS6detail17trampoline_kernelINS0_14default_configENS1_22reduce_config_selectorIhEEZNS1_11reduce_implILb1ES3_PhS7_h11plus_mod_10IhEEE10hipError_tPvRmT1_T2_T3_mT4_P12ihipStream_tbEUlT_E1_NS1_11comp_targetILNS1_3genE3ELNS1_11target_archE908ELNS1_3gpuE7ELNS1_3repE0EEENS1_30default_config_static_selectorELNS0_4arch9wavefront6targetE1EEEvSD_,"axG",@progbits,_ZN7rocprim17ROCPRIM_400000_NS6detail17trampoline_kernelINS0_14default_configENS1_22reduce_config_selectorIhEEZNS1_11reduce_implILb1ES3_PhS7_h11plus_mod_10IhEEE10hipError_tPvRmT1_T2_T3_mT4_P12ihipStream_tbEUlT_E1_NS1_11comp_targetILNS1_3genE3ELNS1_11target_archE908ELNS1_3gpuE7ELNS1_3repE0EEENS1_30default_config_static_selectorELNS0_4arch9wavefront6targetE1EEEvSD_,comdat
	.protected	_ZN7rocprim17ROCPRIM_400000_NS6detail17trampoline_kernelINS0_14default_configENS1_22reduce_config_selectorIhEEZNS1_11reduce_implILb1ES3_PhS7_h11plus_mod_10IhEEE10hipError_tPvRmT1_T2_T3_mT4_P12ihipStream_tbEUlT_E1_NS1_11comp_targetILNS1_3genE3ELNS1_11target_archE908ELNS1_3gpuE7ELNS1_3repE0EEENS1_30default_config_static_selectorELNS0_4arch9wavefront6targetE1EEEvSD_ ; -- Begin function _ZN7rocprim17ROCPRIM_400000_NS6detail17trampoline_kernelINS0_14default_configENS1_22reduce_config_selectorIhEEZNS1_11reduce_implILb1ES3_PhS7_h11plus_mod_10IhEEE10hipError_tPvRmT1_T2_T3_mT4_P12ihipStream_tbEUlT_E1_NS1_11comp_targetILNS1_3genE3ELNS1_11target_archE908ELNS1_3gpuE7ELNS1_3repE0EEENS1_30default_config_static_selectorELNS0_4arch9wavefront6targetE1EEEvSD_
	.globl	_ZN7rocprim17ROCPRIM_400000_NS6detail17trampoline_kernelINS0_14default_configENS1_22reduce_config_selectorIhEEZNS1_11reduce_implILb1ES3_PhS7_h11plus_mod_10IhEEE10hipError_tPvRmT1_T2_T3_mT4_P12ihipStream_tbEUlT_E1_NS1_11comp_targetILNS1_3genE3ELNS1_11target_archE908ELNS1_3gpuE7ELNS1_3repE0EEENS1_30default_config_static_selectorELNS0_4arch9wavefront6targetE1EEEvSD_
	.p2align	8
	.type	_ZN7rocprim17ROCPRIM_400000_NS6detail17trampoline_kernelINS0_14default_configENS1_22reduce_config_selectorIhEEZNS1_11reduce_implILb1ES3_PhS7_h11plus_mod_10IhEEE10hipError_tPvRmT1_T2_T3_mT4_P12ihipStream_tbEUlT_E1_NS1_11comp_targetILNS1_3genE3ELNS1_11target_archE908ELNS1_3gpuE7ELNS1_3repE0EEENS1_30default_config_static_selectorELNS0_4arch9wavefront6targetE1EEEvSD_,@function
_ZN7rocprim17ROCPRIM_400000_NS6detail17trampoline_kernelINS0_14default_configENS1_22reduce_config_selectorIhEEZNS1_11reduce_implILb1ES3_PhS7_h11plus_mod_10IhEEE10hipError_tPvRmT1_T2_T3_mT4_P12ihipStream_tbEUlT_E1_NS1_11comp_targetILNS1_3genE3ELNS1_11target_archE908ELNS1_3gpuE7ELNS1_3repE0EEENS1_30default_config_static_selectorELNS0_4arch9wavefront6targetE1EEEvSD_: ; @_ZN7rocprim17ROCPRIM_400000_NS6detail17trampoline_kernelINS0_14default_configENS1_22reduce_config_selectorIhEEZNS1_11reduce_implILb1ES3_PhS7_h11plus_mod_10IhEEE10hipError_tPvRmT1_T2_T3_mT4_P12ihipStream_tbEUlT_E1_NS1_11comp_targetILNS1_3genE3ELNS1_11target_archE908ELNS1_3gpuE7ELNS1_3repE0EEENS1_30default_config_static_selectorELNS0_4arch9wavefront6targetE1EEEvSD_
; %bb.0:
	.section	.rodata,"a",@progbits
	.p2align	6, 0x0
	.amdhsa_kernel _ZN7rocprim17ROCPRIM_400000_NS6detail17trampoline_kernelINS0_14default_configENS1_22reduce_config_selectorIhEEZNS1_11reduce_implILb1ES3_PhS7_h11plus_mod_10IhEEE10hipError_tPvRmT1_T2_T3_mT4_P12ihipStream_tbEUlT_E1_NS1_11comp_targetILNS1_3genE3ELNS1_11target_archE908ELNS1_3gpuE7ELNS1_3repE0EEENS1_30default_config_static_selectorELNS0_4arch9wavefront6targetE1EEEvSD_
		.amdhsa_group_segment_fixed_size 0
		.amdhsa_private_segment_fixed_size 0
		.amdhsa_kernarg_size 40
		.amdhsa_user_sgpr_count 2
		.amdhsa_user_sgpr_dispatch_ptr 0
		.amdhsa_user_sgpr_queue_ptr 0
		.amdhsa_user_sgpr_kernarg_segment_ptr 1
		.amdhsa_user_sgpr_dispatch_id 0
		.amdhsa_user_sgpr_kernarg_preload_length 0
		.amdhsa_user_sgpr_kernarg_preload_offset 0
		.amdhsa_user_sgpr_private_segment_size 0
		.amdhsa_uses_dynamic_stack 0
		.amdhsa_enable_private_segment 0
		.amdhsa_system_sgpr_workgroup_id_x 1
		.amdhsa_system_sgpr_workgroup_id_y 0
		.amdhsa_system_sgpr_workgroup_id_z 0
		.amdhsa_system_sgpr_workgroup_info 0
		.amdhsa_system_vgpr_workitem_id 0
		.amdhsa_next_free_vgpr 1
		.amdhsa_next_free_sgpr 0
		.amdhsa_accum_offset 4
		.amdhsa_reserve_vcc 0
		.amdhsa_float_round_mode_32 0
		.amdhsa_float_round_mode_16_64 0
		.amdhsa_float_denorm_mode_32 3
		.amdhsa_float_denorm_mode_16_64 3
		.amdhsa_dx10_clamp 1
		.amdhsa_ieee_mode 1
		.amdhsa_fp16_overflow 0
		.amdhsa_tg_split 0
		.amdhsa_exception_fp_ieee_invalid_op 0
		.amdhsa_exception_fp_denorm_src 0
		.amdhsa_exception_fp_ieee_div_zero 0
		.amdhsa_exception_fp_ieee_overflow 0
		.amdhsa_exception_fp_ieee_underflow 0
		.amdhsa_exception_fp_ieee_inexact 0
		.amdhsa_exception_int_div_zero 0
	.end_amdhsa_kernel
	.section	.text._ZN7rocprim17ROCPRIM_400000_NS6detail17trampoline_kernelINS0_14default_configENS1_22reduce_config_selectorIhEEZNS1_11reduce_implILb1ES3_PhS7_h11plus_mod_10IhEEE10hipError_tPvRmT1_T2_T3_mT4_P12ihipStream_tbEUlT_E1_NS1_11comp_targetILNS1_3genE3ELNS1_11target_archE908ELNS1_3gpuE7ELNS1_3repE0EEENS1_30default_config_static_selectorELNS0_4arch9wavefront6targetE1EEEvSD_,"axG",@progbits,_ZN7rocprim17ROCPRIM_400000_NS6detail17trampoline_kernelINS0_14default_configENS1_22reduce_config_selectorIhEEZNS1_11reduce_implILb1ES3_PhS7_h11plus_mod_10IhEEE10hipError_tPvRmT1_T2_T3_mT4_P12ihipStream_tbEUlT_E1_NS1_11comp_targetILNS1_3genE3ELNS1_11target_archE908ELNS1_3gpuE7ELNS1_3repE0EEENS1_30default_config_static_selectorELNS0_4arch9wavefront6targetE1EEEvSD_,comdat
.Lfunc_end670:
	.size	_ZN7rocprim17ROCPRIM_400000_NS6detail17trampoline_kernelINS0_14default_configENS1_22reduce_config_selectorIhEEZNS1_11reduce_implILb1ES3_PhS7_h11plus_mod_10IhEEE10hipError_tPvRmT1_T2_T3_mT4_P12ihipStream_tbEUlT_E1_NS1_11comp_targetILNS1_3genE3ELNS1_11target_archE908ELNS1_3gpuE7ELNS1_3repE0EEENS1_30default_config_static_selectorELNS0_4arch9wavefront6targetE1EEEvSD_, .Lfunc_end670-_ZN7rocprim17ROCPRIM_400000_NS6detail17trampoline_kernelINS0_14default_configENS1_22reduce_config_selectorIhEEZNS1_11reduce_implILb1ES3_PhS7_h11plus_mod_10IhEEE10hipError_tPvRmT1_T2_T3_mT4_P12ihipStream_tbEUlT_E1_NS1_11comp_targetILNS1_3genE3ELNS1_11target_archE908ELNS1_3gpuE7ELNS1_3repE0EEENS1_30default_config_static_selectorELNS0_4arch9wavefront6targetE1EEEvSD_
                                        ; -- End function
	.set _ZN7rocprim17ROCPRIM_400000_NS6detail17trampoline_kernelINS0_14default_configENS1_22reduce_config_selectorIhEEZNS1_11reduce_implILb1ES3_PhS7_h11plus_mod_10IhEEE10hipError_tPvRmT1_T2_T3_mT4_P12ihipStream_tbEUlT_E1_NS1_11comp_targetILNS1_3genE3ELNS1_11target_archE908ELNS1_3gpuE7ELNS1_3repE0EEENS1_30default_config_static_selectorELNS0_4arch9wavefront6targetE1EEEvSD_.num_vgpr, 0
	.set _ZN7rocprim17ROCPRIM_400000_NS6detail17trampoline_kernelINS0_14default_configENS1_22reduce_config_selectorIhEEZNS1_11reduce_implILb1ES3_PhS7_h11plus_mod_10IhEEE10hipError_tPvRmT1_T2_T3_mT4_P12ihipStream_tbEUlT_E1_NS1_11comp_targetILNS1_3genE3ELNS1_11target_archE908ELNS1_3gpuE7ELNS1_3repE0EEENS1_30default_config_static_selectorELNS0_4arch9wavefront6targetE1EEEvSD_.num_agpr, 0
	.set _ZN7rocprim17ROCPRIM_400000_NS6detail17trampoline_kernelINS0_14default_configENS1_22reduce_config_selectorIhEEZNS1_11reduce_implILb1ES3_PhS7_h11plus_mod_10IhEEE10hipError_tPvRmT1_T2_T3_mT4_P12ihipStream_tbEUlT_E1_NS1_11comp_targetILNS1_3genE3ELNS1_11target_archE908ELNS1_3gpuE7ELNS1_3repE0EEENS1_30default_config_static_selectorELNS0_4arch9wavefront6targetE1EEEvSD_.numbered_sgpr, 0
	.set _ZN7rocprim17ROCPRIM_400000_NS6detail17trampoline_kernelINS0_14default_configENS1_22reduce_config_selectorIhEEZNS1_11reduce_implILb1ES3_PhS7_h11plus_mod_10IhEEE10hipError_tPvRmT1_T2_T3_mT4_P12ihipStream_tbEUlT_E1_NS1_11comp_targetILNS1_3genE3ELNS1_11target_archE908ELNS1_3gpuE7ELNS1_3repE0EEENS1_30default_config_static_selectorELNS0_4arch9wavefront6targetE1EEEvSD_.num_named_barrier, 0
	.set _ZN7rocprim17ROCPRIM_400000_NS6detail17trampoline_kernelINS0_14default_configENS1_22reduce_config_selectorIhEEZNS1_11reduce_implILb1ES3_PhS7_h11plus_mod_10IhEEE10hipError_tPvRmT1_T2_T3_mT4_P12ihipStream_tbEUlT_E1_NS1_11comp_targetILNS1_3genE3ELNS1_11target_archE908ELNS1_3gpuE7ELNS1_3repE0EEENS1_30default_config_static_selectorELNS0_4arch9wavefront6targetE1EEEvSD_.private_seg_size, 0
	.set _ZN7rocprim17ROCPRIM_400000_NS6detail17trampoline_kernelINS0_14default_configENS1_22reduce_config_selectorIhEEZNS1_11reduce_implILb1ES3_PhS7_h11plus_mod_10IhEEE10hipError_tPvRmT1_T2_T3_mT4_P12ihipStream_tbEUlT_E1_NS1_11comp_targetILNS1_3genE3ELNS1_11target_archE908ELNS1_3gpuE7ELNS1_3repE0EEENS1_30default_config_static_selectorELNS0_4arch9wavefront6targetE1EEEvSD_.uses_vcc, 0
	.set _ZN7rocprim17ROCPRIM_400000_NS6detail17trampoline_kernelINS0_14default_configENS1_22reduce_config_selectorIhEEZNS1_11reduce_implILb1ES3_PhS7_h11plus_mod_10IhEEE10hipError_tPvRmT1_T2_T3_mT4_P12ihipStream_tbEUlT_E1_NS1_11comp_targetILNS1_3genE3ELNS1_11target_archE908ELNS1_3gpuE7ELNS1_3repE0EEENS1_30default_config_static_selectorELNS0_4arch9wavefront6targetE1EEEvSD_.uses_flat_scratch, 0
	.set _ZN7rocprim17ROCPRIM_400000_NS6detail17trampoline_kernelINS0_14default_configENS1_22reduce_config_selectorIhEEZNS1_11reduce_implILb1ES3_PhS7_h11plus_mod_10IhEEE10hipError_tPvRmT1_T2_T3_mT4_P12ihipStream_tbEUlT_E1_NS1_11comp_targetILNS1_3genE3ELNS1_11target_archE908ELNS1_3gpuE7ELNS1_3repE0EEENS1_30default_config_static_selectorELNS0_4arch9wavefront6targetE1EEEvSD_.has_dyn_sized_stack, 0
	.set _ZN7rocprim17ROCPRIM_400000_NS6detail17trampoline_kernelINS0_14default_configENS1_22reduce_config_selectorIhEEZNS1_11reduce_implILb1ES3_PhS7_h11plus_mod_10IhEEE10hipError_tPvRmT1_T2_T3_mT4_P12ihipStream_tbEUlT_E1_NS1_11comp_targetILNS1_3genE3ELNS1_11target_archE908ELNS1_3gpuE7ELNS1_3repE0EEENS1_30default_config_static_selectorELNS0_4arch9wavefront6targetE1EEEvSD_.has_recursion, 0
	.set _ZN7rocprim17ROCPRIM_400000_NS6detail17trampoline_kernelINS0_14default_configENS1_22reduce_config_selectorIhEEZNS1_11reduce_implILb1ES3_PhS7_h11plus_mod_10IhEEE10hipError_tPvRmT1_T2_T3_mT4_P12ihipStream_tbEUlT_E1_NS1_11comp_targetILNS1_3genE3ELNS1_11target_archE908ELNS1_3gpuE7ELNS1_3repE0EEENS1_30default_config_static_selectorELNS0_4arch9wavefront6targetE1EEEvSD_.has_indirect_call, 0
	.section	.AMDGPU.csdata,"",@progbits
; Kernel info:
; codeLenInByte = 0
; TotalNumSgprs: 6
; NumVgprs: 0
; NumAgprs: 0
; TotalNumVgprs: 0
; ScratchSize: 0
; MemoryBound: 0
; FloatMode: 240
; IeeeMode: 1
; LDSByteSize: 0 bytes/workgroup (compile time only)
; SGPRBlocks: 0
; VGPRBlocks: 0
; NumSGPRsForWavesPerEU: 6
; NumVGPRsForWavesPerEU: 1
; AccumOffset: 4
; Occupancy: 8
; WaveLimiterHint : 0
; COMPUTE_PGM_RSRC2:SCRATCH_EN: 0
; COMPUTE_PGM_RSRC2:USER_SGPR: 2
; COMPUTE_PGM_RSRC2:TRAP_HANDLER: 0
; COMPUTE_PGM_RSRC2:TGID_X_EN: 1
; COMPUTE_PGM_RSRC2:TGID_Y_EN: 0
; COMPUTE_PGM_RSRC2:TGID_Z_EN: 0
; COMPUTE_PGM_RSRC2:TIDIG_COMP_CNT: 0
; COMPUTE_PGM_RSRC3_GFX90A:ACCUM_OFFSET: 0
; COMPUTE_PGM_RSRC3_GFX90A:TG_SPLIT: 0
	.section	.text._ZN7rocprim17ROCPRIM_400000_NS6detail17trampoline_kernelINS0_14default_configENS1_22reduce_config_selectorIhEEZNS1_11reduce_implILb1ES3_PhS7_h11plus_mod_10IhEEE10hipError_tPvRmT1_T2_T3_mT4_P12ihipStream_tbEUlT_E1_NS1_11comp_targetILNS1_3genE2ELNS1_11target_archE906ELNS1_3gpuE6ELNS1_3repE0EEENS1_30default_config_static_selectorELNS0_4arch9wavefront6targetE1EEEvSD_,"axG",@progbits,_ZN7rocprim17ROCPRIM_400000_NS6detail17trampoline_kernelINS0_14default_configENS1_22reduce_config_selectorIhEEZNS1_11reduce_implILb1ES3_PhS7_h11plus_mod_10IhEEE10hipError_tPvRmT1_T2_T3_mT4_P12ihipStream_tbEUlT_E1_NS1_11comp_targetILNS1_3genE2ELNS1_11target_archE906ELNS1_3gpuE6ELNS1_3repE0EEENS1_30default_config_static_selectorELNS0_4arch9wavefront6targetE1EEEvSD_,comdat
	.protected	_ZN7rocprim17ROCPRIM_400000_NS6detail17trampoline_kernelINS0_14default_configENS1_22reduce_config_selectorIhEEZNS1_11reduce_implILb1ES3_PhS7_h11plus_mod_10IhEEE10hipError_tPvRmT1_T2_T3_mT4_P12ihipStream_tbEUlT_E1_NS1_11comp_targetILNS1_3genE2ELNS1_11target_archE906ELNS1_3gpuE6ELNS1_3repE0EEENS1_30default_config_static_selectorELNS0_4arch9wavefront6targetE1EEEvSD_ ; -- Begin function _ZN7rocprim17ROCPRIM_400000_NS6detail17trampoline_kernelINS0_14default_configENS1_22reduce_config_selectorIhEEZNS1_11reduce_implILb1ES3_PhS7_h11plus_mod_10IhEEE10hipError_tPvRmT1_T2_T3_mT4_P12ihipStream_tbEUlT_E1_NS1_11comp_targetILNS1_3genE2ELNS1_11target_archE906ELNS1_3gpuE6ELNS1_3repE0EEENS1_30default_config_static_selectorELNS0_4arch9wavefront6targetE1EEEvSD_
	.globl	_ZN7rocprim17ROCPRIM_400000_NS6detail17trampoline_kernelINS0_14default_configENS1_22reduce_config_selectorIhEEZNS1_11reduce_implILb1ES3_PhS7_h11plus_mod_10IhEEE10hipError_tPvRmT1_T2_T3_mT4_P12ihipStream_tbEUlT_E1_NS1_11comp_targetILNS1_3genE2ELNS1_11target_archE906ELNS1_3gpuE6ELNS1_3repE0EEENS1_30default_config_static_selectorELNS0_4arch9wavefront6targetE1EEEvSD_
	.p2align	8
	.type	_ZN7rocprim17ROCPRIM_400000_NS6detail17trampoline_kernelINS0_14default_configENS1_22reduce_config_selectorIhEEZNS1_11reduce_implILb1ES3_PhS7_h11plus_mod_10IhEEE10hipError_tPvRmT1_T2_T3_mT4_P12ihipStream_tbEUlT_E1_NS1_11comp_targetILNS1_3genE2ELNS1_11target_archE906ELNS1_3gpuE6ELNS1_3repE0EEENS1_30default_config_static_selectorELNS0_4arch9wavefront6targetE1EEEvSD_,@function
_ZN7rocprim17ROCPRIM_400000_NS6detail17trampoline_kernelINS0_14default_configENS1_22reduce_config_selectorIhEEZNS1_11reduce_implILb1ES3_PhS7_h11plus_mod_10IhEEE10hipError_tPvRmT1_T2_T3_mT4_P12ihipStream_tbEUlT_E1_NS1_11comp_targetILNS1_3genE2ELNS1_11target_archE906ELNS1_3gpuE6ELNS1_3repE0EEENS1_30default_config_static_selectorELNS0_4arch9wavefront6targetE1EEEvSD_: ; @_ZN7rocprim17ROCPRIM_400000_NS6detail17trampoline_kernelINS0_14default_configENS1_22reduce_config_selectorIhEEZNS1_11reduce_implILb1ES3_PhS7_h11plus_mod_10IhEEE10hipError_tPvRmT1_T2_T3_mT4_P12ihipStream_tbEUlT_E1_NS1_11comp_targetILNS1_3genE2ELNS1_11target_archE906ELNS1_3gpuE6ELNS1_3repE0EEENS1_30default_config_static_selectorELNS0_4arch9wavefront6targetE1EEEvSD_
; %bb.0:
	.section	.rodata,"a",@progbits
	.p2align	6, 0x0
	.amdhsa_kernel _ZN7rocprim17ROCPRIM_400000_NS6detail17trampoline_kernelINS0_14default_configENS1_22reduce_config_selectorIhEEZNS1_11reduce_implILb1ES3_PhS7_h11plus_mod_10IhEEE10hipError_tPvRmT1_T2_T3_mT4_P12ihipStream_tbEUlT_E1_NS1_11comp_targetILNS1_3genE2ELNS1_11target_archE906ELNS1_3gpuE6ELNS1_3repE0EEENS1_30default_config_static_selectorELNS0_4arch9wavefront6targetE1EEEvSD_
		.amdhsa_group_segment_fixed_size 0
		.amdhsa_private_segment_fixed_size 0
		.amdhsa_kernarg_size 40
		.amdhsa_user_sgpr_count 2
		.amdhsa_user_sgpr_dispatch_ptr 0
		.amdhsa_user_sgpr_queue_ptr 0
		.amdhsa_user_sgpr_kernarg_segment_ptr 1
		.amdhsa_user_sgpr_dispatch_id 0
		.amdhsa_user_sgpr_kernarg_preload_length 0
		.amdhsa_user_sgpr_kernarg_preload_offset 0
		.amdhsa_user_sgpr_private_segment_size 0
		.amdhsa_uses_dynamic_stack 0
		.amdhsa_enable_private_segment 0
		.amdhsa_system_sgpr_workgroup_id_x 1
		.amdhsa_system_sgpr_workgroup_id_y 0
		.amdhsa_system_sgpr_workgroup_id_z 0
		.amdhsa_system_sgpr_workgroup_info 0
		.amdhsa_system_vgpr_workitem_id 0
		.amdhsa_next_free_vgpr 1
		.amdhsa_next_free_sgpr 0
		.amdhsa_accum_offset 4
		.amdhsa_reserve_vcc 0
		.amdhsa_float_round_mode_32 0
		.amdhsa_float_round_mode_16_64 0
		.amdhsa_float_denorm_mode_32 3
		.amdhsa_float_denorm_mode_16_64 3
		.amdhsa_dx10_clamp 1
		.amdhsa_ieee_mode 1
		.amdhsa_fp16_overflow 0
		.amdhsa_tg_split 0
		.amdhsa_exception_fp_ieee_invalid_op 0
		.amdhsa_exception_fp_denorm_src 0
		.amdhsa_exception_fp_ieee_div_zero 0
		.amdhsa_exception_fp_ieee_overflow 0
		.amdhsa_exception_fp_ieee_underflow 0
		.amdhsa_exception_fp_ieee_inexact 0
		.amdhsa_exception_int_div_zero 0
	.end_amdhsa_kernel
	.section	.text._ZN7rocprim17ROCPRIM_400000_NS6detail17trampoline_kernelINS0_14default_configENS1_22reduce_config_selectorIhEEZNS1_11reduce_implILb1ES3_PhS7_h11plus_mod_10IhEEE10hipError_tPvRmT1_T2_T3_mT4_P12ihipStream_tbEUlT_E1_NS1_11comp_targetILNS1_3genE2ELNS1_11target_archE906ELNS1_3gpuE6ELNS1_3repE0EEENS1_30default_config_static_selectorELNS0_4arch9wavefront6targetE1EEEvSD_,"axG",@progbits,_ZN7rocprim17ROCPRIM_400000_NS6detail17trampoline_kernelINS0_14default_configENS1_22reduce_config_selectorIhEEZNS1_11reduce_implILb1ES3_PhS7_h11plus_mod_10IhEEE10hipError_tPvRmT1_T2_T3_mT4_P12ihipStream_tbEUlT_E1_NS1_11comp_targetILNS1_3genE2ELNS1_11target_archE906ELNS1_3gpuE6ELNS1_3repE0EEENS1_30default_config_static_selectorELNS0_4arch9wavefront6targetE1EEEvSD_,comdat
.Lfunc_end671:
	.size	_ZN7rocprim17ROCPRIM_400000_NS6detail17trampoline_kernelINS0_14default_configENS1_22reduce_config_selectorIhEEZNS1_11reduce_implILb1ES3_PhS7_h11plus_mod_10IhEEE10hipError_tPvRmT1_T2_T3_mT4_P12ihipStream_tbEUlT_E1_NS1_11comp_targetILNS1_3genE2ELNS1_11target_archE906ELNS1_3gpuE6ELNS1_3repE0EEENS1_30default_config_static_selectorELNS0_4arch9wavefront6targetE1EEEvSD_, .Lfunc_end671-_ZN7rocprim17ROCPRIM_400000_NS6detail17trampoline_kernelINS0_14default_configENS1_22reduce_config_selectorIhEEZNS1_11reduce_implILb1ES3_PhS7_h11plus_mod_10IhEEE10hipError_tPvRmT1_T2_T3_mT4_P12ihipStream_tbEUlT_E1_NS1_11comp_targetILNS1_3genE2ELNS1_11target_archE906ELNS1_3gpuE6ELNS1_3repE0EEENS1_30default_config_static_selectorELNS0_4arch9wavefront6targetE1EEEvSD_
                                        ; -- End function
	.set _ZN7rocprim17ROCPRIM_400000_NS6detail17trampoline_kernelINS0_14default_configENS1_22reduce_config_selectorIhEEZNS1_11reduce_implILb1ES3_PhS7_h11plus_mod_10IhEEE10hipError_tPvRmT1_T2_T3_mT4_P12ihipStream_tbEUlT_E1_NS1_11comp_targetILNS1_3genE2ELNS1_11target_archE906ELNS1_3gpuE6ELNS1_3repE0EEENS1_30default_config_static_selectorELNS0_4arch9wavefront6targetE1EEEvSD_.num_vgpr, 0
	.set _ZN7rocprim17ROCPRIM_400000_NS6detail17trampoline_kernelINS0_14default_configENS1_22reduce_config_selectorIhEEZNS1_11reduce_implILb1ES3_PhS7_h11plus_mod_10IhEEE10hipError_tPvRmT1_T2_T3_mT4_P12ihipStream_tbEUlT_E1_NS1_11comp_targetILNS1_3genE2ELNS1_11target_archE906ELNS1_3gpuE6ELNS1_3repE0EEENS1_30default_config_static_selectorELNS0_4arch9wavefront6targetE1EEEvSD_.num_agpr, 0
	.set _ZN7rocprim17ROCPRIM_400000_NS6detail17trampoline_kernelINS0_14default_configENS1_22reduce_config_selectorIhEEZNS1_11reduce_implILb1ES3_PhS7_h11plus_mod_10IhEEE10hipError_tPvRmT1_T2_T3_mT4_P12ihipStream_tbEUlT_E1_NS1_11comp_targetILNS1_3genE2ELNS1_11target_archE906ELNS1_3gpuE6ELNS1_3repE0EEENS1_30default_config_static_selectorELNS0_4arch9wavefront6targetE1EEEvSD_.numbered_sgpr, 0
	.set _ZN7rocprim17ROCPRIM_400000_NS6detail17trampoline_kernelINS0_14default_configENS1_22reduce_config_selectorIhEEZNS1_11reduce_implILb1ES3_PhS7_h11plus_mod_10IhEEE10hipError_tPvRmT1_T2_T3_mT4_P12ihipStream_tbEUlT_E1_NS1_11comp_targetILNS1_3genE2ELNS1_11target_archE906ELNS1_3gpuE6ELNS1_3repE0EEENS1_30default_config_static_selectorELNS0_4arch9wavefront6targetE1EEEvSD_.num_named_barrier, 0
	.set _ZN7rocprim17ROCPRIM_400000_NS6detail17trampoline_kernelINS0_14default_configENS1_22reduce_config_selectorIhEEZNS1_11reduce_implILb1ES3_PhS7_h11plus_mod_10IhEEE10hipError_tPvRmT1_T2_T3_mT4_P12ihipStream_tbEUlT_E1_NS1_11comp_targetILNS1_3genE2ELNS1_11target_archE906ELNS1_3gpuE6ELNS1_3repE0EEENS1_30default_config_static_selectorELNS0_4arch9wavefront6targetE1EEEvSD_.private_seg_size, 0
	.set _ZN7rocprim17ROCPRIM_400000_NS6detail17trampoline_kernelINS0_14default_configENS1_22reduce_config_selectorIhEEZNS1_11reduce_implILb1ES3_PhS7_h11plus_mod_10IhEEE10hipError_tPvRmT1_T2_T3_mT4_P12ihipStream_tbEUlT_E1_NS1_11comp_targetILNS1_3genE2ELNS1_11target_archE906ELNS1_3gpuE6ELNS1_3repE0EEENS1_30default_config_static_selectorELNS0_4arch9wavefront6targetE1EEEvSD_.uses_vcc, 0
	.set _ZN7rocprim17ROCPRIM_400000_NS6detail17trampoline_kernelINS0_14default_configENS1_22reduce_config_selectorIhEEZNS1_11reduce_implILb1ES3_PhS7_h11plus_mod_10IhEEE10hipError_tPvRmT1_T2_T3_mT4_P12ihipStream_tbEUlT_E1_NS1_11comp_targetILNS1_3genE2ELNS1_11target_archE906ELNS1_3gpuE6ELNS1_3repE0EEENS1_30default_config_static_selectorELNS0_4arch9wavefront6targetE1EEEvSD_.uses_flat_scratch, 0
	.set _ZN7rocprim17ROCPRIM_400000_NS6detail17trampoline_kernelINS0_14default_configENS1_22reduce_config_selectorIhEEZNS1_11reduce_implILb1ES3_PhS7_h11plus_mod_10IhEEE10hipError_tPvRmT1_T2_T3_mT4_P12ihipStream_tbEUlT_E1_NS1_11comp_targetILNS1_3genE2ELNS1_11target_archE906ELNS1_3gpuE6ELNS1_3repE0EEENS1_30default_config_static_selectorELNS0_4arch9wavefront6targetE1EEEvSD_.has_dyn_sized_stack, 0
	.set _ZN7rocprim17ROCPRIM_400000_NS6detail17trampoline_kernelINS0_14default_configENS1_22reduce_config_selectorIhEEZNS1_11reduce_implILb1ES3_PhS7_h11plus_mod_10IhEEE10hipError_tPvRmT1_T2_T3_mT4_P12ihipStream_tbEUlT_E1_NS1_11comp_targetILNS1_3genE2ELNS1_11target_archE906ELNS1_3gpuE6ELNS1_3repE0EEENS1_30default_config_static_selectorELNS0_4arch9wavefront6targetE1EEEvSD_.has_recursion, 0
	.set _ZN7rocprim17ROCPRIM_400000_NS6detail17trampoline_kernelINS0_14default_configENS1_22reduce_config_selectorIhEEZNS1_11reduce_implILb1ES3_PhS7_h11plus_mod_10IhEEE10hipError_tPvRmT1_T2_T3_mT4_P12ihipStream_tbEUlT_E1_NS1_11comp_targetILNS1_3genE2ELNS1_11target_archE906ELNS1_3gpuE6ELNS1_3repE0EEENS1_30default_config_static_selectorELNS0_4arch9wavefront6targetE1EEEvSD_.has_indirect_call, 0
	.section	.AMDGPU.csdata,"",@progbits
; Kernel info:
; codeLenInByte = 0
; TotalNumSgprs: 6
; NumVgprs: 0
; NumAgprs: 0
; TotalNumVgprs: 0
; ScratchSize: 0
; MemoryBound: 0
; FloatMode: 240
; IeeeMode: 1
; LDSByteSize: 0 bytes/workgroup (compile time only)
; SGPRBlocks: 0
; VGPRBlocks: 0
; NumSGPRsForWavesPerEU: 6
; NumVGPRsForWavesPerEU: 1
; AccumOffset: 4
; Occupancy: 8
; WaveLimiterHint : 0
; COMPUTE_PGM_RSRC2:SCRATCH_EN: 0
; COMPUTE_PGM_RSRC2:USER_SGPR: 2
; COMPUTE_PGM_RSRC2:TRAP_HANDLER: 0
; COMPUTE_PGM_RSRC2:TGID_X_EN: 1
; COMPUTE_PGM_RSRC2:TGID_Y_EN: 0
; COMPUTE_PGM_RSRC2:TGID_Z_EN: 0
; COMPUTE_PGM_RSRC2:TIDIG_COMP_CNT: 0
; COMPUTE_PGM_RSRC3_GFX90A:ACCUM_OFFSET: 0
; COMPUTE_PGM_RSRC3_GFX90A:TG_SPLIT: 0
	.section	.text._ZN7rocprim17ROCPRIM_400000_NS6detail17trampoline_kernelINS0_14default_configENS1_22reduce_config_selectorIhEEZNS1_11reduce_implILb1ES3_PhS7_h11plus_mod_10IhEEE10hipError_tPvRmT1_T2_T3_mT4_P12ihipStream_tbEUlT_E1_NS1_11comp_targetILNS1_3genE10ELNS1_11target_archE1201ELNS1_3gpuE5ELNS1_3repE0EEENS1_30default_config_static_selectorELNS0_4arch9wavefront6targetE1EEEvSD_,"axG",@progbits,_ZN7rocprim17ROCPRIM_400000_NS6detail17trampoline_kernelINS0_14default_configENS1_22reduce_config_selectorIhEEZNS1_11reduce_implILb1ES3_PhS7_h11plus_mod_10IhEEE10hipError_tPvRmT1_T2_T3_mT4_P12ihipStream_tbEUlT_E1_NS1_11comp_targetILNS1_3genE10ELNS1_11target_archE1201ELNS1_3gpuE5ELNS1_3repE0EEENS1_30default_config_static_selectorELNS0_4arch9wavefront6targetE1EEEvSD_,comdat
	.protected	_ZN7rocprim17ROCPRIM_400000_NS6detail17trampoline_kernelINS0_14default_configENS1_22reduce_config_selectorIhEEZNS1_11reduce_implILb1ES3_PhS7_h11plus_mod_10IhEEE10hipError_tPvRmT1_T2_T3_mT4_P12ihipStream_tbEUlT_E1_NS1_11comp_targetILNS1_3genE10ELNS1_11target_archE1201ELNS1_3gpuE5ELNS1_3repE0EEENS1_30default_config_static_selectorELNS0_4arch9wavefront6targetE1EEEvSD_ ; -- Begin function _ZN7rocprim17ROCPRIM_400000_NS6detail17trampoline_kernelINS0_14default_configENS1_22reduce_config_selectorIhEEZNS1_11reduce_implILb1ES3_PhS7_h11plus_mod_10IhEEE10hipError_tPvRmT1_T2_T3_mT4_P12ihipStream_tbEUlT_E1_NS1_11comp_targetILNS1_3genE10ELNS1_11target_archE1201ELNS1_3gpuE5ELNS1_3repE0EEENS1_30default_config_static_selectorELNS0_4arch9wavefront6targetE1EEEvSD_
	.globl	_ZN7rocprim17ROCPRIM_400000_NS6detail17trampoline_kernelINS0_14default_configENS1_22reduce_config_selectorIhEEZNS1_11reduce_implILb1ES3_PhS7_h11plus_mod_10IhEEE10hipError_tPvRmT1_T2_T3_mT4_P12ihipStream_tbEUlT_E1_NS1_11comp_targetILNS1_3genE10ELNS1_11target_archE1201ELNS1_3gpuE5ELNS1_3repE0EEENS1_30default_config_static_selectorELNS0_4arch9wavefront6targetE1EEEvSD_
	.p2align	8
	.type	_ZN7rocprim17ROCPRIM_400000_NS6detail17trampoline_kernelINS0_14default_configENS1_22reduce_config_selectorIhEEZNS1_11reduce_implILb1ES3_PhS7_h11plus_mod_10IhEEE10hipError_tPvRmT1_T2_T3_mT4_P12ihipStream_tbEUlT_E1_NS1_11comp_targetILNS1_3genE10ELNS1_11target_archE1201ELNS1_3gpuE5ELNS1_3repE0EEENS1_30default_config_static_selectorELNS0_4arch9wavefront6targetE1EEEvSD_,@function
_ZN7rocprim17ROCPRIM_400000_NS6detail17trampoline_kernelINS0_14default_configENS1_22reduce_config_selectorIhEEZNS1_11reduce_implILb1ES3_PhS7_h11plus_mod_10IhEEE10hipError_tPvRmT1_T2_T3_mT4_P12ihipStream_tbEUlT_E1_NS1_11comp_targetILNS1_3genE10ELNS1_11target_archE1201ELNS1_3gpuE5ELNS1_3repE0EEENS1_30default_config_static_selectorELNS0_4arch9wavefront6targetE1EEEvSD_: ; @_ZN7rocprim17ROCPRIM_400000_NS6detail17trampoline_kernelINS0_14default_configENS1_22reduce_config_selectorIhEEZNS1_11reduce_implILb1ES3_PhS7_h11plus_mod_10IhEEE10hipError_tPvRmT1_T2_T3_mT4_P12ihipStream_tbEUlT_E1_NS1_11comp_targetILNS1_3genE10ELNS1_11target_archE1201ELNS1_3gpuE5ELNS1_3repE0EEENS1_30default_config_static_selectorELNS0_4arch9wavefront6targetE1EEEvSD_
; %bb.0:
	.section	.rodata,"a",@progbits
	.p2align	6, 0x0
	.amdhsa_kernel _ZN7rocprim17ROCPRIM_400000_NS6detail17trampoline_kernelINS0_14default_configENS1_22reduce_config_selectorIhEEZNS1_11reduce_implILb1ES3_PhS7_h11plus_mod_10IhEEE10hipError_tPvRmT1_T2_T3_mT4_P12ihipStream_tbEUlT_E1_NS1_11comp_targetILNS1_3genE10ELNS1_11target_archE1201ELNS1_3gpuE5ELNS1_3repE0EEENS1_30default_config_static_selectorELNS0_4arch9wavefront6targetE1EEEvSD_
		.amdhsa_group_segment_fixed_size 0
		.amdhsa_private_segment_fixed_size 0
		.amdhsa_kernarg_size 40
		.amdhsa_user_sgpr_count 2
		.amdhsa_user_sgpr_dispatch_ptr 0
		.amdhsa_user_sgpr_queue_ptr 0
		.amdhsa_user_sgpr_kernarg_segment_ptr 1
		.amdhsa_user_sgpr_dispatch_id 0
		.amdhsa_user_sgpr_kernarg_preload_length 0
		.amdhsa_user_sgpr_kernarg_preload_offset 0
		.amdhsa_user_sgpr_private_segment_size 0
		.amdhsa_uses_dynamic_stack 0
		.amdhsa_enable_private_segment 0
		.amdhsa_system_sgpr_workgroup_id_x 1
		.amdhsa_system_sgpr_workgroup_id_y 0
		.amdhsa_system_sgpr_workgroup_id_z 0
		.amdhsa_system_sgpr_workgroup_info 0
		.amdhsa_system_vgpr_workitem_id 0
		.amdhsa_next_free_vgpr 1
		.amdhsa_next_free_sgpr 0
		.amdhsa_accum_offset 4
		.amdhsa_reserve_vcc 0
		.amdhsa_float_round_mode_32 0
		.amdhsa_float_round_mode_16_64 0
		.amdhsa_float_denorm_mode_32 3
		.amdhsa_float_denorm_mode_16_64 3
		.amdhsa_dx10_clamp 1
		.amdhsa_ieee_mode 1
		.amdhsa_fp16_overflow 0
		.amdhsa_tg_split 0
		.amdhsa_exception_fp_ieee_invalid_op 0
		.amdhsa_exception_fp_denorm_src 0
		.amdhsa_exception_fp_ieee_div_zero 0
		.amdhsa_exception_fp_ieee_overflow 0
		.amdhsa_exception_fp_ieee_underflow 0
		.amdhsa_exception_fp_ieee_inexact 0
		.amdhsa_exception_int_div_zero 0
	.end_amdhsa_kernel
	.section	.text._ZN7rocprim17ROCPRIM_400000_NS6detail17trampoline_kernelINS0_14default_configENS1_22reduce_config_selectorIhEEZNS1_11reduce_implILb1ES3_PhS7_h11plus_mod_10IhEEE10hipError_tPvRmT1_T2_T3_mT4_P12ihipStream_tbEUlT_E1_NS1_11comp_targetILNS1_3genE10ELNS1_11target_archE1201ELNS1_3gpuE5ELNS1_3repE0EEENS1_30default_config_static_selectorELNS0_4arch9wavefront6targetE1EEEvSD_,"axG",@progbits,_ZN7rocprim17ROCPRIM_400000_NS6detail17trampoline_kernelINS0_14default_configENS1_22reduce_config_selectorIhEEZNS1_11reduce_implILb1ES3_PhS7_h11plus_mod_10IhEEE10hipError_tPvRmT1_T2_T3_mT4_P12ihipStream_tbEUlT_E1_NS1_11comp_targetILNS1_3genE10ELNS1_11target_archE1201ELNS1_3gpuE5ELNS1_3repE0EEENS1_30default_config_static_selectorELNS0_4arch9wavefront6targetE1EEEvSD_,comdat
.Lfunc_end672:
	.size	_ZN7rocprim17ROCPRIM_400000_NS6detail17trampoline_kernelINS0_14default_configENS1_22reduce_config_selectorIhEEZNS1_11reduce_implILb1ES3_PhS7_h11plus_mod_10IhEEE10hipError_tPvRmT1_T2_T3_mT4_P12ihipStream_tbEUlT_E1_NS1_11comp_targetILNS1_3genE10ELNS1_11target_archE1201ELNS1_3gpuE5ELNS1_3repE0EEENS1_30default_config_static_selectorELNS0_4arch9wavefront6targetE1EEEvSD_, .Lfunc_end672-_ZN7rocprim17ROCPRIM_400000_NS6detail17trampoline_kernelINS0_14default_configENS1_22reduce_config_selectorIhEEZNS1_11reduce_implILb1ES3_PhS7_h11plus_mod_10IhEEE10hipError_tPvRmT1_T2_T3_mT4_P12ihipStream_tbEUlT_E1_NS1_11comp_targetILNS1_3genE10ELNS1_11target_archE1201ELNS1_3gpuE5ELNS1_3repE0EEENS1_30default_config_static_selectorELNS0_4arch9wavefront6targetE1EEEvSD_
                                        ; -- End function
	.set _ZN7rocprim17ROCPRIM_400000_NS6detail17trampoline_kernelINS0_14default_configENS1_22reduce_config_selectorIhEEZNS1_11reduce_implILb1ES3_PhS7_h11plus_mod_10IhEEE10hipError_tPvRmT1_T2_T3_mT4_P12ihipStream_tbEUlT_E1_NS1_11comp_targetILNS1_3genE10ELNS1_11target_archE1201ELNS1_3gpuE5ELNS1_3repE0EEENS1_30default_config_static_selectorELNS0_4arch9wavefront6targetE1EEEvSD_.num_vgpr, 0
	.set _ZN7rocprim17ROCPRIM_400000_NS6detail17trampoline_kernelINS0_14default_configENS1_22reduce_config_selectorIhEEZNS1_11reduce_implILb1ES3_PhS7_h11plus_mod_10IhEEE10hipError_tPvRmT1_T2_T3_mT4_P12ihipStream_tbEUlT_E1_NS1_11comp_targetILNS1_3genE10ELNS1_11target_archE1201ELNS1_3gpuE5ELNS1_3repE0EEENS1_30default_config_static_selectorELNS0_4arch9wavefront6targetE1EEEvSD_.num_agpr, 0
	.set _ZN7rocprim17ROCPRIM_400000_NS6detail17trampoline_kernelINS0_14default_configENS1_22reduce_config_selectorIhEEZNS1_11reduce_implILb1ES3_PhS7_h11plus_mod_10IhEEE10hipError_tPvRmT1_T2_T3_mT4_P12ihipStream_tbEUlT_E1_NS1_11comp_targetILNS1_3genE10ELNS1_11target_archE1201ELNS1_3gpuE5ELNS1_3repE0EEENS1_30default_config_static_selectorELNS0_4arch9wavefront6targetE1EEEvSD_.numbered_sgpr, 0
	.set _ZN7rocprim17ROCPRIM_400000_NS6detail17trampoline_kernelINS0_14default_configENS1_22reduce_config_selectorIhEEZNS1_11reduce_implILb1ES3_PhS7_h11plus_mod_10IhEEE10hipError_tPvRmT1_T2_T3_mT4_P12ihipStream_tbEUlT_E1_NS1_11comp_targetILNS1_3genE10ELNS1_11target_archE1201ELNS1_3gpuE5ELNS1_3repE0EEENS1_30default_config_static_selectorELNS0_4arch9wavefront6targetE1EEEvSD_.num_named_barrier, 0
	.set _ZN7rocprim17ROCPRIM_400000_NS6detail17trampoline_kernelINS0_14default_configENS1_22reduce_config_selectorIhEEZNS1_11reduce_implILb1ES3_PhS7_h11plus_mod_10IhEEE10hipError_tPvRmT1_T2_T3_mT4_P12ihipStream_tbEUlT_E1_NS1_11comp_targetILNS1_3genE10ELNS1_11target_archE1201ELNS1_3gpuE5ELNS1_3repE0EEENS1_30default_config_static_selectorELNS0_4arch9wavefront6targetE1EEEvSD_.private_seg_size, 0
	.set _ZN7rocprim17ROCPRIM_400000_NS6detail17trampoline_kernelINS0_14default_configENS1_22reduce_config_selectorIhEEZNS1_11reduce_implILb1ES3_PhS7_h11plus_mod_10IhEEE10hipError_tPvRmT1_T2_T3_mT4_P12ihipStream_tbEUlT_E1_NS1_11comp_targetILNS1_3genE10ELNS1_11target_archE1201ELNS1_3gpuE5ELNS1_3repE0EEENS1_30default_config_static_selectorELNS0_4arch9wavefront6targetE1EEEvSD_.uses_vcc, 0
	.set _ZN7rocprim17ROCPRIM_400000_NS6detail17trampoline_kernelINS0_14default_configENS1_22reduce_config_selectorIhEEZNS1_11reduce_implILb1ES3_PhS7_h11plus_mod_10IhEEE10hipError_tPvRmT1_T2_T3_mT4_P12ihipStream_tbEUlT_E1_NS1_11comp_targetILNS1_3genE10ELNS1_11target_archE1201ELNS1_3gpuE5ELNS1_3repE0EEENS1_30default_config_static_selectorELNS0_4arch9wavefront6targetE1EEEvSD_.uses_flat_scratch, 0
	.set _ZN7rocprim17ROCPRIM_400000_NS6detail17trampoline_kernelINS0_14default_configENS1_22reduce_config_selectorIhEEZNS1_11reduce_implILb1ES3_PhS7_h11plus_mod_10IhEEE10hipError_tPvRmT1_T2_T3_mT4_P12ihipStream_tbEUlT_E1_NS1_11comp_targetILNS1_3genE10ELNS1_11target_archE1201ELNS1_3gpuE5ELNS1_3repE0EEENS1_30default_config_static_selectorELNS0_4arch9wavefront6targetE1EEEvSD_.has_dyn_sized_stack, 0
	.set _ZN7rocprim17ROCPRIM_400000_NS6detail17trampoline_kernelINS0_14default_configENS1_22reduce_config_selectorIhEEZNS1_11reduce_implILb1ES3_PhS7_h11plus_mod_10IhEEE10hipError_tPvRmT1_T2_T3_mT4_P12ihipStream_tbEUlT_E1_NS1_11comp_targetILNS1_3genE10ELNS1_11target_archE1201ELNS1_3gpuE5ELNS1_3repE0EEENS1_30default_config_static_selectorELNS0_4arch9wavefront6targetE1EEEvSD_.has_recursion, 0
	.set _ZN7rocprim17ROCPRIM_400000_NS6detail17trampoline_kernelINS0_14default_configENS1_22reduce_config_selectorIhEEZNS1_11reduce_implILb1ES3_PhS7_h11plus_mod_10IhEEE10hipError_tPvRmT1_T2_T3_mT4_P12ihipStream_tbEUlT_E1_NS1_11comp_targetILNS1_3genE10ELNS1_11target_archE1201ELNS1_3gpuE5ELNS1_3repE0EEENS1_30default_config_static_selectorELNS0_4arch9wavefront6targetE1EEEvSD_.has_indirect_call, 0
	.section	.AMDGPU.csdata,"",@progbits
; Kernel info:
; codeLenInByte = 0
; TotalNumSgprs: 6
; NumVgprs: 0
; NumAgprs: 0
; TotalNumVgprs: 0
; ScratchSize: 0
; MemoryBound: 0
; FloatMode: 240
; IeeeMode: 1
; LDSByteSize: 0 bytes/workgroup (compile time only)
; SGPRBlocks: 0
; VGPRBlocks: 0
; NumSGPRsForWavesPerEU: 6
; NumVGPRsForWavesPerEU: 1
; AccumOffset: 4
; Occupancy: 8
; WaveLimiterHint : 0
; COMPUTE_PGM_RSRC2:SCRATCH_EN: 0
; COMPUTE_PGM_RSRC2:USER_SGPR: 2
; COMPUTE_PGM_RSRC2:TRAP_HANDLER: 0
; COMPUTE_PGM_RSRC2:TGID_X_EN: 1
; COMPUTE_PGM_RSRC2:TGID_Y_EN: 0
; COMPUTE_PGM_RSRC2:TGID_Z_EN: 0
; COMPUTE_PGM_RSRC2:TIDIG_COMP_CNT: 0
; COMPUTE_PGM_RSRC3_GFX90A:ACCUM_OFFSET: 0
; COMPUTE_PGM_RSRC3_GFX90A:TG_SPLIT: 0
	.section	.text._ZN7rocprim17ROCPRIM_400000_NS6detail17trampoline_kernelINS0_14default_configENS1_22reduce_config_selectorIhEEZNS1_11reduce_implILb1ES3_PhS7_h11plus_mod_10IhEEE10hipError_tPvRmT1_T2_T3_mT4_P12ihipStream_tbEUlT_E1_NS1_11comp_targetILNS1_3genE10ELNS1_11target_archE1200ELNS1_3gpuE4ELNS1_3repE0EEENS1_30default_config_static_selectorELNS0_4arch9wavefront6targetE1EEEvSD_,"axG",@progbits,_ZN7rocprim17ROCPRIM_400000_NS6detail17trampoline_kernelINS0_14default_configENS1_22reduce_config_selectorIhEEZNS1_11reduce_implILb1ES3_PhS7_h11plus_mod_10IhEEE10hipError_tPvRmT1_T2_T3_mT4_P12ihipStream_tbEUlT_E1_NS1_11comp_targetILNS1_3genE10ELNS1_11target_archE1200ELNS1_3gpuE4ELNS1_3repE0EEENS1_30default_config_static_selectorELNS0_4arch9wavefront6targetE1EEEvSD_,comdat
	.protected	_ZN7rocprim17ROCPRIM_400000_NS6detail17trampoline_kernelINS0_14default_configENS1_22reduce_config_selectorIhEEZNS1_11reduce_implILb1ES3_PhS7_h11plus_mod_10IhEEE10hipError_tPvRmT1_T2_T3_mT4_P12ihipStream_tbEUlT_E1_NS1_11comp_targetILNS1_3genE10ELNS1_11target_archE1200ELNS1_3gpuE4ELNS1_3repE0EEENS1_30default_config_static_selectorELNS0_4arch9wavefront6targetE1EEEvSD_ ; -- Begin function _ZN7rocprim17ROCPRIM_400000_NS6detail17trampoline_kernelINS0_14default_configENS1_22reduce_config_selectorIhEEZNS1_11reduce_implILb1ES3_PhS7_h11plus_mod_10IhEEE10hipError_tPvRmT1_T2_T3_mT4_P12ihipStream_tbEUlT_E1_NS1_11comp_targetILNS1_3genE10ELNS1_11target_archE1200ELNS1_3gpuE4ELNS1_3repE0EEENS1_30default_config_static_selectorELNS0_4arch9wavefront6targetE1EEEvSD_
	.globl	_ZN7rocprim17ROCPRIM_400000_NS6detail17trampoline_kernelINS0_14default_configENS1_22reduce_config_selectorIhEEZNS1_11reduce_implILb1ES3_PhS7_h11plus_mod_10IhEEE10hipError_tPvRmT1_T2_T3_mT4_P12ihipStream_tbEUlT_E1_NS1_11comp_targetILNS1_3genE10ELNS1_11target_archE1200ELNS1_3gpuE4ELNS1_3repE0EEENS1_30default_config_static_selectorELNS0_4arch9wavefront6targetE1EEEvSD_
	.p2align	8
	.type	_ZN7rocprim17ROCPRIM_400000_NS6detail17trampoline_kernelINS0_14default_configENS1_22reduce_config_selectorIhEEZNS1_11reduce_implILb1ES3_PhS7_h11plus_mod_10IhEEE10hipError_tPvRmT1_T2_T3_mT4_P12ihipStream_tbEUlT_E1_NS1_11comp_targetILNS1_3genE10ELNS1_11target_archE1200ELNS1_3gpuE4ELNS1_3repE0EEENS1_30default_config_static_selectorELNS0_4arch9wavefront6targetE1EEEvSD_,@function
_ZN7rocprim17ROCPRIM_400000_NS6detail17trampoline_kernelINS0_14default_configENS1_22reduce_config_selectorIhEEZNS1_11reduce_implILb1ES3_PhS7_h11plus_mod_10IhEEE10hipError_tPvRmT1_T2_T3_mT4_P12ihipStream_tbEUlT_E1_NS1_11comp_targetILNS1_3genE10ELNS1_11target_archE1200ELNS1_3gpuE4ELNS1_3repE0EEENS1_30default_config_static_selectorELNS0_4arch9wavefront6targetE1EEEvSD_: ; @_ZN7rocprim17ROCPRIM_400000_NS6detail17trampoline_kernelINS0_14default_configENS1_22reduce_config_selectorIhEEZNS1_11reduce_implILb1ES3_PhS7_h11plus_mod_10IhEEE10hipError_tPvRmT1_T2_T3_mT4_P12ihipStream_tbEUlT_E1_NS1_11comp_targetILNS1_3genE10ELNS1_11target_archE1200ELNS1_3gpuE4ELNS1_3repE0EEENS1_30default_config_static_selectorELNS0_4arch9wavefront6targetE1EEEvSD_
; %bb.0:
	.section	.rodata,"a",@progbits
	.p2align	6, 0x0
	.amdhsa_kernel _ZN7rocprim17ROCPRIM_400000_NS6detail17trampoline_kernelINS0_14default_configENS1_22reduce_config_selectorIhEEZNS1_11reduce_implILb1ES3_PhS7_h11plus_mod_10IhEEE10hipError_tPvRmT1_T2_T3_mT4_P12ihipStream_tbEUlT_E1_NS1_11comp_targetILNS1_3genE10ELNS1_11target_archE1200ELNS1_3gpuE4ELNS1_3repE0EEENS1_30default_config_static_selectorELNS0_4arch9wavefront6targetE1EEEvSD_
		.amdhsa_group_segment_fixed_size 0
		.amdhsa_private_segment_fixed_size 0
		.amdhsa_kernarg_size 40
		.amdhsa_user_sgpr_count 2
		.amdhsa_user_sgpr_dispatch_ptr 0
		.amdhsa_user_sgpr_queue_ptr 0
		.amdhsa_user_sgpr_kernarg_segment_ptr 1
		.amdhsa_user_sgpr_dispatch_id 0
		.amdhsa_user_sgpr_kernarg_preload_length 0
		.amdhsa_user_sgpr_kernarg_preload_offset 0
		.amdhsa_user_sgpr_private_segment_size 0
		.amdhsa_uses_dynamic_stack 0
		.amdhsa_enable_private_segment 0
		.amdhsa_system_sgpr_workgroup_id_x 1
		.amdhsa_system_sgpr_workgroup_id_y 0
		.amdhsa_system_sgpr_workgroup_id_z 0
		.amdhsa_system_sgpr_workgroup_info 0
		.amdhsa_system_vgpr_workitem_id 0
		.amdhsa_next_free_vgpr 1
		.amdhsa_next_free_sgpr 0
		.amdhsa_accum_offset 4
		.amdhsa_reserve_vcc 0
		.amdhsa_float_round_mode_32 0
		.amdhsa_float_round_mode_16_64 0
		.amdhsa_float_denorm_mode_32 3
		.amdhsa_float_denorm_mode_16_64 3
		.amdhsa_dx10_clamp 1
		.amdhsa_ieee_mode 1
		.amdhsa_fp16_overflow 0
		.amdhsa_tg_split 0
		.amdhsa_exception_fp_ieee_invalid_op 0
		.amdhsa_exception_fp_denorm_src 0
		.amdhsa_exception_fp_ieee_div_zero 0
		.amdhsa_exception_fp_ieee_overflow 0
		.amdhsa_exception_fp_ieee_underflow 0
		.amdhsa_exception_fp_ieee_inexact 0
		.amdhsa_exception_int_div_zero 0
	.end_amdhsa_kernel
	.section	.text._ZN7rocprim17ROCPRIM_400000_NS6detail17trampoline_kernelINS0_14default_configENS1_22reduce_config_selectorIhEEZNS1_11reduce_implILb1ES3_PhS7_h11plus_mod_10IhEEE10hipError_tPvRmT1_T2_T3_mT4_P12ihipStream_tbEUlT_E1_NS1_11comp_targetILNS1_3genE10ELNS1_11target_archE1200ELNS1_3gpuE4ELNS1_3repE0EEENS1_30default_config_static_selectorELNS0_4arch9wavefront6targetE1EEEvSD_,"axG",@progbits,_ZN7rocprim17ROCPRIM_400000_NS6detail17trampoline_kernelINS0_14default_configENS1_22reduce_config_selectorIhEEZNS1_11reduce_implILb1ES3_PhS7_h11plus_mod_10IhEEE10hipError_tPvRmT1_T2_T3_mT4_P12ihipStream_tbEUlT_E1_NS1_11comp_targetILNS1_3genE10ELNS1_11target_archE1200ELNS1_3gpuE4ELNS1_3repE0EEENS1_30default_config_static_selectorELNS0_4arch9wavefront6targetE1EEEvSD_,comdat
.Lfunc_end673:
	.size	_ZN7rocprim17ROCPRIM_400000_NS6detail17trampoline_kernelINS0_14default_configENS1_22reduce_config_selectorIhEEZNS1_11reduce_implILb1ES3_PhS7_h11plus_mod_10IhEEE10hipError_tPvRmT1_T2_T3_mT4_P12ihipStream_tbEUlT_E1_NS1_11comp_targetILNS1_3genE10ELNS1_11target_archE1200ELNS1_3gpuE4ELNS1_3repE0EEENS1_30default_config_static_selectorELNS0_4arch9wavefront6targetE1EEEvSD_, .Lfunc_end673-_ZN7rocprim17ROCPRIM_400000_NS6detail17trampoline_kernelINS0_14default_configENS1_22reduce_config_selectorIhEEZNS1_11reduce_implILb1ES3_PhS7_h11plus_mod_10IhEEE10hipError_tPvRmT1_T2_T3_mT4_P12ihipStream_tbEUlT_E1_NS1_11comp_targetILNS1_3genE10ELNS1_11target_archE1200ELNS1_3gpuE4ELNS1_3repE0EEENS1_30default_config_static_selectorELNS0_4arch9wavefront6targetE1EEEvSD_
                                        ; -- End function
	.set _ZN7rocprim17ROCPRIM_400000_NS6detail17trampoline_kernelINS0_14default_configENS1_22reduce_config_selectorIhEEZNS1_11reduce_implILb1ES3_PhS7_h11plus_mod_10IhEEE10hipError_tPvRmT1_T2_T3_mT4_P12ihipStream_tbEUlT_E1_NS1_11comp_targetILNS1_3genE10ELNS1_11target_archE1200ELNS1_3gpuE4ELNS1_3repE0EEENS1_30default_config_static_selectorELNS0_4arch9wavefront6targetE1EEEvSD_.num_vgpr, 0
	.set _ZN7rocprim17ROCPRIM_400000_NS6detail17trampoline_kernelINS0_14default_configENS1_22reduce_config_selectorIhEEZNS1_11reduce_implILb1ES3_PhS7_h11plus_mod_10IhEEE10hipError_tPvRmT1_T2_T3_mT4_P12ihipStream_tbEUlT_E1_NS1_11comp_targetILNS1_3genE10ELNS1_11target_archE1200ELNS1_3gpuE4ELNS1_3repE0EEENS1_30default_config_static_selectorELNS0_4arch9wavefront6targetE1EEEvSD_.num_agpr, 0
	.set _ZN7rocprim17ROCPRIM_400000_NS6detail17trampoline_kernelINS0_14default_configENS1_22reduce_config_selectorIhEEZNS1_11reduce_implILb1ES3_PhS7_h11plus_mod_10IhEEE10hipError_tPvRmT1_T2_T3_mT4_P12ihipStream_tbEUlT_E1_NS1_11comp_targetILNS1_3genE10ELNS1_11target_archE1200ELNS1_3gpuE4ELNS1_3repE0EEENS1_30default_config_static_selectorELNS0_4arch9wavefront6targetE1EEEvSD_.numbered_sgpr, 0
	.set _ZN7rocprim17ROCPRIM_400000_NS6detail17trampoline_kernelINS0_14default_configENS1_22reduce_config_selectorIhEEZNS1_11reduce_implILb1ES3_PhS7_h11plus_mod_10IhEEE10hipError_tPvRmT1_T2_T3_mT4_P12ihipStream_tbEUlT_E1_NS1_11comp_targetILNS1_3genE10ELNS1_11target_archE1200ELNS1_3gpuE4ELNS1_3repE0EEENS1_30default_config_static_selectorELNS0_4arch9wavefront6targetE1EEEvSD_.num_named_barrier, 0
	.set _ZN7rocprim17ROCPRIM_400000_NS6detail17trampoline_kernelINS0_14default_configENS1_22reduce_config_selectorIhEEZNS1_11reduce_implILb1ES3_PhS7_h11plus_mod_10IhEEE10hipError_tPvRmT1_T2_T3_mT4_P12ihipStream_tbEUlT_E1_NS1_11comp_targetILNS1_3genE10ELNS1_11target_archE1200ELNS1_3gpuE4ELNS1_3repE0EEENS1_30default_config_static_selectorELNS0_4arch9wavefront6targetE1EEEvSD_.private_seg_size, 0
	.set _ZN7rocprim17ROCPRIM_400000_NS6detail17trampoline_kernelINS0_14default_configENS1_22reduce_config_selectorIhEEZNS1_11reduce_implILb1ES3_PhS7_h11plus_mod_10IhEEE10hipError_tPvRmT1_T2_T3_mT4_P12ihipStream_tbEUlT_E1_NS1_11comp_targetILNS1_3genE10ELNS1_11target_archE1200ELNS1_3gpuE4ELNS1_3repE0EEENS1_30default_config_static_selectorELNS0_4arch9wavefront6targetE1EEEvSD_.uses_vcc, 0
	.set _ZN7rocprim17ROCPRIM_400000_NS6detail17trampoline_kernelINS0_14default_configENS1_22reduce_config_selectorIhEEZNS1_11reduce_implILb1ES3_PhS7_h11plus_mod_10IhEEE10hipError_tPvRmT1_T2_T3_mT4_P12ihipStream_tbEUlT_E1_NS1_11comp_targetILNS1_3genE10ELNS1_11target_archE1200ELNS1_3gpuE4ELNS1_3repE0EEENS1_30default_config_static_selectorELNS0_4arch9wavefront6targetE1EEEvSD_.uses_flat_scratch, 0
	.set _ZN7rocprim17ROCPRIM_400000_NS6detail17trampoline_kernelINS0_14default_configENS1_22reduce_config_selectorIhEEZNS1_11reduce_implILb1ES3_PhS7_h11plus_mod_10IhEEE10hipError_tPvRmT1_T2_T3_mT4_P12ihipStream_tbEUlT_E1_NS1_11comp_targetILNS1_3genE10ELNS1_11target_archE1200ELNS1_3gpuE4ELNS1_3repE0EEENS1_30default_config_static_selectorELNS0_4arch9wavefront6targetE1EEEvSD_.has_dyn_sized_stack, 0
	.set _ZN7rocprim17ROCPRIM_400000_NS6detail17trampoline_kernelINS0_14default_configENS1_22reduce_config_selectorIhEEZNS1_11reduce_implILb1ES3_PhS7_h11plus_mod_10IhEEE10hipError_tPvRmT1_T2_T3_mT4_P12ihipStream_tbEUlT_E1_NS1_11comp_targetILNS1_3genE10ELNS1_11target_archE1200ELNS1_3gpuE4ELNS1_3repE0EEENS1_30default_config_static_selectorELNS0_4arch9wavefront6targetE1EEEvSD_.has_recursion, 0
	.set _ZN7rocprim17ROCPRIM_400000_NS6detail17trampoline_kernelINS0_14default_configENS1_22reduce_config_selectorIhEEZNS1_11reduce_implILb1ES3_PhS7_h11plus_mod_10IhEEE10hipError_tPvRmT1_T2_T3_mT4_P12ihipStream_tbEUlT_E1_NS1_11comp_targetILNS1_3genE10ELNS1_11target_archE1200ELNS1_3gpuE4ELNS1_3repE0EEENS1_30default_config_static_selectorELNS0_4arch9wavefront6targetE1EEEvSD_.has_indirect_call, 0
	.section	.AMDGPU.csdata,"",@progbits
; Kernel info:
; codeLenInByte = 0
; TotalNumSgprs: 6
; NumVgprs: 0
; NumAgprs: 0
; TotalNumVgprs: 0
; ScratchSize: 0
; MemoryBound: 0
; FloatMode: 240
; IeeeMode: 1
; LDSByteSize: 0 bytes/workgroup (compile time only)
; SGPRBlocks: 0
; VGPRBlocks: 0
; NumSGPRsForWavesPerEU: 6
; NumVGPRsForWavesPerEU: 1
; AccumOffset: 4
; Occupancy: 8
; WaveLimiterHint : 0
; COMPUTE_PGM_RSRC2:SCRATCH_EN: 0
; COMPUTE_PGM_RSRC2:USER_SGPR: 2
; COMPUTE_PGM_RSRC2:TRAP_HANDLER: 0
; COMPUTE_PGM_RSRC2:TGID_X_EN: 1
; COMPUTE_PGM_RSRC2:TGID_Y_EN: 0
; COMPUTE_PGM_RSRC2:TGID_Z_EN: 0
; COMPUTE_PGM_RSRC2:TIDIG_COMP_CNT: 0
; COMPUTE_PGM_RSRC3_GFX90A:ACCUM_OFFSET: 0
; COMPUTE_PGM_RSRC3_GFX90A:TG_SPLIT: 0
	.section	.text._ZN7rocprim17ROCPRIM_400000_NS6detail17trampoline_kernelINS0_14default_configENS1_22reduce_config_selectorIhEEZNS1_11reduce_implILb1ES3_PhS7_h11plus_mod_10IhEEE10hipError_tPvRmT1_T2_T3_mT4_P12ihipStream_tbEUlT_E1_NS1_11comp_targetILNS1_3genE9ELNS1_11target_archE1100ELNS1_3gpuE3ELNS1_3repE0EEENS1_30default_config_static_selectorELNS0_4arch9wavefront6targetE1EEEvSD_,"axG",@progbits,_ZN7rocprim17ROCPRIM_400000_NS6detail17trampoline_kernelINS0_14default_configENS1_22reduce_config_selectorIhEEZNS1_11reduce_implILb1ES3_PhS7_h11plus_mod_10IhEEE10hipError_tPvRmT1_T2_T3_mT4_P12ihipStream_tbEUlT_E1_NS1_11comp_targetILNS1_3genE9ELNS1_11target_archE1100ELNS1_3gpuE3ELNS1_3repE0EEENS1_30default_config_static_selectorELNS0_4arch9wavefront6targetE1EEEvSD_,comdat
	.protected	_ZN7rocprim17ROCPRIM_400000_NS6detail17trampoline_kernelINS0_14default_configENS1_22reduce_config_selectorIhEEZNS1_11reduce_implILb1ES3_PhS7_h11plus_mod_10IhEEE10hipError_tPvRmT1_T2_T3_mT4_P12ihipStream_tbEUlT_E1_NS1_11comp_targetILNS1_3genE9ELNS1_11target_archE1100ELNS1_3gpuE3ELNS1_3repE0EEENS1_30default_config_static_selectorELNS0_4arch9wavefront6targetE1EEEvSD_ ; -- Begin function _ZN7rocprim17ROCPRIM_400000_NS6detail17trampoline_kernelINS0_14default_configENS1_22reduce_config_selectorIhEEZNS1_11reduce_implILb1ES3_PhS7_h11plus_mod_10IhEEE10hipError_tPvRmT1_T2_T3_mT4_P12ihipStream_tbEUlT_E1_NS1_11comp_targetILNS1_3genE9ELNS1_11target_archE1100ELNS1_3gpuE3ELNS1_3repE0EEENS1_30default_config_static_selectorELNS0_4arch9wavefront6targetE1EEEvSD_
	.globl	_ZN7rocprim17ROCPRIM_400000_NS6detail17trampoline_kernelINS0_14default_configENS1_22reduce_config_selectorIhEEZNS1_11reduce_implILb1ES3_PhS7_h11plus_mod_10IhEEE10hipError_tPvRmT1_T2_T3_mT4_P12ihipStream_tbEUlT_E1_NS1_11comp_targetILNS1_3genE9ELNS1_11target_archE1100ELNS1_3gpuE3ELNS1_3repE0EEENS1_30default_config_static_selectorELNS0_4arch9wavefront6targetE1EEEvSD_
	.p2align	8
	.type	_ZN7rocprim17ROCPRIM_400000_NS6detail17trampoline_kernelINS0_14default_configENS1_22reduce_config_selectorIhEEZNS1_11reduce_implILb1ES3_PhS7_h11plus_mod_10IhEEE10hipError_tPvRmT1_T2_T3_mT4_P12ihipStream_tbEUlT_E1_NS1_11comp_targetILNS1_3genE9ELNS1_11target_archE1100ELNS1_3gpuE3ELNS1_3repE0EEENS1_30default_config_static_selectorELNS0_4arch9wavefront6targetE1EEEvSD_,@function
_ZN7rocprim17ROCPRIM_400000_NS6detail17trampoline_kernelINS0_14default_configENS1_22reduce_config_selectorIhEEZNS1_11reduce_implILb1ES3_PhS7_h11plus_mod_10IhEEE10hipError_tPvRmT1_T2_T3_mT4_P12ihipStream_tbEUlT_E1_NS1_11comp_targetILNS1_3genE9ELNS1_11target_archE1100ELNS1_3gpuE3ELNS1_3repE0EEENS1_30default_config_static_selectorELNS0_4arch9wavefront6targetE1EEEvSD_: ; @_ZN7rocprim17ROCPRIM_400000_NS6detail17trampoline_kernelINS0_14default_configENS1_22reduce_config_selectorIhEEZNS1_11reduce_implILb1ES3_PhS7_h11plus_mod_10IhEEE10hipError_tPvRmT1_T2_T3_mT4_P12ihipStream_tbEUlT_E1_NS1_11comp_targetILNS1_3genE9ELNS1_11target_archE1100ELNS1_3gpuE3ELNS1_3repE0EEENS1_30default_config_static_selectorELNS0_4arch9wavefront6targetE1EEEvSD_
; %bb.0:
	.section	.rodata,"a",@progbits
	.p2align	6, 0x0
	.amdhsa_kernel _ZN7rocprim17ROCPRIM_400000_NS6detail17trampoline_kernelINS0_14default_configENS1_22reduce_config_selectorIhEEZNS1_11reduce_implILb1ES3_PhS7_h11plus_mod_10IhEEE10hipError_tPvRmT1_T2_T3_mT4_P12ihipStream_tbEUlT_E1_NS1_11comp_targetILNS1_3genE9ELNS1_11target_archE1100ELNS1_3gpuE3ELNS1_3repE0EEENS1_30default_config_static_selectorELNS0_4arch9wavefront6targetE1EEEvSD_
		.amdhsa_group_segment_fixed_size 0
		.amdhsa_private_segment_fixed_size 0
		.amdhsa_kernarg_size 40
		.amdhsa_user_sgpr_count 2
		.amdhsa_user_sgpr_dispatch_ptr 0
		.amdhsa_user_sgpr_queue_ptr 0
		.amdhsa_user_sgpr_kernarg_segment_ptr 1
		.amdhsa_user_sgpr_dispatch_id 0
		.amdhsa_user_sgpr_kernarg_preload_length 0
		.amdhsa_user_sgpr_kernarg_preload_offset 0
		.amdhsa_user_sgpr_private_segment_size 0
		.amdhsa_uses_dynamic_stack 0
		.amdhsa_enable_private_segment 0
		.amdhsa_system_sgpr_workgroup_id_x 1
		.amdhsa_system_sgpr_workgroup_id_y 0
		.amdhsa_system_sgpr_workgroup_id_z 0
		.amdhsa_system_sgpr_workgroup_info 0
		.amdhsa_system_vgpr_workitem_id 0
		.amdhsa_next_free_vgpr 1
		.amdhsa_next_free_sgpr 0
		.amdhsa_accum_offset 4
		.amdhsa_reserve_vcc 0
		.amdhsa_float_round_mode_32 0
		.amdhsa_float_round_mode_16_64 0
		.amdhsa_float_denorm_mode_32 3
		.amdhsa_float_denorm_mode_16_64 3
		.amdhsa_dx10_clamp 1
		.amdhsa_ieee_mode 1
		.amdhsa_fp16_overflow 0
		.amdhsa_tg_split 0
		.amdhsa_exception_fp_ieee_invalid_op 0
		.amdhsa_exception_fp_denorm_src 0
		.amdhsa_exception_fp_ieee_div_zero 0
		.amdhsa_exception_fp_ieee_overflow 0
		.amdhsa_exception_fp_ieee_underflow 0
		.amdhsa_exception_fp_ieee_inexact 0
		.amdhsa_exception_int_div_zero 0
	.end_amdhsa_kernel
	.section	.text._ZN7rocprim17ROCPRIM_400000_NS6detail17trampoline_kernelINS0_14default_configENS1_22reduce_config_selectorIhEEZNS1_11reduce_implILb1ES3_PhS7_h11plus_mod_10IhEEE10hipError_tPvRmT1_T2_T3_mT4_P12ihipStream_tbEUlT_E1_NS1_11comp_targetILNS1_3genE9ELNS1_11target_archE1100ELNS1_3gpuE3ELNS1_3repE0EEENS1_30default_config_static_selectorELNS0_4arch9wavefront6targetE1EEEvSD_,"axG",@progbits,_ZN7rocprim17ROCPRIM_400000_NS6detail17trampoline_kernelINS0_14default_configENS1_22reduce_config_selectorIhEEZNS1_11reduce_implILb1ES3_PhS7_h11plus_mod_10IhEEE10hipError_tPvRmT1_T2_T3_mT4_P12ihipStream_tbEUlT_E1_NS1_11comp_targetILNS1_3genE9ELNS1_11target_archE1100ELNS1_3gpuE3ELNS1_3repE0EEENS1_30default_config_static_selectorELNS0_4arch9wavefront6targetE1EEEvSD_,comdat
.Lfunc_end674:
	.size	_ZN7rocprim17ROCPRIM_400000_NS6detail17trampoline_kernelINS0_14default_configENS1_22reduce_config_selectorIhEEZNS1_11reduce_implILb1ES3_PhS7_h11plus_mod_10IhEEE10hipError_tPvRmT1_T2_T3_mT4_P12ihipStream_tbEUlT_E1_NS1_11comp_targetILNS1_3genE9ELNS1_11target_archE1100ELNS1_3gpuE3ELNS1_3repE0EEENS1_30default_config_static_selectorELNS0_4arch9wavefront6targetE1EEEvSD_, .Lfunc_end674-_ZN7rocprim17ROCPRIM_400000_NS6detail17trampoline_kernelINS0_14default_configENS1_22reduce_config_selectorIhEEZNS1_11reduce_implILb1ES3_PhS7_h11plus_mod_10IhEEE10hipError_tPvRmT1_T2_T3_mT4_P12ihipStream_tbEUlT_E1_NS1_11comp_targetILNS1_3genE9ELNS1_11target_archE1100ELNS1_3gpuE3ELNS1_3repE0EEENS1_30default_config_static_selectorELNS0_4arch9wavefront6targetE1EEEvSD_
                                        ; -- End function
	.set _ZN7rocprim17ROCPRIM_400000_NS6detail17trampoline_kernelINS0_14default_configENS1_22reduce_config_selectorIhEEZNS1_11reduce_implILb1ES3_PhS7_h11plus_mod_10IhEEE10hipError_tPvRmT1_T2_T3_mT4_P12ihipStream_tbEUlT_E1_NS1_11comp_targetILNS1_3genE9ELNS1_11target_archE1100ELNS1_3gpuE3ELNS1_3repE0EEENS1_30default_config_static_selectorELNS0_4arch9wavefront6targetE1EEEvSD_.num_vgpr, 0
	.set _ZN7rocprim17ROCPRIM_400000_NS6detail17trampoline_kernelINS0_14default_configENS1_22reduce_config_selectorIhEEZNS1_11reduce_implILb1ES3_PhS7_h11plus_mod_10IhEEE10hipError_tPvRmT1_T2_T3_mT4_P12ihipStream_tbEUlT_E1_NS1_11comp_targetILNS1_3genE9ELNS1_11target_archE1100ELNS1_3gpuE3ELNS1_3repE0EEENS1_30default_config_static_selectorELNS0_4arch9wavefront6targetE1EEEvSD_.num_agpr, 0
	.set _ZN7rocprim17ROCPRIM_400000_NS6detail17trampoline_kernelINS0_14default_configENS1_22reduce_config_selectorIhEEZNS1_11reduce_implILb1ES3_PhS7_h11plus_mod_10IhEEE10hipError_tPvRmT1_T2_T3_mT4_P12ihipStream_tbEUlT_E1_NS1_11comp_targetILNS1_3genE9ELNS1_11target_archE1100ELNS1_3gpuE3ELNS1_3repE0EEENS1_30default_config_static_selectorELNS0_4arch9wavefront6targetE1EEEvSD_.numbered_sgpr, 0
	.set _ZN7rocprim17ROCPRIM_400000_NS6detail17trampoline_kernelINS0_14default_configENS1_22reduce_config_selectorIhEEZNS1_11reduce_implILb1ES3_PhS7_h11plus_mod_10IhEEE10hipError_tPvRmT1_T2_T3_mT4_P12ihipStream_tbEUlT_E1_NS1_11comp_targetILNS1_3genE9ELNS1_11target_archE1100ELNS1_3gpuE3ELNS1_3repE0EEENS1_30default_config_static_selectorELNS0_4arch9wavefront6targetE1EEEvSD_.num_named_barrier, 0
	.set _ZN7rocprim17ROCPRIM_400000_NS6detail17trampoline_kernelINS0_14default_configENS1_22reduce_config_selectorIhEEZNS1_11reduce_implILb1ES3_PhS7_h11plus_mod_10IhEEE10hipError_tPvRmT1_T2_T3_mT4_P12ihipStream_tbEUlT_E1_NS1_11comp_targetILNS1_3genE9ELNS1_11target_archE1100ELNS1_3gpuE3ELNS1_3repE0EEENS1_30default_config_static_selectorELNS0_4arch9wavefront6targetE1EEEvSD_.private_seg_size, 0
	.set _ZN7rocprim17ROCPRIM_400000_NS6detail17trampoline_kernelINS0_14default_configENS1_22reduce_config_selectorIhEEZNS1_11reduce_implILb1ES3_PhS7_h11plus_mod_10IhEEE10hipError_tPvRmT1_T2_T3_mT4_P12ihipStream_tbEUlT_E1_NS1_11comp_targetILNS1_3genE9ELNS1_11target_archE1100ELNS1_3gpuE3ELNS1_3repE0EEENS1_30default_config_static_selectorELNS0_4arch9wavefront6targetE1EEEvSD_.uses_vcc, 0
	.set _ZN7rocprim17ROCPRIM_400000_NS6detail17trampoline_kernelINS0_14default_configENS1_22reduce_config_selectorIhEEZNS1_11reduce_implILb1ES3_PhS7_h11plus_mod_10IhEEE10hipError_tPvRmT1_T2_T3_mT4_P12ihipStream_tbEUlT_E1_NS1_11comp_targetILNS1_3genE9ELNS1_11target_archE1100ELNS1_3gpuE3ELNS1_3repE0EEENS1_30default_config_static_selectorELNS0_4arch9wavefront6targetE1EEEvSD_.uses_flat_scratch, 0
	.set _ZN7rocprim17ROCPRIM_400000_NS6detail17trampoline_kernelINS0_14default_configENS1_22reduce_config_selectorIhEEZNS1_11reduce_implILb1ES3_PhS7_h11plus_mod_10IhEEE10hipError_tPvRmT1_T2_T3_mT4_P12ihipStream_tbEUlT_E1_NS1_11comp_targetILNS1_3genE9ELNS1_11target_archE1100ELNS1_3gpuE3ELNS1_3repE0EEENS1_30default_config_static_selectorELNS0_4arch9wavefront6targetE1EEEvSD_.has_dyn_sized_stack, 0
	.set _ZN7rocprim17ROCPRIM_400000_NS6detail17trampoline_kernelINS0_14default_configENS1_22reduce_config_selectorIhEEZNS1_11reduce_implILb1ES3_PhS7_h11plus_mod_10IhEEE10hipError_tPvRmT1_T2_T3_mT4_P12ihipStream_tbEUlT_E1_NS1_11comp_targetILNS1_3genE9ELNS1_11target_archE1100ELNS1_3gpuE3ELNS1_3repE0EEENS1_30default_config_static_selectorELNS0_4arch9wavefront6targetE1EEEvSD_.has_recursion, 0
	.set _ZN7rocprim17ROCPRIM_400000_NS6detail17trampoline_kernelINS0_14default_configENS1_22reduce_config_selectorIhEEZNS1_11reduce_implILb1ES3_PhS7_h11plus_mod_10IhEEE10hipError_tPvRmT1_T2_T3_mT4_P12ihipStream_tbEUlT_E1_NS1_11comp_targetILNS1_3genE9ELNS1_11target_archE1100ELNS1_3gpuE3ELNS1_3repE0EEENS1_30default_config_static_selectorELNS0_4arch9wavefront6targetE1EEEvSD_.has_indirect_call, 0
	.section	.AMDGPU.csdata,"",@progbits
; Kernel info:
; codeLenInByte = 0
; TotalNumSgprs: 6
; NumVgprs: 0
; NumAgprs: 0
; TotalNumVgprs: 0
; ScratchSize: 0
; MemoryBound: 0
; FloatMode: 240
; IeeeMode: 1
; LDSByteSize: 0 bytes/workgroup (compile time only)
; SGPRBlocks: 0
; VGPRBlocks: 0
; NumSGPRsForWavesPerEU: 6
; NumVGPRsForWavesPerEU: 1
; AccumOffset: 4
; Occupancy: 8
; WaveLimiterHint : 0
; COMPUTE_PGM_RSRC2:SCRATCH_EN: 0
; COMPUTE_PGM_RSRC2:USER_SGPR: 2
; COMPUTE_PGM_RSRC2:TRAP_HANDLER: 0
; COMPUTE_PGM_RSRC2:TGID_X_EN: 1
; COMPUTE_PGM_RSRC2:TGID_Y_EN: 0
; COMPUTE_PGM_RSRC2:TGID_Z_EN: 0
; COMPUTE_PGM_RSRC2:TIDIG_COMP_CNT: 0
; COMPUTE_PGM_RSRC3_GFX90A:ACCUM_OFFSET: 0
; COMPUTE_PGM_RSRC3_GFX90A:TG_SPLIT: 0
	.section	.text._ZN7rocprim17ROCPRIM_400000_NS6detail17trampoline_kernelINS0_14default_configENS1_22reduce_config_selectorIhEEZNS1_11reduce_implILb1ES3_PhS7_h11plus_mod_10IhEEE10hipError_tPvRmT1_T2_T3_mT4_P12ihipStream_tbEUlT_E1_NS1_11comp_targetILNS1_3genE8ELNS1_11target_archE1030ELNS1_3gpuE2ELNS1_3repE0EEENS1_30default_config_static_selectorELNS0_4arch9wavefront6targetE1EEEvSD_,"axG",@progbits,_ZN7rocprim17ROCPRIM_400000_NS6detail17trampoline_kernelINS0_14default_configENS1_22reduce_config_selectorIhEEZNS1_11reduce_implILb1ES3_PhS7_h11plus_mod_10IhEEE10hipError_tPvRmT1_T2_T3_mT4_P12ihipStream_tbEUlT_E1_NS1_11comp_targetILNS1_3genE8ELNS1_11target_archE1030ELNS1_3gpuE2ELNS1_3repE0EEENS1_30default_config_static_selectorELNS0_4arch9wavefront6targetE1EEEvSD_,comdat
	.protected	_ZN7rocprim17ROCPRIM_400000_NS6detail17trampoline_kernelINS0_14default_configENS1_22reduce_config_selectorIhEEZNS1_11reduce_implILb1ES3_PhS7_h11plus_mod_10IhEEE10hipError_tPvRmT1_T2_T3_mT4_P12ihipStream_tbEUlT_E1_NS1_11comp_targetILNS1_3genE8ELNS1_11target_archE1030ELNS1_3gpuE2ELNS1_3repE0EEENS1_30default_config_static_selectorELNS0_4arch9wavefront6targetE1EEEvSD_ ; -- Begin function _ZN7rocprim17ROCPRIM_400000_NS6detail17trampoline_kernelINS0_14default_configENS1_22reduce_config_selectorIhEEZNS1_11reduce_implILb1ES3_PhS7_h11plus_mod_10IhEEE10hipError_tPvRmT1_T2_T3_mT4_P12ihipStream_tbEUlT_E1_NS1_11comp_targetILNS1_3genE8ELNS1_11target_archE1030ELNS1_3gpuE2ELNS1_3repE0EEENS1_30default_config_static_selectorELNS0_4arch9wavefront6targetE1EEEvSD_
	.globl	_ZN7rocprim17ROCPRIM_400000_NS6detail17trampoline_kernelINS0_14default_configENS1_22reduce_config_selectorIhEEZNS1_11reduce_implILb1ES3_PhS7_h11plus_mod_10IhEEE10hipError_tPvRmT1_T2_T3_mT4_P12ihipStream_tbEUlT_E1_NS1_11comp_targetILNS1_3genE8ELNS1_11target_archE1030ELNS1_3gpuE2ELNS1_3repE0EEENS1_30default_config_static_selectorELNS0_4arch9wavefront6targetE1EEEvSD_
	.p2align	8
	.type	_ZN7rocprim17ROCPRIM_400000_NS6detail17trampoline_kernelINS0_14default_configENS1_22reduce_config_selectorIhEEZNS1_11reduce_implILb1ES3_PhS7_h11plus_mod_10IhEEE10hipError_tPvRmT1_T2_T3_mT4_P12ihipStream_tbEUlT_E1_NS1_11comp_targetILNS1_3genE8ELNS1_11target_archE1030ELNS1_3gpuE2ELNS1_3repE0EEENS1_30default_config_static_selectorELNS0_4arch9wavefront6targetE1EEEvSD_,@function
_ZN7rocprim17ROCPRIM_400000_NS6detail17trampoline_kernelINS0_14default_configENS1_22reduce_config_selectorIhEEZNS1_11reduce_implILb1ES3_PhS7_h11plus_mod_10IhEEE10hipError_tPvRmT1_T2_T3_mT4_P12ihipStream_tbEUlT_E1_NS1_11comp_targetILNS1_3genE8ELNS1_11target_archE1030ELNS1_3gpuE2ELNS1_3repE0EEENS1_30default_config_static_selectorELNS0_4arch9wavefront6targetE1EEEvSD_: ; @_ZN7rocprim17ROCPRIM_400000_NS6detail17trampoline_kernelINS0_14default_configENS1_22reduce_config_selectorIhEEZNS1_11reduce_implILb1ES3_PhS7_h11plus_mod_10IhEEE10hipError_tPvRmT1_T2_T3_mT4_P12ihipStream_tbEUlT_E1_NS1_11comp_targetILNS1_3genE8ELNS1_11target_archE1030ELNS1_3gpuE2ELNS1_3repE0EEENS1_30default_config_static_selectorELNS0_4arch9wavefront6targetE1EEEvSD_
; %bb.0:
	.section	.rodata,"a",@progbits
	.p2align	6, 0x0
	.amdhsa_kernel _ZN7rocprim17ROCPRIM_400000_NS6detail17trampoline_kernelINS0_14default_configENS1_22reduce_config_selectorIhEEZNS1_11reduce_implILb1ES3_PhS7_h11plus_mod_10IhEEE10hipError_tPvRmT1_T2_T3_mT4_P12ihipStream_tbEUlT_E1_NS1_11comp_targetILNS1_3genE8ELNS1_11target_archE1030ELNS1_3gpuE2ELNS1_3repE0EEENS1_30default_config_static_selectorELNS0_4arch9wavefront6targetE1EEEvSD_
		.amdhsa_group_segment_fixed_size 0
		.amdhsa_private_segment_fixed_size 0
		.amdhsa_kernarg_size 40
		.amdhsa_user_sgpr_count 2
		.amdhsa_user_sgpr_dispatch_ptr 0
		.amdhsa_user_sgpr_queue_ptr 0
		.amdhsa_user_sgpr_kernarg_segment_ptr 1
		.amdhsa_user_sgpr_dispatch_id 0
		.amdhsa_user_sgpr_kernarg_preload_length 0
		.amdhsa_user_sgpr_kernarg_preload_offset 0
		.amdhsa_user_sgpr_private_segment_size 0
		.amdhsa_uses_dynamic_stack 0
		.amdhsa_enable_private_segment 0
		.amdhsa_system_sgpr_workgroup_id_x 1
		.amdhsa_system_sgpr_workgroup_id_y 0
		.amdhsa_system_sgpr_workgroup_id_z 0
		.amdhsa_system_sgpr_workgroup_info 0
		.amdhsa_system_vgpr_workitem_id 0
		.amdhsa_next_free_vgpr 1
		.amdhsa_next_free_sgpr 0
		.amdhsa_accum_offset 4
		.amdhsa_reserve_vcc 0
		.amdhsa_float_round_mode_32 0
		.amdhsa_float_round_mode_16_64 0
		.amdhsa_float_denorm_mode_32 3
		.amdhsa_float_denorm_mode_16_64 3
		.amdhsa_dx10_clamp 1
		.amdhsa_ieee_mode 1
		.amdhsa_fp16_overflow 0
		.amdhsa_tg_split 0
		.amdhsa_exception_fp_ieee_invalid_op 0
		.amdhsa_exception_fp_denorm_src 0
		.amdhsa_exception_fp_ieee_div_zero 0
		.amdhsa_exception_fp_ieee_overflow 0
		.amdhsa_exception_fp_ieee_underflow 0
		.amdhsa_exception_fp_ieee_inexact 0
		.amdhsa_exception_int_div_zero 0
	.end_amdhsa_kernel
	.section	.text._ZN7rocprim17ROCPRIM_400000_NS6detail17trampoline_kernelINS0_14default_configENS1_22reduce_config_selectorIhEEZNS1_11reduce_implILb1ES3_PhS7_h11plus_mod_10IhEEE10hipError_tPvRmT1_T2_T3_mT4_P12ihipStream_tbEUlT_E1_NS1_11comp_targetILNS1_3genE8ELNS1_11target_archE1030ELNS1_3gpuE2ELNS1_3repE0EEENS1_30default_config_static_selectorELNS0_4arch9wavefront6targetE1EEEvSD_,"axG",@progbits,_ZN7rocprim17ROCPRIM_400000_NS6detail17trampoline_kernelINS0_14default_configENS1_22reduce_config_selectorIhEEZNS1_11reduce_implILb1ES3_PhS7_h11plus_mod_10IhEEE10hipError_tPvRmT1_T2_T3_mT4_P12ihipStream_tbEUlT_E1_NS1_11comp_targetILNS1_3genE8ELNS1_11target_archE1030ELNS1_3gpuE2ELNS1_3repE0EEENS1_30default_config_static_selectorELNS0_4arch9wavefront6targetE1EEEvSD_,comdat
.Lfunc_end675:
	.size	_ZN7rocprim17ROCPRIM_400000_NS6detail17trampoline_kernelINS0_14default_configENS1_22reduce_config_selectorIhEEZNS1_11reduce_implILb1ES3_PhS7_h11plus_mod_10IhEEE10hipError_tPvRmT1_T2_T3_mT4_P12ihipStream_tbEUlT_E1_NS1_11comp_targetILNS1_3genE8ELNS1_11target_archE1030ELNS1_3gpuE2ELNS1_3repE0EEENS1_30default_config_static_selectorELNS0_4arch9wavefront6targetE1EEEvSD_, .Lfunc_end675-_ZN7rocprim17ROCPRIM_400000_NS6detail17trampoline_kernelINS0_14default_configENS1_22reduce_config_selectorIhEEZNS1_11reduce_implILb1ES3_PhS7_h11plus_mod_10IhEEE10hipError_tPvRmT1_T2_T3_mT4_P12ihipStream_tbEUlT_E1_NS1_11comp_targetILNS1_3genE8ELNS1_11target_archE1030ELNS1_3gpuE2ELNS1_3repE0EEENS1_30default_config_static_selectorELNS0_4arch9wavefront6targetE1EEEvSD_
                                        ; -- End function
	.set _ZN7rocprim17ROCPRIM_400000_NS6detail17trampoline_kernelINS0_14default_configENS1_22reduce_config_selectorIhEEZNS1_11reduce_implILb1ES3_PhS7_h11plus_mod_10IhEEE10hipError_tPvRmT1_T2_T3_mT4_P12ihipStream_tbEUlT_E1_NS1_11comp_targetILNS1_3genE8ELNS1_11target_archE1030ELNS1_3gpuE2ELNS1_3repE0EEENS1_30default_config_static_selectorELNS0_4arch9wavefront6targetE1EEEvSD_.num_vgpr, 0
	.set _ZN7rocprim17ROCPRIM_400000_NS6detail17trampoline_kernelINS0_14default_configENS1_22reduce_config_selectorIhEEZNS1_11reduce_implILb1ES3_PhS7_h11plus_mod_10IhEEE10hipError_tPvRmT1_T2_T3_mT4_P12ihipStream_tbEUlT_E1_NS1_11comp_targetILNS1_3genE8ELNS1_11target_archE1030ELNS1_3gpuE2ELNS1_3repE0EEENS1_30default_config_static_selectorELNS0_4arch9wavefront6targetE1EEEvSD_.num_agpr, 0
	.set _ZN7rocprim17ROCPRIM_400000_NS6detail17trampoline_kernelINS0_14default_configENS1_22reduce_config_selectorIhEEZNS1_11reduce_implILb1ES3_PhS7_h11plus_mod_10IhEEE10hipError_tPvRmT1_T2_T3_mT4_P12ihipStream_tbEUlT_E1_NS1_11comp_targetILNS1_3genE8ELNS1_11target_archE1030ELNS1_3gpuE2ELNS1_3repE0EEENS1_30default_config_static_selectorELNS0_4arch9wavefront6targetE1EEEvSD_.numbered_sgpr, 0
	.set _ZN7rocprim17ROCPRIM_400000_NS6detail17trampoline_kernelINS0_14default_configENS1_22reduce_config_selectorIhEEZNS1_11reduce_implILb1ES3_PhS7_h11plus_mod_10IhEEE10hipError_tPvRmT1_T2_T3_mT4_P12ihipStream_tbEUlT_E1_NS1_11comp_targetILNS1_3genE8ELNS1_11target_archE1030ELNS1_3gpuE2ELNS1_3repE0EEENS1_30default_config_static_selectorELNS0_4arch9wavefront6targetE1EEEvSD_.num_named_barrier, 0
	.set _ZN7rocprim17ROCPRIM_400000_NS6detail17trampoline_kernelINS0_14default_configENS1_22reduce_config_selectorIhEEZNS1_11reduce_implILb1ES3_PhS7_h11plus_mod_10IhEEE10hipError_tPvRmT1_T2_T3_mT4_P12ihipStream_tbEUlT_E1_NS1_11comp_targetILNS1_3genE8ELNS1_11target_archE1030ELNS1_3gpuE2ELNS1_3repE0EEENS1_30default_config_static_selectorELNS0_4arch9wavefront6targetE1EEEvSD_.private_seg_size, 0
	.set _ZN7rocprim17ROCPRIM_400000_NS6detail17trampoline_kernelINS0_14default_configENS1_22reduce_config_selectorIhEEZNS1_11reduce_implILb1ES3_PhS7_h11plus_mod_10IhEEE10hipError_tPvRmT1_T2_T3_mT4_P12ihipStream_tbEUlT_E1_NS1_11comp_targetILNS1_3genE8ELNS1_11target_archE1030ELNS1_3gpuE2ELNS1_3repE0EEENS1_30default_config_static_selectorELNS0_4arch9wavefront6targetE1EEEvSD_.uses_vcc, 0
	.set _ZN7rocprim17ROCPRIM_400000_NS6detail17trampoline_kernelINS0_14default_configENS1_22reduce_config_selectorIhEEZNS1_11reduce_implILb1ES3_PhS7_h11plus_mod_10IhEEE10hipError_tPvRmT1_T2_T3_mT4_P12ihipStream_tbEUlT_E1_NS1_11comp_targetILNS1_3genE8ELNS1_11target_archE1030ELNS1_3gpuE2ELNS1_3repE0EEENS1_30default_config_static_selectorELNS0_4arch9wavefront6targetE1EEEvSD_.uses_flat_scratch, 0
	.set _ZN7rocprim17ROCPRIM_400000_NS6detail17trampoline_kernelINS0_14default_configENS1_22reduce_config_selectorIhEEZNS1_11reduce_implILb1ES3_PhS7_h11plus_mod_10IhEEE10hipError_tPvRmT1_T2_T3_mT4_P12ihipStream_tbEUlT_E1_NS1_11comp_targetILNS1_3genE8ELNS1_11target_archE1030ELNS1_3gpuE2ELNS1_3repE0EEENS1_30default_config_static_selectorELNS0_4arch9wavefront6targetE1EEEvSD_.has_dyn_sized_stack, 0
	.set _ZN7rocprim17ROCPRIM_400000_NS6detail17trampoline_kernelINS0_14default_configENS1_22reduce_config_selectorIhEEZNS1_11reduce_implILb1ES3_PhS7_h11plus_mod_10IhEEE10hipError_tPvRmT1_T2_T3_mT4_P12ihipStream_tbEUlT_E1_NS1_11comp_targetILNS1_3genE8ELNS1_11target_archE1030ELNS1_3gpuE2ELNS1_3repE0EEENS1_30default_config_static_selectorELNS0_4arch9wavefront6targetE1EEEvSD_.has_recursion, 0
	.set _ZN7rocprim17ROCPRIM_400000_NS6detail17trampoline_kernelINS0_14default_configENS1_22reduce_config_selectorIhEEZNS1_11reduce_implILb1ES3_PhS7_h11plus_mod_10IhEEE10hipError_tPvRmT1_T2_T3_mT4_P12ihipStream_tbEUlT_E1_NS1_11comp_targetILNS1_3genE8ELNS1_11target_archE1030ELNS1_3gpuE2ELNS1_3repE0EEENS1_30default_config_static_selectorELNS0_4arch9wavefront6targetE1EEEvSD_.has_indirect_call, 0
	.section	.AMDGPU.csdata,"",@progbits
; Kernel info:
; codeLenInByte = 0
; TotalNumSgprs: 6
; NumVgprs: 0
; NumAgprs: 0
; TotalNumVgprs: 0
; ScratchSize: 0
; MemoryBound: 0
; FloatMode: 240
; IeeeMode: 1
; LDSByteSize: 0 bytes/workgroup (compile time only)
; SGPRBlocks: 0
; VGPRBlocks: 0
; NumSGPRsForWavesPerEU: 6
; NumVGPRsForWavesPerEU: 1
; AccumOffset: 4
; Occupancy: 8
; WaveLimiterHint : 0
; COMPUTE_PGM_RSRC2:SCRATCH_EN: 0
; COMPUTE_PGM_RSRC2:USER_SGPR: 2
; COMPUTE_PGM_RSRC2:TRAP_HANDLER: 0
; COMPUTE_PGM_RSRC2:TGID_X_EN: 1
; COMPUTE_PGM_RSRC2:TGID_Y_EN: 0
; COMPUTE_PGM_RSRC2:TGID_Z_EN: 0
; COMPUTE_PGM_RSRC2:TIDIG_COMP_CNT: 0
; COMPUTE_PGM_RSRC3_GFX90A:ACCUM_OFFSET: 0
; COMPUTE_PGM_RSRC3_GFX90A:TG_SPLIT: 0
	.section	.text._ZN7rocprim17ROCPRIM_400000_NS6detail17trampoline_kernelINS0_14default_configENS1_22reduce_config_selectorIhEEZNS1_11reduce_implILb1ES3_N6thrust23THRUST_200600_302600_NS6detail15normal_iteratorINS8_10device_ptrIhEEEEPhh11plus_mod_10IhEEE10hipError_tPvRmT1_T2_T3_mT4_P12ihipStream_tbEUlT_E0_NS1_11comp_targetILNS1_3genE0ELNS1_11target_archE4294967295ELNS1_3gpuE0ELNS1_3repE0EEENS1_30default_config_static_selectorELNS0_4arch9wavefront6targetE1EEEvSK_,"axG",@progbits,_ZN7rocprim17ROCPRIM_400000_NS6detail17trampoline_kernelINS0_14default_configENS1_22reduce_config_selectorIhEEZNS1_11reduce_implILb1ES3_N6thrust23THRUST_200600_302600_NS6detail15normal_iteratorINS8_10device_ptrIhEEEEPhh11plus_mod_10IhEEE10hipError_tPvRmT1_T2_T3_mT4_P12ihipStream_tbEUlT_E0_NS1_11comp_targetILNS1_3genE0ELNS1_11target_archE4294967295ELNS1_3gpuE0ELNS1_3repE0EEENS1_30default_config_static_selectorELNS0_4arch9wavefront6targetE1EEEvSK_,comdat
	.protected	_ZN7rocprim17ROCPRIM_400000_NS6detail17trampoline_kernelINS0_14default_configENS1_22reduce_config_selectorIhEEZNS1_11reduce_implILb1ES3_N6thrust23THRUST_200600_302600_NS6detail15normal_iteratorINS8_10device_ptrIhEEEEPhh11plus_mod_10IhEEE10hipError_tPvRmT1_T2_T3_mT4_P12ihipStream_tbEUlT_E0_NS1_11comp_targetILNS1_3genE0ELNS1_11target_archE4294967295ELNS1_3gpuE0ELNS1_3repE0EEENS1_30default_config_static_selectorELNS0_4arch9wavefront6targetE1EEEvSK_ ; -- Begin function _ZN7rocprim17ROCPRIM_400000_NS6detail17trampoline_kernelINS0_14default_configENS1_22reduce_config_selectorIhEEZNS1_11reduce_implILb1ES3_N6thrust23THRUST_200600_302600_NS6detail15normal_iteratorINS8_10device_ptrIhEEEEPhh11plus_mod_10IhEEE10hipError_tPvRmT1_T2_T3_mT4_P12ihipStream_tbEUlT_E0_NS1_11comp_targetILNS1_3genE0ELNS1_11target_archE4294967295ELNS1_3gpuE0ELNS1_3repE0EEENS1_30default_config_static_selectorELNS0_4arch9wavefront6targetE1EEEvSK_
	.globl	_ZN7rocprim17ROCPRIM_400000_NS6detail17trampoline_kernelINS0_14default_configENS1_22reduce_config_selectorIhEEZNS1_11reduce_implILb1ES3_N6thrust23THRUST_200600_302600_NS6detail15normal_iteratorINS8_10device_ptrIhEEEEPhh11plus_mod_10IhEEE10hipError_tPvRmT1_T2_T3_mT4_P12ihipStream_tbEUlT_E0_NS1_11comp_targetILNS1_3genE0ELNS1_11target_archE4294967295ELNS1_3gpuE0ELNS1_3repE0EEENS1_30default_config_static_selectorELNS0_4arch9wavefront6targetE1EEEvSK_
	.p2align	8
	.type	_ZN7rocprim17ROCPRIM_400000_NS6detail17trampoline_kernelINS0_14default_configENS1_22reduce_config_selectorIhEEZNS1_11reduce_implILb1ES3_N6thrust23THRUST_200600_302600_NS6detail15normal_iteratorINS8_10device_ptrIhEEEEPhh11plus_mod_10IhEEE10hipError_tPvRmT1_T2_T3_mT4_P12ihipStream_tbEUlT_E0_NS1_11comp_targetILNS1_3genE0ELNS1_11target_archE4294967295ELNS1_3gpuE0ELNS1_3repE0EEENS1_30default_config_static_selectorELNS0_4arch9wavefront6targetE1EEEvSK_,@function
_ZN7rocprim17ROCPRIM_400000_NS6detail17trampoline_kernelINS0_14default_configENS1_22reduce_config_selectorIhEEZNS1_11reduce_implILb1ES3_N6thrust23THRUST_200600_302600_NS6detail15normal_iteratorINS8_10device_ptrIhEEEEPhh11plus_mod_10IhEEE10hipError_tPvRmT1_T2_T3_mT4_P12ihipStream_tbEUlT_E0_NS1_11comp_targetILNS1_3genE0ELNS1_11target_archE4294967295ELNS1_3gpuE0ELNS1_3repE0EEENS1_30default_config_static_selectorELNS0_4arch9wavefront6targetE1EEEvSK_: ; @_ZN7rocprim17ROCPRIM_400000_NS6detail17trampoline_kernelINS0_14default_configENS1_22reduce_config_selectorIhEEZNS1_11reduce_implILb1ES3_N6thrust23THRUST_200600_302600_NS6detail15normal_iteratorINS8_10device_ptrIhEEEEPhh11plus_mod_10IhEEE10hipError_tPvRmT1_T2_T3_mT4_P12ihipStream_tbEUlT_E0_NS1_11comp_targetILNS1_3genE0ELNS1_11target_archE4294967295ELNS1_3gpuE0ELNS1_3repE0EEENS1_30default_config_static_selectorELNS0_4arch9wavefront6targetE1EEEvSK_
; %bb.0:
	s_load_dwordx8 s[36:43], s[0:1], 0x0
	s_load_dwordx4 s[44:47], s[0:1], 0x20
	s_mov_b32 s3, 0
	v_mbcnt_lo_u32_b32 v6, -1, 0
	s_waitcnt lgkmcnt(0)
	s_add_u32 s7, s36, s38
	s_addc_u32 s8, s37, s39
	s_lshl_b32 s6, s2, 12
	s_lshr_b64 s[4:5], s[40:41], 12
	s_add_u32 s30, s7, s6
	s_addc_u32 s31, s8, 0
	s_cmp_lg_u64 s[4:5], s[2:3]
	s_cbranch_scc0 .LBB676_6
; %bb.1:
	v_mov_b32_e32 v1, 0
	v_lshl_add_u64 v[2:3], s[30:31], 0, v[0:1]
	flat_load_ubyte v1, v[2:3] offset:256
	flat_load_ubyte v4, v[2:3]
	flat_load_ubyte v5, v[2:3] offset:512
	flat_load_ubyte v7, v[2:3] offset:768
	flat_load_ubyte v8, v[2:3] offset:1024
	flat_load_ubyte v9, v[2:3] offset:1280
	flat_load_ubyte v10, v[2:3] offset:1536
	flat_load_ubyte v11, v[2:3] offset:1792
	flat_load_ubyte v12, v[2:3] offset:2048
	flat_load_ubyte v13, v[2:3] offset:2304
	flat_load_ubyte v14, v[2:3] offset:2560
	flat_load_ubyte v15, v[2:3] offset:2816
	flat_load_ubyte v16, v[2:3] offset:3072
	flat_load_ubyte v17, v[2:3] offset:3328
	flat_load_ubyte v18, v[2:3] offset:3584
	s_nop 0
	flat_load_ubyte v3, v[2:3] offset:3840
	s_movk_i32 s3, 0xcd
	v_mbcnt_hi_u32_b32 v2, -1, v6
	v_cmp_eq_u32_e32 vcc, 0, v2
	s_waitcnt vmcnt(0) lgkmcnt(0)
	v_mul_lo_u16_e32 v19, 0xcd, v1
	v_mul_lo_u16_e32 v20, 0xcd, v4
	v_lshrrev_b16_e32 v19, 11, v19
	v_lshrrev_b16_e32 v20, 11, v20
	v_mul_lo_u16_e32 v19, 10, v19
	v_mul_lo_u16_e32 v20, 10, v20
	v_sub_u16_e32 v1, v1, v19
	v_sub_u16_e32 v4, v4, v20
	v_add_u16_e32 v1, v1, v4
	v_add_u16_e32 v4, -10, v1
	v_min_u16_sdwa v1, v1, v4 dst_sel:DWORD dst_unused:UNUSED_PAD src0_sel:BYTE_0 src1_sel:BYTE_0
	v_mul_lo_u16_e32 v21, 0xcd, v5
	v_mul_lo_u16_e32 v4, 0xcd, v1
	v_lshrrev_b16_e32 v21, 11, v21
	v_lshrrev_b16_e32 v4, 11, v4
	v_mul_lo_u16_e32 v21, 10, v21
	v_mul_lo_u16_e32 v4, 10, v4
	v_sub_u16_e32 v5, v5, v21
	v_sub_u16_e32 v1, v1, v4
	v_add_u16_e32 v1, v1, v5
	v_add_u16_e32 v4, -10, v1
	v_min_u16_sdwa v1, v1, v4 dst_sel:DWORD dst_unused:UNUSED_PAD src0_sel:BYTE_0 src1_sel:BYTE_0
	;; [unrolled: 11-line block ×15, first 2 shown]
	v_mul_lo_u16_e32 v4, 0xcd, v1
	v_lshrrev_b16_e32 v4, 11, v4
	v_mov_b32_dpp v3, v1 quad_perm:[1,0,3,2] row_mask:0xf bank_mask:0xf bound_ctrl:1
	v_mul_lo_u16_sdwa v5, v3, s3 dst_sel:DWORD dst_unused:UNUSED_PAD src0_sel:BYTE_0 src1_sel:DWORD
	v_mul_lo_u16_e32 v4, 10, v4
	v_sub_u16_e32 v1, v1, v4
	v_lshrrev_b16_e32 v4, 11, v5
	v_mul_lo_u16_e32 v4, 10, v4
	v_sub_u16_e32 v3, v3, v4
	v_add_u16_e32 v1, v1, v3
	v_add_u16_e32 v3, -10, v1
	v_min_u16_sdwa v1, v1, v3 dst_sel:DWORD dst_unused:UNUSED_PAD src0_sel:BYTE_0 src1_sel:BYTE_0
	s_nop 1
	v_mov_b32_dpp v3, v1 quad_perm:[2,3,0,1] row_mask:0xf bank_mask:0xf bound_ctrl:1
	v_mul_lo_u16_sdwa v4, v3, s3 dst_sel:DWORD dst_unused:UNUSED_PAD src0_sel:BYTE_0 src1_sel:DWORD
	v_lshrrev_b16_e32 v4, 11, v4
	v_mul_lo_u16_e32 v4, 10, v4
	v_sub_u16_e32 v3, v3, v4
	v_add_u16_e32 v1, v1, v3
	v_add_u16_e32 v3, -10, v1
	v_min_u16_sdwa v1, v1, v3 dst_sel:DWORD dst_unused:UNUSED_PAD src0_sel:BYTE_0 src1_sel:BYTE_0
	v_mul_lo_u16_e32 v4, 0xcd, v1
	v_lshrrev_b16_e32 v4, 11, v4
	v_mov_b32_dpp v3, v1 row_ror:4 row_mask:0xf bank_mask:0xf bound_ctrl:1
	v_mul_lo_u16_e32 v4, 10, v4
	v_sub_u16_e32 v1, v1, v4
	v_mul_lo_u16_sdwa v4, v3, s3 dst_sel:DWORD dst_unused:UNUSED_PAD src0_sel:BYTE_0 src1_sel:DWORD
	v_lshrrev_b16_e32 v4, 11, v4
	v_mul_lo_u16_e32 v4, 10, v4
	v_sub_u16_e32 v3, v3, v4
	v_add_u16_e32 v1, v1, v3
	v_add_u16_e32 v3, -10, v1
	v_min_u16_sdwa v1, v1, v3 dst_sel:DWORD dst_unused:UNUSED_PAD src0_sel:BYTE_0 src1_sel:BYTE_0
	v_mul_lo_u16_e32 v4, 0xcd, v1
	v_lshrrev_b16_e32 v4, 11, v4
	v_mov_b32_dpp v3, v1 row_ror:8 row_mask:0xf bank_mask:0xf bound_ctrl:1
	v_mul_lo_u16_e32 v4, 10, v4
	v_sub_u16_e32 v1, v1, v4
	v_mul_lo_u16_sdwa v4, v3, s3 dst_sel:DWORD dst_unused:UNUSED_PAD src0_sel:BYTE_0 src1_sel:DWORD
	v_lshrrev_b16_e32 v4, 11, v4
	v_mul_lo_u16_e32 v4, 10, v4
	v_sub_u16_e32 v3, v3, v4
	v_add_u16_e32 v1, v1, v3
	v_add_u16_e32 v3, -10, v1
	v_min_u16_sdwa v1, v1, v3 dst_sel:DWORD dst_unused:UNUSED_PAD src0_sel:BYTE_0 src1_sel:BYTE_0
	v_mul_lo_u16_e32 v4, 0xcd, v1
	v_lshrrev_b16_e32 v4, 11, v4
	v_mov_b32_dpp v3, v1 row_bcast:15 row_mask:0xf bank_mask:0xf bound_ctrl:1
	v_mul_lo_u16_e32 v4, 10, v4
	v_sub_u16_e32 v1, v1, v4
	v_mul_lo_u16_sdwa v4, v3, s3 dst_sel:DWORD dst_unused:UNUSED_PAD src0_sel:BYTE_0 src1_sel:DWORD
	v_lshrrev_b16_e32 v4, 11, v4
	v_mul_lo_u16_e32 v4, 10, v4
	v_sub_u16_e32 v3, v3, v4
	v_add_u16_e32 v1, v1, v3
	v_add_u16_e32 v3, -10, v1
	v_min_u16_sdwa v1, v1, v3 dst_sel:DWORD dst_unused:UNUSED_PAD src0_sel:BYTE_0 src1_sel:BYTE_0
	v_mul_lo_u16_e32 v4, 0xcd, v1
	v_lshrrev_b16_e32 v4, 11, v4
	v_mov_b32_dpp v3, v1 row_bcast:31 row_mask:0xf bank_mask:0xf bound_ctrl:1
	v_mul_lo_u16_e32 v4, 10, v4
	v_sub_u16_e32 v1, v1, v4
	v_mul_lo_u16_sdwa v4, v3, s3 dst_sel:DWORD dst_unused:UNUSED_PAD src0_sel:BYTE_0 src1_sel:DWORD
	v_lshrrev_b16_e32 v4, 11, v4
	v_mul_lo_u16_e32 v4, 10, v4
	v_sub_u16_e32 v3, v3, v4
	v_add_u16_e32 v1, v1, v3
	v_add_u16_e32 v4, -10, v1
	v_lshlrev_b32_e32 v3, 2, v2
	v_or_b32_e32 v5, 0xfc, v3
	v_min_u16_sdwa v1, v1, v4 dst_sel:DWORD dst_unused:UNUSED_PAD src0_sel:BYTE_0 src1_sel:BYTE_0
	ds_bpermute_b32 v1, v5, v1
	s_and_saveexec_b64 s[4:5], vcc
	s_cbranch_execz .LBB676_3
; %bb.2:
	v_lshrrev_b32_e32 v4, 6, v0
	s_waitcnt lgkmcnt(0)
	ds_write_b8 v4, v1 offset:4
.LBB676_3:
	s_or_b64 exec, exec, s[4:5]
	v_cmp_gt_u32_e32 vcc, 64, v0
	s_waitcnt lgkmcnt(0)
	s_barrier
	s_and_saveexec_b64 s[4:5], vcc
	s_cbranch_execz .LBB676_5
; %bb.4:
	v_and_b32_e32 v1, 3, v2
	ds_read_u8 v4, v1 offset:4
	v_cmp_ne_u32_e32 vcc, 3, v1
	s_nop 1
	v_addc_co_u32_e32 v1, vcc, 0, v2, vcc
	v_lshlrev_b32_e32 v1, 2, v1
	s_waitcnt lgkmcnt(0)
	v_and_b32_e32 v2, 0xffff, v4
	ds_bpermute_b32 v1, v1, v2
	v_mul_lo_u16_e32 v2, 0xcd, v4
	v_lshrrev_b16_e32 v2, 11, v2
	v_mul_lo_u16_e32 v2, 10, v2
	v_sub_u16_e32 v2, v4, v2
	s_waitcnt lgkmcnt(0)
	v_mul_lo_u16_sdwa v5, v1, s3 dst_sel:DWORD dst_unused:UNUSED_PAD src0_sel:BYTE_0 src1_sel:DWORD
	v_lshrrev_b16_e32 v5, 11, v5
	v_mul_lo_u16_e32 v5, 10, v5
	v_sub_u16_e32 v1, v1, v5
	v_add_u16_e32 v1, v1, v2
	v_add_u16_e32 v2, -10, v1
	v_min_u16_sdwa v1, v1, v2 dst_sel:DWORD dst_unused:UNUSED_PAD src0_sel:BYTE_0 src1_sel:BYTE_0
	v_or_b32_e32 v2, 8, v3
	ds_bpermute_b32 v2, v2, v1
	s_waitcnt lgkmcnt(0)
	v_mul_lo_u16_sdwa v3, v2, s3 dst_sel:DWORD dst_unused:UNUSED_PAD src0_sel:BYTE_0 src1_sel:DWORD
	v_lshrrev_b16_e32 v3, 11, v3
	v_mul_lo_u16_e32 v3, 10, v3
	v_sub_u16_e32 v2, v2, v3
	v_add_u16_e32 v1, v1, v2
	v_add_u16_e32 v2, -10, v1
	v_min_u16_sdwa v1, v1, v2 dst_sel:DWORD dst_unused:UNUSED_PAD src0_sel:BYTE_0 src1_sel:BYTE_0
.LBB676_5:
	s_or_b64 exec, exec, s[4:5]
	s_load_dword s3, s[0:1], 0x30
	s_branch .LBB676_75
.LBB676_6:
                                        ; implicit-def: $vgpr1
	s_load_dword s3, s[0:1], 0x30
	s_cbranch_execz .LBB676_75
; %bb.7:
	s_sub_i32 s33, s40, s6
	v_mov_b32_e32 v2, 0
	v_cmp_gt_u32_e32 vcc, s33, v0
	s_mov_b32 s4, 0
	v_mov_b32_e32 v3, v2
	v_mov_b32_e32 v4, v2
	;; [unrolled: 1-line block ×3, first 2 shown]
	s_and_saveexec_b64 s[0:1], vcc
	s_cbranch_execz .LBB676_9
; %bb.8:
	v_mov_b32_e32 v1, v2
	v_lshl_add_u64 v[4:5], s[30:31], 0, v[0:1]
	flat_load_ubyte v1, v[4:5]
	v_mov_b32_e32 v9, s4
	v_mov_b32_e32 v10, v2
	;; [unrolled: 1-line block ×3, first 2 shown]
	s_waitcnt vmcnt(0) lgkmcnt(0)
	v_and_b32_e32 v8, 0xffff, v1
	v_mov_b64_e32 v[2:3], v[8:9]
	v_mov_b64_e32 v[4:5], v[10:11]
.LBB676_9:
	s_or_b64 exec, exec, s[0:1]
	v_or_b32_e32 v1, 0x100, v0
	v_cmp_gt_u32_e32 vcc, s33, v1
	s_and_saveexec_b64 s[0:1], vcc
	s_cbranch_execz .LBB676_11
; %bb.10:
	v_mov_b32_e32 v1, 0
	v_lshl_add_u64 v[8:9], s[30:31], 0, v[0:1]
	flat_load_ubyte v1, v[8:9] offset:256
	s_mov_b32 s4, 0x7060004
	s_waitcnt vmcnt(0) lgkmcnt(0)
	v_perm_b32 v2, v2, v1, s4
.LBB676_11:
	s_or_b64 exec, exec, s[0:1]
	v_or_b32_e32 v1, 0x200, v0
	v_cmp_gt_u32_e64 s[4:5], s33, v1
	s_and_saveexec_b64 s[0:1], s[4:5]
	s_cbranch_execz .LBB676_13
; %bb.12:
	v_mov_b32_e32 v1, 0
	v_lshl_add_u64 v[8:9], s[30:31], 0, v[0:1]
	flat_load_ubyte v1, v[8:9] offset:512
	s_mov_b32 s6, 0x7000504
	s_waitcnt vmcnt(0) lgkmcnt(0)
	v_perm_b32 v2, v2, v1, s6
.LBB676_13:
	s_or_b64 exec, exec, s[0:1]
	v_or_b32_e32 v1, 0x300, v0
	v_cmp_gt_u32_e64 s[6:7], s33, v1
	s_and_saveexec_b64 s[0:1], s[6:7]
	;; [unrolled: 13-line block ×14, first 2 shown]
	s_cbranch_execnz .LBB676_78
; %bb.38:
	s_or_b64 exec, exec, s[34:35]
	v_mov_b32_e32 v1, v2
	s_and_saveexec_b64 s[30:31], vcc
	s_cbranch_execnz .LBB676_79
.LBB676_39:
	s_or_b64 exec, exec, s[30:31]
	s_and_saveexec_b64 s[30:31], s[4:5]
	s_cbranch_execnz .LBB676_80
.LBB676_40:
	s_or_b64 exec, exec, s[30:31]
	s_and_saveexec_b64 s[4:5], s[6:7]
	s_cbranch_execnz .LBB676_81
.LBB676_41:
	s_or_b64 exec, exec, s[4:5]
	s_and_saveexec_b64 s[4:5], s[0:1]
	s_cbranch_execnz .LBB676_82
.LBB676_42:
	s_or_b64 exec, exec, s[4:5]
	s_and_saveexec_b64 s[0:1], s[8:9]
	s_cbranch_execnz .LBB676_83
.LBB676_43:
	s_or_b64 exec, exec, s[0:1]
	s_and_saveexec_b64 s[0:1], s[10:11]
	s_cbranch_execnz .LBB676_84
.LBB676_44:
	s_or_b64 exec, exec, s[0:1]
	s_and_saveexec_b64 s[0:1], s[12:13]
	s_cbranch_execnz .LBB676_85
.LBB676_45:
	s_or_b64 exec, exec, s[0:1]
	s_and_saveexec_b64 s[0:1], s[14:15]
	s_cbranch_execnz .LBB676_86
.LBB676_46:
	s_or_b64 exec, exec, s[0:1]
	s_and_saveexec_b64 s[0:1], s[16:17]
	s_cbranch_execnz .LBB676_87
.LBB676_47:
	s_or_b64 exec, exec, s[0:1]
	s_and_saveexec_b64 s[0:1], s[20:21]
	s_cbranch_execnz .LBB676_88
.LBB676_48:
	s_or_b64 exec, exec, s[0:1]
	s_and_saveexec_b64 s[0:1], s[22:23]
	s_cbranch_execnz .LBB676_89
.LBB676_49:
	s_or_b64 exec, exec, s[0:1]
	s_and_saveexec_b64 s[0:1], s[18:19]
	s_cbranch_execnz .LBB676_90
.LBB676_50:
	s_or_b64 exec, exec, s[0:1]
	s_and_saveexec_b64 s[0:1], s[24:25]
	s_cbranch_execnz .LBB676_91
.LBB676_51:
	s_or_b64 exec, exec, s[0:1]
	s_and_saveexec_b64 s[0:1], s[26:27]
	s_cbranch_execnz .LBB676_92
.LBB676_52:
	s_or_b64 exec, exec, s[0:1]
	s_and_saveexec_b64 s[0:1], s[28:29]
	s_cbranch_execz .LBB676_54
.LBB676_53:
	s_movk_i32 s4, 0xcd
	v_mul_lo_u16_sdwa v2, v5, s4 dst_sel:DWORD dst_unused:UNUSED_PAD src0_sel:BYTE_3 src1_sel:DWORD
	v_mul_lo_u16_sdwa v3, v1, s4 dst_sel:DWORD dst_unused:UNUSED_PAD src0_sel:BYTE_0 src1_sel:DWORD
	v_lshrrev_b16_e32 v2, 11, v2
	v_lshrrev_b16_e32 v3, 11, v3
	v_mul_lo_u16_e32 v2, 10, v2
	v_mul_lo_u16_e32 v3, 10, v3
	v_sub_u16_sdwa v2, v5, v2 dst_sel:DWORD dst_unused:UNUSED_PAD src0_sel:BYTE_3 src1_sel:DWORD
	v_sub_u16_e32 v1, v1, v3
	v_add_u16_e32 v1, v1, v2
	v_add_u16_e32 v2, -10, v1
	v_min_u16_sdwa v1, v1, v2 dst_sel:DWORD dst_unused:UNUSED_PAD src0_sel:BYTE_0 src1_sel:BYTE_0
.LBB676_54:
	s_or_b64 exec, exec, s[0:1]
	v_mbcnt_hi_u32_b32 v2, -1, v6
	v_and_b32_e32 v3, 63, v2
	v_cmp_ne_u32_e32 vcc, 63, v3
	v_and_b32_e32 v5, 0xff, v1
	s_min_u32 s4, s33, 0x100
	v_addc_co_u32_e32 v4, vcc, 0, v2, vcc
	v_lshlrev_b32_e32 v4, 2, v4
	ds_bpermute_b32 v6, v4, v5
	v_and_b32_e32 v4, 0xc0, v0
	v_sub_u32_e64 v4, s4, v4 clamp
	v_add_u32_e32 v7, 1, v3
	v_cmp_lt_u32_e32 vcc, v7, v4
	s_and_saveexec_b64 s[0:1], vcc
	s_xor_b64 s[0:1], exec, s[0:1]
	s_cbranch_execz .LBB676_56
; %bb.55:
	s_movk_i32 s5, 0xcd
	s_waitcnt lgkmcnt(0)
	v_mul_lo_u16_sdwa v5, v6, s5 dst_sel:DWORD dst_unused:UNUSED_PAD src0_sel:BYTE_0 src1_sel:DWORD
	v_lshrrev_b16_e32 v5, 11, v5
	v_mul_lo_u16_e32 v5, 10, v5
	v_sub_u16_e32 v5, v6, v5
	v_mul_lo_u16_sdwa v6, v1, s5 dst_sel:DWORD dst_unused:UNUSED_PAD src0_sel:BYTE_0 src1_sel:DWORD
	v_lshrrev_b16_e32 v6, 11, v6
	v_mul_lo_u16_e32 v6, 10, v6
	v_sub_u16_e32 v1, v1, v6
	v_add_u16_e32 v5, v5, v1
	v_add_u16_e32 v6, -10, v5
	v_min_u16_sdwa v1, v5, v6 dst_sel:DWORD dst_unused:UNUSED_PAD src0_sel:BYTE_0 src1_sel:BYTE_0
	v_min_u16_sdwa v5, v5, v6 dst_sel:DWORD dst_unused:UNUSED_PAD src0_sel:BYTE_0 src1_sel:BYTE_0
.LBB676_56:
	s_or_b64 exec, exec, s[0:1]
	v_cmp_gt_u32_e32 vcc, 62, v3
	v_add_u32_e32 v7, 2, v3
	s_waitcnt lgkmcnt(0)
	v_cndmask_b32_e64 v6, 0, 2, vcc
	v_add_lshl_u32 v6, v6, v2, 2
	ds_bpermute_b32 v6, v6, v5
	v_cmp_lt_u32_e32 vcc, v7, v4
	s_and_saveexec_b64 s[0:1], vcc
	s_cbranch_execz .LBB676_58
; %bb.57:
	s_movk_i32 s5, 0xcd
	s_waitcnt lgkmcnt(0)
	v_mul_lo_u16_sdwa v5, v6, s5 dst_sel:DWORD dst_unused:UNUSED_PAD src0_sel:BYTE_0 src1_sel:DWORD
	v_lshrrev_b16_e32 v5, 11, v5
	v_mul_lo_u16_e32 v5, 10, v5
	v_sub_u16_e32 v5, v6, v5
	v_mul_lo_u16_sdwa v6, v1, s5 dst_sel:DWORD dst_unused:UNUSED_PAD src0_sel:BYTE_0 src1_sel:DWORD
	v_lshrrev_b16_e32 v6, 11, v6
	v_mul_lo_u16_e32 v6, 10, v6
	v_sub_u16_e32 v1, v1, v6
	v_add_u16_e32 v5, v5, v1
	v_add_u16_e32 v6, -10, v5
	v_min_u16_sdwa v1, v5, v6 dst_sel:DWORD dst_unused:UNUSED_PAD src0_sel:BYTE_0 src1_sel:BYTE_0
	v_min_u16_sdwa v5, v5, v6 dst_sel:DWORD dst_unused:UNUSED_PAD src0_sel:BYTE_0 src1_sel:BYTE_0
.LBB676_58:
	s_or_b64 exec, exec, s[0:1]
	v_cmp_gt_u32_e32 vcc, 60, v3
	v_add_u32_e32 v7, 4, v3
	s_waitcnt lgkmcnt(0)
	v_cndmask_b32_e64 v6, 0, 4, vcc
	v_add_lshl_u32 v6, v6, v2, 2
	ds_bpermute_b32 v6, v6, v5
	v_cmp_lt_u32_e32 vcc, v7, v4
	s_and_saveexec_b64 s[0:1], vcc
	;; [unrolled: 26-line block ×4, first 2 shown]
	s_cbranch_execz .LBB676_64
; %bb.63:
	s_movk_i32 s5, 0xcd
	s_waitcnt lgkmcnt(0)
	v_mul_lo_u16_sdwa v5, v6, s5 dst_sel:DWORD dst_unused:UNUSED_PAD src0_sel:BYTE_0 src1_sel:DWORD
	v_lshrrev_b16_e32 v5, 11, v5
	v_mul_lo_u16_e32 v5, 10, v5
	v_sub_u16_e32 v5, v6, v5
	v_mul_lo_u16_sdwa v6, v1, s5 dst_sel:DWORD dst_unused:UNUSED_PAD src0_sel:BYTE_0 src1_sel:DWORD
	v_lshrrev_b16_e32 v6, 11, v6
	v_mul_lo_u16_e32 v6, 10, v6
	v_sub_u16_e32 v1, v1, v6
	v_add_u16_e32 v5, v5, v1
	v_add_u16_e32 v6, -10, v5
	v_min_u16_sdwa v1, v5, v6 dst_sel:DWORD dst_unused:UNUSED_PAD src0_sel:BYTE_0 src1_sel:BYTE_0
	v_min_u16_sdwa v5, v5, v6 dst_sel:DWORD dst_unused:UNUSED_PAD src0_sel:BYTE_0 src1_sel:BYTE_0
.LBB676_64:
	s_or_b64 exec, exec, s[0:1]
	s_waitcnt lgkmcnt(0)
	v_lshlrev_b32_e32 v6, 2, v2
	v_or_b32_e32 v7, 0x80, v6
	ds_bpermute_b32 v5, v7, v5
	v_add_u32_e32 v3, 32, v3
	v_cmp_lt_u32_e32 vcc, v3, v4
	s_and_saveexec_b64 s[0:1], vcc
	s_cbranch_execz .LBB676_66
; %bb.65:
	s_movk_i32 s5, 0xcd
	s_waitcnt lgkmcnt(0)
	v_mul_lo_u16_sdwa v3, v5, s5 dst_sel:DWORD dst_unused:UNUSED_PAD src0_sel:BYTE_0 src1_sel:DWORD
	v_mul_lo_u16_sdwa v4, v1, s5 dst_sel:DWORD dst_unused:UNUSED_PAD src0_sel:BYTE_0 src1_sel:DWORD
	v_lshrrev_b16_e32 v3, 11, v3
	v_lshrrev_b16_e32 v4, 11, v4
	v_mul_lo_u16_e32 v3, 10, v3
	v_mul_lo_u16_e32 v4, 10, v4
	v_sub_u16_e32 v3, v5, v3
	v_sub_u16_e32 v1, v1, v4
	v_add_u16_e32 v1, v3, v1
	v_add_u16_e32 v3, -10, v1
	v_min_u16_sdwa v1, v1, v3 dst_sel:DWORD dst_unused:UNUSED_PAD src0_sel:BYTE_0 src1_sel:BYTE_0
.LBB676_66:
	s_or_b64 exec, exec, s[0:1]
	v_cmp_eq_u32_e32 vcc, 0, v2
	s_and_saveexec_b64 s[0:1], vcc
; %bb.67:
	v_lshrrev_b32_e32 v3, 6, v0
	ds_write_b8 v3, v1
; %bb.68:
	s_or_b64 exec, exec, s[0:1]
	v_cmp_gt_u32_e32 vcc, 4, v0
	s_waitcnt lgkmcnt(0)
	s_barrier
	s_and_saveexec_b64 s[0:1], vcc
	s_cbranch_execz .LBB676_74
; %bb.69:
	ds_read_u8 v1, v2
	v_and_b32_e32 v3, 3, v2
	v_cmp_ne_u32_e32 vcc, 3, v3
	s_add_i32 s4, s4, 63
	s_lshr_b32 s6, s4, 6
	v_addc_co_u32_e32 v2, vcc, 0, v2, vcc
	v_lshlrev_b32_e32 v4, 2, v2
	s_waitcnt lgkmcnt(0)
	v_and_b32_e32 v2, 0xff, v1
	ds_bpermute_b32 v4, v4, v2
	v_add_u32_e32 v5, 1, v3
	v_cmp_gt_u32_e32 vcc, s6, v5
	s_and_saveexec_b64 s[4:5], vcc
	s_cbranch_execz .LBB676_71
; %bb.70:
	s_movk_i32 s7, 0xcd
	s_waitcnt lgkmcnt(0)
	v_mul_lo_u16_sdwa v2, v4, s7 dst_sel:DWORD dst_unused:UNUSED_PAD src0_sel:BYTE_0 src1_sel:DWORD
	v_lshrrev_b16_e32 v2, 11, v2
	v_mul_lo_u16_e32 v2, 10, v2
	v_sub_u16_e32 v2, v4, v2
	v_mul_lo_u16_sdwa v4, v1, s7 dst_sel:DWORD dst_unused:UNUSED_PAD src0_sel:BYTE_0 src1_sel:DWORD
	v_lshrrev_b16_e32 v4, 11, v4
	v_mul_lo_u16_e32 v4, 10, v4
	v_sub_u16_e32 v1, v1, v4
	v_add_u16_e32 v2, v2, v1
	v_add_u16_e32 v4, -10, v2
	v_min_u16_sdwa v1, v2, v4 dst_sel:DWORD dst_unused:UNUSED_PAD src0_sel:BYTE_0 src1_sel:BYTE_0
	v_min_u16_sdwa v2, v2, v4 dst_sel:DWORD dst_unused:UNUSED_PAD src0_sel:BYTE_0 src1_sel:BYTE_0
.LBB676_71:
	s_or_b64 exec, exec, s[4:5]
	s_waitcnt lgkmcnt(0)
	v_or_b32_e32 v4, 8, v6
	ds_bpermute_b32 v2, v4, v2
	v_add_u32_e32 v3, 2, v3
	v_cmp_gt_u32_e32 vcc, s6, v3
	s_and_saveexec_b64 s[4:5], vcc
	s_cbranch_execz .LBB676_73
; %bb.72:
	s_movk_i32 s6, 0xcd
	s_waitcnt lgkmcnt(0)
	v_mul_lo_u16_sdwa v3, v2, s6 dst_sel:DWORD dst_unused:UNUSED_PAD src0_sel:BYTE_0 src1_sel:DWORD
	v_lshrrev_b16_e32 v3, 11, v3
	v_mul_lo_u16_e32 v3, 10, v3
	v_sub_u16_e32 v2, v2, v3
	v_mul_lo_u16_sdwa v3, v1, s6 dst_sel:DWORD dst_unused:UNUSED_PAD src0_sel:BYTE_0 src1_sel:DWORD
	v_lshrrev_b16_e32 v3, 11, v3
	v_mul_lo_u16_e32 v3, 10, v3
	v_sub_u16_e32 v1, v1, v3
	v_add_u16_e32 v1, v2, v1
	v_add_u16_e32 v2, -10, v1
	v_min_u16_sdwa v1, v1, v2 dst_sel:DWORD dst_unused:UNUSED_PAD src0_sel:BYTE_0 src1_sel:BYTE_0
.LBB676_73:
	s_or_b64 exec, exec, s[4:5]
.LBB676_74:
	s_or_b64 exec, exec, s[0:1]
.LBB676_75:
	v_cmp_eq_u32_e32 vcc, 0, v0
	s_and_saveexec_b64 s[0:1], vcc
	s_cbranch_execnz .LBB676_77
; %bb.76:
	s_endpgm
.LBB676_77:
	s_mul_i32 s0, s46, s45
	s_mul_hi_u32 s1, s46, s44
	s_add_i32 s0, s1, s0
	s_mul_i32 s1, s47, s44
	s_add_i32 s0, s0, s1
	s_mul_i32 s1, s46, s44
	s_add_u32 s1, s42, s1
	s_addc_u32 s4, s43, s0
	s_cmp_eq_u64 s[40:41], 0
	s_waitcnt lgkmcnt(0)
	v_mov_b32_e32 v0, s3
	s_cselect_b64 vcc, -1, 0
	s_add_u32 s0, s1, s2
	v_cndmask_b32_e32 v0, v1, v0, vcc
	s_addc_u32 s1, s4, 0
	v_mov_b32_e32 v1, 0
	global_store_byte v1, v0, s[0:1]
	s_endpgm
.LBB676_78:
	v_mov_b32_e32 v1, 0
	v_lshl_add_u64 v[8:9], s[30:31], 0, v[0:1]
	flat_load_ubyte v1, v[8:9] offset:3840
	s_mov_b32 s30, 0x60504
	s_waitcnt vmcnt(0) lgkmcnt(0)
	v_perm_b32 v5, v5, v1, s30
	s_or_b64 exec, exec, s[34:35]
	v_mov_b32_e32 v1, v2
	s_and_saveexec_b64 s[30:31], vcc
	s_cbranch_execz .LBB676_39
.LBB676_79:
	v_lshrrev_b32_e32 v1, 8, v2
	s_movk_i32 s34, 0xcd
	v_mul_lo_u16_sdwa v7, v1, s34 dst_sel:DWORD dst_unused:UNUSED_PAD src0_sel:BYTE_0 src1_sel:DWORD
	v_lshrrev_b16_e32 v7, 11, v7
	v_mul_lo_u16_e32 v7, 10, v7
	v_sub_u16_e32 v1, v1, v7
	v_mul_lo_u16_sdwa v7, v2, s34 dst_sel:DWORD dst_unused:UNUSED_PAD src0_sel:BYTE_0 src1_sel:DWORD
	v_lshrrev_b16_e32 v7, 11, v7
	v_mul_lo_u16_e32 v7, 10, v7
	v_sub_u16_e32 v7, v2, v7
	v_add_u16_e32 v1, v1, v7
	v_add_u16_e32 v7, -10, v1
	v_min_u16_sdwa v1, v1, v7 dst_sel:DWORD dst_unused:UNUSED_PAD src0_sel:BYTE_0 src1_sel:BYTE_0
	s_or_b64 exec, exec, s[30:31]
	s_and_saveexec_b64 s[30:31], s[4:5]
	s_cbranch_execz .LBB676_40
.LBB676_80:
	s_movk_i32 s4, 0xff
	v_and_b32_sdwa v7, v2, s4 dst_sel:DWORD dst_unused:UNUSED_PAD src0_sel:WORD_1 src1_sel:DWORD
	s_movk_i32 s4, 0xcd
	v_mul_lo_u16_e32 v7, 0xcd, v7
	v_mul_lo_u16_sdwa v8, v1, s4 dst_sel:DWORD dst_unused:UNUSED_PAD src0_sel:BYTE_0 src1_sel:DWORD
	v_lshrrev_b16_e32 v7, 11, v7
	v_lshrrev_b16_e32 v8, 11, v8
	v_mul_lo_u16_e32 v7, 10, v7
	v_mul_lo_u16_e32 v8, 10, v8
	v_sub_u16_sdwa v7, v2, v7 dst_sel:DWORD dst_unused:UNUSED_PAD src0_sel:WORD_1 src1_sel:DWORD
	v_sub_u16_e32 v1, v1, v8
	v_add_u16_e32 v1, v1, v7
	v_add_u16_e32 v7, -10, v1
	v_min_u16_sdwa v1, v1, v7 dst_sel:DWORD dst_unused:UNUSED_PAD src0_sel:BYTE_0 src1_sel:BYTE_0
	s_or_b64 exec, exec, s[30:31]
	s_and_saveexec_b64 s[4:5], s[6:7]
	s_cbranch_execz .LBB676_41
.LBB676_81:
	v_lshrrev_b64 v[8:9], 24, v[2:3]
	s_movk_i32 s6, 0xcd
	v_mul_lo_u16_sdwa v2, v8, s6 dst_sel:DWORD dst_unused:UNUSED_PAD src0_sel:BYTE_0 src1_sel:DWORD
	v_mul_lo_u16_sdwa v7, v1, s6 dst_sel:DWORD dst_unused:UNUSED_PAD src0_sel:BYTE_0 src1_sel:DWORD
	v_lshrrev_b16_e32 v2, 11, v2
	v_lshrrev_b16_e32 v7, 11, v7
	v_mul_lo_u16_e32 v2, 10, v2
	v_mul_lo_u16_e32 v7, 10, v7
	v_sub_u16_e32 v2, v8, v2
	v_sub_u16_e32 v1, v1, v7
	v_add_u16_e32 v1, v1, v2
	v_add_u16_e32 v2, -10, v1
	v_min_u16_sdwa v1, v1, v2 dst_sel:DWORD dst_unused:UNUSED_PAD src0_sel:BYTE_0 src1_sel:BYTE_0
	s_or_b64 exec, exec, s[4:5]
	s_and_saveexec_b64 s[4:5], s[0:1]
	s_cbranch_execz .LBB676_42
.LBB676_82:
	s_movk_i32 s0, 0xcd
	v_mul_lo_u16_sdwa v2, v3, s0 dst_sel:DWORD dst_unused:UNUSED_PAD src0_sel:BYTE_0 src1_sel:DWORD
	v_mul_lo_u16_sdwa v7, v1, s0 dst_sel:DWORD dst_unused:UNUSED_PAD src0_sel:BYTE_0 src1_sel:DWORD
	v_lshrrev_b16_e32 v2, 11, v2
	v_lshrrev_b16_e32 v7, 11, v7
	v_mul_lo_u16_e32 v2, 10, v2
	v_mul_lo_u16_e32 v7, 10, v7
	v_sub_u16_e32 v2, v3, v2
	v_sub_u16_e32 v1, v1, v7
	v_add_u16_e32 v1, v1, v2
	v_add_u16_e32 v2, -10, v1
	v_min_u16_sdwa v1, v1, v2 dst_sel:DWORD dst_unused:UNUSED_PAD src0_sel:BYTE_0 src1_sel:BYTE_0
	s_or_b64 exec, exec, s[4:5]
	s_and_saveexec_b64 s[0:1], s[8:9]
	s_cbranch_execz .LBB676_43
.LBB676_83:
	v_lshrrev_b32_e32 v2, 8, v3
	s_movk_i32 s4, 0xcd
	v_mul_lo_u16_sdwa v7, v2, s4 dst_sel:DWORD dst_unused:UNUSED_PAD src0_sel:BYTE_0 src1_sel:DWORD
	v_lshrrev_b16_e32 v7, 11, v7
	v_mul_lo_u16_e32 v7, 10, v7
	v_sub_u16_e32 v2, v2, v7
	v_mul_lo_u16_sdwa v7, v1, s4 dst_sel:DWORD dst_unused:UNUSED_PAD src0_sel:BYTE_0 src1_sel:DWORD
	v_lshrrev_b16_e32 v7, 11, v7
	v_mul_lo_u16_e32 v7, 10, v7
	v_sub_u16_e32 v1, v1, v7
	v_add_u16_e32 v1, v1, v2
	v_add_u16_e32 v2, -10, v1
	v_min_u16_sdwa v1, v1, v2 dst_sel:DWORD dst_unused:UNUSED_PAD src0_sel:BYTE_0 src1_sel:BYTE_0
	s_or_b64 exec, exec, s[0:1]
	s_and_saveexec_b64 s[0:1], s[10:11]
	s_cbranch_execz .LBB676_44
.LBB676_84:
	s_movk_i32 s4, 0xff
	v_and_b32_sdwa v2, v3, s4 dst_sel:DWORD dst_unused:UNUSED_PAD src0_sel:WORD_1 src1_sel:DWORD
	s_movk_i32 s4, 0xcd
	v_mul_lo_u16_e32 v2, 0xcd, v2
	v_mul_lo_u16_sdwa v7, v1, s4 dst_sel:DWORD dst_unused:UNUSED_PAD src0_sel:BYTE_0 src1_sel:DWORD
	v_lshrrev_b16_e32 v2, 11, v2
	v_lshrrev_b16_e32 v7, 11, v7
	v_mul_lo_u16_e32 v2, 10, v2
	v_mul_lo_u16_e32 v7, 10, v7
	v_sub_u16_sdwa v2, v3, v2 dst_sel:DWORD dst_unused:UNUSED_PAD src0_sel:WORD_1 src1_sel:DWORD
	v_sub_u16_e32 v1, v1, v7
	v_add_u16_e32 v1, v1, v2
	v_add_u16_e32 v2, -10, v1
	v_min_u16_sdwa v1, v1, v2 dst_sel:DWORD dst_unused:UNUSED_PAD src0_sel:BYTE_0 src1_sel:BYTE_0
	s_or_b64 exec, exec, s[0:1]
	s_and_saveexec_b64 s[0:1], s[12:13]
	s_cbranch_execz .LBB676_45
.LBB676_85:
	s_movk_i32 s4, 0xcd
	v_mul_lo_u16_sdwa v2, v3, s4 dst_sel:DWORD dst_unused:UNUSED_PAD src0_sel:BYTE_3 src1_sel:DWORD
	v_lshrrev_b16_e32 v2, 11, v2
	v_mul_lo_u16_e32 v2, 10, v2
	v_sub_u16_sdwa v2, v3, v2 dst_sel:DWORD dst_unused:UNUSED_PAD src0_sel:BYTE_3 src1_sel:DWORD
	v_mul_lo_u16_sdwa v3, v1, s4 dst_sel:DWORD dst_unused:UNUSED_PAD src0_sel:BYTE_0 src1_sel:DWORD
	v_lshrrev_b16_e32 v3, 11, v3
	v_mul_lo_u16_e32 v3, 10, v3
	v_sub_u16_e32 v1, v1, v3
	v_add_u16_e32 v1, v1, v2
	v_add_u16_e32 v2, -10, v1
	v_min_u16_sdwa v1, v1, v2 dst_sel:DWORD dst_unused:UNUSED_PAD src0_sel:BYTE_0 src1_sel:BYTE_0
	s_or_b64 exec, exec, s[0:1]
	s_and_saveexec_b64 s[0:1], s[14:15]
	s_cbranch_execz .LBB676_46
.LBB676_86:
	s_movk_i32 s4, 0xcd
	v_mul_lo_u16_sdwa v2, v4, s4 dst_sel:DWORD dst_unused:UNUSED_PAD src0_sel:BYTE_0 src1_sel:DWORD
	v_mul_lo_u16_sdwa v3, v1, s4 dst_sel:DWORD dst_unused:UNUSED_PAD src0_sel:BYTE_0 src1_sel:DWORD
	v_lshrrev_b16_e32 v2, 11, v2
	v_lshrrev_b16_e32 v3, 11, v3
	v_mul_lo_u16_e32 v2, 10, v2
	v_mul_lo_u16_e32 v3, 10, v3
	v_sub_u16_e32 v2, v4, v2
	v_sub_u16_e32 v1, v1, v3
	v_add_u16_e32 v1, v1, v2
	v_add_u16_e32 v2, -10, v1
	v_min_u16_sdwa v1, v1, v2 dst_sel:DWORD dst_unused:UNUSED_PAD src0_sel:BYTE_0 src1_sel:BYTE_0
	s_or_b64 exec, exec, s[0:1]
	s_and_saveexec_b64 s[0:1], s[16:17]
	s_cbranch_execz .LBB676_47
.LBB676_87:
	v_lshrrev_b32_e32 v2, 8, v4
	s_movk_i32 s4, 0xcd
	v_mul_lo_u16_sdwa v3, v2, s4 dst_sel:DWORD dst_unused:UNUSED_PAD src0_sel:BYTE_0 src1_sel:DWORD
	v_lshrrev_b16_e32 v3, 11, v3
	v_mul_lo_u16_e32 v3, 10, v3
	v_sub_u16_e32 v2, v2, v3
	v_mul_lo_u16_sdwa v3, v1, s4 dst_sel:DWORD dst_unused:UNUSED_PAD src0_sel:BYTE_0 src1_sel:DWORD
	v_lshrrev_b16_e32 v3, 11, v3
	v_mul_lo_u16_e32 v3, 10, v3
	v_sub_u16_e32 v1, v1, v3
	v_add_u16_e32 v1, v1, v2
	v_add_u16_e32 v2, -10, v1
	v_min_u16_sdwa v1, v1, v2 dst_sel:DWORD dst_unused:UNUSED_PAD src0_sel:BYTE_0 src1_sel:BYTE_0
	s_or_b64 exec, exec, s[0:1]
	s_and_saveexec_b64 s[0:1], s[20:21]
	s_cbranch_execz .LBB676_48
.LBB676_88:
	s_movk_i32 s4, 0xff
	v_and_b32_sdwa v2, v4, s4 dst_sel:DWORD dst_unused:UNUSED_PAD src0_sel:WORD_1 src1_sel:DWORD
	s_movk_i32 s4, 0xcd
	v_mul_lo_u16_e32 v2, 0xcd, v2
	v_mul_lo_u16_sdwa v3, v1, s4 dst_sel:DWORD dst_unused:UNUSED_PAD src0_sel:BYTE_0 src1_sel:DWORD
	v_lshrrev_b16_e32 v2, 11, v2
	v_lshrrev_b16_e32 v3, 11, v3
	v_mul_lo_u16_e32 v2, 10, v2
	v_mul_lo_u16_e32 v3, 10, v3
	v_sub_u16_sdwa v2, v4, v2 dst_sel:DWORD dst_unused:UNUSED_PAD src0_sel:WORD_1 src1_sel:DWORD
	v_sub_u16_e32 v1, v1, v3
	v_add_u16_e32 v1, v1, v2
	v_add_u16_e32 v2, -10, v1
	v_min_u16_sdwa v1, v1, v2 dst_sel:DWORD dst_unused:UNUSED_PAD src0_sel:BYTE_0 src1_sel:BYTE_0
	s_or_b64 exec, exec, s[0:1]
	s_and_saveexec_b64 s[0:1], s[22:23]
	s_cbranch_execz .LBB676_49
.LBB676_89:
	v_lshrrev_b64 v[2:3], 24, v[4:5]
	s_movk_i32 s4, 0xcd
	v_mul_lo_u16_sdwa v3, v2, s4 dst_sel:DWORD dst_unused:UNUSED_PAD src0_sel:BYTE_0 src1_sel:DWORD
	v_lshrrev_b16_e32 v3, 11, v3
	v_mul_lo_u16_e32 v3, 10, v3
	v_sub_u16_e32 v2, v2, v3
	v_mul_lo_u16_sdwa v3, v1, s4 dst_sel:DWORD dst_unused:UNUSED_PAD src0_sel:BYTE_0 src1_sel:DWORD
	v_lshrrev_b16_e32 v3, 11, v3
	v_mul_lo_u16_e32 v3, 10, v3
	v_sub_u16_e32 v1, v1, v3
	v_add_u16_e32 v1, v1, v2
	v_add_u16_e32 v2, -10, v1
	v_min_u16_sdwa v1, v1, v2 dst_sel:DWORD dst_unused:UNUSED_PAD src0_sel:BYTE_0 src1_sel:BYTE_0
	s_or_b64 exec, exec, s[0:1]
	s_and_saveexec_b64 s[0:1], s[18:19]
	s_cbranch_execz .LBB676_50
.LBB676_90:
	s_movk_i32 s4, 0xcd
	v_mul_lo_u16_sdwa v2, v5, s4 dst_sel:DWORD dst_unused:UNUSED_PAD src0_sel:BYTE_0 src1_sel:DWORD
	v_mul_lo_u16_sdwa v3, v1, s4 dst_sel:DWORD dst_unused:UNUSED_PAD src0_sel:BYTE_0 src1_sel:DWORD
	v_lshrrev_b16_e32 v2, 11, v2
	v_lshrrev_b16_e32 v3, 11, v3
	v_mul_lo_u16_e32 v2, 10, v2
	v_mul_lo_u16_e32 v3, 10, v3
	v_sub_u16_e32 v2, v5, v2
	v_sub_u16_e32 v1, v1, v3
	v_add_u16_e32 v1, v1, v2
	v_add_u16_e32 v2, -10, v1
	v_min_u16_sdwa v1, v1, v2 dst_sel:DWORD dst_unused:UNUSED_PAD src0_sel:BYTE_0 src1_sel:BYTE_0
	s_or_b64 exec, exec, s[0:1]
	s_and_saveexec_b64 s[0:1], s[24:25]
	s_cbranch_execz .LBB676_51
.LBB676_91:
	v_lshrrev_b32_e32 v2, 8, v5
	s_movk_i32 s4, 0xcd
	v_mul_lo_u16_sdwa v3, v2, s4 dst_sel:DWORD dst_unused:UNUSED_PAD src0_sel:BYTE_0 src1_sel:DWORD
	v_lshrrev_b16_e32 v3, 11, v3
	v_mul_lo_u16_e32 v3, 10, v3
	v_sub_u16_e32 v2, v2, v3
	v_mul_lo_u16_sdwa v3, v1, s4 dst_sel:DWORD dst_unused:UNUSED_PAD src0_sel:BYTE_0 src1_sel:DWORD
	v_lshrrev_b16_e32 v3, 11, v3
	v_mul_lo_u16_e32 v3, 10, v3
	v_sub_u16_e32 v1, v1, v3
	v_add_u16_e32 v1, v1, v2
	v_add_u16_e32 v2, -10, v1
	v_min_u16_sdwa v1, v1, v2 dst_sel:DWORD dst_unused:UNUSED_PAD src0_sel:BYTE_0 src1_sel:BYTE_0
	s_or_b64 exec, exec, s[0:1]
	s_and_saveexec_b64 s[0:1], s[26:27]
	s_cbranch_execz .LBB676_52
.LBB676_92:
	s_movk_i32 s4, 0xff
	v_and_b32_sdwa v2, v5, s4 dst_sel:DWORD dst_unused:UNUSED_PAD src0_sel:WORD_1 src1_sel:DWORD
	s_movk_i32 s4, 0xcd
	v_mul_lo_u16_e32 v2, 0xcd, v2
	v_mul_lo_u16_sdwa v3, v1, s4 dst_sel:DWORD dst_unused:UNUSED_PAD src0_sel:BYTE_0 src1_sel:DWORD
	v_lshrrev_b16_e32 v2, 11, v2
	v_lshrrev_b16_e32 v3, 11, v3
	v_mul_lo_u16_e32 v2, 10, v2
	v_mul_lo_u16_e32 v3, 10, v3
	v_sub_u16_sdwa v2, v5, v2 dst_sel:DWORD dst_unused:UNUSED_PAD src0_sel:WORD_1 src1_sel:DWORD
	v_sub_u16_e32 v1, v1, v3
	v_add_u16_e32 v1, v1, v2
	v_add_u16_e32 v2, -10, v1
	v_min_u16_sdwa v1, v1, v2 dst_sel:DWORD dst_unused:UNUSED_PAD src0_sel:BYTE_0 src1_sel:BYTE_0
	s_or_b64 exec, exec, s[0:1]
	s_and_saveexec_b64 s[0:1], s[28:29]
	s_cbranch_execnz .LBB676_53
	s_branch .LBB676_54
	.section	.rodata,"a",@progbits
	.p2align	6, 0x0
	.amdhsa_kernel _ZN7rocprim17ROCPRIM_400000_NS6detail17trampoline_kernelINS0_14default_configENS1_22reduce_config_selectorIhEEZNS1_11reduce_implILb1ES3_N6thrust23THRUST_200600_302600_NS6detail15normal_iteratorINS8_10device_ptrIhEEEEPhh11plus_mod_10IhEEE10hipError_tPvRmT1_T2_T3_mT4_P12ihipStream_tbEUlT_E0_NS1_11comp_targetILNS1_3genE0ELNS1_11target_archE4294967295ELNS1_3gpuE0ELNS1_3repE0EEENS1_30default_config_static_selectorELNS0_4arch9wavefront6targetE1EEEvSK_
		.amdhsa_group_segment_fixed_size 8
		.amdhsa_private_segment_fixed_size 0
		.amdhsa_kernarg_size 56
		.amdhsa_user_sgpr_count 2
		.amdhsa_user_sgpr_dispatch_ptr 0
		.amdhsa_user_sgpr_queue_ptr 0
		.amdhsa_user_sgpr_kernarg_segment_ptr 1
		.amdhsa_user_sgpr_dispatch_id 0
		.amdhsa_user_sgpr_kernarg_preload_length 0
		.amdhsa_user_sgpr_kernarg_preload_offset 0
		.amdhsa_user_sgpr_private_segment_size 0
		.amdhsa_uses_dynamic_stack 0
		.amdhsa_enable_private_segment 0
		.amdhsa_system_sgpr_workgroup_id_x 1
		.amdhsa_system_sgpr_workgroup_id_y 0
		.amdhsa_system_sgpr_workgroup_id_z 0
		.amdhsa_system_sgpr_workgroup_info 0
		.amdhsa_system_vgpr_workitem_id 0
		.amdhsa_next_free_vgpr 35
		.amdhsa_next_free_sgpr 48
		.amdhsa_accum_offset 36
		.amdhsa_reserve_vcc 1
		.amdhsa_float_round_mode_32 0
		.amdhsa_float_round_mode_16_64 0
		.amdhsa_float_denorm_mode_32 3
		.amdhsa_float_denorm_mode_16_64 3
		.amdhsa_dx10_clamp 1
		.amdhsa_ieee_mode 1
		.amdhsa_fp16_overflow 0
		.amdhsa_tg_split 0
		.amdhsa_exception_fp_ieee_invalid_op 0
		.amdhsa_exception_fp_denorm_src 0
		.amdhsa_exception_fp_ieee_div_zero 0
		.amdhsa_exception_fp_ieee_overflow 0
		.amdhsa_exception_fp_ieee_underflow 0
		.amdhsa_exception_fp_ieee_inexact 0
		.amdhsa_exception_int_div_zero 0
	.end_amdhsa_kernel
	.section	.text._ZN7rocprim17ROCPRIM_400000_NS6detail17trampoline_kernelINS0_14default_configENS1_22reduce_config_selectorIhEEZNS1_11reduce_implILb1ES3_N6thrust23THRUST_200600_302600_NS6detail15normal_iteratorINS8_10device_ptrIhEEEEPhh11plus_mod_10IhEEE10hipError_tPvRmT1_T2_T3_mT4_P12ihipStream_tbEUlT_E0_NS1_11comp_targetILNS1_3genE0ELNS1_11target_archE4294967295ELNS1_3gpuE0ELNS1_3repE0EEENS1_30default_config_static_selectorELNS0_4arch9wavefront6targetE1EEEvSK_,"axG",@progbits,_ZN7rocprim17ROCPRIM_400000_NS6detail17trampoline_kernelINS0_14default_configENS1_22reduce_config_selectorIhEEZNS1_11reduce_implILb1ES3_N6thrust23THRUST_200600_302600_NS6detail15normal_iteratorINS8_10device_ptrIhEEEEPhh11plus_mod_10IhEEE10hipError_tPvRmT1_T2_T3_mT4_P12ihipStream_tbEUlT_E0_NS1_11comp_targetILNS1_3genE0ELNS1_11target_archE4294967295ELNS1_3gpuE0ELNS1_3repE0EEENS1_30default_config_static_selectorELNS0_4arch9wavefront6targetE1EEEvSK_,comdat
.Lfunc_end676:
	.size	_ZN7rocprim17ROCPRIM_400000_NS6detail17trampoline_kernelINS0_14default_configENS1_22reduce_config_selectorIhEEZNS1_11reduce_implILb1ES3_N6thrust23THRUST_200600_302600_NS6detail15normal_iteratorINS8_10device_ptrIhEEEEPhh11plus_mod_10IhEEE10hipError_tPvRmT1_T2_T3_mT4_P12ihipStream_tbEUlT_E0_NS1_11comp_targetILNS1_3genE0ELNS1_11target_archE4294967295ELNS1_3gpuE0ELNS1_3repE0EEENS1_30default_config_static_selectorELNS0_4arch9wavefront6targetE1EEEvSK_, .Lfunc_end676-_ZN7rocprim17ROCPRIM_400000_NS6detail17trampoline_kernelINS0_14default_configENS1_22reduce_config_selectorIhEEZNS1_11reduce_implILb1ES3_N6thrust23THRUST_200600_302600_NS6detail15normal_iteratorINS8_10device_ptrIhEEEEPhh11plus_mod_10IhEEE10hipError_tPvRmT1_T2_T3_mT4_P12ihipStream_tbEUlT_E0_NS1_11comp_targetILNS1_3genE0ELNS1_11target_archE4294967295ELNS1_3gpuE0ELNS1_3repE0EEENS1_30default_config_static_selectorELNS0_4arch9wavefront6targetE1EEEvSK_
                                        ; -- End function
	.set _ZN7rocprim17ROCPRIM_400000_NS6detail17trampoline_kernelINS0_14default_configENS1_22reduce_config_selectorIhEEZNS1_11reduce_implILb1ES3_N6thrust23THRUST_200600_302600_NS6detail15normal_iteratorINS8_10device_ptrIhEEEEPhh11plus_mod_10IhEEE10hipError_tPvRmT1_T2_T3_mT4_P12ihipStream_tbEUlT_E0_NS1_11comp_targetILNS1_3genE0ELNS1_11target_archE4294967295ELNS1_3gpuE0ELNS1_3repE0EEENS1_30default_config_static_selectorELNS0_4arch9wavefront6targetE1EEEvSK_.num_vgpr, 35
	.set _ZN7rocprim17ROCPRIM_400000_NS6detail17trampoline_kernelINS0_14default_configENS1_22reduce_config_selectorIhEEZNS1_11reduce_implILb1ES3_N6thrust23THRUST_200600_302600_NS6detail15normal_iteratorINS8_10device_ptrIhEEEEPhh11plus_mod_10IhEEE10hipError_tPvRmT1_T2_T3_mT4_P12ihipStream_tbEUlT_E0_NS1_11comp_targetILNS1_3genE0ELNS1_11target_archE4294967295ELNS1_3gpuE0ELNS1_3repE0EEENS1_30default_config_static_selectorELNS0_4arch9wavefront6targetE1EEEvSK_.num_agpr, 0
	.set _ZN7rocprim17ROCPRIM_400000_NS6detail17trampoline_kernelINS0_14default_configENS1_22reduce_config_selectorIhEEZNS1_11reduce_implILb1ES3_N6thrust23THRUST_200600_302600_NS6detail15normal_iteratorINS8_10device_ptrIhEEEEPhh11plus_mod_10IhEEE10hipError_tPvRmT1_T2_T3_mT4_P12ihipStream_tbEUlT_E0_NS1_11comp_targetILNS1_3genE0ELNS1_11target_archE4294967295ELNS1_3gpuE0ELNS1_3repE0EEENS1_30default_config_static_selectorELNS0_4arch9wavefront6targetE1EEEvSK_.numbered_sgpr, 48
	.set _ZN7rocprim17ROCPRIM_400000_NS6detail17trampoline_kernelINS0_14default_configENS1_22reduce_config_selectorIhEEZNS1_11reduce_implILb1ES3_N6thrust23THRUST_200600_302600_NS6detail15normal_iteratorINS8_10device_ptrIhEEEEPhh11plus_mod_10IhEEE10hipError_tPvRmT1_T2_T3_mT4_P12ihipStream_tbEUlT_E0_NS1_11comp_targetILNS1_3genE0ELNS1_11target_archE4294967295ELNS1_3gpuE0ELNS1_3repE0EEENS1_30default_config_static_selectorELNS0_4arch9wavefront6targetE1EEEvSK_.num_named_barrier, 0
	.set _ZN7rocprim17ROCPRIM_400000_NS6detail17trampoline_kernelINS0_14default_configENS1_22reduce_config_selectorIhEEZNS1_11reduce_implILb1ES3_N6thrust23THRUST_200600_302600_NS6detail15normal_iteratorINS8_10device_ptrIhEEEEPhh11plus_mod_10IhEEE10hipError_tPvRmT1_T2_T3_mT4_P12ihipStream_tbEUlT_E0_NS1_11comp_targetILNS1_3genE0ELNS1_11target_archE4294967295ELNS1_3gpuE0ELNS1_3repE0EEENS1_30default_config_static_selectorELNS0_4arch9wavefront6targetE1EEEvSK_.private_seg_size, 0
	.set _ZN7rocprim17ROCPRIM_400000_NS6detail17trampoline_kernelINS0_14default_configENS1_22reduce_config_selectorIhEEZNS1_11reduce_implILb1ES3_N6thrust23THRUST_200600_302600_NS6detail15normal_iteratorINS8_10device_ptrIhEEEEPhh11plus_mod_10IhEEE10hipError_tPvRmT1_T2_T3_mT4_P12ihipStream_tbEUlT_E0_NS1_11comp_targetILNS1_3genE0ELNS1_11target_archE4294967295ELNS1_3gpuE0ELNS1_3repE0EEENS1_30default_config_static_selectorELNS0_4arch9wavefront6targetE1EEEvSK_.uses_vcc, 1
	.set _ZN7rocprim17ROCPRIM_400000_NS6detail17trampoline_kernelINS0_14default_configENS1_22reduce_config_selectorIhEEZNS1_11reduce_implILb1ES3_N6thrust23THRUST_200600_302600_NS6detail15normal_iteratorINS8_10device_ptrIhEEEEPhh11plus_mod_10IhEEE10hipError_tPvRmT1_T2_T3_mT4_P12ihipStream_tbEUlT_E0_NS1_11comp_targetILNS1_3genE0ELNS1_11target_archE4294967295ELNS1_3gpuE0ELNS1_3repE0EEENS1_30default_config_static_selectorELNS0_4arch9wavefront6targetE1EEEvSK_.uses_flat_scratch, 0
	.set _ZN7rocprim17ROCPRIM_400000_NS6detail17trampoline_kernelINS0_14default_configENS1_22reduce_config_selectorIhEEZNS1_11reduce_implILb1ES3_N6thrust23THRUST_200600_302600_NS6detail15normal_iteratorINS8_10device_ptrIhEEEEPhh11plus_mod_10IhEEE10hipError_tPvRmT1_T2_T3_mT4_P12ihipStream_tbEUlT_E0_NS1_11comp_targetILNS1_3genE0ELNS1_11target_archE4294967295ELNS1_3gpuE0ELNS1_3repE0EEENS1_30default_config_static_selectorELNS0_4arch9wavefront6targetE1EEEvSK_.has_dyn_sized_stack, 0
	.set _ZN7rocprim17ROCPRIM_400000_NS6detail17trampoline_kernelINS0_14default_configENS1_22reduce_config_selectorIhEEZNS1_11reduce_implILb1ES3_N6thrust23THRUST_200600_302600_NS6detail15normal_iteratorINS8_10device_ptrIhEEEEPhh11plus_mod_10IhEEE10hipError_tPvRmT1_T2_T3_mT4_P12ihipStream_tbEUlT_E0_NS1_11comp_targetILNS1_3genE0ELNS1_11target_archE4294967295ELNS1_3gpuE0ELNS1_3repE0EEENS1_30default_config_static_selectorELNS0_4arch9wavefront6targetE1EEEvSK_.has_recursion, 0
	.set _ZN7rocprim17ROCPRIM_400000_NS6detail17trampoline_kernelINS0_14default_configENS1_22reduce_config_selectorIhEEZNS1_11reduce_implILb1ES3_N6thrust23THRUST_200600_302600_NS6detail15normal_iteratorINS8_10device_ptrIhEEEEPhh11plus_mod_10IhEEE10hipError_tPvRmT1_T2_T3_mT4_P12ihipStream_tbEUlT_E0_NS1_11comp_targetILNS1_3genE0ELNS1_11target_archE4294967295ELNS1_3gpuE0ELNS1_3repE0EEENS1_30default_config_static_selectorELNS0_4arch9wavefront6targetE1EEEvSK_.has_indirect_call, 0
	.section	.AMDGPU.csdata,"",@progbits
; Kernel info:
; codeLenInByte = 5324
; TotalNumSgprs: 54
; NumVgprs: 35
; NumAgprs: 0
; TotalNumVgprs: 35
; ScratchSize: 0
; MemoryBound: 0
; FloatMode: 240
; IeeeMode: 1
; LDSByteSize: 8 bytes/workgroup (compile time only)
; SGPRBlocks: 6
; VGPRBlocks: 4
; NumSGPRsForWavesPerEU: 54
; NumVGPRsForWavesPerEU: 35
; AccumOffset: 36
; Occupancy: 8
; WaveLimiterHint : 1
; COMPUTE_PGM_RSRC2:SCRATCH_EN: 0
; COMPUTE_PGM_RSRC2:USER_SGPR: 2
; COMPUTE_PGM_RSRC2:TRAP_HANDLER: 0
; COMPUTE_PGM_RSRC2:TGID_X_EN: 1
; COMPUTE_PGM_RSRC2:TGID_Y_EN: 0
; COMPUTE_PGM_RSRC2:TGID_Z_EN: 0
; COMPUTE_PGM_RSRC2:TIDIG_COMP_CNT: 0
; COMPUTE_PGM_RSRC3_GFX90A:ACCUM_OFFSET: 8
; COMPUTE_PGM_RSRC3_GFX90A:TG_SPLIT: 0
	.section	.text._ZN7rocprim17ROCPRIM_400000_NS6detail17trampoline_kernelINS0_14default_configENS1_22reduce_config_selectorIhEEZNS1_11reduce_implILb1ES3_N6thrust23THRUST_200600_302600_NS6detail15normal_iteratorINS8_10device_ptrIhEEEEPhh11plus_mod_10IhEEE10hipError_tPvRmT1_T2_T3_mT4_P12ihipStream_tbEUlT_E0_NS1_11comp_targetILNS1_3genE5ELNS1_11target_archE942ELNS1_3gpuE9ELNS1_3repE0EEENS1_30default_config_static_selectorELNS0_4arch9wavefront6targetE1EEEvSK_,"axG",@progbits,_ZN7rocprim17ROCPRIM_400000_NS6detail17trampoline_kernelINS0_14default_configENS1_22reduce_config_selectorIhEEZNS1_11reduce_implILb1ES3_N6thrust23THRUST_200600_302600_NS6detail15normal_iteratorINS8_10device_ptrIhEEEEPhh11plus_mod_10IhEEE10hipError_tPvRmT1_T2_T3_mT4_P12ihipStream_tbEUlT_E0_NS1_11comp_targetILNS1_3genE5ELNS1_11target_archE942ELNS1_3gpuE9ELNS1_3repE0EEENS1_30default_config_static_selectorELNS0_4arch9wavefront6targetE1EEEvSK_,comdat
	.protected	_ZN7rocprim17ROCPRIM_400000_NS6detail17trampoline_kernelINS0_14default_configENS1_22reduce_config_selectorIhEEZNS1_11reduce_implILb1ES3_N6thrust23THRUST_200600_302600_NS6detail15normal_iteratorINS8_10device_ptrIhEEEEPhh11plus_mod_10IhEEE10hipError_tPvRmT1_T2_T3_mT4_P12ihipStream_tbEUlT_E0_NS1_11comp_targetILNS1_3genE5ELNS1_11target_archE942ELNS1_3gpuE9ELNS1_3repE0EEENS1_30default_config_static_selectorELNS0_4arch9wavefront6targetE1EEEvSK_ ; -- Begin function _ZN7rocprim17ROCPRIM_400000_NS6detail17trampoline_kernelINS0_14default_configENS1_22reduce_config_selectorIhEEZNS1_11reduce_implILb1ES3_N6thrust23THRUST_200600_302600_NS6detail15normal_iteratorINS8_10device_ptrIhEEEEPhh11plus_mod_10IhEEE10hipError_tPvRmT1_T2_T3_mT4_P12ihipStream_tbEUlT_E0_NS1_11comp_targetILNS1_3genE5ELNS1_11target_archE942ELNS1_3gpuE9ELNS1_3repE0EEENS1_30default_config_static_selectorELNS0_4arch9wavefront6targetE1EEEvSK_
	.globl	_ZN7rocprim17ROCPRIM_400000_NS6detail17trampoline_kernelINS0_14default_configENS1_22reduce_config_selectorIhEEZNS1_11reduce_implILb1ES3_N6thrust23THRUST_200600_302600_NS6detail15normal_iteratorINS8_10device_ptrIhEEEEPhh11plus_mod_10IhEEE10hipError_tPvRmT1_T2_T3_mT4_P12ihipStream_tbEUlT_E0_NS1_11comp_targetILNS1_3genE5ELNS1_11target_archE942ELNS1_3gpuE9ELNS1_3repE0EEENS1_30default_config_static_selectorELNS0_4arch9wavefront6targetE1EEEvSK_
	.p2align	8
	.type	_ZN7rocprim17ROCPRIM_400000_NS6detail17trampoline_kernelINS0_14default_configENS1_22reduce_config_selectorIhEEZNS1_11reduce_implILb1ES3_N6thrust23THRUST_200600_302600_NS6detail15normal_iteratorINS8_10device_ptrIhEEEEPhh11plus_mod_10IhEEE10hipError_tPvRmT1_T2_T3_mT4_P12ihipStream_tbEUlT_E0_NS1_11comp_targetILNS1_3genE5ELNS1_11target_archE942ELNS1_3gpuE9ELNS1_3repE0EEENS1_30default_config_static_selectorELNS0_4arch9wavefront6targetE1EEEvSK_,@function
_ZN7rocprim17ROCPRIM_400000_NS6detail17trampoline_kernelINS0_14default_configENS1_22reduce_config_selectorIhEEZNS1_11reduce_implILb1ES3_N6thrust23THRUST_200600_302600_NS6detail15normal_iteratorINS8_10device_ptrIhEEEEPhh11plus_mod_10IhEEE10hipError_tPvRmT1_T2_T3_mT4_P12ihipStream_tbEUlT_E0_NS1_11comp_targetILNS1_3genE5ELNS1_11target_archE942ELNS1_3gpuE9ELNS1_3repE0EEENS1_30default_config_static_selectorELNS0_4arch9wavefront6targetE1EEEvSK_: ; @_ZN7rocprim17ROCPRIM_400000_NS6detail17trampoline_kernelINS0_14default_configENS1_22reduce_config_selectorIhEEZNS1_11reduce_implILb1ES3_N6thrust23THRUST_200600_302600_NS6detail15normal_iteratorINS8_10device_ptrIhEEEEPhh11plus_mod_10IhEEE10hipError_tPvRmT1_T2_T3_mT4_P12ihipStream_tbEUlT_E0_NS1_11comp_targetILNS1_3genE5ELNS1_11target_archE942ELNS1_3gpuE9ELNS1_3repE0EEENS1_30default_config_static_selectorELNS0_4arch9wavefront6targetE1EEEvSK_
; %bb.0:
	.section	.rodata,"a",@progbits
	.p2align	6, 0x0
	.amdhsa_kernel _ZN7rocprim17ROCPRIM_400000_NS6detail17trampoline_kernelINS0_14default_configENS1_22reduce_config_selectorIhEEZNS1_11reduce_implILb1ES3_N6thrust23THRUST_200600_302600_NS6detail15normal_iteratorINS8_10device_ptrIhEEEEPhh11plus_mod_10IhEEE10hipError_tPvRmT1_T2_T3_mT4_P12ihipStream_tbEUlT_E0_NS1_11comp_targetILNS1_3genE5ELNS1_11target_archE942ELNS1_3gpuE9ELNS1_3repE0EEENS1_30default_config_static_selectorELNS0_4arch9wavefront6targetE1EEEvSK_
		.amdhsa_group_segment_fixed_size 0
		.amdhsa_private_segment_fixed_size 0
		.amdhsa_kernarg_size 56
		.amdhsa_user_sgpr_count 2
		.amdhsa_user_sgpr_dispatch_ptr 0
		.amdhsa_user_sgpr_queue_ptr 0
		.amdhsa_user_sgpr_kernarg_segment_ptr 1
		.amdhsa_user_sgpr_dispatch_id 0
		.amdhsa_user_sgpr_kernarg_preload_length 0
		.amdhsa_user_sgpr_kernarg_preload_offset 0
		.amdhsa_user_sgpr_private_segment_size 0
		.amdhsa_uses_dynamic_stack 0
		.amdhsa_enable_private_segment 0
		.amdhsa_system_sgpr_workgroup_id_x 1
		.amdhsa_system_sgpr_workgroup_id_y 0
		.amdhsa_system_sgpr_workgroup_id_z 0
		.amdhsa_system_sgpr_workgroup_info 0
		.amdhsa_system_vgpr_workitem_id 0
		.amdhsa_next_free_vgpr 1
		.amdhsa_next_free_sgpr 0
		.amdhsa_accum_offset 4
		.amdhsa_reserve_vcc 0
		.amdhsa_float_round_mode_32 0
		.amdhsa_float_round_mode_16_64 0
		.amdhsa_float_denorm_mode_32 3
		.amdhsa_float_denorm_mode_16_64 3
		.amdhsa_dx10_clamp 1
		.amdhsa_ieee_mode 1
		.amdhsa_fp16_overflow 0
		.amdhsa_tg_split 0
		.amdhsa_exception_fp_ieee_invalid_op 0
		.amdhsa_exception_fp_denorm_src 0
		.amdhsa_exception_fp_ieee_div_zero 0
		.amdhsa_exception_fp_ieee_overflow 0
		.amdhsa_exception_fp_ieee_underflow 0
		.amdhsa_exception_fp_ieee_inexact 0
		.amdhsa_exception_int_div_zero 0
	.end_amdhsa_kernel
	.section	.text._ZN7rocprim17ROCPRIM_400000_NS6detail17trampoline_kernelINS0_14default_configENS1_22reduce_config_selectorIhEEZNS1_11reduce_implILb1ES3_N6thrust23THRUST_200600_302600_NS6detail15normal_iteratorINS8_10device_ptrIhEEEEPhh11plus_mod_10IhEEE10hipError_tPvRmT1_T2_T3_mT4_P12ihipStream_tbEUlT_E0_NS1_11comp_targetILNS1_3genE5ELNS1_11target_archE942ELNS1_3gpuE9ELNS1_3repE0EEENS1_30default_config_static_selectorELNS0_4arch9wavefront6targetE1EEEvSK_,"axG",@progbits,_ZN7rocprim17ROCPRIM_400000_NS6detail17trampoline_kernelINS0_14default_configENS1_22reduce_config_selectorIhEEZNS1_11reduce_implILb1ES3_N6thrust23THRUST_200600_302600_NS6detail15normal_iteratorINS8_10device_ptrIhEEEEPhh11plus_mod_10IhEEE10hipError_tPvRmT1_T2_T3_mT4_P12ihipStream_tbEUlT_E0_NS1_11comp_targetILNS1_3genE5ELNS1_11target_archE942ELNS1_3gpuE9ELNS1_3repE0EEENS1_30default_config_static_selectorELNS0_4arch9wavefront6targetE1EEEvSK_,comdat
.Lfunc_end677:
	.size	_ZN7rocprim17ROCPRIM_400000_NS6detail17trampoline_kernelINS0_14default_configENS1_22reduce_config_selectorIhEEZNS1_11reduce_implILb1ES3_N6thrust23THRUST_200600_302600_NS6detail15normal_iteratorINS8_10device_ptrIhEEEEPhh11plus_mod_10IhEEE10hipError_tPvRmT1_T2_T3_mT4_P12ihipStream_tbEUlT_E0_NS1_11comp_targetILNS1_3genE5ELNS1_11target_archE942ELNS1_3gpuE9ELNS1_3repE0EEENS1_30default_config_static_selectorELNS0_4arch9wavefront6targetE1EEEvSK_, .Lfunc_end677-_ZN7rocprim17ROCPRIM_400000_NS6detail17trampoline_kernelINS0_14default_configENS1_22reduce_config_selectorIhEEZNS1_11reduce_implILb1ES3_N6thrust23THRUST_200600_302600_NS6detail15normal_iteratorINS8_10device_ptrIhEEEEPhh11plus_mod_10IhEEE10hipError_tPvRmT1_T2_T3_mT4_P12ihipStream_tbEUlT_E0_NS1_11comp_targetILNS1_3genE5ELNS1_11target_archE942ELNS1_3gpuE9ELNS1_3repE0EEENS1_30default_config_static_selectorELNS0_4arch9wavefront6targetE1EEEvSK_
                                        ; -- End function
	.set _ZN7rocprim17ROCPRIM_400000_NS6detail17trampoline_kernelINS0_14default_configENS1_22reduce_config_selectorIhEEZNS1_11reduce_implILb1ES3_N6thrust23THRUST_200600_302600_NS6detail15normal_iteratorINS8_10device_ptrIhEEEEPhh11plus_mod_10IhEEE10hipError_tPvRmT1_T2_T3_mT4_P12ihipStream_tbEUlT_E0_NS1_11comp_targetILNS1_3genE5ELNS1_11target_archE942ELNS1_3gpuE9ELNS1_3repE0EEENS1_30default_config_static_selectorELNS0_4arch9wavefront6targetE1EEEvSK_.num_vgpr, 0
	.set _ZN7rocprim17ROCPRIM_400000_NS6detail17trampoline_kernelINS0_14default_configENS1_22reduce_config_selectorIhEEZNS1_11reduce_implILb1ES3_N6thrust23THRUST_200600_302600_NS6detail15normal_iteratorINS8_10device_ptrIhEEEEPhh11plus_mod_10IhEEE10hipError_tPvRmT1_T2_T3_mT4_P12ihipStream_tbEUlT_E0_NS1_11comp_targetILNS1_3genE5ELNS1_11target_archE942ELNS1_3gpuE9ELNS1_3repE0EEENS1_30default_config_static_selectorELNS0_4arch9wavefront6targetE1EEEvSK_.num_agpr, 0
	.set _ZN7rocprim17ROCPRIM_400000_NS6detail17trampoline_kernelINS0_14default_configENS1_22reduce_config_selectorIhEEZNS1_11reduce_implILb1ES3_N6thrust23THRUST_200600_302600_NS6detail15normal_iteratorINS8_10device_ptrIhEEEEPhh11plus_mod_10IhEEE10hipError_tPvRmT1_T2_T3_mT4_P12ihipStream_tbEUlT_E0_NS1_11comp_targetILNS1_3genE5ELNS1_11target_archE942ELNS1_3gpuE9ELNS1_3repE0EEENS1_30default_config_static_selectorELNS0_4arch9wavefront6targetE1EEEvSK_.numbered_sgpr, 0
	.set _ZN7rocprim17ROCPRIM_400000_NS6detail17trampoline_kernelINS0_14default_configENS1_22reduce_config_selectorIhEEZNS1_11reduce_implILb1ES3_N6thrust23THRUST_200600_302600_NS6detail15normal_iteratorINS8_10device_ptrIhEEEEPhh11plus_mod_10IhEEE10hipError_tPvRmT1_T2_T3_mT4_P12ihipStream_tbEUlT_E0_NS1_11comp_targetILNS1_3genE5ELNS1_11target_archE942ELNS1_3gpuE9ELNS1_3repE0EEENS1_30default_config_static_selectorELNS0_4arch9wavefront6targetE1EEEvSK_.num_named_barrier, 0
	.set _ZN7rocprim17ROCPRIM_400000_NS6detail17trampoline_kernelINS0_14default_configENS1_22reduce_config_selectorIhEEZNS1_11reduce_implILb1ES3_N6thrust23THRUST_200600_302600_NS6detail15normal_iteratorINS8_10device_ptrIhEEEEPhh11plus_mod_10IhEEE10hipError_tPvRmT1_T2_T3_mT4_P12ihipStream_tbEUlT_E0_NS1_11comp_targetILNS1_3genE5ELNS1_11target_archE942ELNS1_3gpuE9ELNS1_3repE0EEENS1_30default_config_static_selectorELNS0_4arch9wavefront6targetE1EEEvSK_.private_seg_size, 0
	.set _ZN7rocprim17ROCPRIM_400000_NS6detail17trampoline_kernelINS0_14default_configENS1_22reduce_config_selectorIhEEZNS1_11reduce_implILb1ES3_N6thrust23THRUST_200600_302600_NS6detail15normal_iteratorINS8_10device_ptrIhEEEEPhh11plus_mod_10IhEEE10hipError_tPvRmT1_T2_T3_mT4_P12ihipStream_tbEUlT_E0_NS1_11comp_targetILNS1_3genE5ELNS1_11target_archE942ELNS1_3gpuE9ELNS1_3repE0EEENS1_30default_config_static_selectorELNS0_4arch9wavefront6targetE1EEEvSK_.uses_vcc, 0
	.set _ZN7rocprim17ROCPRIM_400000_NS6detail17trampoline_kernelINS0_14default_configENS1_22reduce_config_selectorIhEEZNS1_11reduce_implILb1ES3_N6thrust23THRUST_200600_302600_NS6detail15normal_iteratorINS8_10device_ptrIhEEEEPhh11plus_mod_10IhEEE10hipError_tPvRmT1_T2_T3_mT4_P12ihipStream_tbEUlT_E0_NS1_11comp_targetILNS1_3genE5ELNS1_11target_archE942ELNS1_3gpuE9ELNS1_3repE0EEENS1_30default_config_static_selectorELNS0_4arch9wavefront6targetE1EEEvSK_.uses_flat_scratch, 0
	.set _ZN7rocprim17ROCPRIM_400000_NS6detail17trampoline_kernelINS0_14default_configENS1_22reduce_config_selectorIhEEZNS1_11reduce_implILb1ES3_N6thrust23THRUST_200600_302600_NS6detail15normal_iteratorINS8_10device_ptrIhEEEEPhh11plus_mod_10IhEEE10hipError_tPvRmT1_T2_T3_mT4_P12ihipStream_tbEUlT_E0_NS1_11comp_targetILNS1_3genE5ELNS1_11target_archE942ELNS1_3gpuE9ELNS1_3repE0EEENS1_30default_config_static_selectorELNS0_4arch9wavefront6targetE1EEEvSK_.has_dyn_sized_stack, 0
	.set _ZN7rocprim17ROCPRIM_400000_NS6detail17trampoline_kernelINS0_14default_configENS1_22reduce_config_selectorIhEEZNS1_11reduce_implILb1ES3_N6thrust23THRUST_200600_302600_NS6detail15normal_iteratorINS8_10device_ptrIhEEEEPhh11plus_mod_10IhEEE10hipError_tPvRmT1_T2_T3_mT4_P12ihipStream_tbEUlT_E0_NS1_11comp_targetILNS1_3genE5ELNS1_11target_archE942ELNS1_3gpuE9ELNS1_3repE0EEENS1_30default_config_static_selectorELNS0_4arch9wavefront6targetE1EEEvSK_.has_recursion, 0
	.set _ZN7rocprim17ROCPRIM_400000_NS6detail17trampoline_kernelINS0_14default_configENS1_22reduce_config_selectorIhEEZNS1_11reduce_implILb1ES3_N6thrust23THRUST_200600_302600_NS6detail15normal_iteratorINS8_10device_ptrIhEEEEPhh11plus_mod_10IhEEE10hipError_tPvRmT1_T2_T3_mT4_P12ihipStream_tbEUlT_E0_NS1_11comp_targetILNS1_3genE5ELNS1_11target_archE942ELNS1_3gpuE9ELNS1_3repE0EEENS1_30default_config_static_selectorELNS0_4arch9wavefront6targetE1EEEvSK_.has_indirect_call, 0
	.section	.AMDGPU.csdata,"",@progbits
; Kernel info:
; codeLenInByte = 0
; TotalNumSgprs: 6
; NumVgprs: 0
; NumAgprs: 0
; TotalNumVgprs: 0
; ScratchSize: 0
; MemoryBound: 0
; FloatMode: 240
; IeeeMode: 1
; LDSByteSize: 0 bytes/workgroup (compile time only)
; SGPRBlocks: 0
; VGPRBlocks: 0
; NumSGPRsForWavesPerEU: 6
; NumVGPRsForWavesPerEU: 1
; AccumOffset: 4
; Occupancy: 8
; WaveLimiterHint : 0
; COMPUTE_PGM_RSRC2:SCRATCH_EN: 0
; COMPUTE_PGM_RSRC2:USER_SGPR: 2
; COMPUTE_PGM_RSRC2:TRAP_HANDLER: 0
; COMPUTE_PGM_RSRC2:TGID_X_EN: 1
; COMPUTE_PGM_RSRC2:TGID_Y_EN: 0
; COMPUTE_PGM_RSRC2:TGID_Z_EN: 0
; COMPUTE_PGM_RSRC2:TIDIG_COMP_CNT: 0
; COMPUTE_PGM_RSRC3_GFX90A:ACCUM_OFFSET: 0
; COMPUTE_PGM_RSRC3_GFX90A:TG_SPLIT: 0
	.section	.text._ZN7rocprim17ROCPRIM_400000_NS6detail17trampoline_kernelINS0_14default_configENS1_22reduce_config_selectorIhEEZNS1_11reduce_implILb1ES3_N6thrust23THRUST_200600_302600_NS6detail15normal_iteratorINS8_10device_ptrIhEEEEPhh11plus_mod_10IhEEE10hipError_tPvRmT1_T2_T3_mT4_P12ihipStream_tbEUlT_E0_NS1_11comp_targetILNS1_3genE4ELNS1_11target_archE910ELNS1_3gpuE8ELNS1_3repE0EEENS1_30default_config_static_selectorELNS0_4arch9wavefront6targetE1EEEvSK_,"axG",@progbits,_ZN7rocprim17ROCPRIM_400000_NS6detail17trampoline_kernelINS0_14default_configENS1_22reduce_config_selectorIhEEZNS1_11reduce_implILb1ES3_N6thrust23THRUST_200600_302600_NS6detail15normal_iteratorINS8_10device_ptrIhEEEEPhh11plus_mod_10IhEEE10hipError_tPvRmT1_T2_T3_mT4_P12ihipStream_tbEUlT_E0_NS1_11comp_targetILNS1_3genE4ELNS1_11target_archE910ELNS1_3gpuE8ELNS1_3repE0EEENS1_30default_config_static_selectorELNS0_4arch9wavefront6targetE1EEEvSK_,comdat
	.protected	_ZN7rocprim17ROCPRIM_400000_NS6detail17trampoline_kernelINS0_14default_configENS1_22reduce_config_selectorIhEEZNS1_11reduce_implILb1ES3_N6thrust23THRUST_200600_302600_NS6detail15normal_iteratorINS8_10device_ptrIhEEEEPhh11plus_mod_10IhEEE10hipError_tPvRmT1_T2_T3_mT4_P12ihipStream_tbEUlT_E0_NS1_11comp_targetILNS1_3genE4ELNS1_11target_archE910ELNS1_3gpuE8ELNS1_3repE0EEENS1_30default_config_static_selectorELNS0_4arch9wavefront6targetE1EEEvSK_ ; -- Begin function _ZN7rocprim17ROCPRIM_400000_NS6detail17trampoline_kernelINS0_14default_configENS1_22reduce_config_selectorIhEEZNS1_11reduce_implILb1ES3_N6thrust23THRUST_200600_302600_NS6detail15normal_iteratorINS8_10device_ptrIhEEEEPhh11plus_mod_10IhEEE10hipError_tPvRmT1_T2_T3_mT4_P12ihipStream_tbEUlT_E0_NS1_11comp_targetILNS1_3genE4ELNS1_11target_archE910ELNS1_3gpuE8ELNS1_3repE0EEENS1_30default_config_static_selectorELNS0_4arch9wavefront6targetE1EEEvSK_
	.globl	_ZN7rocprim17ROCPRIM_400000_NS6detail17trampoline_kernelINS0_14default_configENS1_22reduce_config_selectorIhEEZNS1_11reduce_implILb1ES3_N6thrust23THRUST_200600_302600_NS6detail15normal_iteratorINS8_10device_ptrIhEEEEPhh11plus_mod_10IhEEE10hipError_tPvRmT1_T2_T3_mT4_P12ihipStream_tbEUlT_E0_NS1_11comp_targetILNS1_3genE4ELNS1_11target_archE910ELNS1_3gpuE8ELNS1_3repE0EEENS1_30default_config_static_selectorELNS0_4arch9wavefront6targetE1EEEvSK_
	.p2align	8
	.type	_ZN7rocprim17ROCPRIM_400000_NS6detail17trampoline_kernelINS0_14default_configENS1_22reduce_config_selectorIhEEZNS1_11reduce_implILb1ES3_N6thrust23THRUST_200600_302600_NS6detail15normal_iteratorINS8_10device_ptrIhEEEEPhh11plus_mod_10IhEEE10hipError_tPvRmT1_T2_T3_mT4_P12ihipStream_tbEUlT_E0_NS1_11comp_targetILNS1_3genE4ELNS1_11target_archE910ELNS1_3gpuE8ELNS1_3repE0EEENS1_30default_config_static_selectorELNS0_4arch9wavefront6targetE1EEEvSK_,@function
_ZN7rocprim17ROCPRIM_400000_NS6detail17trampoline_kernelINS0_14default_configENS1_22reduce_config_selectorIhEEZNS1_11reduce_implILb1ES3_N6thrust23THRUST_200600_302600_NS6detail15normal_iteratorINS8_10device_ptrIhEEEEPhh11plus_mod_10IhEEE10hipError_tPvRmT1_T2_T3_mT4_P12ihipStream_tbEUlT_E0_NS1_11comp_targetILNS1_3genE4ELNS1_11target_archE910ELNS1_3gpuE8ELNS1_3repE0EEENS1_30default_config_static_selectorELNS0_4arch9wavefront6targetE1EEEvSK_: ; @_ZN7rocprim17ROCPRIM_400000_NS6detail17trampoline_kernelINS0_14default_configENS1_22reduce_config_selectorIhEEZNS1_11reduce_implILb1ES3_N6thrust23THRUST_200600_302600_NS6detail15normal_iteratorINS8_10device_ptrIhEEEEPhh11plus_mod_10IhEEE10hipError_tPvRmT1_T2_T3_mT4_P12ihipStream_tbEUlT_E0_NS1_11comp_targetILNS1_3genE4ELNS1_11target_archE910ELNS1_3gpuE8ELNS1_3repE0EEENS1_30default_config_static_selectorELNS0_4arch9wavefront6targetE1EEEvSK_
; %bb.0:
	.section	.rodata,"a",@progbits
	.p2align	6, 0x0
	.amdhsa_kernel _ZN7rocprim17ROCPRIM_400000_NS6detail17trampoline_kernelINS0_14default_configENS1_22reduce_config_selectorIhEEZNS1_11reduce_implILb1ES3_N6thrust23THRUST_200600_302600_NS6detail15normal_iteratorINS8_10device_ptrIhEEEEPhh11plus_mod_10IhEEE10hipError_tPvRmT1_T2_T3_mT4_P12ihipStream_tbEUlT_E0_NS1_11comp_targetILNS1_3genE4ELNS1_11target_archE910ELNS1_3gpuE8ELNS1_3repE0EEENS1_30default_config_static_selectorELNS0_4arch9wavefront6targetE1EEEvSK_
		.amdhsa_group_segment_fixed_size 0
		.amdhsa_private_segment_fixed_size 0
		.amdhsa_kernarg_size 56
		.amdhsa_user_sgpr_count 2
		.amdhsa_user_sgpr_dispatch_ptr 0
		.amdhsa_user_sgpr_queue_ptr 0
		.amdhsa_user_sgpr_kernarg_segment_ptr 1
		.amdhsa_user_sgpr_dispatch_id 0
		.amdhsa_user_sgpr_kernarg_preload_length 0
		.amdhsa_user_sgpr_kernarg_preload_offset 0
		.amdhsa_user_sgpr_private_segment_size 0
		.amdhsa_uses_dynamic_stack 0
		.amdhsa_enable_private_segment 0
		.amdhsa_system_sgpr_workgroup_id_x 1
		.amdhsa_system_sgpr_workgroup_id_y 0
		.amdhsa_system_sgpr_workgroup_id_z 0
		.amdhsa_system_sgpr_workgroup_info 0
		.amdhsa_system_vgpr_workitem_id 0
		.amdhsa_next_free_vgpr 1
		.amdhsa_next_free_sgpr 0
		.amdhsa_accum_offset 4
		.amdhsa_reserve_vcc 0
		.amdhsa_float_round_mode_32 0
		.amdhsa_float_round_mode_16_64 0
		.amdhsa_float_denorm_mode_32 3
		.amdhsa_float_denorm_mode_16_64 3
		.amdhsa_dx10_clamp 1
		.amdhsa_ieee_mode 1
		.amdhsa_fp16_overflow 0
		.amdhsa_tg_split 0
		.amdhsa_exception_fp_ieee_invalid_op 0
		.amdhsa_exception_fp_denorm_src 0
		.amdhsa_exception_fp_ieee_div_zero 0
		.amdhsa_exception_fp_ieee_overflow 0
		.amdhsa_exception_fp_ieee_underflow 0
		.amdhsa_exception_fp_ieee_inexact 0
		.amdhsa_exception_int_div_zero 0
	.end_amdhsa_kernel
	.section	.text._ZN7rocprim17ROCPRIM_400000_NS6detail17trampoline_kernelINS0_14default_configENS1_22reduce_config_selectorIhEEZNS1_11reduce_implILb1ES3_N6thrust23THRUST_200600_302600_NS6detail15normal_iteratorINS8_10device_ptrIhEEEEPhh11plus_mod_10IhEEE10hipError_tPvRmT1_T2_T3_mT4_P12ihipStream_tbEUlT_E0_NS1_11comp_targetILNS1_3genE4ELNS1_11target_archE910ELNS1_3gpuE8ELNS1_3repE0EEENS1_30default_config_static_selectorELNS0_4arch9wavefront6targetE1EEEvSK_,"axG",@progbits,_ZN7rocprim17ROCPRIM_400000_NS6detail17trampoline_kernelINS0_14default_configENS1_22reduce_config_selectorIhEEZNS1_11reduce_implILb1ES3_N6thrust23THRUST_200600_302600_NS6detail15normal_iteratorINS8_10device_ptrIhEEEEPhh11plus_mod_10IhEEE10hipError_tPvRmT1_T2_T3_mT4_P12ihipStream_tbEUlT_E0_NS1_11comp_targetILNS1_3genE4ELNS1_11target_archE910ELNS1_3gpuE8ELNS1_3repE0EEENS1_30default_config_static_selectorELNS0_4arch9wavefront6targetE1EEEvSK_,comdat
.Lfunc_end678:
	.size	_ZN7rocprim17ROCPRIM_400000_NS6detail17trampoline_kernelINS0_14default_configENS1_22reduce_config_selectorIhEEZNS1_11reduce_implILb1ES3_N6thrust23THRUST_200600_302600_NS6detail15normal_iteratorINS8_10device_ptrIhEEEEPhh11plus_mod_10IhEEE10hipError_tPvRmT1_T2_T3_mT4_P12ihipStream_tbEUlT_E0_NS1_11comp_targetILNS1_3genE4ELNS1_11target_archE910ELNS1_3gpuE8ELNS1_3repE0EEENS1_30default_config_static_selectorELNS0_4arch9wavefront6targetE1EEEvSK_, .Lfunc_end678-_ZN7rocprim17ROCPRIM_400000_NS6detail17trampoline_kernelINS0_14default_configENS1_22reduce_config_selectorIhEEZNS1_11reduce_implILb1ES3_N6thrust23THRUST_200600_302600_NS6detail15normal_iteratorINS8_10device_ptrIhEEEEPhh11plus_mod_10IhEEE10hipError_tPvRmT1_T2_T3_mT4_P12ihipStream_tbEUlT_E0_NS1_11comp_targetILNS1_3genE4ELNS1_11target_archE910ELNS1_3gpuE8ELNS1_3repE0EEENS1_30default_config_static_selectorELNS0_4arch9wavefront6targetE1EEEvSK_
                                        ; -- End function
	.set _ZN7rocprim17ROCPRIM_400000_NS6detail17trampoline_kernelINS0_14default_configENS1_22reduce_config_selectorIhEEZNS1_11reduce_implILb1ES3_N6thrust23THRUST_200600_302600_NS6detail15normal_iteratorINS8_10device_ptrIhEEEEPhh11plus_mod_10IhEEE10hipError_tPvRmT1_T2_T3_mT4_P12ihipStream_tbEUlT_E0_NS1_11comp_targetILNS1_3genE4ELNS1_11target_archE910ELNS1_3gpuE8ELNS1_3repE0EEENS1_30default_config_static_selectorELNS0_4arch9wavefront6targetE1EEEvSK_.num_vgpr, 0
	.set _ZN7rocprim17ROCPRIM_400000_NS6detail17trampoline_kernelINS0_14default_configENS1_22reduce_config_selectorIhEEZNS1_11reduce_implILb1ES3_N6thrust23THRUST_200600_302600_NS6detail15normal_iteratorINS8_10device_ptrIhEEEEPhh11plus_mod_10IhEEE10hipError_tPvRmT1_T2_T3_mT4_P12ihipStream_tbEUlT_E0_NS1_11comp_targetILNS1_3genE4ELNS1_11target_archE910ELNS1_3gpuE8ELNS1_3repE0EEENS1_30default_config_static_selectorELNS0_4arch9wavefront6targetE1EEEvSK_.num_agpr, 0
	.set _ZN7rocprim17ROCPRIM_400000_NS6detail17trampoline_kernelINS0_14default_configENS1_22reduce_config_selectorIhEEZNS1_11reduce_implILb1ES3_N6thrust23THRUST_200600_302600_NS6detail15normal_iteratorINS8_10device_ptrIhEEEEPhh11plus_mod_10IhEEE10hipError_tPvRmT1_T2_T3_mT4_P12ihipStream_tbEUlT_E0_NS1_11comp_targetILNS1_3genE4ELNS1_11target_archE910ELNS1_3gpuE8ELNS1_3repE0EEENS1_30default_config_static_selectorELNS0_4arch9wavefront6targetE1EEEvSK_.numbered_sgpr, 0
	.set _ZN7rocprim17ROCPRIM_400000_NS6detail17trampoline_kernelINS0_14default_configENS1_22reduce_config_selectorIhEEZNS1_11reduce_implILb1ES3_N6thrust23THRUST_200600_302600_NS6detail15normal_iteratorINS8_10device_ptrIhEEEEPhh11plus_mod_10IhEEE10hipError_tPvRmT1_T2_T3_mT4_P12ihipStream_tbEUlT_E0_NS1_11comp_targetILNS1_3genE4ELNS1_11target_archE910ELNS1_3gpuE8ELNS1_3repE0EEENS1_30default_config_static_selectorELNS0_4arch9wavefront6targetE1EEEvSK_.num_named_barrier, 0
	.set _ZN7rocprim17ROCPRIM_400000_NS6detail17trampoline_kernelINS0_14default_configENS1_22reduce_config_selectorIhEEZNS1_11reduce_implILb1ES3_N6thrust23THRUST_200600_302600_NS6detail15normal_iteratorINS8_10device_ptrIhEEEEPhh11plus_mod_10IhEEE10hipError_tPvRmT1_T2_T3_mT4_P12ihipStream_tbEUlT_E0_NS1_11comp_targetILNS1_3genE4ELNS1_11target_archE910ELNS1_3gpuE8ELNS1_3repE0EEENS1_30default_config_static_selectorELNS0_4arch9wavefront6targetE1EEEvSK_.private_seg_size, 0
	.set _ZN7rocprim17ROCPRIM_400000_NS6detail17trampoline_kernelINS0_14default_configENS1_22reduce_config_selectorIhEEZNS1_11reduce_implILb1ES3_N6thrust23THRUST_200600_302600_NS6detail15normal_iteratorINS8_10device_ptrIhEEEEPhh11plus_mod_10IhEEE10hipError_tPvRmT1_T2_T3_mT4_P12ihipStream_tbEUlT_E0_NS1_11comp_targetILNS1_3genE4ELNS1_11target_archE910ELNS1_3gpuE8ELNS1_3repE0EEENS1_30default_config_static_selectorELNS0_4arch9wavefront6targetE1EEEvSK_.uses_vcc, 0
	.set _ZN7rocprim17ROCPRIM_400000_NS6detail17trampoline_kernelINS0_14default_configENS1_22reduce_config_selectorIhEEZNS1_11reduce_implILb1ES3_N6thrust23THRUST_200600_302600_NS6detail15normal_iteratorINS8_10device_ptrIhEEEEPhh11plus_mod_10IhEEE10hipError_tPvRmT1_T2_T3_mT4_P12ihipStream_tbEUlT_E0_NS1_11comp_targetILNS1_3genE4ELNS1_11target_archE910ELNS1_3gpuE8ELNS1_3repE0EEENS1_30default_config_static_selectorELNS0_4arch9wavefront6targetE1EEEvSK_.uses_flat_scratch, 0
	.set _ZN7rocprim17ROCPRIM_400000_NS6detail17trampoline_kernelINS0_14default_configENS1_22reduce_config_selectorIhEEZNS1_11reduce_implILb1ES3_N6thrust23THRUST_200600_302600_NS6detail15normal_iteratorINS8_10device_ptrIhEEEEPhh11plus_mod_10IhEEE10hipError_tPvRmT1_T2_T3_mT4_P12ihipStream_tbEUlT_E0_NS1_11comp_targetILNS1_3genE4ELNS1_11target_archE910ELNS1_3gpuE8ELNS1_3repE0EEENS1_30default_config_static_selectorELNS0_4arch9wavefront6targetE1EEEvSK_.has_dyn_sized_stack, 0
	.set _ZN7rocprim17ROCPRIM_400000_NS6detail17trampoline_kernelINS0_14default_configENS1_22reduce_config_selectorIhEEZNS1_11reduce_implILb1ES3_N6thrust23THRUST_200600_302600_NS6detail15normal_iteratorINS8_10device_ptrIhEEEEPhh11plus_mod_10IhEEE10hipError_tPvRmT1_T2_T3_mT4_P12ihipStream_tbEUlT_E0_NS1_11comp_targetILNS1_3genE4ELNS1_11target_archE910ELNS1_3gpuE8ELNS1_3repE0EEENS1_30default_config_static_selectorELNS0_4arch9wavefront6targetE1EEEvSK_.has_recursion, 0
	.set _ZN7rocprim17ROCPRIM_400000_NS6detail17trampoline_kernelINS0_14default_configENS1_22reduce_config_selectorIhEEZNS1_11reduce_implILb1ES3_N6thrust23THRUST_200600_302600_NS6detail15normal_iteratorINS8_10device_ptrIhEEEEPhh11plus_mod_10IhEEE10hipError_tPvRmT1_T2_T3_mT4_P12ihipStream_tbEUlT_E0_NS1_11comp_targetILNS1_3genE4ELNS1_11target_archE910ELNS1_3gpuE8ELNS1_3repE0EEENS1_30default_config_static_selectorELNS0_4arch9wavefront6targetE1EEEvSK_.has_indirect_call, 0
	.section	.AMDGPU.csdata,"",@progbits
; Kernel info:
; codeLenInByte = 0
; TotalNumSgprs: 6
; NumVgprs: 0
; NumAgprs: 0
; TotalNumVgprs: 0
; ScratchSize: 0
; MemoryBound: 0
; FloatMode: 240
; IeeeMode: 1
; LDSByteSize: 0 bytes/workgroup (compile time only)
; SGPRBlocks: 0
; VGPRBlocks: 0
; NumSGPRsForWavesPerEU: 6
; NumVGPRsForWavesPerEU: 1
; AccumOffset: 4
; Occupancy: 8
; WaveLimiterHint : 0
; COMPUTE_PGM_RSRC2:SCRATCH_EN: 0
; COMPUTE_PGM_RSRC2:USER_SGPR: 2
; COMPUTE_PGM_RSRC2:TRAP_HANDLER: 0
; COMPUTE_PGM_RSRC2:TGID_X_EN: 1
; COMPUTE_PGM_RSRC2:TGID_Y_EN: 0
; COMPUTE_PGM_RSRC2:TGID_Z_EN: 0
; COMPUTE_PGM_RSRC2:TIDIG_COMP_CNT: 0
; COMPUTE_PGM_RSRC3_GFX90A:ACCUM_OFFSET: 0
; COMPUTE_PGM_RSRC3_GFX90A:TG_SPLIT: 0
	.section	.text._ZN7rocprim17ROCPRIM_400000_NS6detail17trampoline_kernelINS0_14default_configENS1_22reduce_config_selectorIhEEZNS1_11reduce_implILb1ES3_N6thrust23THRUST_200600_302600_NS6detail15normal_iteratorINS8_10device_ptrIhEEEEPhh11plus_mod_10IhEEE10hipError_tPvRmT1_T2_T3_mT4_P12ihipStream_tbEUlT_E0_NS1_11comp_targetILNS1_3genE3ELNS1_11target_archE908ELNS1_3gpuE7ELNS1_3repE0EEENS1_30default_config_static_selectorELNS0_4arch9wavefront6targetE1EEEvSK_,"axG",@progbits,_ZN7rocprim17ROCPRIM_400000_NS6detail17trampoline_kernelINS0_14default_configENS1_22reduce_config_selectorIhEEZNS1_11reduce_implILb1ES3_N6thrust23THRUST_200600_302600_NS6detail15normal_iteratorINS8_10device_ptrIhEEEEPhh11plus_mod_10IhEEE10hipError_tPvRmT1_T2_T3_mT4_P12ihipStream_tbEUlT_E0_NS1_11comp_targetILNS1_3genE3ELNS1_11target_archE908ELNS1_3gpuE7ELNS1_3repE0EEENS1_30default_config_static_selectorELNS0_4arch9wavefront6targetE1EEEvSK_,comdat
	.protected	_ZN7rocprim17ROCPRIM_400000_NS6detail17trampoline_kernelINS0_14default_configENS1_22reduce_config_selectorIhEEZNS1_11reduce_implILb1ES3_N6thrust23THRUST_200600_302600_NS6detail15normal_iteratorINS8_10device_ptrIhEEEEPhh11plus_mod_10IhEEE10hipError_tPvRmT1_T2_T3_mT4_P12ihipStream_tbEUlT_E0_NS1_11comp_targetILNS1_3genE3ELNS1_11target_archE908ELNS1_3gpuE7ELNS1_3repE0EEENS1_30default_config_static_selectorELNS0_4arch9wavefront6targetE1EEEvSK_ ; -- Begin function _ZN7rocprim17ROCPRIM_400000_NS6detail17trampoline_kernelINS0_14default_configENS1_22reduce_config_selectorIhEEZNS1_11reduce_implILb1ES3_N6thrust23THRUST_200600_302600_NS6detail15normal_iteratorINS8_10device_ptrIhEEEEPhh11plus_mod_10IhEEE10hipError_tPvRmT1_T2_T3_mT4_P12ihipStream_tbEUlT_E0_NS1_11comp_targetILNS1_3genE3ELNS1_11target_archE908ELNS1_3gpuE7ELNS1_3repE0EEENS1_30default_config_static_selectorELNS0_4arch9wavefront6targetE1EEEvSK_
	.globl	_ZN7rocprim17ROCPRIM_400000_NS6detail17trampoline_kernelINS0_14default_configENS1_22reduce_config_selectorIhEEZNS1_11reduce_implILb1ES3_N6thrust23THRUST_200600_302600_NS6detail15normal_iteratorINS8_10device_ptrIhEEEEPhh11plus_mod_10IhEEE10hipError_tPvRmT1_T2_T3_mT4_P12ihipStream_tbEUlT_E0_NS1_11comp_targetILNS1_3genE3ELNS1_11target_archE908ELNS1_3gpuE7ELNS1_3repE0EEENS1_30default_config_static_selectorELNS0_4arch9wavefront6targetE1EEEvSK_
	.p2align	8
	.type	_ZN7rocprim17ROCPRIM_400000_NS6detail17trampoline_kernelINS0_14default_configENS1_22reduce_config_selectorIhEEZNS1_11reduce_implILb1ES3_N6thrust23THRUST_200600_302600_NS6detail15normal_iteratorINS8_10device_ptrIhEEEEPhh11plus_mod_10IhEEE10hipError_tPvRmT1_T2_T3_mT4_P12ihipStream_tbEUlT_E0_NS1_11comp_targetILNS1_3genE3ELNS1_11target_archE908ELNS1_3gpuE7ELNS1_3repE0EEENS1_30default_config_static_selectorELNS0_4arch9wavefront6targetE1EEEvSK_,@function
_ZN7rocprim17ROCPRIM_400000_NS6detail17trampoline_kernelINS0_14default_configENS1_22reduce_config_selectorIhEEZNS1_11reduce_implILb1ES3_N6thrust23THRUST_200600_302600_NS6detail15normal_iteratorINS8_10device_ptrIhEEEEPhh11plus_mod_10IhEEE10hipError_tPvRmT1_T2_T3_mT4_P12ihipStream_tbEUlT_E0_NS1_11comp_targetILNS1_3genE3ELNS1_11target_archE908ELNS1_3gpuE7ELNS1_3repE0EEENS1_30default_config_static_selectorELNS0_4arch9wavefront6targetE1EEEvSK_: ; @_ZN7rocprim17ROCPRIM_400000_NS6detail17trampoline_kernelINS0_14default_configENS1_22reduce_config_selectorIhEEZNS1_11reduce_implILb1ES3_N6thrust23THRUST_200600_302600_NS6detail15normal_iteratorINS8_10device_ptrIhEEEEPhh11plus_mod_10IhEEE10hipError_tPvRmT1_T2_T3_mT4_P12ihipStream_tbEUlT_E0_NS1_11comp_targetILNS1_3genE3ELNS1_11target_archE908ELNS1_3gpuE7ELNS1_3repE0EEENS1_30default_config_static_selectorELNS0_4arch9wavefront6targetE1EEEvSK_
; %bb.0:
	.section	.rodata,"a",@progbits
	.p2align	6, 0x0
	.amdhsa_kernel _ZN7rocprim17ROCPRIM_400000_NS6detail17trampoline_kernelINS0_14default_configENS1_22reduce_config_selectorIhEEZNS1_11reduce_implILb1ES3_N6thrust23THRUST_200600_302600_NS6detail15normal_iteratorINS8_10device_ptrIhEEEEPhh11plus_mod_10IhEEE10hipError_tPvRmT1_T2_T3_mT4_P12ihipStream_tbEUlT_E0_NS1_11comp_targetILNS1_3genE3ELNS1_11target_archE908ELNS1_3gpuE7ELNS1_3repE0EEENS1_30default_config_static_selectorELNS0_4arch9wavefront6targetE1EEEvSK_
		.amdhsa_group_segment_fixed_size 0
		.amdhsa_private_segment_fixed_size 0
		.amdhsa_kernarg_size 56
		.amdhsa_user_sgpr_count 2
		.amdhsa_user_sgpr_dispatch_ptr 0
		.amdhsa_user_sgpr_queue_ptr 0
		.amdhsa_user_sgpr_kernarg_segment_ptr 1
		.amdhsa_user_sgpr_dispatch_id 0
		.amdhsa_user_sgpr_kernarg_preload_length 0
		.amdhsa_user_sgpr_kernarg_preload_offset 0
		.amdhsa_user_sgpr_private_segment_size 0
		.amdhsa_uses_dynamic_stack 0
		.amdhsa_enable_private_segment 0
		.amdhsa_system_sgpr_workgroup_id_x 1
		.amdhsa_system_sgpr_workgroup_id_y 0
		.amdhsa_system_sgpr_workgroup_id_z 0
		.amdhsa_system_sgpr_workgroup_info 0
		.amdhsa_system_vgpr_workitem_id 0
		.amdhsa_next_free_vgpr 1
		.amdhsa_next_free_sgpr 0
		.amdhsa_accum_offset 4
		.amdhsa_reserve_vcc 0
		.amdhsa_float_round_mode_32 0
		.amdhsa_float_round_mode_16_64 0
		.amdhsa_float_denorm_mode_32 3
		.amdhsa_float_denorm_mode_16_64 3
		.amdhsa_dx10_clamp 1
		.amdhsa_ieee_mode 1
		.amdhsa_fp16_overflow 0
		.amdhsa_tg_split 0
		.amdhsa_exception_fp_ieee_invalid_op 0
		.amdhsa_exception_fp_denorm_src 0
		.amdhsa_exception_fp_ieee_div_zero 0
		.amdhsa_exception_fp_ieee_overflow 0
		.amdhsa_exception_fp_ieee_underflow 0
		.amdhsa_exception_fp_ieee_inexact 0
		.amdhsa_exception_int_div_zero 0
	.end_amdhsa_kernel
	.section	.text._ZN7rocprim17ROCPRIM_400000_NS6detail17trampoline_kernelINS0_14default_configENS1_22reduce_config_selectorIhEEZNS1_11reduce_implILb1ES3_N6thrust23THRUST_200600_302600_NS6detail15normal_iteratorINS8_10device_ptrIhEEEEPhh11plus_mod_10IhEEE10hipError_tPvRmT1_T2_T3_mT4_P12ihipStream_tbEUlT_E0_NS1_11comp_targetILNS1_3genE3ELNS1_11target_archE908ELNS1_3gpuE7ELNS1_3repE0EEENS1_30default_config_static_selectorELNS0_4arch9wavefront6targetE1EEEvSK_,"axG",@progbits,_ZN7rocprim17ROCPRIM_400000_NS6detail17trampoline_kernelINS0_14default_configENS1_22reduce_config_selectorIhEEZNS1_11reduce_implILb1ES3_N6thrust23THRUST_200600_302600_NS6detail15normal_iteratorINS8_10device_ptrIhEEEEPhh11plus_mod_10IhEEE10hipError_tPvRmT1_T2_T3_mT4_P12ihipStream_tbEUlT_E0_NS1_11comp_targetILNS1_3genE3ELNS1_11target_archE908ELNS1_3gpuE7ELNS1_3repE0EEENS1_30default_config_static_selectorELNS0_4arch9wavefront6targetE1EEEvSK_,comdat
.Lfunc_end679:
	.size	_ZN7rocprim17ROCPRIM_400000_NS6detail17trampoline_kernelINS0_14default_configENS1_22reduce_config_selectorIhEEZNS1_11reduce_implILb1ES3_N6thrust23THRUST_200600_302600_NS6detail15normal_iteratorINS8_10device_ptrIhEEEEPhh11plus_mod_10IhEEE10hipError_tPvRmT1_T2_T3_mT4_P12ihipStream_tbEUlT_E0_NS1_11comp_targetILNS1_3genE3ELNS1_11target_archE908ELNS1_3gpuE7ELNS1_3repE0EEENS1_30default_config_static_selectorELNS0_4arch9wavefront6targetE1EEEvSK_, .Lfunc_end679-_ZN7rocprim17ROCPRIM_400000_NS6detail17trampoline_kernelINS0_14default_configENS1_22reduce_config_selectorIhEEZNS1_11reduce_implILb1ES3_N6thrust23THRUST_200600_302600_NS6detail15normal_iteratorINS8_10device_ptrIhEEEEPhh11plus_mod_10IhEEE10hipError_tPvRmT1_T2_T3_mT4_P12ihipStream_tbEUlT_E0_NS1_11comp_targetILNS1_3genE3ELNS1_11target_archE908ELNS1_3gpuE7ELNS1_3repE0EEENS1_30default_config_static_selectorELNS0_4arch9wavefront6targetE1EEEvSK_
                                        ; -- End function
	.set _ZN7rocprim17ROCPRIM_400000_NS6detail17trampoline_kernelINS0_14default_configENS1_22reduce_config_selectorIhEEZNS1_11reduce_implILb1ES3_N6thrust23THRUST_200600_302600_NS6detail15normal_iteratorINS8_10device_ptrIhEEEEPhh11plus_mod_10IhEEE10hipError_tPvRmT1_T2_T3_mT4_P12ihipStream_tbEUlT_E0_NS1_11comp_targetILNS1_3genE3ELNS1_11target_archE908ELNS1_3gpuE7ELNS1_3repE0EEENS1_30default_config_static_selectorELNS0_4arch9wavefront6targetE1EEEvSK_.num_vgpr, 0
	.set _ZN7rocprim17ROCPRIM_400000_NS6detail17trampoline_kernelINS0_14default_configENS1_22reduce_config_selectorIhEEZNS1_11reduce_implILb1ES3_N6thrust23THRUST_200600_302600_NS6detail15normal_iteratorINS8_10device_ptrIhEEEEPhh11plus_mod_10IhEEE10hipError_tPvRmT1_T2_T3_mT4_P12ihipStream_tbEUlT_E0_NS1_11comp_targetILNS1_3genE3ELNS1_11target_archE908ELNS1_3gpuE7ELNS1_3repE0EEENS1_30default_config_static_selectorELNS0_4arch9wavefront6targetE1EEEvSK_.num_agpr, 0
	.set _ZN7rocprim17ROCPRIM_400000_NS6detail17trampoline_kernelINS0_14default_configENS1_22reduce_config_selectorIhEEZNS1_11reduce_implILb1ES3_N6thrust23THRUST_200600_302600_NS6detail15normal_iteratorINS8_10device_ptrIhEEEEPhh11plus_mod_10IhEEE10hipError_tPvRmT1_T2_T3_mT4_P12ihipStream_tbEUlT_E0_NS1_11comp_targetILNS1_3genE3ELNS1_11target_archE908ELNS1_3gpuE7ELNS1_3repE0EEENS1_30default_config_static_selectorELNS0_4arch9wavefront6targetE1EEEvSK_.numbered_sgpr, 0
	.set _ZN7rocprim17ROCPRIM_400000_NS6detail17trampoline_kernelINS0_14default_configENS1_22reduce_config_selectorIhEEZNS1_11reduce_implILb1ES3_N6thrust23THRUST_200600_302600_NS6detail15normal_iteratorINS8_10device_ptrIhEEEEPhh11plus_mod_10IhEEE10hipError_tPvRmT1_T2_T3_mT4_P12ihipStream_tbEUlT_E0_NS1_11comp_targetILNS1_3genE3ELNS1_11target_archE908ELNS1_3gpuE7ELNS1_3repE0EEENS1_30default_config_static_selectorELNS0_4arch9wavefront6targetE1EEEvSK_.num_named_barrier, 0
	.set _ZN7rocprim17ROCPRIM_400000_NS6detail17trampoline_kernelINS0_14default_configENS1_22reduce_config_selectorIhEEZNS1_11reduce_implILb1ES3_N6thrust23THRUST_200600_302600_NS6detail15normal_iteratorINS8_10device_ptrIhEEEEPhh11plus_mod_10IhEEE10hipError_tPvRmT1_T2_T3_mT4_P12ihipStream_tbEUlT_E0_NS1_11comp_targetILNS1_3genE3ELNS1_11target_archE908ELNS1_3gpuE7ELNS1_3repE0EEENS1_30default_config_static_selectorELNS0_4arch9wavefront6targetE1EEEvSK_.private_seg_size, 0
	.set _ZN7rocprim17ROCPRIM_400000_NS6detail17trampoline_kernelINS0_14default_configENS1_22reduce_config_selectorIhEEZNS1_11reduce_implILb1ES3_N6thrust23THRUST_200600_302600_NS6detail15normal_iteratorINS8_10device_ptrIhEEEEPhh11plus_mod_10IhEEE10hipError_tPvRmT1_T2_T3_mT4_P12ihipStream_tbEUlT_E0_NS1_11comp_targetILNS1_3genE3ELNS1_11target_archE908ELNS1_3gpuE7ELNS1_3repE0EEENS1_30default_config_static_selectorELNS0_4arch9wavefront6targetE1EEEvSK_.uses_vcc, 0
	.set _ZN7rocprim17ROCPRIM_400000_NS6detail17trampoline_kernelINS0_14default_configENS1_22reduce_config_selectorIhEEZNS1_11reduce_implILb1ES3_N6thrust23THRUST_200600_302600_NS6detail15normal_iteratorINS8_10device_ptrIhEEEEPhh11plus_mod_10IhEEE10hipError_tPvRmT1_T2_T3_mT4_P12ihipStream_tbEUlT_E0_NS1_11comp_targetILNS1_3genE3ELNS1_11target_archE908ELNS1_3gpuE7ELNS1_3repE0EEENS1_30default_config_static_selectorELNS0_4arch9wavefront6targetE1EEEvSK_.uses_flat_scratch, 0
	.set _ZN7rocprim17ROCPRIM_400000_NS6detail17trampoline_kernelINS0_14default_configENS1_22reduce_config_selectorIhEEZNS1_11reduce_implILb1ES3_N6thrust23THRUST_200600_302600_NS6detail15normal_iteratorINS8_10device_ptrIhEEEEPhh11plus_mod_10IhEEE10hipError_tPvRmT1_T2_T3_mT4_P12ihipStream_tbEUlT_E0_NS1_11comp_targetILNS1_3genE3ELNS1_11target_archE908ELNS1_3gpuE7ELNS1_3repE0EEENS1_30default_config_static_selectorELNS0_4arch9wavefront6targetE1EEEvSK_.has_dyn_sized_stack, 0
	.set _ZN7rocprim17ROCPRIM_400000_NS6detail17trampoline_kernelINS0_14default_configENS1_22reduce_config_selectorIhEEZNS1_11reduce_implILb1ES3_N6thrust23THRUST_200600_302600_NS6detail15normal_iteratorINS8_10device_ptrIhEEEEPhh11plus_mod_10IhEEE10hipError_tPvRmT1_T2_T3_mT4_P12ihipStream_tbEUlT_E0_NS1_11comp_targetILNS1_3genE3ELNS1_11target_archE908ELNS1_3gpuE7ELNS1_3repE0EEENS1_30default_config_static_selectorELNS0_4arch9wavefront6targetE1EEEvSK_.has_recursion, 0
	.set _ZN7rocprim17ROCPRIM_400000_NS6detail17trampoline_kernelINS0_14default_configENS1_22reduce_config_selectorIhEEZNS1_11reduce_implILb1ES3_N6thrust23THRUST_200600_302600_NS6detail15normal_iteratorINS8_10device_ptrIhEEEEPhh11plus_mod_10IhEEE10hipError_tPvRmT1_T2_T3_mT4_P12ihipStream_tbEUlT_E0_NS1_11comp_targetILNS1_3genE3ELNS1_11target_archE908ELNS1_3gpuE7ELNS1_3repE0EEENS1_30default_config_static_selectorELNS0_4arch9wavefront6targetE1EEEvSK_.has_indirect_call, 0
	.section	.AMDGPU.csdata,"",@progbits
; Kernel info:
; codeLenInByte = 0
; TotalNumSgprs: 6
; NumVgprs: 0
; NumAgprs: 0
; TotalNumVgprs: 0
; ScratchSize: 0
; MemoryBound: 0
; FloatMode: 240
; IeeeMode: 1
; LDSByteSize: 0 bytes/workgroup (compile time only)
; SGPRBlocks: 0
; VGPRBlocks: 0
; NumSGPRsForWavesPerEU: 6
; NumVGPRsForWavesPerEU: 1
; AccumOffset: 4
; Occupancy: 8
; WaveLimiterHint : 0
; COMPUTE_PGM_RSRC2:SCRATCH_EN: 0
; COMPUTE_PGM_RSRC2:USER_SGPR: 2
; COMPUTE_PGM_RSRC2:TRAP_HANDLER: 0
; COMPUTE_PGM_RSRC2:TGID_X_EN: 1
; COMPUTE_PGM_RSRC2:TGID_Y_EN: 0
; COMPUTE_PGM_RSRC2:TGID_Z_EN: 0
; COMPUTE_PGM_RSRC2:TIDIG_COMP_CNT: 0
; COMPUTE_PGM_RSRC3_GFX90A:ACCUM_OFFSET: 0
; COMPUTE_PGM_RSRC3_GFX90A:TG_SPLIT: 0
	.section	.text._ZN7rocprim17ROCPRIM_400000_NS6detail17trampoline_kernelINS0_14default_configENS1_22reduce_config_selectorIhEEZNS1_11reduce_implILb1ES3_N6thrust23THRUST_200600_302600_NS6detail15normal_iteratorINS8_10device_ptrIhEEEEPhh11plus_mod_10IhEEE10hipError_tPvRmT1_T2_T3_mT4_P12ihipStream_tbEUlT_E0_NS1_11comp_targetILNS1_3genE2ELNS1_11target_archE906ELNS1_3gpuE6ELNS1_3repE0EEENS1_30default_config_static_selectorELNS0_4arch9wavefront6targetE1EEEvSK_,"axG",@progbits,_ZN7rocprim17ROCPRIM_400000_NS6detail17trampoline_kernelINS0_14default_configENS1_22reduce_config_selectorIhEEZNS1_11reduce_implILb1ES3_N6thrust23THRUST_200600_302600_NS6detail15normal_iteratorINS8_10device_ptrIhEEEEPhh11plus_mod_10IhEEE10hipError_tPvRmT1_T2_T3_mT4_P12ihipStream_tbEUlT_E0_NS1_11comp_targetILNS1_3genE2ELNS1_11target_archE906ELNS1_3gpuE6ELNS1_3repE0EEENS1_30default_config_static_selectorELNS0_4arch9wavefront6targetE1EEEvSK_,comdat
	.protected	_ZN7rocprim17ROCPRIM_400000_NS6detail17trampoline_kernelINS0_14default_configENS1_22reduce_config_selectorIhEEZNS1_11reduce_implILb1ES3_N6thrust23THRUST_200600_302600_NS6detail15normal_iteratorINS8_10device_ptrIhEEEEPhh11plus_mod_10IhEEE10hipError_tPvRmT1_T2_T3_mT4_P12ihipStream_tbEUlT_E0_NS1_11comp_targetILNS1_3genE2ELNS1_11target_archE906ELNS1_3gpuE6ELNS1_3repE0EEENS1_30default_config_static_selectorELNS0_4arch9wavefront6targetE1EEEvSK_ ; -- Begin function _ZN7rocprim17ROCPRIM_400000_NS6detail17trampoline_kernelINS0_14default_configENS1_22reduce_config_selectorIhEEZNS1_11reduce_implILb1ES3_N6thrust23THRUST_200600_302600_NS6detail15normal_iteratorINS8_10device_ptrIhEEEEPhh11plus_mod_10IhEEE10hipError_tPvRmT1_T2_T3_mT4_P12ihipStream_tbEUlT_E0_NS1_11comp_targetILNS1_3genE2ELNS1_11target_archE906ELNS1_3gpuE6ELNS1_3repE0EEENS1_30default_config_static_selectorELNS0_4arch9wavefront6targetE1EEEvSK_
	.globl	_ZN7rocprim17ROCPRIM_400000_NS6detail17trampoline_kernelINS0_14default_configENS1_22reduce_config_selectorIhEEZNS1_11reduce_implILb1ES3_N6thrust23THRUST_200600_302600_NS6detail15normal_iteratorINS8_10device_ptrIhEEEEPhh11plus_mod_10IhEEE10hipError_tPvRmT1_T2_T3_mT4_P12ihipStream_tbEUlT_E0_NS1_11comp_targetILNS1_3genE2ELNS1_11target_archE906ELNS1_3gpuE6ELNS1_3repE0EEENS1_30default_config_static_selectorELNS0_4arch9wavefront6targetE1EEEvSK_
	.p2align	8
	.type	_ZN7rocprim17ROCPRIM_400000_NS6detail17trampoline_kernelINS0_14default_configENS1_22reduce_config_selectorIhEEZNS1_11reduce_implILb1ES3_N6thrust23THRUST_200600_302600_NS6detail15normal_iteratorINS8_10device_ptrIhEEEEPhh11plus_mod_10IhEEE10hipError_tPvRmT1_T2_T3_mT4_P12ihipStream_tbEUlT_E0_NS1_11comp_targetILNS1_3genE2ELNS1_11target_archE906ELNS1_3gpuE6ELNS1_3repE0EEENS1_30default_config_static_selectorELNS0_4arch9wavefront6targetE1EEEvSK_,@function
_ZN7rocprim17ROCPRIM_400000_NS6detail17trampoline_kernelINS0_14default_configENS1_22reduce_config_selectorIhEEZNS1_11reduce_implILb1ES3_N6thrust23THRUST_200600_302600_NS6detail15normal_iteratorINS8_10device_ptrIhEEEEPhh11plus_mod_10IhEEE10hipError_tPvRmT1_T2_T3_mT4_P12ihipStream_tbEUlT_E0_NS1_11comp_targetILNS1_3genE2ELNS1_11target_archE906ELNS1_3gpuE6ELNS1_3repE0EEENS1_30default_config_static_selectorELNS0_4arch9wavefront6targetE1EEEvSK_: ; @_ZN7rocprim17ROCPRIM_400000_NS6detail17trampoline_kernelINS0_14default_configENS1_22reduce_config_selectorIhEEZNS1_11reduce_implILb1ES3_N6thrust23THRUST_200600_302600_NS6detail15normal_iteratorINS8_10device_ptrIhEEEEPhh11plus_mod_10IhEEE10hipError_tPvRmT1_T2_T3_mT4_P12ihipStream_tbEUlT_E0_NS1_11comp_targetILNS1_3genE2ELNS1_11target_archE906ELNS1_3gpuE6ELNS1_3repE0EEENS1_30default_config_static_selectorELNS0_4arch9wavefront6targetE1EEEvSK_
; %bb.0:
	.section	.rodata,"a",@progbits
	.p2align	6, 0x0
	.amdhsa_kernel _ZN7rocprim17ROCPRIM_400000_NS6detail17trampoline_kernelINS0_14default_configENS1_22reduce_config_selectorIhEEZNS1_11reduce_implILb1ES3_N6thrust23THRUST_200600_302600_NS6detail15normal_iteratorINS8_10device_ptrIhEEEEPhh11plus_mod_10IhEEE10hipError_tPvRmT1_T2_T3_mT4_P12ihipStream_tbEUlT_E0_NS1_11comp_targetILNS1_3genE2ELNS1_11target_archE906ELNS1_3gpuE6ELNS1_3repE0EEENS1_30default_config_static_selectorELNS0_4arch9wavefront6targetE1EEEvSK_
		.amdhsa_group_segment_fixed_size 0
		.amdhsa_private_segment_fixed_size 0
		.amdhsa_kernarg_size 56
		.amdhsa_user_sgpr_count 2
		.amdhsa_user_sgpr_dispatch_ptr 0
		.amdhsa_user_sgpr_queue_ptr 0
		.amdhsa_user_sgpr_kernarg_segment_ptr 1
		.amdhsa_user_sgpr_dispatch_id 0
		.amdhsa_user_sgpr_kernarg_preload_length 0
		.amdhsa_user_sgpr_kernarg_preload_offset 0
		.amdhsa_user_sgpr_private_segment_size 0
		.amdhsa_uses_dynamic_stack 0
		.amdhsa_enable_private_segment 0
		.amdhsa_system_sgpr_workgroup_id_x 1
		.amdhsa_system_sgpr_workgroup_id_y 0
		.amdhsa_system_sgpr_workgroup_id_z 0
		.amdhsa_system_sgpr_workgroup_info 0
		.amdhsa_system_vgpr_workitem_id 0
		.amdhsa_next_free_vgpr 1
		.amdhsa_next_free_sgpr 0
		.amdhsa_accum_offset 4
		.amdhsa_reserve_vcc 0
		.amdhsa_float_round_mode_32 0
		.amdhsa_float_round_mode_16_64 0
		.amdhsa_float_denorm_mode_32 3
		.amdhsa_float_denorm_mode_16_64 3
		.amdhsa_dx10_clamp 1
		.amdhsa_ieee_mode 1
		.amdhsa_fp16_overflow 0
		.amdhsa_tg_split 0
		.amdhsa_exception_fp_ieee_invalid_op 0
		.amdhsa_exception_fp_denorm_src 0
		.amdhsa_exception_fp_ieee_div_zero 0
		.amdhsa_exception_fp_ieee_overflow 0
		.amdhsa_exception_fp_ieee_underflow 0
		.amdhsa_exception_fp_ieee_inexact 0
		.amdhsa_exception_int_div_zero 0
	.end_amdhsa_kernel
	.section	.text._ZN7rocprim17ROCPRIM_400000_NS6detail17trampoline_kernelINS0_14default_configENS1_22reduce_config_selectorIhEEZNS1_11reduce_implILb1ES3_N6thrust23THRUST_200600_302600_NS6detail15normal_iteratorINS8_10device_ptrIhEEEEPhh11plus_mod_10IhEEE10hipError_tPvRmT1_T2_T3_mT4_P12ihipStream_tbEUlT_E0_NS1_11comp_targetILNS1_3genE2ELNS1_11target_archE906ELNS1_3gpuE6ELNS1_3repE0EEENS1_30default_config_static_selectorELNS0_4arch9wavefront6targetE1EEEvSK_,"axG",@progbits,_ZN7rocprim17ROCPRIM_400000_NS6detail17trampoline_kernelINS0_14default_configENS1_22reduce_config_selectorIhEEZNS1_11reduce_implILb1ES3_N6thrust23THRUST_200600_302600_NS6detail15normal_iteratorINS8_10device_ptrIhEEEEPhh11plus_mod_10IhEEE10hipError_tPvRmT1_T2_T3_mT4_P12ihipStream_tbEUlT_E0_NS1_11comp_targetILNS1_3genE2ELNS1_11target_archE906ELNS1_3gpuE6ELNS1_3repE0EEENS1_30default_config_static_selectorELNS0_4arch9wavefront6targetE1EEEvSK_,comdat
.Lfunc_end680:
	.size	_ZN7rocprim17ROCPRIM_400000_NS6detail17trampoline_kernelINS0_14default_configENS1_22reduce_config_selectorIhEEZNS1_11reduce_implILb1ES3_N6thrust23THRUST_200600_302600_NS6detail15normal_iteratorINS8_10device_ptrIhEEEEPhh11plus_mod_10IhEEE10hipError_tPvRmT1_T2_T3_mT4_P12ihipStream_tbEUlT_E0_NS1_11comp_targetILNS1_3genE2ELNS1_11target_archE906ELNS1_3gpuE6ELNS1_3repE0EEENS1_30default_config_static_selectorELNS0_4arch9wavefront6targetE1EEEvSK_, .Lfunc_end680-_ZN7rocprim17ROCPRIM_400000_NS6detail17trampoline_kernelINS0_14default_configENS1_22reduce_config_selectorIhEEZNS1_11reduce_implILb1ES3_N6thrust23THRUST_200600_302600_NS6detail15normal_iteratorINS8_10device_ptrIhEEEEPhh11plus_mod_10IhEEE10hipError_tPvRmT1_T2_T3_mT4_P12ihipStream_tbEUlT_E0_NS1_11comp_targetILNS1_3genE2ELNS1_11target_archE906ELNS1_3gpuE6ELNS1_3repE0EEENS1_30default_config_static_selectorELNS0_4arch9wavefront6targetE1EEEvSK_
                                        ; -- End function
	.set _ZN7rocprim17ROCPRIM_400000_NS6detail17trampoline_kernelINS0_14default_configENS1_22reduce_config_selectorIhEEZNS1_11reduce_implILb1ES3_N6thrust23THRUST_200600_302600_NS6detail15normal_iteratorINS8_10device_ptrIhEEEEPhh11plus_mod_10IhEEE10hipError_tPvRmT1_T2_T3_mT4_P12ihipStream_tbEUlT_E0_NS1_11comp_targetILNS1_3genE2ELNS1_11target_archE906ELNS1_3gpuE6ELNS1_3repE0EEENS1_30default_config_static_selectorELNS0_4arch9wavefront6targetE1EEEvSK_.num_vgpr, 0
	.set _ZN7rocprim17ROCPRIM_400000_NS6detail17trampoline_kernelINS0_14default_configENS1_22reduce_config_selectorIhEEZNS1_11reduce_implILb1ES3_N6thrust23THRUST_200600_302600_NS6detail15normal_iteratorINS8_10device_ptrIhEEEEPhh11plus_mod_10IhEEE10hipError_tPvRmT1_T2_T3_mT4_P12ihipStream_tbEUlT_E0_NS1_11comp_targetILNS1_3genE2ELNS1_11target_archE906ELNS1_3gpuE6ELNS1_3repE0EEENS1_30default_config_static_selectorELNS0_4arch9wavefront6targetE1EEEvSK_.num_agpr, 0
	.set _ZN7rocprim17ROCPRIM_400000_NS6detail17trampoline_kernelINS0_14default_configENS1_22reduce_config_selectorIhEEZNS1_11reduce_implILb1ES3_N6thrust23THRUST_200600_302600_NS6detail15normal_iteratorINS8_10device_ptrIhEEEEPhh11plus_mod_10IhEEE10hipError_tPvRmT1_T2_T3_mT4_P12ihipStream_tbEUlT_E0_NS1_11comp_targetILNS1_3genE2ELNS1_11target_archE906ELNS1_3gpuE6ELNS1_3repE0EEENS1_30default_config_static_selectorELNS0_4arch9wavefront6targetE1EEEvSK_.numbered_sgpr, 0
	.set _ZN7rocprim17ROCPRIM_400000_NS6detail17trampoline_kernelINS0_14default_configENS1_22reduce_config_selectorIhEEZNS1_11reduce_implILb1ES3_N6thrust23THRUST_200600_302600_NS6detail15normal_iteratorINS8_10device_ptrIhEEEEPhh11plus_mod_10IhEEE10hipError_tPvRmT1_T2_T3_mT4_P12ihipStream_tbEUlT_E0_NS1_11comp_targetILNS1_3genE2ELNS1_11target_archE906ELNS1_3gpuE6ELNS1_3repE0EEENS1_30default_config_static_selectorELNS0_4arch9wavefront6targetE1EEEvSK_.num_named_barrier, 0
	.set _ZN7rocprim17ROCPRIM_400000_NS6detail17trampoline_kernelINS0_14default_configENS1_22reduce_config_selectorIhEEZNS1_11reduce_implILb1ES3_N6thrust23THRUST_200600_302600_NS6detail15normal_iteratorINS8_10device_ptrIhEEEEPhh11plus_mod_10IhEEE10hipError_tPvRmT1_T2_T3_mT4_P12ihipStream_tbEUlT_E0_NS1_11comp_targetILNS1_3genE2ELNS1_11target_archE906ELNS1_3gpuE6ELNS1_3repE0EEENS1_30default_config_static_selectorELNS0_4arch9wavefront6targetE1EEEvSK_.private_seg_size, 0
	.set _ZN7rocprim17ROCPRIM_400000_NS6detail17trampoline_kernelINS0_14default_configENS1_22reduce_config_selectorIhEEZNS1_11reduce_implILb1ES3_N6thrust23THRUST_200600_302600_NS6detail15normal_iteratorINS8_10device_ptrIhEEEEPhh11plus_mod_10IhEEE10hipError_tPvRmT1_T2_T3_mT4_P12ihipStream_tbEUlT_E0_NS1_11comp_targetILNS1_3genE2ELNS1_11target_archE906ELNS1_3gpuE6ELNS1_3repE0EEENS1_30default_config_static_selectorELNS0_4arch9wavefront6targetE1EEEvSK_.uses_vcc, 0
	.set _ZN7rocprim17ROCPRIM_400000_NS6detail17trampoline_kernelINS0_14default_configENS1_22reduce_config_selectorIhEEZNS1_11reduce_implILb1ES3_N6thrust23THRUST_200600_302600_NS6detail15normal_iteratorINS8_10device_ptrIhEEEEPhh11plus_mod_10IhEEE10hipError_tPvRmT1_T2_T3_mT4_P12ihipStream_tbEUlT_E0_NS1_11comp_targetILNS1_3genE2ELNS1_11target_archE906ELNS1_3gpuE6ELNS1_3repE0EEENS1_30default_config_static_selectorELNS0_4arch9wavefront6targetE1EEEvSK_.uses_flat_scratch, 0
	.set _ZN7rocprim17ROCPRIM_400000_NS6detail17trampoline_kernelINS0_14default_configENS1_22reduce_config_selectorIhEEZNS1_11reduce_implILb1ES3_N6thrust23THRUST_200600_302600_NS6detail15normal_iteratorINS8_10device_ptrIhEEEEPhh11plus_mod_10IhEEE10hipError_tPvRmT1_T2_T3_mT4_P12ihipStream_tbEUlT_E0_NS1_11comp_targetILNS1_3genE2ELNS1_11target_archE906ELNS1_3gpuE6ELNS1_3repE0EEENS1_30default_config_static_selectorELNS0_4arch9wavefront6targetE1EEEvSK_.has_dyn_sized_stack, 0
	.set _ZN7rocprim17ROCPRIM_400000_NS6detail17trampoline_kernelINS0_14default_configENS1_22reduce_config_selectorIhEEZNS1_11reduce_implILb1ES3_N6thrust23THRUST_200600_302600_NS6detail15normal_iteratorINS8_10device_ptrIhEEEEPhh11plus_mod_10IhEEE10hipError_tPvRmT1_T2_T3_mT4_P12ihipStream_tbEUlT_E0_NS1_11comp_targetILNS1_3genE2ELNS1_11target_archE906ELNS1_3gpuE6ELNS1_3repE0EEENS1_30default_config_static_selectorELNS0_4arch9wavefront6targetE1EEEvSK_.has_recursion, 0
	.set _ZN7rocprim17ROCPRIM_400000_NS6detail17trampoline_kernelINS0_14default_configENS1_22reduce_config_selectorIhEEZNS1_11reduce_implILb1ES3_N6thrust23THRUST_200600_302600_NS6detail15normal_iteratorINS8_10device_ptrIhEEEEPhh11plus_mod_10IhEEE10hipError_tPvRmT1_T2_T3_mT4_P12ihipStream_tbEUlT_E0_NS1_11comp_targetILNS1_3genE2ELNS1_11target_archE906ELNS1_3gpuE6ELNS1_3repE0EEENS1_30default_config_static_selectorELNS0_4arch9wavefront6targetE1EEEvSK_.has_indirect_call, 0
	.section	.AMDGPU.csdata,"",@progbits
; Kernel info:
; codeLenInByte = 0
; TotalNumSgprs: 6
; NumVgprs: 0
; NumAgprs: 0
; TotalNumVgprs: 0
; ScratchSize: 0
; MemoryBound: 0
; FloatMode: 240
; IeeeMode: 1
; LDSByteSize: 0 bytes/workgroup (compile time only)
; SGPRBlocks: 0
; VGPRBlocks: 0
; NumSGPRsForWavesPerEU: 6
; NumVGPRsForWavesPerEU: 1
; AccumOffset: 4
; Occupancy: 8
; WaveLimiterHint : 0
; COMPUTE_PGM_RSRC2:SCRATCH_EN: 0
; COMPUTE_PGM_RSRC2:USER_SGPR: 2
; COMPUTE_PGM_RSRC2:TRAP_HANDLER: 0
; COMPUTE_PGM_RSRC2:TGID_X_EN: 1
; COMPUTE_PGM_RSRC2:TGID_Y_EN: 0
; COMPUTE_PGM_RSRC2:TGID_Z_EN: 0
; COMPUTE_PGM_RSRC2:TIDIG_COMP_CNT: 0
; COMPUTE_PGM_RSRC3_GFX90A:ACCUM_OFFSET: 0
; COMPUTE_PGM_RSRC3_GFX90A:TG_SPLIT: 0
	.section	.text._ZN7rocprim17ROCPRIM_400000_NS6detail17trampoline_kernelINS0_14default_configENS1_22reduce_config_selectorIhEEZNS1_11reduce_implILb1ES3_N6thrust23THRUST_200600_302600_NS6detail15normal_iteratorINS8_10device_ptrIhEEEEPhh11plus_mod_10IhEEE10hipError_tPvRmT1_T2_T3_mT4_P12ihipStream_tbEUlT_E0_NS1_11comp_targetILNS1_3genE10ELNS1_11target_archE1201ELNS1_3gpuE5ELNS1_3repE0EEENS1_30default_config_static_selectorELNS0_4arch9wavefront6targetE1EEEvSK_,"axG",@progbits,_ZN7rocprim17ROCPRIM_400000_NS6detail17trampoline_kernelINS0_14default_configENS1_22reduce_config_selectorIhEEZNS1_11reduce_implILb1ES3_N6thrust23THRUST_200600_302600_NS6detail15normal_iteratorINS8_10device_ptrIhEEEEPhh11plus_mod_10IhEEE10hipError_tPvRmT1_T2_T3_mT4_P12ihipStream_tbEUlT_E0_NS1_11comp_targetILNS1_3genE10ELNS1_11target_archE1201ELNS1_3gpuE5ELNS1_3repE0EEENS1_30default_config_static_selectorELNS0_4arch9wavefront6targetE1EEEvSK_,comdat
	.protected	_ZN7rocprim17ROCPRIM_400000_NS6detail17trampoline_kernelINS0_14default_configENS1_22reduce_config_selectorIhEEZNS1_11reduce_implILb1ES3_N6thrust23THRUST_200600_302600_NS6detail15normal_iteratorINS8_10device_ptrIhEEEEPhh11plus_mod_10IhEEE10hipError_tPvRmT1_T2_T3_mT4_P12ihipStream_tbEUlT_E0_NS1_11comp_targetILNS1_3genE10ELNS1_11target_archE1201ELNS1_3gpuE5ELNS1_3repE0EEENS1_30default_config_static_selectorELNS0_4arch9wavefront6targetE1EEEvSK_ ; -- Begin function _ZN7rocprim17ROCPRIM_400000_NS6detail17trampoline_kernelINS0_14default_configENS1_22reduce_config_selectorIhEEZNS1_11reduce_implILb1ES3_N6thrust23THRUST_200600_302600_NS6detail15normal_iteratorINS8_10device_ptrIhEEEEPhh11plus_mod_10IhEEE10hipError_tPvRmT1_T2_T3_mT4_P12ihipStream_tbEUlT_E0_NS1_11comp_targetILNS1_3genE10ELNS1_11target_archE1201ELNS1_3gpuE5ELNS1_3repE0EEENS1_30default_config_static_selectorELNS0_4arch9wavefront6targetE1EEEvSK_
	.globl	_ZN7rocprim17ROCPRIM_400000_NS6detail17trampoline_kernelINS0_14default_configENS1_22reduce_config_selectorIhEEZNS1_11reduce_implILb1ES3_N6thrust23THRUST_200600_302600_NS6detail15normal_iteratorINS8_10device_ptrIhEEEEPhh11plus_mod_10IhEEE10hipError_tPvRmT1_T2_T3_mT4_P12ihipStream_tbEUlT_E0_NS1_11comp_targetILNS1_3genE10ELNS1_11target_archE1201ELNS1_3gpuE5ELNS1_3repE0EEENS1_30default_config_static_selectorELNS0_4arch9wavefront6targetE1EEEvSK_
	.p2align	8
	.type	_ZN7rocprim17ROCPRIM_400000_NS6detail17trampoline_kernelINS0_14default_configENS1_22reduce_config_selectorIhEEZNS1_11reduce_implILb1ES3_N6thrust23THRUST_200600_302600_NS6detail15normal_iteratorINS8_10device_ptrIhEEEEPhh11plus_mod_10IhEEE10hipError_tPvRmT1_T2_T3_mT4_P12ihipStream_tbEUlT_E0_NS1_11comp_targetILNS1_3genE10ELNS1_11target_archE1201ELNS1_3gpuE5ELNS1_3repE0EEENS1_30default_config_static_selectorELNS0_4arch9wavefront6targetE1EEEvSK_,@function
_ZN7rocprim17ROCPRIM_400000_NS6detail17trampoline_kernelINS0_14default_configENS1_22reduce_config_selectorIhEEZNS1_11reduce_implILb1ES3_N6thrust23THRUST_200600_302600_NS6detail15normal_iteratorINS8_10device_ptrIhEEEEPhh11plus_mod_10IhEEE10hipError_tPvRmT1_T2_T3_mT4_P12ihipStream_tbEUlT_E0_NS1_11comp_targetILNS1_3genE10ELNS1_11target_archE1201ELNS1_3gpuE5ELNS1_3repE0EEENS1_30default_config_static_selectorELNS0_4arch9wavefront6targetE1EEEvSK_: ; @_ZN7rocprim17ROCPRIM_400000_NS6detail17trampoline_kernelINS0_14default_configENS1_22reduce_config_selectorIhEEZNS1_11reduce_implILb1ES3_N6thrust23THRUST_200600_302600_NS6detail15normal_iteratorINS8_10device_ptrIhEEEEPhh11plus_mod_10IhEEE10hipError_tPvRmT1_T2_T3_mT4_P12ihipStream_tbEUlT_E0_NS1_11comp_targetILNS1_3genE10ELNS1_11target_archE1201ELNS1_3gpuE5ELNS1_3repE0EEENS1_30default_config_static_selectorELNS0_4arch9wavefront6targetE1EEEvSK_
; %bb.0:
	.section	.rodata,"a",@progbits
	.p2align	6, 0x0
	.amdhsa_kernel _ZN7rocprim17ROCPRIM_400000_NS6detail17trampoline_kernelINS0_14default_configENS1_22reduce_config_selectorIhEEZNS1_11reduce_implILb1ES3_N6thrust23THRUST_200600_302600_NS6detail15normal_iteratorINS8_10device_ptrIhEEEEPhh11plus_mod_10IhEEE10hipError_tPvRmT1_T2_T3_mT4_P12ihipStream_tbEUlT_E0_NS1_11comp_targetILNS1_3genE10ELNS1_11target_archE1201ELNS1_3gpuE5ELNS1_3repE0EEENS1_30default_config_static_selectorELNS0_4arch9wavefront6targetE1EEEvSK_
		.amdhsa_group_segment_fixed_size 0
		.amdhsa_private_segment_fixed_size 0
		.amdhsa_kernarg_size 56
		.amdhsa_user_sgpr_count 2
		.amdhsa_user_sgpr_dispatch_ptr 0
		.amdhsa_user_sgpr_queue_ptr 0
		.amdhsa_user_sgpr_kernarg_segment_ptr 1
		.amdhsa_user_sgpr_dispatch_id 0
		.amdhsa_user_sgpr_kernarg_preload_length 0
		.amdhsa_user_sgpr_kernarg_preload_offset 0
		.amdhsa_user_sgpr_private_segment_size 0
		.amdhsa_uses_dynamic_stack 0
		.amdhsa_enable_private_segment 0
		.amdhsa_system_sgpr_workgroup_id_x 1
		.amdhsa_system_sgpr_workgroup_id_y 0
		.amdhsa_system_sgpr_workgroup_id_z 0
		.amdhsa_system_sgpr_workgroup_info 0
		.amdhsa_system_vgpr_workitem_id 0
		.amdhsa_next_free_vgpr 1
		.amdhsa_next_free_sgpr 0
		.amdhsa_accum_offset 4
		.amdhsa_reserve_vcc 0
		.amdhsa_float_round_mode_32 0
		.amdhsa_float_round_mode_16_64 0
		.amdhsa_float_denorm_mode_32 3
		.amdhsa_float_denorm_mode_16_64 3
		.amdhsa_dx10_clamp 1
		.amdhsa_ieee_mode 1
		.amdhsa_fp16_overflow 0
		.amdhsa_tg_split 0
		.amdhsa_exception_fp_ieee_invalid_op 0
		.amdhsa_exception_fp_denorm_src 0
		.amdhsa_exception_fp_ieee_div_zero 0
		.amdhsa_exception_fp_ieee_overflow 0
		.amdhsa_exception_fp_ieee_underflow 0
		.amdhsa_exception_fp_ieee_inexact 0
		.amdhsa_exception_int_div_zero 0
	.end_amdhsa_kernel
	.section	.text._ZN7rocprim17ROCPRIM_400000_NS6detail17trampoline_kernelINS0_14default_configENS1_22reduce_config_selectorIhEEZNS1_11reduce_implILb1ES3_N6thrust23THRUST_200600_302600_NS6detail15normal_iteratorINS8_10device_ptrIhEEEEPhh11plus_mod_10IhEEE10hipError_tPvRmT1_T2_T3_mT4_P12ihipStream_tbEUlT_E0_NS1_11comp_targetILNS1_3genE10ELNS1_11target_archE1201ELNS1_3gpuE5ELNS1_3repE0EEENS1_30default_config_static_selectorELNS0_4arch9wavefront6targetE1EEEvSK_,"axG",@progbits,_ZN7rocprim17ROCPRIM_400000_NS6detail17trampoline_kernelINS0_14default_configENS1_22reduce_config_selectorIhEEZNS1_11reduce_implILb1ES3_N6thrust23THRUST_200600_302600_NS6detail15normal_iteratorINS8_10device_ptrIhEEEEPhh11plus_mod_10IhEEE10hipError_tPvRmT1_T2_T3_mT4_P12ihipStream_tbEUlT_E0_NS1_11comp_targetILNS1_3genE10ELNS1_11target_archE1201ELNS1_3gpuE5ELNS1_3repE0EEENS1_30default_config_static_selectorELNS0_4arch9wavefront6targetE1EEEvSK_,comdat
.Lfunc_end681:
	.size	_ZN7rocprim17ROCPRIM_400000_NS6detail17trampoline_kernelINS0_14default_configENS1_22reduce_config_selectorIhEEZNS1_11reduce_implILb1ES3_N6thrust23THRUST_200600_302600_NS6detail15normal_iteratorINS8_10device_ptrIhEEEEPhh11plus_mod_10IhEEE10hipError_tPvRmT1_T2_T3_mT4_P12ihipStream_tbEUlT_E0_NS1_11comp_targetILNS1_3genE10ELNS1_11target_archE1201ELNS1_3gpuE5ELNS1_3repE0EEENS1_30default_config_static_selectorELNS0_4arch9wavefront6targetE1EEEvSK_, .Lfunc_end681-_ZN7rocprim17ROCPRIM_400000_NS6detail17trampoline_kernelINS0_14default_configENS1_22reduce_config_selectorIhEEZNS1_11reduce_implILb1ES3_N6thrust23THRUST_200600_302600_NS6detail15normal_iteratorINS8_10device_ptrIhEEEEPhh11plus_mod_10IhEEE10hipError_tPvRmT1_T2_T3_mT4_P12ihipStream_tbEUlT_E0_NS1_11comp_targetILNS1_3genE10ELNS1_11target_archE1201ELNS1_3gpuE5ELNS1_3repE0EEENS1_30default_config_static_selectorELNS0_4arch9wavefront6targetE1EEEvSK_
                                        ; -- End function
	.set _ZN7rocprim17ROCPRIM_400000_NS6detail17trampoline_kernelINS0_14default_configENS1_22reduce_config_selectorIhEEZNS1_11reduce_implILb1ES3_N6thrust23THRUST_200600_302600_NS6detail15normal_iteratorINS8_10device_ptrIhEEEEPhh11plus_mod_10IhEEE10hipError_tPvRmT1_T2_T3_mT4_P12ihipStream_tbEUlT_E0_NS1_11comp_targetILNS1_3genE10ELNS1_11target_archE1201ELNS1_3gpuE5ELNS1_3repE0EEENS1_30default_config_static_selectorELNS0_4arch9wavefront6targetE1EEEvSK_.num_vgpr, 0
	.set _ZN7rocprim17ROCPRIM_400000_NS6detail17trampoline_kernelINS0_14default_configENS1_22reduce_config_selectorIhEEZNS1_11reduce_implILb1ES3_N6thrust23THRUST_200600_302600_NS6detail15normal_iteratorINS8_10device_ptrIhEEEEPhh11plus_mod_10IhEEE10hipError_tPvRmT1_T2_T3_mT4_P12ihipStream_tbEUlT_E0_NS1_11comp_targetILNS1_3genE10ELNS1_11target_archE1201ELNS1_3gpuE5ELNS1_3repE0EEENS1_30default_config_static_selectorELNS0_4arch9wavefront6targetE1EEEvSK_.num_agpr, 0
	.set _ZN7rocprim17ROCPRIM_400000_NS6detail17trampoline_kernelINS0_14default_configENS1_22reduce_config_selectorIhEEZNS1_11reduce_implILb1ES3_N6thrust23THRUST_200600_302600_NS6detail15normal_iteratorINS8_10device_ptrIhEEEEPhh11plus_mod_10IhEEE10hipError_tPvRmT1_T2_T3_mT4_P12ihipStream_tbEUlT_E0_NS1_11comp_targetILNS1_3genE10ELNS1_11target_archE1201ELNS1_3gpuE5ELNS1_3repE0EEENS1_30default_config_static_selectorELNS0_4arch9wavefront6targetE1EEEvSK_.numbered_sgpr, 0
	.set _ZN7rocprim17ROCPRIM_400000_NS6detail17trampoline_kernelINS0_14default_configENS1_22reduce_config_selectorIhEEZNS1_11reduce_implILb1ES3_N6thrust23THRUST_200600_302600_NS6detail15normal_iteratorINS8_10device_ptrIhEEEEPhh11plus_mod_10IhEEE10hipError_tPvRmT1_T2_T3_mT4_P12ihipStream_tbEUlT_E0_NS1_11comp_targetILNS1_3genE10ELNS1_11target_archE1201ELNS1_3gpuE5ELNS1_3repE0EEENS1_30default_config_static_selectorELNS0_4arch9wavefront6targetE1EEEvSK_.num_named_barrier, 0
	.set _ZN7rocprim17ROCPRIM_400000_NS6detail17trampoline_kernelINS0_14default_configENS1_22reduce_config_selectorIhEEZNS1_11reduce_implILb1ES3_N6thrust23THRUST_200600_302600_NS6detail15normal_iteratorINS8_10device_ptrIhEEEEPhh11plus_mod_10IhEEE10hipError_tPvRmT1_T2_T3_mT4_P12ihipStream_tbEUlT_E0_NS1_11comp_targetILNS1_3genE10ELNS1_11target_archE1201ELNS1_3gpuE5ELNS1_3repE0EEENS1_30default_config_static_selectorELNS0_4arch9wavefront6targetE1EEEvSK_.private_seg_size, 0
	.set _ZN7rocprim17ROCPRIM_400000_NS6detail17trampoline_kernelINS0_14default_configENS1_22reduce_config_selectorIhEEZNS1_11reduce_implILb1ES3_N6thrust23THRUST_200600_302600_NS6detail15normal_iteratorINS8_10device_ptrIhEEEEPhh11plus_mod_10IhEEE10hipError_tPvRmT1_T2_T3_mT4_P12ihipStream_tbEUlT_E0_NS1_11comp_targetILNS1_3genE10ELNS1_11target_archE1201ELNS1_3gpuE5ELNS1_3repE0EEENS1_30default_config_static_selectorELNS0_4arch9wavefront6targetE1EEEvSK_.uses_vcc, 0
	.set _ZN7rocprim17ROCPRIM_400000_NS6detail17trampoline_kernelINS0_14default_configENS1_22reduce_config_selectorIhEEZNS1_11reduce_implILb1ES3_N6thrust23THRUST_200600_302600_NS6detail15normal_iteratorINS8_10device_ptrIhEEEEPhh11plus_mod_10IhEEE10hipError_tPvRmT1_T2_T3_mT4_P12ihipStream_tbEUlT_E0_NS1_11comp_targetILNS1_3genE10ELNS1_11target_archE1201ELNS1_3gpuE5ELNS1_3repE0EEENS1_30default_config_static_selectorELNS0_4arch9wavefront6targetE1EEEvSK_.uses_flat_scratch, 0
	.set _ZN7rocprim17ROCPRIM_400000_NS6detail17trampoline_kernelINS0_14default_configENS1_22reduce_config_selectorIhEEZNS1_11reduce_implILb1ES3_N6thrust23THRUST_200600_302600_NS6detail15normal_iteratorINS8_10device_ptrIhEEEEPhh11plus_mod_10IhEEE10hipError_tPvRmT1_T2_T3_mT4_P12ihipStream_tbEUlT_E0_NS1_11comp_targetILNS1_3genE10ELNS1_11target_archE1201ELNS1_3gpuE5ELNS1_3repE0EEENS1_30default_config_static_selectorELNS0_4arch9wavefront6targetE1EEEvSK_.has_dyn_sized_stack, 0
	.set _ZN7rocprim17ROCPRIM_400000_NS6detail17trampoline_kernelINS0_14default_configENS1_22reduce_config_selectorIhEEZNS1_11reduce_implILb1ES3_N6thrust23THRUST_200600_302600_NS6detail15normal_iteratorINS8_10device_ptrIhEEEEPhh11plus_mod_10IhEEE10hipError_tPvRmT1_T2_T3_mT4_P12ihipStream_tbEUlT_E0_NS1_11comp_targetILNS1_3genE10ELNS1_11target_archE1201ELNS1_3gpuE5ELNS1_3repE0EEENS1_30default_config_static_selectorELNS0_4arch9wavefront6targetE1EEEvSK_.has_recursion, 0
	.set _ZN7rocprim17ROCPRIM_400000_NS6detail17trampoline_kernelINS0_14default_configENS1_22reduce_config_selectorIhEEZNS1_11reduce_implILb1ES3_N6thrust23THRUST_200600_302600_NS6detail15normal_iteratorINS8_10device_ptrIhEEEEPhh11plus_mod_10IhEEE10hipError_tPvRmT1_T2_T3_mT4_P12ihipStream_tbEUlT_E0_NS1_11comp_targetILNS1_3genE10ELNS1_11target_archE1201ELNS1_3gpuE5ELNS1_3repE0EEENS1_30default_config_static_selectorELNS0_4arch9wavefront6targetE1EEEvSK_.has_indirect_call, 0
	.section	.AMDGPU.csdata,"",@progbits
; Kernel info:
; codeLenInByte = 0
; TotalNumSgprs: 6
; NumVgprs: 0
; NumAgprs: 0
; TotalNumVgprs: 0
; ScratchSize: 0
; MemoryBound: 0
; FloatMode: 240
; IeeeMode: 1
; LDSByteSize: 0 bytes/workgroup (compile time only)
; SGPRBlocks: 0
; VGPRBlocks: 0
; NumSGPRsForWavesPerEU: 6
; NumVGPRsForWavesPerEU: 1
; AccumOffset: 4
; Occupancy: 8
; WaveLimiterHint : 0
; COMPUTE_PGM_RSRC2:SCRATCH_EN: 0
; COMPUTE_PGM_RSRC2:USER_SGPR: 2
; COMPUTE_PGM_RSRC2:TRAP_HANDLER: 0
; COMPUTE_PGM_RSRC2:TGID_X_EN: 1
; COMPUTE_PGM_RSRC2:TGID_Y_EN: 0
; COMPUTE_PGM_RSRC2:TGID_Z_EN: 0
; COMPUTE_PGM_RSRC2:TIDIG_COMP_CNT: 0
; COMPUTE_PGM_RSRC3_GFX90A:ACCUM_OFFSET: 0
; COMPUTE_PGM_RSRC3_GFX90A:TG_SPLIT: 0
	.section	.text._ZN7rocprim17ROCPRIM_400000_NS6detail17trampoline_kernelINS0_14default_configENS1_22reduce_config_selectorIhEEZNS1_11reduce_implILb1ES3_N6thrust23THRUST_200600_302600_NS6detail15normal_iteratorINS8_10device_ptrIhEEEEPhh11plus_mod_10IhEEE10hipError_tPvRmT1_T2_T3_mT4_P12ihipStream_tbEUlT_E0_NS1_11comp_targetILNS1_3genE10ELNS1_11target_archE1200ELNS1_3gpuE4ELNS1_3repE0EEENS1_30default_config_static_selectorELNS0_4arch9wavefront6targetE1EEEvSK_,"axG",@progbits,_ZN7rocprim17ROCPRIM_400000_NS6detail17trampoline_kernelINS0_14default_configENS1_22reduce_config_selectorIhEEZNS1_11reduce_implILb1ES3_N6thrust23THRUST_200600_302600_NS6detail15normal_iteratorINS8_10device_ptrIhEEEEPhh11plus_mod_10IhEEE10hipError_tPvRmT1_T2_T3_mT4_P12ihipStream_tbEUlT_E0_NS1_11comp_targetILNS1_3genE10ELNS1_11target_archE1200ELNS1_3gpuE4ELNS1_3repE0EEENS1_30default_config_static_selectorELNS0_4arch9wavefront6targetE1EEEvSK_,comdat
	.protected	_ZN7rocprim17ROCPRIM_400000_NS6detail17trampoline_kernelINS0_14default_configENS1_22reduce_config_selectorIhEEZNS1_11reduce_implILb1ES3_N6thrust23THRUST_200600_302600_NS6detail15normal_iteratorINS8_10device_ptrIhEEEEPhh11plus_mod_10IhEEE10hipError_tPvRmT1_T2_T3_mT4_P12ihipStream_tbEUlT_E0_NS1_11comp_targetILNS1_3genE10ELNS1_11target_archE1200ELNS1_3gpuE4ELNS1_3repE0EEENS1_30default_config_static_selectorELNS0_4arch9wavefront6targetE1EEEvSK_ ; -- Begin function _ZN7rocprim17ROCPRIM_400000_NS6detail17trampoline_kernelINS0_14default_configENS1_22reduce_config_selectorIhEEZNS1_11reduce_implILb1ES3_N6thrust23THRUST_200600_302600_NS6detail15normal_iteratorINS8_10device_ptrIhEEEEPhh11plus_mod_10IhEEE10hipError_tPvRmT1_T2_T3_mT4_P12ihipStream_tbEUlT_E0_NS1_11comp_targetILNS1_3genE10ELNS1_11target_archE1200ELNS1_3gpuE4ELNS1_3repE0EEENS1_30default_config_static_selectorELNS0_4arch9wavefront6targetE1EEEvSK_
	.globl	_ZN7rocprim17ROCPRIM_400000_NS6detail17trampoline_kernelINS0_14default_configENS1_22reduce_config_selectorIhEEZNS1_11reduce_implILb1ES3_N6thrust23THRUST_200600_302600_NS6detail15normal_iteratorINS8_10device_ptrIhEEEEPhh11plus_mod_10IhEEE10hipError_tPvRmT1_T2_T3_mT4_P12ihipStream_tbEUlT_E0_NS1_11comp_targetILNS1_3genE10ELNS1_11target_archE1200ELNS1_3gpuE4ELNS1_3repE0EEENS1_30default_config_static_selectorELNS0_4arch9wavefront6targetE1EEEvSK_
	.p2align	8
	.type	_ZN7rocprim17ROCPRIM_400000_NS6detail17trampoline_kernelINS0_14default_configENS1_22reduce_config_selectorIhEEZNS1_11reduce_implILb1ES3_N6thrust23THRUST_200600_302600_NS6detail15normal_iteratorINS8_10device_ptrIhEEEEPhh11plus_mod_10IhEEE10hipError_tPvRmT1_T2_T3_mT4_P12ihipStream_tbEUlT_E0_NS1_11comp_targetILNS1_3genE10ELNS1_11target_archE1200ELNS1_3gpuE4ELNS1_3repE0EEENS1_30default_config_static_selectorELNS0_4arch9wavefront6targetE1EEEvSK_,@function
_ZN7rocprim17ROCPRIM_400000_NS6detail17trampoline_kernelINS0_14default_configENS1_22reduce_config_selectorIhEEZNS1_11reduce_implILb1ES3_N6thrust23THRUST_200600_302600_NS6detail15normal_iteratorINS8_10device_ptrIhEEEEPhh11plus_mod_10IhEEE10hipError_tPvRmT1_T2_T3_mT4_P12ihipStream_tbEUlT_E0_NS1_11comp_targetILNS1_3genE10ELNS1_11target_archE1200ELNS1_3gpuE4ELNS1_3repE0EEENS1_30default_config_static_selectorELNS0_4arch9wavefront6targetE1EEEvSK_: ; @_ZN7rocprim17ROCPRIM_400000_NS6detail17trampoline_kernelINS0_14default_configENS1_22reduce_config_selectorIhEEZNS1_11reduce_implILb1ES3_N6thrust23THRUST_200600_302600_NS6detail15normal_iteratorINS8_10device_ptrIhEEEEPhh11plus_mod_10IhEEE10hipError_tPvRmT1_T2_T3_mT4_P12ihipStream_tbEUlT_E0_NS1_11comp_targetILNS1_3genE10ELNS1_11target_archE1200ELNS1_3gpuE4ELNS1_3repE0EEENS1_30default_config_static_selectorELNS0_4arch9wavefront6targetE1EEEvSK_
; %bb.0:
	.section	.rodata,"a",@progbits
	.p2align	6, 0x0
	.amdhsa_kernel _ZN7rocprim17ROCPRIM_400000_NS6detail17trampoline_kernelINS0_14default_configENS1_22reduce_config_selectorIhEEZNS1_11reduce_implILb1ES3_N6thrust23THRUST_200600_302600_NS6detail15normal_iteratorINS8_10device_ptrIhEEEEPhh11plus_mod_10IhEEE10hipError_tPvRmT1_T2_T3_mT4_P12ihipStream_tbEUlT_E0_NS1_11comp_targetILNS1_3genE10ELNS1_11target_archE1200ELNS1_3gpuE4ELNS1_3repE0EEENS1_30default_config_static_selectorELNS0_4arch9wavefront6targetE1EEEvSK_
		.amdhsa_group_segment_fixed_size 0
		.amdhsa_private_segment_fixed_size 0
		.amdhsa_kernarg_size 56
		.amdhsa_user_sgpr_count 2
		.amdhsa_user_sgpr_dispatch_ptr 0
		.amdhsa_user_sgpr_queue_ptr 0
		.amdhsa_user_sgpr_kernarg_segment_ptr 1
		.amdhsa_user_sgpr_dispatch_id 0
		.amdhsa_user_sgpr_kernarg_preload_length 0
		.amdhsa_user_sgpr_kernarg_preload_offset 0
		.amdhsa_user_sgpr_private_segment_size 0
		.amdhsa_uses_dynamic_stack 0
		.amdhsa_enable_private_segment 0
		.amdhsa_system_sgpr_workgroup_id_x 1
		.amdhsa_system_sgpr_workgroup_id_y 0
		.amdhsa_system_sgpr_workgroup_id_z 0
		.amdhsa_system_sgpr_workgroup_info 0
		.amdhsa_system_vgpr_workitem_id 0
		.amdhsa_next_free_vgpr 1
		.amdhsa_next_free_sgpr 0
		.amdhsa_accum_offset 4
		.amdhsa_reserve_vcc 0
		.amdhsa_float_round_mode_32 0
		.amdhsa_float_round_mode_16_64 0
		.amdhsa_float_denorm_mode_32 3
		.amdhsa_float_denorm_mode_16_64 3
		.amdhsa_dx10_clamp 1
		.amdhsa_ieee_mode 1
		.amdhsa_fp16_overflow 0
		.amdhsa_tg_split 0
		.amdhsa_exception_fp_ieee_invalid_op 0
		.amdhsa_exception_fp_denorm_src 0
		.amdhsa_exception_fp_ieee_div_zero 0
		.amdhsa_exception_fp_ieee_overflow 0
		.amdhsa_exception_fp_ieee_underflow 0
		.amdhsa_exception_fp_ieee_inexact 0
		.amdhsa_exception_int_div_zero 0
	.end_amdhsa_kernel
	.section	.text._ZN7rocprim17ROCPRIM_400000_NS6detail17trampoline_kernelINS0_14default_configENS1_22reduce_config_selectorIhEEZNS1_11reduce_implILb1ES3_N6thrust23THRUST_200600_302600_NS6detail15normal_iteratorINS8_10device_ptrIhEEEEPhh11plus_mod_10IhEEE10hipError_tPvRmT1_T2_T3_mT4_P12ihipStream_tbEUlT_E0_NS1_11comp_targetILNS1_3genE10ELNS1_11target_archE1200ELNS1_3gpuE4ELNS1_3repE0EEENS1_30default_config_static_selectorELNS0_4arch9wavefront6targetE1EEEvSK_,"axG",@progbits,_ZN7rocprim17ROCPRIM_400000_NS6detail17trampoline_kernelINS0_14default_configENS1_22reduce_config_selectorIhEEZNS1_11reduce_implILb1ES3_N6thrust23THRUST_200600_302600_NS6detail15normal_iteratorINS8_10device_ptrIhEEEEPhh11plus_mod_10IhEEE10hipError_tPvRmT1_T2_T3_mT4_P12ihipStream_tbEUlT_E0_NS1_11comp_targetILNS1_3genE10ELNS1_11target_archE1200ELNS1_3gpuE4ELNS1_3repE0EEENS1_30default_config_static_selectorELNS0_4arch9wavefront6targetE1EEEvSK_,comdat
.Lfunc_end682:
	.size	_ZN7rocprim17ROCPRIM_400000_NS6detail17trampoline_kernelINS0_14default_configENS1_22reduce_config_selectorIhEEZNS1_11reduce_implILb1ES3_N6thrust23THRUST_200600_302600_NS6detail15normal_iteratorINS8_10device_ptrIhEEEEPhh11plus_mod_10IhEEE10hipError_tPvRmT1_T2_T3_mT4_P12ihipStream_tbEUlT_E0_NS1_11comp_targetILNS1_3genE10ELNS1_11target_archE1200ELNS1_3gpuE4ELNS1_3repE0EEENS1_30default_config_static_selectorELNS0_4arch9wavefront6targetE1EEEvSK_, .Lfunc_end682-_ZN7rocprim17ROCPRIM_400000_NS6detail17trampoline_kernelINS0_14default_configENS1_22reduce_config_selectorIhEEZNS1_11reduce_implILb1ES3_N6thrust23THRUST_200600_302600_NS6detail15normal_iteratorINS8_10device_ptrIhEEEEPhh11plus_mod_10IhEEE10hipError_tPvRmT1_T2_T3_mT4_P12ihipStream_tbEUlT_E0_NS1_11comp_targetILNS1_3genE10ELNS1_11target_archE1200ELNS1_3gpuE4ELNS1_3repE0EEENS1_30default_config_static_selectorELNS0_4arch9wavefront6targetE1EEEvSK_
                                        ; -- End function
	.set _ZN7rocprim17ROCPRIM_400000_NS6detail17trampoline_kernelINS0_14default_configENS1_22reduce_config_selectorIhEEZNS1_11reduce_implILb1ES3_N6thrust23THRUST_200600_302600_NS6detail15normal_iteratorINS8_10device_ptrIhEEEEPhh11plus_mod_10IhEEE10hipError_tPvRmT1_T2_T3_mT4_P12ihipStream_tbEUlT_E0_NS1_11comp_targetILNS1_3genE10ELNS1_11target_archE1200ELNS1_3gpuE4ELNS1_3repE0EEENS1_30default_config_static_selectorELNS0_4arch9wavefront6targetE1EEEvSK_.num_vgpr, 0
	.set _ZN7rocprim17ROCPRIM_400000_NS6detail17trampoline_kernelINS0_14default_configENS1_22reduce_config_selectorIhEEZNS1_11reduce_implILb1ES3_N6thrust23THRUST_200600_302600_NS6detail15normal_iteratorINS8_10device_ptrIhEEEEPhh11plus_mod_10IhEEE10hipError_tPvRmT1_T2_T3_mT4_P12ihipStream_tbEUlT_E0_NS1_11comp_targetILNS1_3genE10ELNS1_11target_archE1200ELNS1_3gpuE4ELNS1_3repE0EEENS1_30default_config_static_selectorELNS0_4arch9wavefront6targetE1EEEvSK_.num_agpr, 0
	.set _ZN7rocprim17ROCPRIM_400000_NS6detail17trampoline_kernelINS0_14default_configENS1_22reduce_config_selectorIhEEZNS1_11reduce_implILb1ES3_N6thrust23THRUST_200600_302600_NS6detail15normal_iteratorINS8_10device_ptrIhEEEEPhh11plus_mod_10IhEEE10hipError_tPvRmT1_T2_T3_mT4_P12ihipStream_tbEUlT_E0_NS1_11comp_targetILNS1_3genE10ELNS1_11target_archE1200ELNS1_3gpuE4ELNS1_3repE0EEENS1_30default_config_static_selectorELNS0_4arch9wavefront6targetE1EEEvSK_.numbered_sgpr, 0
	.set _ZN7rocprim17ROCPRIM_400000_NS6detail17trampoline_kernelINS0_14default_configENS1_22reduce_config_selectorIhEEZNS1_11reduce_implILb1ES3_N6thrust23THRUST_200600_302600_NS6detail15normal_iteratorINS8_10device_ptrIhEEEEPhh11plus_mod_10IhEEE10hipError_tPvRmT1_T2_T3_mT4_P12ihipStream_tbEUlT_E0_NS1_11comp_targetILNS1_3genE10ELNS1_11target_archE1200ELNS1_3gpuE4ELNS1_3repE0EEENS1_30default_config_static_selectorELNS0_4arch9wavefront6targetE1EEEvSK_.num_named_barrier, 0
	.set _ZN7rocprim17ROCPRIM_400000_NS6detail17trampoline_kernelINS0_14default_configENS1_22reduce_config_selectorIhEEZNS1_11reduce_implILb1ES3_N6thrust23THRUST_200600_302600_NS6detail15normal_iteratorINS8_10device_ptrIhEEEEPhh11plus_mod_10IhEEE10hipError_tPvRmT1_T2_T3_mT4_P12ihipStream_tbEUlT_E0_NS1_11comp_targetILNS1_3genE10ELNS1_11target_archE1200ELNS1_3gpuE4ELNS1_3repE0EEENS1_30default_config_static_selectorELNS0_4arch9wavefront6targetE1EEEvSK_.private_seg_size, 0
	.set _ZN7rocprim17ROCPRIM_400000_NS6detail17trampoline_kernelINS0_14default_configENS1_22reduce_config_selectorIhEEZNS1_11reduce_implILb1ES3_N6thrust23THRUST_200600_302600_NS6detail15normal_iteratorINS8_10device_ptrIhEEEEPhh11plus_mod_10IhEEE10hipError_tPvRmT1_T2_T3_mT4_P12ihipStream_tbEUlT_E0_NS1_11comp_targetILNS1_3genE10ELNS1_11target_archE1200ELNS1_3gpuE4ELNS1_3repE0EEENS1_30default_config_static_selectorELNS0_4arch9wavefront6targetE1EEEvSK_.uses_vcc, 0
	.set _ZN7rocprim17ROCPRIM_400000_NS6detail17trampoline_kernelINS0_14default_configENS1_22reduce_config_selectorIhEEZNS1_11reduce_implILb1ES3_N6thrust23THRUST_200600_302600_NS6detail15normal_iteratorINS8_10device_ptrIhEEEEPhh11plus_mod_10IhEEE10hipError_tPvRmT1_T2_T3_mT4_P12ihipStream_tbEUlT_E0_NS1_11comp_targetILNS1_3genE10ELNS1_11target_archE1200ELNS1_3gpuE4ELNS1_3repE0EEENS1_30default_config_static_selectorELNS0_4arch9wavefront6targetE1EEEvSK_.uses_flat_scratch, 0
	.set _ZN7rocprim17ROCPRIM_400000_NS6detail17trampoline_kernelINS0_14default_configENS1_22reduce_config_selectorIhEEZNS1_11reduce_implILb1ES3_N6thrust23THRUST_200600_302600_NS6detail15normal_iteratorINS8_10device_ptrIhEEEEPhh11plus_mod_10IhEEE10hipError_tPvRmT1_T2_T3_mT4_P12ihipStream_tbEUlT_E0_NS1_11comp_targetILNS1_3genE10ELNS1_11target_archE1200ELNS1_3gpuE4ELNS1_3repE0EEENS1_30default_config_static_selectorELNS0_4arch9wavefront6targetE1EEEvSK_.has_dyn_sized_stack, 0
	.set _ZN7rocprim17ROCPRIM_400000_NS6detail17trampoline_kernelINS0_14default_configENS1_22reduce_config_selectorIhEEZNS1_11reduce_implILb1ES3_N6thrust23THRUST_200600_302600_NS6detail15normal_iteratorINS8_10device_ptrIhEEEEPhh11plus_mod_10IhEEE10hipError_tPvRmT1_T2_T3_mT4_P12ihipStream_tbEUlT_E0_NS1_11comp_targetILNS1_3genE10ELNS1_11target_archE1200ELNS1_3gpuE4ELNS1_3repE0EEENS1_30default_config_static_selectorELNS0_4arch9wavefront6targetE1EEEvSK_.has_recursion, 0
	.set _ZN7rocprim17ROCPRIM_400000_NS6detail17trampoline_kernelINS0_14default_configENS1_22reduce_config_selectorIhEEZNS1_11reduce_implILb1ES3_N6thrust23THRUST_200600_302600_NS6detail15normal_iteratorINS8_10device_ptrIhEEEEPhh11plus_mod_10IhEEE10hipError_tPvRmT1_T2_T3_mT4_P12ihipStream_tbEUlT_E0_NS1_11comp_targetILNS1_3genE10ELNS1_11target_archE1200ELNS1_3gpuE4ELNS1_3repE0EEENS1_30default_config_static_selectorELNS0_4arch9wavefront6targetE1EEEvSK_.has_indirect_call, 0
	.section	.AMDGPU.csdata,"",@progbits
; Kernel info:
; codeLenInByte = 0
; TotalNumSgprs: 6
; NumVgprs: 0
; NumAgprs: 0
; TotalNumVgprs: 0
; ScratchSize: 0
; MemoryBound: 0
; FloatMode: 240
; IeeeMode: 1
; LDSByteSize: 0 bytes/workgroup (compile time only)
; SGPRBlocks: 0
; VGPRBlocks: 0
; NumSGPRsForWavesPerEU: 6
; NumVGPRsForWavesPerEU: 1
; AccumOffset: 4
; Occupancy: 8
; WaveLimiterHint : 0
; COMPUTE_PGM_RSRC2:SCRATCH_EN: 0
; COMPUTE_PGM_RSRC2:USER_SGPR: 2
; COMPUTE_PGM_RSRC2:TRAP_HANDLER: 0
; COMPUTE_PGM_RSRC2:TGID_X_EN: 1
; COMPUTE_PGM_RSRC2:TGID_Y_EN: 0
; COMPUTE_PGM_RSRC2:TGID_Z_EN: 0
; COMPUTE_PGM_RSRC2:TIDIG_COMP_CNT: 0
; COMPUTE_PGM_RSRC3_GFX90A:ACCUM_OFFSET: 0
; COMPUTE_PGM_RSRC3_GFX90A:TG_SPLIT: 0
	.section	.text._ZN7rocprim17ROCPRIM_400000_NS6detail17trampoline_kernelINS0_14default_configENS1_22reduce_config_selectorIhEEZNS1_11reduce_implILb1ES3_N6thrust23THRUST_200600_302600_NS6detail15normal_iteratorINS8_10device_ptrIhEEEEPhh11plus_mod_10IhEEE10hipError_tPvRmT1_T2_T3_mT4_P12ihipStream_tbEUlT_E0_NS1_11comp_targetILNS1_3genE9ELNS1_11target_archE1100ELNS1_3gpuE3ELNS1_3repE0EEENS1_30default_config_static_selectorELNS0_4arch9wavefront6targetE1EEEvSK_,"axG",@progbits,_ZN7rocprim17ROCPRIM_400000_NS6detail17trampoline_kernelINS0_14default_configENS1_22reduce_config_selectorIhEEZNS1_11reduce_implILb1ES3_N6thrust23THRUST_200600_302600_NS6detail15normal_iteratorINS8_10device_ptrIhEEEEPhh11plus_mod_10IhEEE10hipError_tPvRmT1_T2_T3_mT4_P12ihipStream_tbEUlT_E0_NS1_11comp_targetILNS1_3genE9ELNS1_11target_archE1100ELNS1_3gpuE3ELNS1_3repE0EEENS1_30default_config_static_selectorELNS0_4arch9wavefront6targetE1EEEvSK_,comdat
	.protected	_ZN7rocprim17ROCPRIM_400000_NS6detail17trampoline_kernelINS0_14default_configENS1_22reduce_config_selectorIhEEZNS1_11reduce_implILb1ES3_N6thrust23THRUST_200600_302600_NS6detail15normal_iteratorINS8_10device_ptrIhEEEEPhh11plus_mod_10IhEEE10hipError_tPvRmT1_T2_T3_mT4_P12ihipStream_tbEUlT_E0_NS1_11comp_targetILNS1_3genE9ELNS1_11target_archE1100ELNS1_3gpuE3ELNS1_3repE0EEENS1_30default_config_static_selectorELNS0_4arch9wavefront6targetE1EEEvSK_ ; -- Begin function _ZN7rocprim17ROCPRIM_400000_NS6detail17trampoline_kernelINS0_14default_configENS1_22reduce_config_selectorIhEEZNS1_11reduce_implILb1ES3_N6thrust23THRUST_200600_302600_NS6detail15normal_iteratorINS8_10device_ptrIhEEEEPhh11plus_mod_10IhEEE10hipError_tPvRmT1_T2_T3_mT4_P12ihipStream_tbEUlT_E0_NS1_11comp_targetILNS1_3genE9ELNS1_11target_archE1100ELNS1_3gpuE3ELNS1_3repE0EEENS1_30default_config_static_selectorELNS0_4arch9wavefront6targetE1EEEvSK_
	.globl	_ZN7rocprim17ROCPRIM_400000_NS6detail17trampoline_kernelINS0_14default_configENS1_22reduce_config_selectorIhEEZNS1_11reduce_implILb1ES3_N6thrust23THRUST_200600_302600_NS6detail15normal_iteratorINS8_10device_ptrIhEEEEPhh11plus_mod_10IhEEE10hipError_tPvRmT1_T2_T3_mT4_P12ihipStream_tbEUlT_E0_NS1_11comp_targetILNS1_3genE9ELNS1_11target_archE1100ELNS1_3gpuE3ELNS1_3repE0EEENS1_30default_config_static_selectorELNS0_4arch9wavefront6targetE1EEEvSK_
	.p2align	8
	.type	_ZN7rocprim17ROCPRIM_400000_NS6detail17trampoline_kernelINS0_14default_configENS1_22reduce_config_selectorIhEEZNS1_11reduce_implILb1ES3_N6thrust23THRUST_200600_302600_NS6detail15normal_iteratorINS8_10device_ptrIhEEEEPhh11plus_mod_10IhEEE10hipError_tPvRmT1_T2_T3_mT4_P12ihipStream_tbEUlT_E0_NS1_11comp_targetILNS1_3genE9ELNS1_11target_archE1100ELNS1_3gpuE3ELNS1_3repE0EEENS1_30default_config_static_selectorELNS0_4arch9wavefront6targetE1EEEvSK_,@function
_ZN7rocprim17ROCPRIM_400000_NS6detail17trampoline_kernelINS0_14default_configENS1_22reduce_config_selectorIhEEZNS1_11reduce_implILb1ES3_N6thrust23THRUST_200600_302600_NS6detail15normal_iteratorINS8_10device_ptrIhEEEEPhh11plus_mod_10IhEEE10hipError_tPvRmT1_T2_T3_mT4_P12ihipStream_tbEUlT_E0_NS1_11comp_targetILNS1_3genE9ELNS1_11target_archE1100ELNS1_3gpuE3ELNS1_3repE0EEENS1_30default_config_static_selectorELNS0_4arch9wavefront6targetE1EEEvSK_: ; @_ZN7rocprim17ROCPRIM_400000_NS6detail17trampoline_kernelINS0_14default_configENS1_22reduce_config_selectorIhEEZNS1_11reduce_implILb1ES3_N6thrust23THRUST_200600_302600_NS6detail15normal_iteratorINS8_10device_ptrIhEEEEPhh11plus_mod_10IhEEE10hipError_tPvRmT1_T2_T3_mT4_P12ihipStream_tbEUlT_E0_NS1_11comp_targetILNS1_3genE9ELNS1_11target_archE1100ELNS1_3gpuE3ELNS1_3repE0EEENS1_30default_config_static_selectorELNS0_4arch9wavefront6targetE1EEEvSK_
; %bb.0:
	.section	.rodata,"a",@progbits
	.p2align	6, 0x0
	.amdhsa_kernel _ZN7rocprim17ROCPRIM_400000_NS6detail17trampoline_kernelINS0_14default_configENS1_22reduce_config_selectorIhEEZNS1_11reduce_implILb1ES3_N6thrust23THRUST_200600_302600_NS6detail15normal_iteratorINS8_10device_ptrIhEEEEPhh11plus_mod_10IhEEE10hipError_tPvRmT1_T2_T3_mT4_P12ihipStream_tbEUlT_E0_NS1_11comp_targetILNS1_3genE9ELNS1_11target_archE1100ELNS1_3gpuE3ELNS1_3repE0EEENS1_30default_config_static_selectorELNS0_4arch9wavefront6targetE1EEEvSK_
		.amdhsa_group_segment_fixed_size 0
		.amdhsa_private_segment_fixed_size 0
		.amdhsa_kernarg_size 56
		.amdhsa_user_sgpr_count 2
		.amdhsa_user_sgpr_dispatch_ptr 0
		.amdhsa_user_sgpr_queue_ptr 0
		.amdhsa_user_sgpr_kernarg_segment_ptr 1
		.amdhsa_user_sgpr_dispatch_id 0
		.amdhsa_user_sgpr_kernarg_preload_length 0
		.amdhsa_user_sgpr_kernarg_preload_offset 0
		.amdhsa_user_sgpr_private_segment_size 0
		.amdhsa_uses_dynamic_stack 0
		.amdhsa_enable_private_segment 0
		.amdhsa_system_sgpr_workgroup_id_x 1
		.amdhsa_system_sgpr_workgroup_id_y 0
		.amdhsa_system_sgpr_workgroup_id_z 0
		.amdhsa_system_sgpr_workgroup_info 0
		.amdhsa_system_vgpr_workitem_id 0
		.amdhsa_next_free_vgpr 1
		.amdhsa_next_free_sgpr 0
		.amdhsa_accum_offset 4
		.amdhsa_reserve_vcc 0
		.amdhsa_float_round_mode_32 0
		.amdhsa_float_round_mode_16_64 0
		.amdhsa_float_denorm_mode_32 3
		.amdhsa_float_denorm_mode_16_64 3
		.amdhsa_dx10_clamp 1
		.amdhsa_ieee_mode 1
		.amdhsa_fp16_overflow 0
		.amdhsa_tg_split 0
		.amdhsa_exception_fp_ieee_invalid_op 0
		.amdhsa_exception_fp_denorm_src 0
		.amdhsa_exception_fp_ieee_div_zero 0
		.amdhsa_exception_fp_ieee_overflow 0
		.amdhsa_exception_fp_ieee_underflow 0
		.amdhsa_exception_fp_ieee_inexact 0
		.amdhsa_exception_int_div_zero 0
	.end_amdhsa_kernel
	.section	.text._ZN7rocprim17ROCPRIM_400000_NS6detail17trampoline_kernelINS0_14default_configENS1_22reduce_config_selectorIhEEZNS1_11reduce_implILb1ES3_N6thrust23THRUST_200600_302600_NS6detail15normal_iteratorINS8_10device_ptrIhEEEEPhh11plus_mod_10IhEEE10hipError_tPvRmT1_T2_T3_mT4_P12ihipStream_tbEUlT_E0_NS1_11comp_targetILNS1_3genE9ELNS1_11target_archE1100ELNS1_3gpuE3ELNS1_3repE0EEENS1_30default_config_static_selectorELNS0_4arch9wavefront6targetE1EEEvSK_,"axG",@progbits,_ZN7rocprim17ROCPRIM_400000_NS6detail17trampoline_kernelINS0_14default_configENS1_22reduce_config_selectorIhEEZNS1_11reduce_implILb1ES3_N6thrust23THRUST_200600_302600_NS6detail15normal_iteratorINS8_10device_ptrIhEEEEPhh11plus_mod_10IhEEE10hipError_tPvRmT1_T2_T3_mT4_P12ihipStream_tbEUlT_E0_NS1_11comp_targetILNS1_3genE9ELNS1_11target_archE1100ELNS1_3gpuE3ELNS1_3repE0EEENS1_30default_config_static_selectorELNS0_4arch9wavefront6targetE1EEEvSK_,comdat
.Lfunc_end683:
	.size	_ZN7rocprim17ROCPRIM_400000_NS6detail17trampoline_kernelINS0_14default_configENS1_22reduce_config_selectorIhEEZNS1_11reduce_implILb1ES3_N6thrust23THRUST_200600_302600_NS6detail15normal_iteratorINS8_10device_ptrIhEEEEPhh11plus_mod_10IhEEE10hipError_tPvRmT1_T2_T3_mT4_P12ihipStream_tbEUlT_E0_NS1_11comp_targetILNS1_3genE9ELNS1_11target_archE1100ELNS1_3gpuE3ELNS1_3repE0EEENS1_30default_config_static_selectorELNS0_4arch9wavefront6targetE1EEEvSK_, .Lfunc_end683-_ZN7rocprim17ROCPRIM_400000_NS6detail17trampoline_kernelINS0_14default_configENS1_22reduce_config_selectorIhEEZNS1_11reduce_implILb1ES3_N6thrust23THRUST_200600_302600_NS6detail15normal_iteratorINS8_10device_ptrIhEEEEPhh11plus_mod_10IhEEE10hipError_tPvRmT1_T2_T3_mT4_P12ihipStream_tbEUlT_E0_NS1_11comp_targetILNS1_3genE9ELNS1_11target_archE1100ELNS1_3gpuE3ELNS1_3repE0EEENS1_30default_config_static_selectorELNS0_4arch9wavefront6targetE1EEEvSK_
                                        ; -- End function
	.set _ZN7rocprim17ROCPRIM_400000_NS6detail17trampoline_kernelINS0_14default_configENS1_22reduce_config_selectorIhEEZNS1_11reduce_implILb1ES3_N6thrust23THRUST_200600_302600_NS6detail15normal_iteratorINS8_10device_ptrIhEEEEPhh11plus_mod_10IhEEE10hipError_tPvRmT1_T2_T3_mT4_P12ihipStream_tbEUlT_E0_NS1_11comp_targetILNS1_3genE9ELNS1_11target_archE1100ELNS1_3gpuE3ELNS1_3repE0EEENS1_30default_config_static_selectorELNS0_4arch9wavefront6targetE1EEEvSK_.num_vgpr, 0
	.set _ZN7rocprim17ROCPRIM_400000_NS6detail17trampoline_kernelINS0_14default_configENS1_22reduce_config_selectorIhEEZNS1_11reduce_implILb1ES3_N6thrust23THRUST_200600_302600_NS6detail15normal_iteratorINS8_10device_ptrIhEEEEPhh11plus_mod_10IhEEE10hipError_tPvRmT1_T2_T3_mT4_P12ihipStream_tbEUlT_E0_NS1_11comp_targetILNS1_3genE9ELNS1_11target_archE1100ELNS1_3gpuE3ELNS1_3repE0EEENS1_30default_config_static_selectorELNS0_4arch9wavefront6targetE1EEEvSK_.num_agpr, 0
	.set _ZN7rocprim17ROCPRIM_400000_NS6detail17trampoline_kernelINS0_14default_configENS1_22reduce_config_selectorIhEEZNS1_11reduce_implILb1ES3_N6thrust23THRUST_200600_302600_NS6detail15normal_iteratorINS8_10device_ptrIhEEEEPhh11plus_mod_10IhEEE10hipError_tPvRmT1_T2_T3_mT4_P12ihipStream_tbEUlT_E0_NS1_11comp_targetILNS1_3genE9ELNS1_11target_archE1100ELNS1_3gpuE3ELNS1_3repE0EEENS1_30default_config_static_selectorELNS0_4arch9wavefront6targetE1EEEvSK_.numbered_sgpr, 0
	.set _ZN7rocprim17ROCPRIM_400000_NS6detail17trampoline_kernelINS0_14default_configENS1_22reduce_config_selectorIhEEZNS1_11reduce_implILb1ES3_N6thrust23THRUST_200600_302600_NS6detail15normal_iteratorINS8_10device_ptrIhEEEEPhh11plus_mod_10IhEEE10hipError_tPvRmT1_T2_T3_mT4_P12ihipStream_tbEUlT_E0_NS1_11comp_targetILNS1_3genE9ELNS1_11target_archE1100ELNS1_3gpuE3ELNS1_3repE0EEENS1_30default_config_static_selectorELNS0_4arch9wavefront6targetE1EEEvSK_.num_named_barrier, 0
	.set _ZN7rocprim17ROCPRIM_400000_NS6detail17trampoline_kernelINS0_14default_configENS1_22reduce_config_selectorIhEEZNS1_11reduce_implILb1ES3_N6thrust23THRUST_200600_302600_NS6detail15normal_iteratorINS8_10device_ptrIhEEEEPhh11plus_mod_10IhEEE10hipError_tPvRmT1_T2_T3_mT4_P12ihipStream_tbEUlT_E0_NS1_11comp_targetILNS1_3genE9ELNS1_11target_archE1100ELNS1_3gpuE3ELNS1_3repE0EEENS1_30default_config_static_selectorELNS0_4arch9wavefront6targetE1EEEvSK_.private_seg_size, 0
	.set _ZN7rocprim17ROCPRIM_400000_NS6detail17trampoline_kernelINS0_14default_configENS1_22reduce_config_selectorIhEEZNS1_11reduce_implILb1ES3_N6thrust23THRUST_200600_302600_NS6detail15normal_iteratorINS8_10device_ptrIhEEEEPhh11plus_mod_10IhEEE10hipError_tPvRmT1_T2_T3_mT4_P12ihipStream_tbEUlT_E0_NS1_11comp_targetILNS1_3genE9ELNS1_11target_archE1100ELNS1_3gpuE3ELNS1_3repE0EEENS1_30default_config_static_selectorELNS0_4arch9wavefront6targetE1EEEvSK_.uses_vcc, 0
	.set _ZN7rocprim17ROCPRIM_400000_NS6detail17trampoline_kernelINS0_14default_configENS1_22reduce_config_selectorIhEEZNS1_11reduce_implILb1ES3_N6thrust23THRUST_200600_302600_NS6detail15normal_iteratorINS8_10device_ptrIhEEEEPhh11plus_mod_10IhEEE10hipError_tPvRmT1_T2_T3_mT4_P12ihipStream_tbEUlT_E0_NS1_11comp_targetILNS1_3genE9ELNS1_11target_archE1100ELNS1_3gpuE3ELNS1_3repE0EEENS1_30default_config_static_selectorELNS0_4arch9wavefront6targetE1EEEvSK_.uses_flat_scratch, 0
	.set _ZN7rocprim17ROCPRIM_400000_NS6detail17trampoline_kernelINS0_14default_configENS1_22reduce_config_selectorIhEEZNS1_11reduce_implILb1ES3_N6thrust23THRUST_200600_302600_NS6detail15normal_iteratorINS8_10device_ptrIhEEEEPhh11plus_mod_10IhEEE10hipError_tPvRmT1_T2_T3_mT4_P12ihipStream_tbEUlT_E0_NS1_11comp_targetILNS1_3genE9ELNS1_11target_archE1100ELNS1_3gpuE3ELNS1_3repE0EEENS1_30default_config_static_selectorELNS0_4arch9wavefront6targetE1EEEvSK_.has_dyn_sized_stack, 0
	.set _ZN7rocprim17ROCPRIM_400000_NS6detail17trampoline_kernelINS0_14default_configENS1_22reduce_config_selectorIhEEZNS1_11reduce_implILb1ES3_N6thrust23THRUST_200600_302600_NS6detail15normal_iteratorINS8_10device_ptrIhEEEEPhh11plus_mod_10IhEEE10hipError_tPvRmT1_T2_T3_mT4_P12ihipStream_tbEUlT_E0_NS1_11comp_targetILNS1_3genE9ELNS1_11target_archE1100ELNS1_3gpuE3ELNS1_3repE0EEENS1_30default_config_static_selectorELNS0_4arch9wavefront6targetE1EEEvSK_.has_recursion, 0
	.set _ZN7rocprim17ROCPRIM_400000_NS6detail17trampoline_kernelINS0_14default_configENS1_22reduce_config_selectorIhEEZNS1_11reduce_implILb1ES3_N6thrust23THRUST_200600_302600_NS6detail15normal_iteratorINS8_10device_ptrIhEEEEPhh11plus_mod_10IhEEE10hipError_tPvRmT1_T2_T3_mT4_P12ihipStream_tbEUlT_E0_NS1_11comp_targetILNS1_3genE9ELNS1_11target_archE1100ELNS1_3gpuE3ELNS1_3repE0EEENS1_30default_config_static_selectorELNS0_4arch9wavefront6targetE1EEEvSK_.has_indirect_call, 0
	.section	.AMDGPU.csdata,"",@progbits
; Kernel info:
; codeLenInByte = 0
; TotalNumSgprs: 6
; NumVgprs: 0
; NumAgprs: 0
; TotalNumVgprs: 0
; ScratchSize: 0
; MemoryBound: 0
; FloatMode: 240
; IeeeMode: 1
; LDSByteSize: 0 bytes/workgroup (compile time only)
; SGPRBlocks: 0
; VGPRBlocks: 0
; NumSGPRsForWavesPerEU: 6
; NumVGPRsForWavesPerEU: 1
; AccumOffset: 4
; Occupancy: 8
; WaveLimiterHint : 0
; COMPUTE_PGM_RSRC2:SCRATCH_EN: 0
; COMPUTE_PGM_RSRC2:USER_SGPR: 2
; COMPUTE_PGM_RSRC2:TRAP_HANDLER: 0
; COMPUTE_PGM_RSRC2:TGID_X_EN: 1
; COMPUTE_PGM_RSRC2:TGID_Y_EN: 0
; COMPUTE_PGM_RSRC2:TGID_Z_EN: 0
; COMPUTE_PGM_RSRC2:TIDIG_COMP_CNT: 0
; COMPUTE_PGM_RSRC3_GFX90A:ACCUM_OFFSET: 0
; COMPUTE_PGM_RSRC3_GFX90A:TG_SPLIT: 0
	.section	.text._ZN7rocprim17ROCPRIM_400000_NS6detail17trampoline_kernelINS0_14default_configENS1_22reduce_config_selectorIhEEZNS1_11reduce_implILb1ES3_N6thrust23THRUST_200600_302600_NS6detail15normal_iteratorINS8_10device_ptrIhEEEEPhh11plus_mod_10IhEEE10hipError_tPvRmT1_T2_T3_mT4_P12ihipStream_tbEUlT_E0_NS1_11comp_targetILNS1_3genE8ELNS1_11target_archE1030ELNS1_3gpuE2ELNS1_3repE0EEENS1_30default_config_static_selectorELNS0_4arch9wavefront6targetE1EEEvSK_,"axG",@progbits,_ZN7rocprim17ROCPRIM_400000_NS6detail17trampoline_kernelINS0_14default_configENS1_22reduce_config_selectorIhEEZNS1_11reduce_implILb1ES3_N6thrust23THRUST_200600_302600_NS6detail15normal_iteratorINS8_10device_ptrIhEEEEPhh11plus_mod_10IhEEE10hipError_tPvRmT1_T2_T3_mT4_P12ihipStream_tbEUlT_E0_NS1_11comp_targetILNS1_3genE8ELNS1_11target_archE1030ELNS1_3gpuE2ELNS1_3repE0EEENS1_30default_config_static_selectorELNS0_4arch9wavefront6targetE1EEEvSK_,comdat
	.protected	_ZN7rocprim17ROCPRIM_400000_NS6detail17trampoline_kernelINS0_14default_configENS1_22reduce_config_selectorIhEEZNS1_11reduce_implILb1ES3_N6thrust23THRUST_200600_302600_NS6detail15normal_iteratorINS8_10device_ptrIhEEEEPhh11plus_mod_10IhEEE10hipError_tPvRmT1_T2_T3_mT4_P12ihipStream_tbEUlT_E0_NS1_11comp_targetILNS1_3genE8ELNS1_11target_archE1030ELNS1_3gpuE2ELNS1_3repE0EEENS1_30default_config_static_selectorELNS0_4arch9wavefront6targetE1EEEvSK_ ; -- Begin function _ZN7rocprim17ROCPRIM_400000_NS6detail17trampoline_kernelINS0_14default_configENS1_22reduce_config_selectorIhEEZNS1_11reduce_implILb1ES3_N6thrust23THRUST_200600_302600_NS6detail15normal_iteratorINS8_10device_ptrIhEEEEPhh11plus_mod_10IhEEE10hipError_tPvRmT1_T2_T3_mT4_P12ihipStream_tbEUlT_E0_NS1_11comp_targetILNS1_3genE8ELNS1_11target_archE1030ELNS1_3gpuE2ELNS1_3repE0EEENS1_30default_config_static_selectorELNS0_4arch9wavefront6targetE1EEEvSK_
	.globl	_ZN7rocprim17ROCPRIM_400000_NS6detail17trampoline_kernelINS0_14default_configENS1_22reduce_config_selectorIhEEZNS1_11reduce_implILb1ES3_N6thrust23THRUST_200600_302600_NS6detail15normal_iteratorINS8_10device_ptrIhEEEEPhh11plus_mod_10IhEEE10hipError_tPvRmT1_T2_T3_mT4_P12ihipStream_tbEUlT_E0_NS1_11comp_targetILNS1_3genE8ELNS1_11target_archE1030ELNS1_3gpuE2ELNS1_3repE0EEENS1_30default_config_static_selectorELNS0_4arch9wavefront6targetE1EEEvSK_
	.p2align	8
	.type	_ZN7rocprim17ROCPRIM_400000_NS6detail17trampoline_kernelINS0_14default_configENS1_22reduce_config_selectorIhEEZNS1_11reduce_implILb1ES3_N6thrust23THRUST_200600_302600_NS6detail15normal_iteratorINS8_10device_ptrIhEEEEPhh11plus_mod_10IhEEE10hipError_tPvRmT1_T2_T3_mT4_P12ihipStream_tbEUlT_E0_NS1_11comp_targetILNS1_3genE8ELNS1_11target_archE1030ELNS1_3gpuE2ELNS1_3repE0EEENS1_30default_config_static_selectorELNS0_4arch9wavefront6targetE1EEEvSK_,@function
_ZN7rocprim17ROCPRIM_400000_NS6detail17trampoline_kernelINS0_14default_configENS1_22reduce_config_selectorIhEEZNS1_11reduce_implILb1ES3_N6thrust23THRUST_200600_302600_NS6detail15normal_iteratorINS8_10device_ptrIhEEEEPhh11plus_mod_10IhEEE10hipError_tPvRmT1_T2_T3_mT4_P12ihipStream_tbEUlT_E0_NS1_11comp_targetILNS1_3genE8ELNS1_11target_archE1030ELNS1_3gpuE2ELNS1_3repE0EEENS1_30default_config_static_selectorELNS0_4arch9wavefront6targetE1EEEvSK_: ; @_ZN7rocprim17ROCPRIM_400000_NS6detail17trampoline_kernelINS0_14default_configENS1_22reduce_config_selectorIhEEZNS1_11reduce_implILb1ES3_N6thrust23THRUST_200600_302600_NS6detail15normal_iteratorINS8_10device_ptrIhEEEEPhh11plus_mod_10IhEEE10hipError_tPvRmT1_T2_T3_mT4_P12ihipStream_tbEUlT_E0_NS1_11comp_targetILNS1_3genE8ELNS1_11target_archE1030ELNS1_3gpuE2ELNS1_3repE0EEENS1_30default_config_static_selectorELNS0_4arch9wavefront6targetE1EEEvSK_
; %bb.0:
	.section	.rodata,"a",@progbits
	.p2align	6, 0x0
	.amdhsa_kernel _ZN7rocprim17ROCPRIM_400000_NS6detail17trampoline_kernelINS0_14default_configENS1_22reduce_config_selectorIhEEZNS1_11reduce_implILb1ES3_N6thrust23THRUST_200600_302600_NS6detail15normal_iteratorINS8_10device_ptrIhEEEEPhh11plus_mod_10IhEEE10hipError_tPvRmT1_T2_T3_mT4_P12ihipStream_tbEUlT_E0_NS1_11comp_targetILNS1_3genE8ELNS1_11target_archE1030ELNS1_3gpuE2ELNS1_3repE0EEENS1_30default_config_static_selectorELNS0_4arch9wavefront6targetE1EEEvSK_
		.amdhsa_group_segment_fixed_size 0
		.amdhsa_private_segment_fixed_size 0
		.amdhsa_kernarg_size 56
		.amdhsa_user_sgpr_count 2
		.amdhsa_user_sgpr_dispatch_ptr 0
		.amdhsa_user_sgpr_queue_ptr 0
		.amdhsa_user_sgpr_kernarg_segment_ptr 1
		.amdhsa_user_sgpr_dispatch_id 0
		.amdhsa_user_sgpr_kernarg_preload_length 0
		.amdhsa_user_sgpr_kernarg_preload_offset 0
		.amdhsa_user_sgpr_private_segment_size 0
		.amdhsa_uses_dynamic_stack 0
		.amdhsa_enable_private_segment 0
		.amdhsa_system_sgpr_workgroup_id_x 1
		.amdhsa_system_sgpr_workgroup_id_y 0
		.amdhsa_system_sgpr_workgroup_id_z 0
		.amdhsa_system_sgpr_workgroup_info 0
		.amdhsa_system_vgpr_workitem_id 0
		.amdhsa_next_free_vgpr 1
		.amdhsa_next_free_sgpr 0
		.amdhsa_accum_offset 4
		.amdhsa_reserve_vcc 0
		.amdhsa_float_round_mode_32 0
		.amdhsa_float_round_mode_16_64 0
		.amdhsa_float_denorm_mode_32 3
		.amdhsa_float_denorm_mode_16_64 3
		.amdhsa_dx10_clamp 1
		.amdhsa_ieee_mode 1
		.amdhsa_fp16_overflow 0
		.amdhsa_tg_split 0
		.amdhsa_exception_fp_ieee_invalid_op 0
		.amdhsa_exception_fp_denorm_src 0
		.amdhsa_exception_fp_ieee_div_zero 0
		.amdhsa_exception_fp_ieee_overflow 0
		.amdhsa_exception_fp_ieee_underflow 0
		.amdhsa_exception_fp_ieee_inexact 0
		.amdhsa_exception_int_div_zero 0
	.end_amdhsa_kernel
	.section	.text._ZN7rocprim17ROCPRIM_400000_NS6detail17trampoline_kernelINS0_14default_configENS1_22reduce_config_selectorIhEEZNS1_11reduce_implILb1ES3_N6thrust23THRUST_200600_302600_NS6detail15normal_iteratorINS8_10device_ptrIhEEEEPhh11plus_mod_10IhEEE10hipError_tPvRmT1_T2_T3_mT4_P12ihipStream_tbEUlT_E0_NS1_11comp_targetILNS1_3genE8ELNS1_11target_archE1030ELNS1_3gpuE2ELNS1_3repE0EEENS1_30default_config_static_selectorELNS0_4arch9wavefront6targetE1EEEvSK_,"axG",@progbits,_ZN7rocprim17ROCPRIM_400000_NS6detail17trampoline_kernelINS0_14default_configENS1_22reduce_config_selectorIhEEZNS1_11reduce_implILb1ES3_N6thrust23THRUST_200600_302600_NS6detail15normal_iteratorINS8_10device_ptrIhEEEEPhh11plus_mod_10IhEEE10hipError_tPvRmT1_T2_T3_mT4_P12ihipStream_tbEUlT_E0_NS1_11comp_targetILNS1_3genE8ELNS1_11target_archE1030ELNS1_3gpuE2ELNS1_3repE0EEENS1_30default_config_static_selectorELNS0_4arch9wavefront6targetE1EEEvSK_,comdat
.Lfunc_end684:
	.size	_ZN7rocprim17ROCPRIM_400000_NS6detail17trampoline_kernelINS0_14default_configENS1_22reduce_config_selectorIhEEZNS1_11reduce_implILb1ES3_N6thrust23THRUST_200600_302600_NS6detail15normal_iteratorINS8_10device_ptrIhEEEEPhh11plus_mod_10IhEEE10hipError_tPvRmT1_T2_T3_mT4_P12ihipStream_tbEUlT_E0_NS1_11comp_targetILNS1_3genE8ELNS1_11target_archE1030ELNS1_3gpuE2ELNS1_3repE0EEENS1_30default_config_static_selectorELNS0_4arch9wavefront6targetE1EEEvSK_, .Lfunc_end684-_ZN7rocprim17ROCPRIM_400000_NS6detail17trampoline_kernelINS0_14default_configENS1_22reduce_config_selectorIhEEZNS1_11reduce_implILb1ES3_N6thrust23THRUST_200600_302600_NS6detail15normal_iteratorINS8_10device_ptrIhEEEEPhh11plus_mod_10IhEEE10hipError_tPvRmT1_T2_T3_mT4_P12ihipStream_tbEUlT_E0_NS1_11comp_targetILNS1_3genE8ELNS1_11target_archE1030ELNS1_3gpuE2ELNS1_3repE0EEENS1_30default_config_static_selectorELNS0_4arch9wavefront6targetE1EEEvSK_
                                        ; -- End function
	.set _ZN7rocprim17ROCPRIM_400000_NS6detail17trampoline_kernelINS0_14default_configENS1_22reduce_config_selectorIhEEZNS1_11reduce_implILb1ES3_N6thrust23THRUST_200600_302600_NS6detail15normal_iteratorINS8_10device_ptrIhEEEEPhh11plus_mod_10IhEEE10hipError_tPvRmT1_T2_T3_mT4_P12ihipStream_tbEUlT_E0_NS1_11comp_targetILNS1_3genE8ELNS1_11target_archE1030ELNS1_3gpuE2ELNS1_3repE0EEENS1_30default_config_static_selectorELNS0_4arch9wavefront6targetE1EEEvSK_.num_vgpr, 0
	.set _ZN7rocprim17ROCPRIM_400000_NS6detail17trampoline_kernelINS0_14default_configENS1_22reduce_config_selectorIhEEZNS1_11reduce_implILb1ES3_N6thrust23THRUST_200600_302600_NS6detail15normal_iteratorINS8_10device_ptrIhEEEEPhh11plus_mod_10IhEEE10hipError_tPvRmT1_T2_T3_mT4_P12ihipStream_tbEUlT_E0_NS1_11comp_targetILNS1_3genE8ELNS1_11target_archE1030ELNS1_3gpuE2ELNS1_3repE0EEENS1_30default_config_static_selectorELNS0_4arch9wavefront6targetE1EEEvSK_.num_agpr, 0
	.set _ZN7rocprim17ROCPRIM_400000_NS6detail17trampoline_kernelINS0_14default_configENS1_22reduce_config_selectorIhEEZNS1_11reduce_implILb1ES3_N6thrust23THRUST_200600_302600_NS6detail15normal_iteratorINS8_10device_ptrIhEEEEPhh11plus_mod_10IhEEE10hipError_tPvRmT1_T2_T3_mT4_P12ihipStream_tbEUlT_E0_NS1_11comp_targetILNS1_3genE8ELNS1_11target_archE1030ELNS1_3gpuE2ELNS1_3repE0EEENS1_30default_config_static_selectorELNS0_4arch9wavefront6targetE1EEEvSK_.numbered_sgpr, 0
	.set _ZN7rocprim17ROCPRIM_400000_NS6detail17trampoline_kernelINS0_14default_configENS1_22reduce_config_selectorIhEEZNS1_11reduce_implILb1ES3_N6thrust23THRUST_200600_302600_NS6detail15normal_iteratorINS8_10device_ptrIhEEEEPhh11plus_mod_10IhEEE10hipError_tPvRmT1_T2_T3_mT4_P12ihipStream_tbEUlT_E0_NS1_11comp_targetILNS1_3genE8ELNS1_11target_archE1030ELNS1_3gpuE2ELNS1_3repE0EEENS1_30default_config_static_selectorELNS0_4arch9wavefront6targetE1EEEvSK_.num_named_barrier, 0
	.set _ZN7rocprim17ROCPRIM_400000_NS6detail17trampoline_kernelINS0_14default_configENS1_22reduce_config_selectorIhEEZNS1_11reduce_implILb1ES3_N6thrust23THRUST_200600_302600_NS6detail15normal_iteratorINS8_10device_ptrIhEEEEPhh11plus_mod_10IhEEE10hipError_tPvRmT1_T2_T3_mT4_P12ihipStream_tbEUlT_E0_NS1_11comp_targetILNS1_3genE8ELNS1_11target_archE1030ELNS1_3gpuE2ELNS1_3repE0EEENS1_30default_config_static_selectorELNS0_4arch9wavefront6targetE1EEEvSK_.private_seg_size, 0
	.set _ZN7rocprim17ROCPRIM_400000_NS6detail17trampoline_kernelINS0_14default_configENS1_22reduce_config_selectorIhEEZNS1_11reduce_implILb1ES3_N6thrust23THRUST_200600_302600_NS6detail15normal_iteratorINS8_10device_ptrIhEEEEPhh11plus_mod_10IhEEE10hipError_tPvRmT1_T2_T3_mT4_P12ihipStream_tbEUlT_E0_NS1_11comp_targetILNS1_3genE8ELNS1_11target_archE1030ELNS1_3gpuE2ELNS1_3repE0EEENS1_30default_config_static_selectorELNS0_4arch9wavefront6targetE1EEEvSK_.uses_vcc, 0
	.set _ZN7rocprim17ROCPRIM_400000_NS6detail17trampoline_kernelINS0_14default_configENS1_22reduce_config_selectorIhEEZNS1_11reduce_implILb1ES3_N6thrust23THRUST_200600_302600_NS6detail15normal_iteratorINS8_10device_ptrIhEEEEPhh11plus_mod_10IhEEE10hipError_tPvRmT1_T2_T3_mT4_P12ihipStream_tbEUlT_E0_NS1_11comp_targetILNS1_3genE8ELNS1_11target_archE1030ELNS1_3gpuE2ELNS1_3repE0EEENS1_30default_config_static_selectorELNS0_4arch9wavefront6targetE1EEEvSK_.uses_flat_scratch, 0
	.set _ZN7rocprim17ROCPRIM_400000_NS6detail17trampoline_kernelINS0_14default_configENS1_22reduce_config_selectorIhEEZNS1_11reduce_implILb1ES3_N6thrust23THRUST_200600_302600_NS6detail15normal_iteratorINS8_10device_ptrIhEEEEPhh11plus_mod_10IhEEE10hipError_tPvRmT1_T2_T3_mT4_P12ihipStream_tbEUlT_E0_NS1_11comp_targetILNS1_3genE8ELNS1_11target_archE1030ELNS1_3gpuE2ELNS1_3repE0EEENS1_30default_config_static_selectorELNS0_4arch9wavefront6targetE1EEEvSK_.has_dyn_sized_stack, 0
	.set _ZN7rocprim17ROCPRIM_400000_NS6detail17trampoline_kernelINS0_14default_configENS1_22reduce_config_selectorIhEEZNS1_11reduce_implILb1ES3_N6thrust23THRUST_200600_302600_NS6detail15normal_iteratorINS8_10device_ptrIhEEEEPhh11plus_mod_10IhEEE10hipError_tPvRmT1_T2_T3_mT4_P12ihipStream_tbEUlT_E0_NS1_11comp_targetILNS1_3genE8ELNS1_11target_archE1030ELNS1_3gpuE2ELNS1_3repE0EEENS1_30default_config_static_selectorELNS0_4arch9wavefront6targetE1EEEvSK_.has_recursion, 0
	.set _ZN7rocprim17ROCPRIM_400000_NS6detail17trampoline_kernelINS0_14default_configENS1_22reduce_config_selectorIhEEZNS1_11reduce_implILb1ES3_N6thrust23THRUST_200600_302600_NS6detail15normal_iteratorINS8_10device_ptrIhEEEEPhh11plus_mod_10IhEEE10hipError_tPvRmT1_T2_T3_mT4_P12ihipStream_tbEUlT_E0_NS1_11comp_targetILNS1_3genE8ELNS1_11target_archE1030ELNS1_3gpuE2ELNS1_3repE0EEENS1_30default_config_static_selectorELNS0_4arch9wavefront6targetE1EEEvSK_.has_indirect_call, 0
	.section	.AMDGPU.csdata,"",@progbits
; Kernel info:
; codeLenInByte = 0
; TotalNumSgprs: 6
; NumVgprs: 0
; NumAgprs: 0
; TotalNumVgprs: 0
; ScratchSize: 0
; MemoryBound: 0
; FloatMode: 240
; IeeeMode: 1
; LDSByteSize: 0 bytes/workgroup (compile time only)
; SGPRBlocks: 0
; VGPRBlocks: 0
; NumSGPRsForWavesPerEU: 6
; NumVGPRsForWavesPerEU: 1
; AccumOffset: 4
; Occupancy: 8
; WaveLimiterHint : 0
; COMPUTE_PGM_RSRC2:SCRATCH_EN: 0
; COMPUTE_PGM_RSRC2:USER_SGPR: 2
; COMPUTE_PGM_RSRC2:TRAP_HANDLER: 0
; COMPUTE_PGM_RSRC2:TGID_X_EN: 1
; COMPUTE_PGM_RSRC2:TGID_Y_EN: 0
; COMPUTE_PGM_RSRC2:TGID_Z_EN: 0
; COMPUTE_PGM_RSRC2:TIDIG_COMP_CNT: 0
; COMPUTE_PGM_RSRC3_GFX90A:ACCUM_OFFSET: 0
; COMPUTE_PGM_RSRC3_GFX90A:TG_SPLIT: 0
	.text
	.p2align	2                               ; -- Begin function _ZN7rocprim17ROCPRIM_400000_NS6detail18constexpr_for_implIZZNS1_11reduce_implILb1ENS0_14default_configEN6thrust23THRUST_200600_302600_NS6detail15normal_iteratorINS6_10device_ptrIhEEEEPhh11plus_mod_10IhEEE10hipError_tPvRmT1_T2_T3_mT4_P12ihipStream_tbENUlT_E1_clINS1_13target_configIS4_NS1_22reduce_config_selectorIhEENS1_11comp_targetILNS1_3genE0ELNS1_11target_archE4294967295ELNS1_3gpuE0ELNS1_3repE0EEELNS0_4arch9wavefront6targetE1EEEEEDaSO_EUlSO_E_TnDaLi0ETnDaLi1EJLm0ELm1ELm2ELm3ELm4ELm5ELm6ELm7EEEEvOSO_St16integer_sequenceImJXspT2_EEE
	.type	_ZN7rocprim17ROCPRIM_400000_NS6detail18constexpr_for_implIZZNS1_11reduce_implILb1ENS0_14default_configEN6thrust23THRUST_200600_302600_NS6detail15normal_iteratorINS6_10device_ptrIhEEEEPhh11plus_mod_10IhEEE10hipError_tPvRmT1_T2_T3_mT4_P12ihipStream_tbENUlT_E1_clINS1_13target_configIS4_NS1_22reduce_config_selectorIhEENS1_11comp_targetILNS1_3genE0ELNS1_11target_archE4294967295ELNS1_3gpuE0ELNS1_3repE0EEELNS0_4arch9wavefront6targetE1EEEEEDaSO_EUlSO_E_TnDaLi0ETnDaLi1EJLm0ELm1ELm2ELm3ELm4ELm5ELm6ELm7EEEEvOSO_St16integer_sequenceImJXspT2_EEE,@function
_ZN7rocprim17ROCPRIM_400000_NS6detail18constexpr_for_implIZZNS1_11reduce_implILb1ENS0_14default_configEN6thrust23THRUST_200600_302600_NS6detail15normal_iteratorINS6_10device_ptrIhEEEEPhh11plus_mod_10IhEEE10hipError_tPvRmT1_T2_T3_mT4_P12ihipStream_tbENUlT_E1_clINS1_13target_configIS4_NS1_22reduce_config_selectorIhEENS1_11comp_targetILNS1_3genE0ELNS1_11target_archE4294967295ELNS1_3gpuE0ELNS1_3repE0EEELNS0_4arch9wavefront6targetE1EEEEEDaSO_EUlSO_E_TnDaLi0ETnDaLi1EJLm0ELm1ELm2ELm3ELm4ELm5ELm6ELm7EEEEvOSO_St16integer_sequenceImJXspT2_EEE: ; @_ZN7rocprim17ROCPRIM_400000_NS6detail18constexpr_for_implIZZNS1_11reduce_implILb1ENS0_14default_configEN6thrust23THRUST_200600_302600_NS6detail15normal_iteratorINS6_10device_ptrIhEEEEPhh11plus_mod_10IhEEE10hipError_tPvRmT1_T2_T3_mT4_P12ihipStream_tbENUlT_E1_clINS1_13target_configIS4_NS1_22reduce_config_selectorIhEENS1_11comp_targetILNS1_3genE0ELNS1_11target_archE4294967295ELNS1_3gpuE0ELNS1_3repE0EEELNS0_4arch9wavefront6targetE1EEEEEDaSO_EUlSO_E_TnDaLi0ETnDaLi1EJLm0ELm1ELm2ELm3ELm4ELm5ELm6ELm7EEEEvOSO_St16integer_sequenceImJXspT2_EEE
; %bb.0:
	s_waitcnt vmcnt(0) expcnt(0) lgkmcnt(0)
	s_or_saveexec_b64 s[0:1], -1
	scratch_store_dword off, v40, s32       ; 4-byte Folded Spill
	scratch_store_dword off, v41, s32 offset:4 ; 4-byte Folded Spill
	scratch_store_dword off, v42, s32 offset:8 ; 4-byte Folded Spill
	;; [unrolled: 1-line block ×3, first 2 shown]
	s_mov_b64 exec, s[0:1]
	v_writelane_b32 v40, s30, 0
	s_nop 1
	v_writelane_b32 v40, s31, 1
	flat_load_dwordx2 v[2:3], v[0:1]
	s_waitcnt vmcnt(0) lgkmcnt(0)
	flat_load_dword v2, v[2:3]
	s_waitcnt vmcnt(0) lgkmcnt(0)
	v_cmp_eq_u32_e32 vcc, 1, v2
	s_and_saveexec_b64 s[0:1], vcc
	s_cbranch_execz .LBB685_35
; %bb.1:
	flat_load_dwordx4 v[12:15], v[0:1] offset:8
	flat_load_dwordx4 v[16:19], v[0:1] offset:24
	s_mov_b32 s5, 0
	s_mov_b32 s13, s5
	v_and_b32_e32 v6, 0x3ff, v31
	s_lshl_b32 s4, s12, 8
                                        ; implicit-def: $vgpr7
	s_waitcnt vmcnt(0) lgkmcnt(0)
	flat_load_dwordx2 v[8:9], v[12:13]
	flat_load_dwordx2 v[4:5], v[14:15]
	;; [unrolled: 1-line block ×3, first 2 shown]
	flat_load_ubyte v10, v[18:19]
	s_waitcnt vmcnt(0) lgkmcnt(0)
	v_lshrrev_b64 v[12:13], 8, v[4:5]
	v_cmp_ne_u64_e32 vcc, s[12:13], v[12:13]
	s_and_saveexec_b64 s[2:3], vcc
	s_xor_b64 s[2:3], exec, s[2:3]
	s_cbranch_execnz .LBB685_4
; %bb.2:
	s_andn2_saveexec_b64 s[2:3], s[2:3]
	s_cbranch_execnz .LBB685_9
.LBB685_3:
	s_or_b64 exec, exec, s[2:3]
	v_cmp_eq_u32_e32 vcc, 0, v6
	s_and_b64 exec, exec, vcc
	s_cbranch_execnz .LBB685_32
	s_branch .LBB685_35
.LBB685_4:
	v_lshl_add_u64 v[8:9], v[8:9], 0, s[4:5]
	v_mov_b32_e32 v7, 0
	v_lshl_add_u64 v[8:9], v[8:9], 0, v[6:7]
	flat_load_ubyte v7, v[8:9]
	s_movk_i32 s6, 0xcd
	v_mbcnt_lo_u32_b32 v8, -1, 0
	v_mbcnt_hi_u32_b32 v8, -1, v8
	v_lshlrev_b32_e32 v9, 2, v8
	v_cmp_eq_u32_e32 vcc, 0, v8
	s_waitcnt vmcnt(0) lgkmcnt(0)
	v_and_b32_e32 v11, 0xffff, v7
	v_mul_lo_u16_e32 v12, 0xcd, v7
	s_nop 0
	v_mov_b32_dpp v11, v11 quad_perm:[1,0,3,2] row_mask:0xf bank_mask:0xf bound_ctrl:1
	v_lshrrev_b16_e32 v12, 11, v12
	v_mul_lo_u16_e32 v12, 10, v12
	v_mul_lo_u16_sdwa v13, v11, s6 dst_sel:DWORD dst_unused:UNUSED_PAD src0_sel:BYTE_0 src1_sel:DWORD
	v_sub_u16_e32 v7, v7, v12
	v_lshrrev_b16_e32 v12, 11, v13
	v_mul_lo_u16_e32 v12, 10, v12
	v_sub_u16_e32 v11, v11, v12
	v_add_u16_e32 v7, v11, v7
	v_add_u16_e32 v11, -10, v7
	v_min_u16_sdwa v7, v7, v11 dst_sel:DWORD dst_unused:UNUSED_PAD src0_sel:BYTE_0 src1_sel:BYTE_0
	s_nop 1
	v_mov_b32_dpp v11, v7 quad_perm:[2,3,0,1] row_mask:0xf bank_mask:0xf bound_ctrl:1
	v_mul_lo_u16_sdwa v12, v11, s6 dst_sel:DWORD dst_unused:UNUSED_PAD src0_sel:BYTE_0 src1_sel:DWORD
	v_lshrrev_b16_e32 v12, 11, v12
	v_mul_lo_u16_e32 v12, 10, v12
	v_sub_u16_e32 v11, v11, v12
	v_add_u16_e32 v7, v7, v11
	v_add_u16_e32 v11, -10, v7
	v_min_u16_sdwa v7, v7, v11 dst_sel:DWORD dst_unused:UNUSED_PAD src0_sel:BYTE_0 src1_sel:BYTE_0
	v_mul_lo_u16_e32 v12, 0xcd, v7
	v_lshrrev_b16_e32 v12, 11, v12
	v_mov_b32_dpp v11, v7 row_ror:4 row_mask:0xf bank_mask:0xf bound_ctrl:1
	v_mul_lo_u16_sdwa v13, v11, s6 dst_sel:DWORD dst_unused:UNUSED_PAD src0_sel:BYTE_0 src1_sel:DWORD
	v_mul_lo_u16_e32 v12, 10, v12
	v_lshrrev_b16_e32 v13, 11, v13
	v_sub_u16_e32 v7, v7, v12
	v_mul_lo_u16_e32 v12, 10, v13
	v_sub_u16_e32 v11, v11, v12
	v_add_u16_e32 v7, v7, v11
	v_add_u16_e32 v11, -10, v7
	v_min_u16_sdwa v7, v7, v11 dst_sel:DWORD dst_unused:UNUSED_PAD src0_sel:BYTE_0 src1_sel:BYTE_0
	v_mul_lo_u16_e32 v12, 0xcd, v7
	v_lshrrev_b16_e32 v12, 11, v12
	v_mov_b32_dpp v11, v7 row_ror:8 row_mask:0xf bank_mask:0xf bound_ctrl:1
	v_mul_lo_u16_sdwa v13, v11, s6 dst_sel:DWORD dst_unused:UNUSED_PAD src0_sel:BYTE_0 src1_sel:DWORD
	v_mul_lo_u16_e32 v12, 10, v12
	v_lshrrev_b16_e32 v13, 11, v13
	v_sub_u16_e32 v7, v7, v12
	v_mul_lo_u16_e32 v12, 10, v13
	v_sub_u16_e32 v11, v11, v12
	v_add_u16_e32 v7, v7, v11
	v_add_u16_e32 v11, -10, v7
	v_min_u16_sdwa v7, v7, v11 dst_sel:DWORD dst_unused:UNUSED_PAD src0_sel:BYTE_0 src1_sel:BYTE_0
	v_mul_lo_u16_e32 v12, 0xcd, v7
	v_lshrrev_b16_e32 v12, 11, v12
	v_mov_b32_dpp v11, v7 row_bcast:15 row_mask:0xf bank_mask:0xf bound_ctrl:1
	v_mul_lo_u16_sdwa v13, v11, s6 dst_sel:DWORD dst_unused:UNUSED_PAD src0_sel:BYTE_0 src1_sel:DWORD
	v_mul_lo_u16_e32 v12, 10, v12
	v_lshrrev_b16_e32 v13, 11, v13
	v_sub_u16_e32 v7, v7, v12
	v_mul_lo_u16_e32 v12, 10, v13
	v_sub_u16_e32 v11, v11, v12
	v_add_u16_e32 v7, v7, v11
	v_add_u16_e32 v11, -10, v7
	v_min_u16_sdwa v7, v7, v11 dst_sel:DWORD dst_unused:UNUSED_PAD src0_sel:BYTE_0 src1_sel:BYTE_0
	v_mul_lo_u16_e32 v12, 0xcd, v7
	v_lshrrev_b16_e32 v12, 11, v12
	v_mov_b32_dpp v11, v7 row_bcast:31 row_mask:0xf bank_mask:0xf bound_ctrl:1
	v_mul_lo_u16_sdwa v13, v11, s6 dst_sel:DWORD dst_unused:UNUSED_PAD src0_sel:BYTE_0 src1_sel:DWORD
	v_mul_lo_u16_e32 v12, 10, v12
	v_lshrrev_b16_e32 v13, 11, v13
	v_sub_u16_e32 v7, v7, v12
	v_mul_lo_u16_e32 v12, 10, v13
	v_sub_u16_e32 v11, v11, v12
	v_add_u16_e32 v7, v7, v11
	v_add_u16_e32 v11, -10, v7
	v_or_b32_e32 v12, 0xfc, v9
	v_min_u16_sdwa v7, v7, v11 dst_sel:DWORD dst_unused:UNUSED_PAD src0_sel:BYTE_0 src1_sel:BYTE_0
	ds_bpermute_b32 v7, v12, v7
	s_and_saveexec_b64 s[6:7], vcc
	s_cbranch_execz .LBB685_6
; %bb.5:
	v_lshrrev_b32_e32 v11, 6, v6
	s_waitcnt lgkmcnt(0)
	ds_write_b8 v11, v7 offset:12
.LBB685_6:
	s_or_b64 exec, exec, s[6:7]
	v_cmp_gt_u32_e32 vcc, 64, v6
	s_waitcnt lgkmcnt(0)
	s_barrier
	s_and_saveexec_b64 s[6:7], vcc
	s_cbranch_execz .LBB685_8
; %bb.7:
	v_and_b32_e32 v7, 3, v8
	ds_read_u8 v11, v7 offset:12
	v_cmp_ne_u32_e32 vcc, 3, v7
	s_movk_i32 s8, 0xcd
	s_nop 0
	v_addc_co_u32_e32 v7, vcc, 0, v8, vcc
	v_lshlrev_b32_e32 v7, 2, v7
	s_waitcnt lgkmcnt(0)
	v_and_b32_e32 v8, 0xffff, v11
	ds_bpermute_b32 v7, v7, v8
	v_mul_lo_u16_e32 v8, 0xcd, v11
	v_lshrrev_b16_e32 v8, 11, v8
	v_mul_lo_u16_e32 v8, 10, v8
	v_sub_u16_e32 v8, v11, v8
	s_waitcnt lgkmcnt(0)
	v_mul_lo_u16_sdwa v12, v7, s8 dst_sel:DWORD dst_unused:UNUSED_PAD src0_sel:BYTE_0 src1_sel:DWORD
	v_lshrrev_b16_e32 v12, 11, v12
	v_mul_lo_u16_e32 v12, 10, v12
	v_sub_u16_e32 v7, v7, v12
	v_add_u16_e32 v7, v7, v8
	v_add_u16_e32 v8, -10, v7
	v_min_u16_sdwa v7, v7, v8 dst_sel:DWORD dst_unused:UNUSED_PAD src0_sel:BYTE_0 src1_sel:BYTE_0
	v_or_b32_e32 v8, 8, v9
	ds_bpermute_b32 v8, v8, v7
	s_waitcnt lgkmcnt(0)
	v_mul_lo_u16_sdwa v9, v8, s8 dst_sel:DWORD dst_unused:UNUSED_PAD src0_sel:BYTE_0 src1_sel:DWORD
	v_lshrrev_b16_e32 v9, 11, v9
	v_mul_lo_u16_e32 v9, 10, v9
	v_sub_u16_e32 v8, v8, v9
	v_add_u16_e32 v7, v7, v8
	v_add_u16_e32 v8, -10, v7
	v_min_u16_sdwa v7, v7, v8 dst_sel:DWORD dst_unused:UNUSED_PAD src0_sel:BYTE_0 src1_sel:BYTE_0
.LBB685_8:
	s_or_b64 exec, exec, s[6:7]
                                        ; implicit-def: $vgpr8_vgpr9
	s_andn2_saveexec_b64 s[2:3], s[2:3]
	s_cbranch_execz .LBB685_3
.LBB685_9:
	v_subrev_u32_e32 v11, s4, v4
	v_cmp_lt_u32_e32 vcc, v6, v11
                                        ; implicit-def: $vgpr7
	s_and_saveexec_b64 s[6:7], vcc
	s_cbranch_execz .LBB685_11
; %bb.10:
	v_lshl_add_u64 v[8:9], v[8:9], 0, s[4:5]
	v_mov_b32_e32 v7, 0
	v_lshl_add_u64 v[8:9], v[8:9], 0, v[6:7]
	flat_load_ubyte v7, v[8:9]
.LBB685_11:
	s_or_b64 exec, exec, s[6:7]
	v_mbcnt_lo_u32_b32 v9, -1, 0
	v_mbcnt_hi_u32_b32 v9, -1, v9
	v_min_u32_e32 v8, 0x100, v11
	v_and_b32_e32 v11, 63, v9
	v_cmp_ne_u32_e32 vcc, 63, v11
	s_waitcnt vmcnt(0) lgkmcnt(0)
	v_and_b32_e32 v13, 0xff, v7
	v_add_u32_e32 v15, 1, v11
	v_addc_co_u32_e32 v12, vcc, 0, v9, vcc
	v_lshlrev_b32_e32 v12, 2, v12
	ds_bpermute_b32 v14, v12, v13
	v_and_b32_e32 v12, 0x3c0, v6
	v_sub_u32_e64 v12, v8, v12 clamp
	v_cmp_lt_u32_e32 vcc, v15, v12
	s_and_saveexec_b64 s[4:5], vcc
	s_cbranch_execz .LBB685_13
; %bb.12:
	s_movk_i32 s6, 0xcd
	s_waitcnt lgkmcnt(0)
	v_mul_lo_u16_sdwa v13, v14, s6 dst_sel:DWORD dst_unused:UNUSED_PAD src0_sel:BYTE_0 src1_sel:DWORD
	v_lshrrev_b16_e32 v13, 11, v13
	v_mul_lo_u16_e32 v13, 10, v13
	v_sub_u16_e32 v13, v14, v13
	v_mul_lo_u16_sdwa v14, v7, s6 dst_sel:DWORD dst_unused:UNUSED_PAD src0_sel:BYTE_0 src1_sel:DWORD
	v_lshrrev_b16_e32 v14, 11, v14
	v_mul_lo_u16_e32 v14, 10, v14
	v_sub_u16_e32 v7, v7, v14
	v_add_u16_e32 v13, v13, v7
	v_add_u16_e32 v14, -10, v13
	v_min_u16_sdwa v7, v13, v14 dst_sel:DWORD dst_unused:UNUSED_PAD src0_sel:BYTE_0 src1_sel:BYTE_0
	v_min_u16_sdwa v13, v13, v14 dst_sel:DWORD dst_unused:UNUSED_PAD src0_sel:BYTE_0 src1_sel:BYTE_0
.LBB685_13:
	s_or_b64 exec, exec, s[4:5]
	v_cmp_gt_u32_e32 vcc, 62, v11
	v_add_u32_e32 v15, 2, v11
	s_waitcnt lgkmcnt(0)
	v_cndmask_b32_e64 v14, 0, 2, vcc
	v_add_lshl_u32 v14, v14, v9, 2
	ds_bpermute_b32 v14, v14, v13
	v_cmp_lt_u32_e32 vcc, v15, v12
	s_and_saveexec_b64 s[4:5], vcc
	s_cbranch_execz .LBB685_15
; %bb.14:
	s_movk_i32 s6, 0xcd
	s_waitcnt lgkmcnt(0)
	v_mul_lo_u16_sdwa v13, v14, s6 dst_sel:DWORD dst_unused:UNUSED_PAD src0_sel:BYTE_0 src1_sel:DWORD
	v_lshrrev_b16_e32 v13, 11, v13
	v_mul_lo_u16_e32 v13, 10, v13
	v_sub_u16_e32 v13, v14, v13
	v_mul_lo_u16_sdwa v14, v7, s6 dst_sel:DWORD dst_unused:UNUSED_PAD src0_sel:BYTE_0 src1_sel:DWORD
	v_lshrrev_b16_e32 v14, 11, v14
	v_mul_lo_u16_e32 v14, 10, v14
	v_sub_u16_e32 v7, v7, v14
	v_add_u16_e32 v13, v13, v7
	v_add_u16_e32 v14, -10, v13
	v_min_u16_sdwa v7, v13, v14 dst_sel:DWORD dst_unused:UNUSED_PAD src0_sel:BYTE_0 src1_sel:BYTE_0
	v_min_u16_sdwa v13, v13, v14 dst_sel:DWORD dst_unused:UNUSED_PAD src0_sel:BYTE_0 src1_sel:BYTE_0
.LBB685_15:
	s_or_b64 exec, exec, s[4:5]
	v_cmp_gt_u32_e32 vcc, 60, v11
	v_add_u32_e32 v15, 4, v11
	s_waitcnt lgkmcnt(0)
	v_cndmask_b32_e64 v14, 0, 4, vcc
	v_add_lshl_u32 v14, v14, v9, 2
	ds_bpermute_b32 v14, v14, v13
	;; [unrolled: 26-line block ×4, first 2 shown]
	v_cmp_lt_u32_e32 vcc, v15, v12
	s_and_saveexec_b64 s[4:5], vcc
	s_cbranch_execz .LBB685_21
; %bb.20:
	s_movk_i32 s6, 0xcd
	s_waitcnt lgkmcnt(0)
	v_mul_lo_u16_sdwa v13, v14, s6 dst_sel:DWORD dst_unused:UNUSED_PAD src0_sel:BYTE_0 src1_sel:DWORD
	v_lshrrev_b16_e32 v13, 11, v13
	v_mul_lo_u16_e32 v13, 10, v13
	v_sub_u16_e32 v13, v14, v13
	v_mul_lo_u16_sdwa v14, v7, s6 dst_sel:DWORD dst_unused:UNUSED_PAD src0_sel:BYTE_0 src1_sel:DWORD
	v_lshrrev_b16_e32 v14, 11, v14
	v_mul_lo_u16_e32 v14, 10, v14
	v_sub_u16_e32 v7, v7, v14
	v_add_u16_e32 v13, v13, v7
	v_add_u16_e32 v14, -10, v13
	v_min_u16_sdwa v7, v13, v14 dst_sel:DWORD dst_unused:UNUSED_PAD src0_sel:BYTE_0 src1_sel:BYTE_0
	v_min_u16_sdwa v13, v13, v14 dst_sel:DWORD dst_unused:UNUSED_PAD src0_sel:BYTE_0 src1_sel:BYTE_0
.LBB685_21:
	s_or_b64 exec, exec, s[4:5]
	s_waitcnt lgkmcnt(0)
	v_lshlrev_b32_e32 v14, 2, v9
	v_or_b32_e32 v15, 0x80, v14
	ds_bpermute_b32 v13, v15, v13
	v_add_u32_e32 v11, 32, v11
	v_cmp_lt_u32_e32 vcc, v11, v12
	s_and_saveexec_b64 s[4:5], vcc
	s_cbranch_execz .LBB685_23
; %bb.22:
	s_movk_i32 s6, 0xcd
	s_waitcnt lgkmcnt(0)
	v_mul_lo_u16_sdwa v11, v13, s6 dst_sel:DWORD dst_unused:UNUSED_PAD src0_sel:BYTE_0 src1_sel:DWORD
	v_mul_lo_u16_sdwa v12, v7, s6 dst_sel:DWORD dst_unused:UNUSED_PAD src0_sel:BYTE_0 src1_sel:DWORD
	v_lshrrev_b16_e32 v11, 11, v11
	v_lshrrev_b16_e32 v12, 11, v12
	v_mul_lo_u16_e32 v11, 10, v11
	v_mul_lo_u16_e32 v12, 10, v12
	v_sub_u16_e32 v11, v13, v11
	v_sub_u16_e32 v7, v7, v12
	v_add_u16_e32 v7, v11, v7
	v_add_u16_e32 v11, -10, v7
	v_min_u16_sdwa v7, v7, v11 dst_sel:DWORD dst_unused:UNUSED_PAD src0_sel:BYTE_0 src1_sel:BYTE_0
.LBB685_23:
	s_or_b64 exec, exec, s[4:5]
	v_cmp_eq_u32_e32 vcc, 0, v9
	s_and_saveexec_b64 s[4:5], vcc
; %bb.24:
	v_lshrrev_b32_e32 v11, 6, v6
	ds_write_b8 v11, v7
; %bb.25:
	s_or_b64 exec, exec, s[4:5]
	v_cmp_gt_u32_e32 vcc, 4, v6
	s_waitcnt lgkmcnt(0)
	s_barrier
	s_and_saveexec_b64 s[4:5], vcc
	s_cbranch_execz .LBB685_31
; %bb.26:
	ds_read_u8 v7, v9
	v_and_b32_e32 v11, 3, v9
	v_cmp_ne_u32_e32 vcc, 3, v11
	v_add_u32_e32 v8, 63, v8
	v_lshrrev_b32_e32 v8, 6, v8
	v_addc_co_u32_e32 v9, vcc, 0, v9, vcc
	v_lshlrev_b32_e32 v12, 2, v9
	s_waitcnt lgkmcnt(0)
	v_and_b32_e32 v9, 0xff, v7
	ds_bpermute_b32 v12, v12, v9
	v_add_u32_e32 v13, 1, v11
	v_cmp_lt_u32_e32 vcc, v13, v8
	s_and_saveexec_b64 s[6:7], vcc
	s_cbranch_execz .LBB685_28
; %bb.27:
	s_movk_i32 s8, 0xcd
	s_waitcnt lgkmcnt(0)
	v_mul_lo_u16_sdwa v9, v12, s8 dst_sel:DWORD dst_unused:UNUSED_PAD src0_sel:BYTE_0 src1_sel:DWORD
	v_lshrrev_b16_e32 v9, 11, v9
	v_mul_lo_u16_e32 v9, 10, v9
	v_sub_u16_e32 v9, v12, v9
	v_mul_lo_u16_sdwa v12, v7, s8 dst_sel:DWORD dst_unused:UNUSED_PAD src0_sel:BYTE_0 src1_sel:DWORD
	v_lshrrev_b16_e32 v12, 11, v12
	v_mul_lo_u16_e32 v12, 10, v12
	v_sub_u16_e32 v7, v7, v12
	v_add_u16_e32 v9, v9, v7
	v_add_u16_e32 v12, -10, v9
	v_min_u16_sdwa v7, v9, v12 dst_sel:DWORD dst_unused:UNUSED_PAD src0_sel:BYTE_0 src1_sel:BYTE_0
	v_min_u16_sdwa v9, v9, v12 dst_sel:DWORD dst_unused:UNUSED_PAD src0_sel:BYTE_0 src1_sel:BYTE_0
.LBB685_28:
	s_or_b64 exec, exec, s[6:7]
	s_waitcnt lgkmcnt(0)
	v_or_b32_e32 v12, 8, v14
	ds_bpermute_b32 v9, v12, v9
	v_add_u32_e32 v11, 2, v11
	v_cmp_lt_u32_e32 vcc, v11, v8
	s_and_saveexec_b64 s[6:7], vcc
	s_cbranch_execz .LBB685_30
; %bb.29:
	s_movk_i32 s8, 0xcd
	s_waitcnt lgkmcnt(0)
	v_mul_lo_u16_sdwa v8, v9, s8 dst_sel:DWORD dst_unused:UNUSED_PAD src0_sel:BYTE_0 src1_sel:DWORD
	v_lshrrev_b16_e32 v8, 11, v8
	v_mul_lo_u16_e32 v8, 10, v8
	v_sub_u16_e32 v8, v9, v8
	v_mul_lo_u16_sdwa v9, v7, s8 dst_sel:DWORD dst_unused:UNUSED_PAD src0_sel:BYTE_0 src1_sel:DWORD
	v_lshrrev_b16_e32 v9, 11, v9
	v_mul_lo_u16_e32 v9, 10, v9
	v_sub_u16_e32 v7, v7, v9
	v_add_u16_e32 v7, v8, v7
	v_add_u16_e32 v8, -10, v7
	v_min_u16_sdwa v7, v7, v8 dst_sel:DWORD dst_unused:UNUSED_PAD src0_sel:BYTE_0 src1_sel:BYTE_0
.LBB685_30:
	s_or_b64 exec, exec, s[6:7]
.LBB685_31:
	s_or_b64 exec, exec, s[4:5]
	s_or_b64 exec, exec, s[2:3]
	v_cmp_eq_u32_e32 vcc, 0, v6
	s_and_b64 exec, exec, vcc
	s_cbranch_execz .LBB685_35
.LBB685_32:
	v_cmp_ne_u64_e32 vcc, 0, v[4:5]
	s_and_saveexec_b64 s[2:3], vcc
	s_cbranch_execz .LBB685_34
; %bb.33:
	s_movk_i32 s4, 0xcd
	v_mul_lo_u16_sdwa v4, v7, s4 dst_sel:DWORD dst_unused:UNUSED_PAD src0_sel:BYTE_0 src1_sel:DWORD
	v_mul_lo_u16_sdwa v5, v10, s4 dst_sel:DWORD dst_unused:UNUSED_PAD src0_sel:BYTE_0 src1_sel:DWORD
	v_lshrrev_b16_e32 v4, 11, v4
	v_lshrrev_b16_e32 v5, 11, v5
	v_mul_lo_u16_e32 v4, 10, v4
	v_mul_lo_u16_e32 v5, 10, v5
	v_sub_u16_e32 v4, v7, v4
	v_sub_u16_e32 v5, v10, v5
	v_add_u16_e32 v4, v4, v5
	v_add_u16_e32 v5, -10, v4
	v_min_u16_sdwa v10, v4, v5 dst_sel:DWORD dst_unused:UNUSED_PAD src0_sel:BYTE_0 src1_sel:BYTE_0
.LBB685_34:
	s_or_b64 exec, exec, s[2:3]
	v_lshl_add_u64 v[2:3], v[2:3], 0, s[12:13]
	flat_store_byte v[2:3], v10
.LBB685_35:
	s_or_b64 exec, exec, s[0:1]
	flat_load_dwordx2 v[2:3], v[0:1]
	s_waitcnt vmcnt(0) lgkmcnt(0)
	flat_load_dword v2, v[2:3]
	s_waitcnt vmcnt(0) lgkmcnt(0)
	v_cmp_eq_u32_e32 vcc, 2, v2
	s_and_saveexec_b64 s[0:1], vcc
	s_cbranch_execz .LBB685_74
; %bb.36:
	flat_load_dwordx4 v[6:9], v[0:1] offset:8
	flat_load_dwordx4 v[12:15], v[0:1] offset:24
	s_mov_b32 s5, 0
	s_lshl_b32 s4, s12, 9
	s_mov_b32 s13, s5
                                        ; implicit-def: $vgpr11
	s_waitcnt vmcnt(0) lgkmcnt(0)
	flat_load_dwordx2 v[4:5], v[8:9]
	flat_load_dwordx2 v[16:17], v[6:7]
	;; [unrolled: 1-line block ×3, first 2 shown]
	flat_load_ubyte v10, v[14:15]
	v_and_b32_e32 v6, 0x3ff, v31
	s_waitcnt vmcnt(0) lgkmcnt(0)
	v_lshrrev_b64 v[8:9], 9, v[4:5]
	v_cmp_ne_u64_e32 vcc, s[12:13], v[8:9]
	v_lshl_add_u64 v[8:9], v[16:17], 0, s[4:5]
	s_and_saveexec_b64 s[2:3], vcc
	s_xor_b64 s[2:3], exec, s[2:3]
	s_cbranch_execnz .LBB685_39
; %bb.37:
	s_andn2_saveexec_b64 s[2:3], s[2:3]
	s_cbranch_execnz .LBB685_44
.LBB685_38:
	s_or_b64 exec, exec, s[2:3]
	v_cmp_eq_u32_e32 vcc, 0, v6
	s_and_b64 exec, exec, vcc
	s_cbranch_execnz .LBB685_71
	s_branch .LBB685_74
.LBB685_39:
	v_mov_b32_e32 v7, 0
	v_lshl_add_u64 v[8:9], v[8:9], 0, v[6:7]
	flat_load_ubyte v11, v[8:9] offset:256
	flat_load_ubyte v12, v[8:9]
	s_movk_i32 s5, 0xcd
	v_mbcnt_lo_u32_b32 v7, -1, 0
	v_mbcnt_hi_u32_b32 v7, -1, v7
	v_lshlrev_b32_e32 v8, 2, v7
	v_cmp_eq_u32_e32 vcc, 0, v7
	s_waitcnt vmcnt(0) lgkmcnt(0)
	v_mul_lo_u16_e32 v9, 0xcd, v11
	v_mul_lo_u16_e32 v13, 0xcd, v12
	v_lshrrev_b16_e32 v9, 11, v9
	v_lshrrev_b16_e32 v13, 11, v13
	v_mul_lo_u16_e32 v9, 10, v9
	v_mul_lo_u16_e32 v13, 10, v13
	v_sub_u16_e32 v9, v11, v9
	v_sub_u16_e32 v11, v12, v13
	v_add_u16_e32 v9, v9, v11
	v_add_u16_e32 v11, -10, v9
	v_min_u16_sdwa v9, v9, v11 dst_sel:DWORD dst_unused:UNUSED_PAD src0_sel:BYTE_0 src1_sel:BYTE_0
	v_mul_lo_u16_e32 v12, 0xcd, v9
	v_lshrrev_b16_e32 v12, 11, v12
	v_mov_b32_dpp v11, v9 quad_perm:[1,0,3,2] row_mask:0xf bank_mask:0xf bound_ctrl:1
	v_mul_lo_u16_sdwa v13, v11, s5 dst_sel:DWORD dst_unused:UNUSED_PAD src0_sel:BYTE_0 src1_sel:DWORD
	v_mul_lo_u16_e32 v12, 10, v12
	v_lshrrev_b16_e32 v13, 11, v13
	v_sub_u16_e32 v9, v9, v12
	v_mul_lo_u16_e32 v12, 10, v13
	v_sub_u16_e32 v11, v11, v12
	v_add_u16_e32 v9, v11, v9
	v_add_u16_e32 v11, -10, v9
	v_min_u16_sdwa v9, v9, v11 dst_sel:DWORD dst_unused:UNUSED_PAD src0_sel:BYTE_0 src1_sel:BYTE_0
	s_nop 1
	v_mov_b32_dpp v11, v9 quad_perm:[2,3,0,1] row_mask:0xf bank_mask:0xf bound_ctrl:1
	v_mul_lo_u16_sdwa v12, v11, s5 dst_sel:DWORD dst_unused:UNUSED_PAD src0_sel:BYTE_0 src1_sel:DWORD
	v_lshrrev_b16_e32 v12, 11, v12
	v_mul_lo_u16_e32 v12, 10, v12
	v_sub_u16_e32 v11, v11, v12
	v_add_u16_e32 v9, v9, v11
	v_add_u16_e32 v11, -10, v9
	v_min_u16_sdwa v9, v9, v11 dst_sel:DWORD dst_unused:UNUSED_PAD src0_sel:BYTE_0 src1_sel:BYTE_0
	v_mul_lo_u16_e32 v12, 0xcd, v9
	v_lshrrev_b16_e32 v12, 11, v12
	v_mov_b32_dpp v11, v9 row_ror:4 row_mask:0xf bank_mask:0xf bound_ctrl:1
	v_mul_lo_u16_sdwa v13, v11, s5 dst_sel:DWORD dst_unused:UNUSED_PAD src0_sel:BYTE_0 src1_sel:DWORD
	v_mul_lo_u16_e32 v12, 10, v12
	v_lshrrev_b16_e32 v13, 11, v13
	v_sub_u16_e32 v9, v9, v12
	v_mul_lo_u16_e32 v12, 10, v13
	v_sub_u16_e32 v11, v11, v12
	v_add_u16_e32 v9, v9, v11
	v_add_u16_e32 v11, -10, v9
	v_min_u16_sdwa v9, v9, v11 dst_sel:DWORD dst_unused:UNUSED_PAD src0_sel:BYTE_0 src1_sel:BYTE_0
	v_mul_lo_u16_e32 v12, 0xcd, v9
	v_lshrrev_b16_e32 v12, 11, v12
	v_mov_b32_dpp v11, v9 row_ror:8 row_mask:0xf bank_mask:0xf bound_ctrl:1
	v_mul_lo_u16_sdwa v13, v11, s5 dst_sel:DWORD dst_unused:UNUSED_PAD src0_sel:BYTE_0 src1_sel:DWORD
	v_mul_lo_u16_e32 v12, 10, v12
	v_lshrrev_b16_e32 v13, 11, v13
	v_sub_u16_e32 v9, v9, v12
	v_mul_lo_u16_e32 v12, 10, v13
	v_sub_u16_e32 v11, v11, v12
	v_add_u16_e32 v9, v9, v11
	v_add_u16_e32 v11, -10, v9
	v_min_u16_sdwa v9, v9, v11 dst_sel:DWORD dst_unused:UNUSED_PAD src0_sel:BYTE_0 src1_sel:BYTE_0
	v_mul_lo_u16_e32 v12, 0xcd, v9
	v_lshrrev_b16_e32 v12, 11, v12
	v_mov_b32_dpp v11, v9 row_bcast:15 row_mask:0xf bank_mask:0xf bound_ctrl:1
	v_mul_lo_u16_sdwa v13, v11, s5 dst_sel:DWORD dst_unused:UNUSED_PAD src0_sel:BYTE_0 src1_sel:DWORD
	v_mul_lo_u16_e32 v12, 10, v12
	v_lshrrev_b16_e32 v13, 11, v13
	v_sub_u16_e32 v9, v9, v12
	v_mul_lo_u16_e32 v12, 10, v13
	v_sub_u16_e32 v11, v11, v12
	v_add_u16_e32 v9, v9, v11
	v_add_u16_e32 v11, -10, v9
	v_min_u16_sdwa v9, v9, v11 dst_sel:DWORD dst_unused:UNUSED_PAD src0_sel:BYTE_0 src1_sel:BYTE_0
	v_mul_lo_u16_e32 v12, 0xcd, v9
	v_lshrrev_b16_e32 v12, 11, v12
	v_mov_b32_dpp v11, v9 row_bcast:31 row_mask:0xf bank_mask:0xf bound_ctrl:1
	v_mul_lo_u16_sdwa v13, v11, s5 dst_sel:DWORD dst_unused:UNUSED_PAD src0_sel:BYTE_0 src1_sel:DWORD
	v_mul_lo_u16_e32 v12, 10, v12
	v_lshrrev_b16_e32 v13, 11, v13
	v_sub_u16_e32 v9, v9, v12
	v_mul_lo_u16_e32 v12, 10, v13
	v_sub_u16_e32 v11, v11, v12
	v_add_u16_e32 v9, v9, v11
	v_add_u16_e32 v11, -10, v9
	v_or_b32_e32 v12, 0xfc, v8
	v_min_u16_sdwa v9, v9, v11 dst_sel:DWORD dst_unused:UNUSED_PAD src0_sel:BYTE_0 src1_sel:BYTE_0
	ds_bpermute_b32 v11, v12, v9
	s_and_saveexec_b64 s[6:7], vcc
	s_cbranch_execz .LBB685_41
; %bb.40:
	v_lshrrev_b32_e32 v9, 6, v6
	s_waitcnt lgkmcnt(0)
	ds_write_b8 v9, v11 offset:16
.LBB685_41:
	s_or_b64 exec, exec, s[6:7]
	v_cmp_gt_u32_e32 vcc, 64, v6
	s_waitcnt lgkmcnt(0)
	s_barrier
	s_and_saveexec_b64 s[6:7], vcc
	s_cbranch_execz .LBB685_43
; %bb.42:
	v_and_b32_e32 v9, 3, v7
	ds_read_u8 v11, v9 offset:16
	v_cmp_ne_u32_e32 vcc, 3, v9
	v_or_b32_e32 v8, 8, v8
	s_waitcnt lgkmcnt(0)
	v_and_b32_e32 v9, 0xffff, v11
	v_addc_co_u32_e32 v7, vcc, 0, v7, vcc
	v_lshlrev_b32_e32 v7, 2, v7
	ds_bpermute_b32 v7, v7, v9
	v_mul_lo_u16_e32 v9, 0xcd, v11
	v_lshrrev_b16_e32 v9, 11, v9
	v_mul_lo_u16_e32 v9, 10, v9
	v_sub_u16_e32 v9, v11, v9
	s_waitcnt lgkmcnt(0)
	v_mul_lo_u16_sdwa v12, v7, s5 dst_sel:DWORD dst_unused:UNUSED_PAD src0_sel:BYTE_0 src1_sel:DWORD
	v_lshrrev_b16_e32 v12, 11, v12
	v_mul_lo_u16_e32 v12, 10, v12
	v_sub_u16_e32 v7, v7, v12
	v_add_u16_e32 v7, v7, v9
	v_add_u16_e32 v9, -10, v7
	v_min_u16_sdwa v7, v7, v9 dst_sel:DWORD dst_unused:UNUSED_PAD src0_sel:BYTE_0 src1_sel:BYTE_0
	ds_bpermute_b32 v8, v8, v7
	s_waitcnt lgkmcnt(0)
	v_mul_lo_u16_sdwa v9, v8, s5 dst_sel:DWORD dst_unused:UNUSED_PAD src0_sel:BYTE_0 src1_sel:DWORD
	v_lshrrev_b16_e32 v9, 11, v9
	v_mul_lo_u16_e32 v9, 10, v9
	v_sub_u16_e32 v8, v8, v9
	v_add_u16_e32 v7, v7, v8
	v_add_u16_e32 v8, -10, v7
	v_min_u16_sdwa v11, v7, v8 dst_sel:DWORD dst_unused:UNUSED_PAD src0_sel:BYTE_0 src1_sel:BYTE_0
.LBB685_43:
	s_or_b64 exec, exec, s[6:7]
                                        ; implicit-def: $vgpr8_vgpr9
	s_andn2_saveexec_b64 s[2:3], s[2:3]
	s_cbranch_execz .LBB685_38
.LBB685_44:
	v_subrev_u32_e32 v12, s4, v4
	v_cmp_lt_u32_e32 vcc, v6, v12
	v_mov_b32_e32 v11, 0
	s_and_saveexec_b64 s[4:5], vcc
	s_cbranch_execz .LBB685_46
; %bb.45:
	v_mov_b32_e32 v7, 0
	v_lshl_add_u64 v[14:15], v[8:9], 0, v[6:7]
	flat_load_ubyte v11, v[14:15]
.LBB685_46:
	s_or_b64 exec, exec, s[4:5]
	v_add_u32_e32 v7, 0x100, v6
	v_cmp_lt_u32_e32 vcc, v7, v12
	s_and_saveexec_b64 s[4:5], vcc
	s_cbranch_execz .LBB685_48
; %bb.47:
	v_mov_b32_e32 v7, 0
	v_lshl_add_u64 v[8:9], v[8:9], 0, v[6:7]
	flat_load_ubyte v7, v[8:9] offset:256
	s_waitcnt vmcnt(0) lgkmcnt(0)
	v_lshlrev_b16_e32 v7, 8, v7
	v_or_b32_e32 v7, v11, v7
	v_and_b32_e32 v11, 0xffff, v7
.LBB685_48:
	s_or_b64 exec, exec, s[4:5]
	s_and_saveexec_b64 s[4:5], vcc
	s_cbranch_execz .LBB685_50
; %bb.49:
	s_movk_i32 s6, 0xcd
	s_waitcnt vmcnt(0) lgkmcnt(0)
	v_mul_lo_u16_sdwa v7, v11, s6 dst_sel:DWORD dst_unused:UNUSED_PAD src0_sel:BYTE_1 src1_sel:DWORD
	v_mul_lo_u16_sdwa v8, v11, s6 dst_sel:DWORD dst_unused:UNUSED_PAD src0_sel:BYTE_0 src1_sel:DWORD
	v_lshrrev_b16_e32 v7, 11, v7
	v_lshrrev_b16_e32 v8, 11, v8
	v_mul_lo_u16_e32 v7, 10, v7
	v_mul_lo_u16_e32 v8, 10, v8
	v_sub_u16_sdwa v7, v11, v7 dst_sel:DWORD dst_unused:UNUSED_PAD src0_sel:BYTE_1 src1_sel:DWORD
	v_sub_u16_e32 v8, v11, v8
	v_add_u16_e32 v7, v8, v7
	v_add_u16_e32 v8, -10, v7
	v_min_u16_sdwa v11, v7, v8 dst_sel:DWORD dst_unused:UNUSED_PAD src0_sel:BYTE_0 src1_sel:BYTE_0
.LBB685_50:
	s_or_b64 exec, exec, s[4:5]
	v_mbcnt_lo_u32_b32 v8, -1, 0
	v_mbcnt_hi_u32_b32 v8, -1, v8
	v_and_b32_e32 v9, 63, v8
	v_cmp_ne_u32_e32 vcc, 63, v9
	v_min_u32_e32 v7, 0x100, v12
	s_waitcnt vmcnt(0) lgkmcnt(0)
	v_and_b32_e32 v13, 0xff, v11
	v_addc_co_u32_e32 v12, vcc, 0, v8, vcc
	v_lshlrev_b32_e32 v12, 2, v12
	ds_bpermute_b32 v14, v12, v13
	v_and_b32_e32 v12, 0x3c0, v6
	v_sub_u32_e64 v12, v7, v12 clamp
	v_add_u32_e32 v15, 1, v9
	v_cmp_lt_u32_e32 vcc, v15, v12
	s_and_saveexec_b64 s[4:5], vcc
	s_xor_b64 s[4:5], exec, s[4:5]
	s_cbranch_execz .LBB685_52
; %bb.51:
	s_movk_i32 s6, 0xcd
	s_waitcnt lgkmcnt(0)
	v_mul_lo_u16_sdwa v13, v14, s6 dst_sel:DWORD dst_unused:UNUSED_PAD src0_sel:BYTE_0 src1_sel:DWORD
	v_lshrrev_b16_e32 v13, 11, v13
	v_mul_lo_u16_e32 v13, 10, v13
	v_sub_u16_e32 v13, v14, v13
	v_mul_lo_u16_sdwa v14, v11, s6 dst_sel:DWORD dst_unused:UNUSED_PAD src0_sel:BYTE_0 src1_sel:DWORD
	v_lshrrev_b16_e32 v14, 11, v14
	v_mul_lo_u16_e32 v14, 10, v14
	v_sub_u16_e32 v11, v11, v14
	v_add_u16_e32 v13, v13, v11
	v_add_u16_e32 v14, -10, v13
	v_min_u16_sdwa v11, v13, v14 dst_sel:DWORD dst_unused:UNUSED_PAD src0_sel:BYTE_0 src1_sel:BYTE_0
	v_min_u16_sdwa v13, v13, v14 dst_sel:DWORD dst_unused:UNUSED_PAD src0_sel:BYTE_0 src1_sel:BYTE_0
.LBB685_52:
	s_or_b64 exec, exec, s[4:5]
	v_cmp_gt_u32_e32 vcc, 62, v9
	v_add_u32_e32 v15, 2, v9
	s_waitcnt lgkmcnt(0)
	v_cndmask_b32_e64 v14, 0, 2, vcc
	v_add_lshl_u32 v14, v14, v8, 2
	ds_bpermute_b32 v14, v14, v13
	v_cmp_lt_u32_e32 vcc, v15, v12
	s_and_saveexec_b64 s[4:5], vcc
	s_cbranch_execz .LBB685_54
; %bb.53:
	s_movk_i32 s6, 0xcd
	s_waitcnt lgkmcnt(0)
	v_mul_lo_u16_sdwa v13, v14, s6 dst_sel:DWORD dst_unused:UNUSED_PAD src0_sel:BYTE_0 src1_sel:DWORD
	v_lshrrev_b16_e32 v13, 11, v13
	v_mul_lo_u16_e32 v13, 10, v13
	v_sub_u16_e32 v13, v14, v13
	v_mul_lo_u16_sdwa v14, v11, s6 dst_sel:DWORD dst_unused:UNUSED_PAD src0_sel:BYTE_0 src1_sel:DWORD
	v_lshrrev_b16_e32 v14, 11, v14
	v_mul_lo_u16_e32 v14, 10, v14
	v_sub_u16_e32 v11, v11, v14
	v_add_u16_e32 v13, v13, v11
	v_add_u16_e32 v14, -10, v13
	v_min_u16_sdwa v11, v13, v14 dst_sel:DWORD dst_unused:UNUSED_PAD src0_sel:BYTE_0 src1_sel:BYTE_0
	v_min_u16_sdwa v13, v13, v14 dst_sel:DWORD dst_unused:UNUSED_PAD src0_sel:BYTE_0 src1_sel:BYTE_0
.LBB685_54:
	s_or_b64 exec, exec, s[4:5]
	v_cmp_gt_u32_e32 vcc, 60, v9
	v_add_u32_e32 v15, 4, v9
	s_waitcnt lgkmcnt(0)
	v_cndmask_b32_e64 v14, 0, 4, vcc
	v_add_lshl_u32 v14, v14, v8, 2
	ds_bpermute_b32 v14, v14, v13
	v_cmp_lt_u32_e32 vcc, v15, v12
	s_and_saveexec_b64 s[4:5], vcc
	;; [unrolled: 26-line block ×4, first 2 shown]
	s_cbranch_execz .LBB685_60
; %bb.59:
	s_movk_i32 s6, 0xcd
	s_waitcnt lgkmcnt(0)
	v_mul_lo_u16_sdwa v13, v14, s6 dst_sel:DWORD dst_unused:UNUSED_PAD src0_sel:BYTE_0 src1_sel:DWORD
	v_lshrrev_b16_e32 v13, 11, v13
	v_mul_lo_u16_e32 v13, 10, v13
	v_sub_u16_e32 v13, v14, v13
	v_mul_lo_u16_sdwa v14, v11, s6 dst_sel:DWORD dst_unused:UNUSED_PAD src0_sel:BYTE_0 src1_sel:DWORD
	v_lshrrev_b16_e32 v14, 11, v14
	v_mul_lo_u16_e32 v14, 10, v14
	v_sub_u16_e32 v11, v11, v14
	v_add_u16_e32 v13, v13, v11
	v_add_u16_e32 v14, -10, v13
	v_min_u16_sdwa v11, v13, v14 dst_sel:DWORD dst_unused:UNUSED_PAD src0_sel:BYTE_0 src1_sel:BYTE_0
	v_min_u16_sdwa v13, v13, v14 dst_sel:DWORD dst_unused:UNUSED_PAD src0_sel:BYTE_0 src1_sel:BYTE_0
.LBB685_60:
	s_or_b64 exec, exec, s[4:5]
	s_waitcnt lgkmcnt(0)
	v_lshlrev_b32_e32 v14, 2, v8
	v_or_b32_e32 v15, 0x80, v14
	ds_bpermute_b32 v13, v15, v13
	v_add_u32_e32 v9, 32, v9
	v_cmp_lt_u32_e32 vcc, v9, v12
	s_and_saveexec_b64 s[4:5], vcc
	s_cbranch_execz .LBB685_62
; %bb.61:
	s_movk_i32 s6, 0xcd
	s_waitcnt lgkmcnt(0)
	v_mul_lo_u16_sdwa v9, v13, s6 dst_sel:DWORD dst_unused:UNUSED_PAD src0_sel:BYTE_0 src1_sel:DWORD
	v_mul_lo_u16_sdwa v12, v11, s6 dst_sel:DWORD dst_unused:UNUSED_PAD src0_sel:BYTE_0 src1_sel:DWORD
	v_lshrrev_b16_e32 v9, 11, v9
	v_lshrrev_b16_e32 v12, 11, v12
	v_mul_lo_u16_e32 v9, 10, v9
	v_mul_lo_u16_e32 v12, 10, v12
	v_sub_u16_e32 v9, v13, v9
	v_sub_u16_e32 v11, v11, v12
	v_add_u16_e32 v9, v9, v11
	v_add_u16_e32 v11, -10, v9
	v_min_u16_sdwa v11, v9, v11 dst_sel:DWORD dst_unused:UNUSED_PAD src0_sel:BYTE_0 src1_sel:BYTE_0
.LBB685_62:
	s_or_b64 exec, exec, s[4:5]
	v_cmp_eq_u32_e32 vcc, 0, v8
	s_and_saveexec_b64 s[4:5], vcc
; %bb.63:
	v_lshrrev_b32_e32 v9, 6, v6
	ds_write_b8 v9, v11
; %bb.64:
	s_or_b64 exec, exec, s[4:5]
	v_cmp_gt_u32_e32 vcc, 4, v6
	s_waitcnt lgkmcnt(0)
	s_barrier
	s_and_saveexec_b64 s[4:5], vcc
	s_cbranch_execz .LBB685_70
; %bb.65:
	ds_read_u8 v11, v8
	v_and_b32_e32 v9, 3, v8
	v_cmp_ne_u32_e32 vcc, 3, v9
	v_add_u32_e32 v7, 63, v7
	v_lshrrev_b32_e32 v7, 6, v7
	v_addc_co_u32_e32 v8, vcc, 0, v8, vcc
	v_lshlrev_b32_e32 v12, 2, v8
	s_waitcnt lgkmcnt(0)
	v_and_b32_e32 v8, 0xff, v11
	ds_bpermute_b32 v12, v12, v8
	v_add_u32_e32 v13, 1, v9
	v_cmp_lt_u32_e32 vcc, v13, v7
	s_and_saveexec_b64 s[6:7], vcc
	s_cbranch_execz .LBB685_67
; %bb.66:
	s_movk_i32 s8, 0xcd
	s_waitcnt lgkmcnt(0)
	v_mul_lo_u16_sdwa v8, v12, s8 dst_sel:DWORD dst_unused:UNUSED_PAD src0_sel:BYTE_0 src1_sel:DWORD
	v_lshrrev_b16_e32 v8, 11, v8
	v_mul_lo_u16_e32 v8, 10, v8
	v_sub_u16_e32 v8, v12, v8
	v_mul_lo_u16_sdwa v12, v11, s8 dst_sel:DWORD dst_unused:UNUSED_PAD src0_sel:BYTE_0 src1_sel:DWORD
	v_lshrrev_b16_e32 v12, 11, v12
	v_mul_lo_u16_e32 v12, 10, v12
	v_sub_u16_e32 v11, v11, v12
	v_add_u16_e32 v8, v8, v11
	v_add_u16_e32 v12, -10, v8
	v_min_u16_sdwa v11, v8, v12 dst_sel:DWORD dst_unused:UNUSED_PAD src0_sel:BYTE_0 src1_sel:BYTE_0
	v_min_u16_sdwa v8, v8, v12 dst_sel:DWORD dst_unused:UNUSED_PAD src0_sel:BYTE_0 src1_sel:BYTE_0
.LBB685_67:
	s_or_b64 exec, exec, s[6:7]
	s_waitcnt lgkmcnt(0)
	v_or_b32_e32 v12, 8, v14
	ds_bpermute_b32 v8, v12, v8
	v_add_u32_e32 v9, 2, v9
	v_cmp_lt_u32_e32 vcc, v9, v7
	s_and_saveexec_b64 s[6:7], vcc
	s_cbranch_execz .LBB685_69
; %bb.68:
	s_movk_i32 s8, 0xcd
	s_waitcnt lgkmcnt(0)
	v_mul_lo_u16_sdwa v7, v8, s8 dst_sel:DWORD dst_unused:UNUSED_PAD src0_sel:BYTE_0 src1_sel:DWORD
	v_lshrrev_b16_e32 v7, 11, v7
	v_mul_lo_u16_e32 v7, 10, v7
	v_sub_u16_e32 v7, v8, v7
	v_mul_lo_u16_sdwa v8, v11, s8 dst_sel:DWORD dst_unused:UNUSED_PAD src0_sel:BYTE_0 src1_sel:DWORD
	v_lshrrev_b16_e32 v8, 11, v8
	v_mul_lo_u16_e32 v8, 10, v8
	v_sub_u16_e32 v8, v11, v8
	v_add_u16_e32 v7, v7, v8
	v_add_u16_e32 v8, -10, v7
	v_min_u16_sdwa v11, v7, v8 dst_sel:DWORD dst_unused:UNUSED_PAD src0_sel:BYTE_0 src1_sel:BYTE_0
.LBB685_69:
	s_or_b64 exec, exec, s[6:7]
.LBB685_70:
	s_or_b64 exec, exec, s[4:5]
	s_or_b64 exec, exec, s[2:3]
	v_cmp_eq_u32_e32 vcc, 0, v6
	s_and_b64 exec, exec, vcc
	s_cbranch_execz .LBB685_74
.LBB685_71:
	v_cmp_ne_u64_e32 vcc, 0, v[4:5]
	s_and_saveexec_b64 s[2:3], vcc
	s_cbranch_execz .LBB685_73
; %bb.72:
	s_movk_i32 s4, 0xcd
	v_mul_lo_u16_sdwa v4, v11, s4 dst_sel:DWORD dst_unused:UNUSED_PAD src0_sel:BYTE_0 src1_sel:DWORD
	v_mul_lo_u16_sdwa v5, v10, s4 dst_sel:DWORD dst_unused:UNUSED_PAD src0_sel:BYTE_0 src1_sel:DWORD
	v_lshrrev_b16_e32 v4, 11, v4
	v_lshrrev_b16_e32 v5, 11, v5
	v_mul_lo_u16_e32 v4, 10, v4
	v_mul_lo_u16_e32 v5, 10, v5
	v_sub_u16_e32 v4, v11, v4
	v_sub_u16_e32 v5, v10, v5
	v_add_u16_e32 v4, v4, v5
	v_add_u16_e32 v5, -10, v4
	v_min_u16_sdwa v10, v4, v5 dst_sel:DWORD dst_unused:UNUSED_PAD src0_sel:BYTE_0 src1_sel:BYTE_0
.LBB685_73:
	s_or_b64 exec, exec, s[2:3]
	v_lshl_add_u64 v[2:3], v[2:3], 0, s[12:13]
	flat_store_byte v[2:3], v10
.LBB685_74:
	s_or_b64 exec, exec, s[0:1]
	flat_load_dwordx2 v[2:3], v[0:1]
	s_waitcnt vmcnt(0) lgkmcnt(0)
	flat_load_dword v2, v[2:3]
	s_waitcnt vmcnt(0) lgkmcnt(0)
	v_cmp_eq_u32_e32 vcc, 4, v2
	s_and_saveexec_b64 s[4:5], vcc
	s_cbranch_execz .LBB685_118
; %bb.75:
	flat_load_dwordx4 v[6:9], v[0:1] offset:8
	flat_load_dwordx4 v[12:15], v[0:1] offset:24
	s_mov_b32 s1, 0
	s_lshl_b32 s0, s12, 10
	s_mov_b32 s13, s1
	s_waitcnt vmcnt(0) lgkmcnt(0)
	flat_load_dwordx2 v[4:5], v[8:9]
	flat_load_dwordx2 v[16:17], v[6:7]
	;; [unrolled: 1-line block ×3, first 2 shown]
	flat_load_ubyte v10, v[14:15]
	v_and_b32_e32 v6, 0x3ff, v31
                                        ; implicit-def: $vgpr7
	s_waitcnt vmcnt(0) lgkmcnt(0)
	v_lshrrev_b64 v[8:9], 10, v[4:5]
	v_cmp_ne_u64_e32 vcc, s[12:13], v[8:9]
	v_lshl_add_u64 v[8:9], v[16:17], 0, s[0:1]
	s_and_saveexec_b64 s[2:3], vcc
	s_xor_b64 s[2:3], exec, s[2:3]
	s_cbranch_execnz .LBB685_78
; %bb.76:
	s_andn2_saveexec_b64 s[6:7], s[2:3]
	s_cbranch_execnz .LBB685_83
.LBB685_77:
	s_or_b64 exec, exec, s[6:7]
	v_cmp_eq_u32_e32 vcc, 0, v6
	s_and_b64 exec, exec, vcc
	s_cbranch_execnz .LBB685_115
	s_branch .LBB685_118
.LBB685_78:
	v_mov_b32_e32 v7, 0
	v_lshl_add_u64 v[8:9], v[8:9], 0, v[6:7]
	flat_load_ubyte v7, v[8:9] offset:256
	flat_load_ubyte v11, v[8:9]
	flat_load_ubyte v12, v[8:9] offset:512
	flat_load_ubyte v13, v[8:9] offset:768
	s_movk_i32 s1, 0xcd
	v_mbcnt_lo_u32_b32 v8, -1, 0
	v_mbcnt_hi_u32_b32 v8, -1, v8
	v_lshlrev_b32_e32 v9, 2, v8
	v_cmp_eq_u32_e32 vcc, 0, v8
	s_waitcnt vmcnt(0) lgkmcnt(0)
	v_mul_lo_u16_e32 v14, 0xcd, v7
	v_mul_lo_u16_e32 v15, 0xcd, v11
	v_lshrrev_b16_e32 v14, 11, v14
	v_lshrrev_b16_e32 v15, 11, v15
	v_mul_lo_u16_e32 v14, 10, v14
	v_mul_lo_u16_e32 v15, 10, v15
	v_sub_u16_e32 v7, v7, v14
	v_sub_u16_e32 v11, v11, v15
	v_add_u16_e32 v7, v7, v11
	v_add_u16_e32 v11, -10, v7
	v_min_u16_sdwa v7, v7, v11 dst_sel:DWORD dst_unused:UNUSED_PAD src0_sel:BYTE_0 src1_sel:BYTE_0
	v_mul_lo_u16_e32 v16, 0xcd, v12
	v_mul_lo_u16_e32 v11, 0xcd, v7
	v_lshrrev_b16_e32 v16, 11, v16
	v_lshrrev_b16_e32 v11, 11, v11
	v_mul_lo_u16_e32 v16, 10, v16
	v_mul_lo_u16_e32 v11, 10, v11
	v_sub_u16_e32 v12, v12, v16
	v_sub_u16_e32 v7, v7, v11
	v_add_u16_e32 v7, v7, v12
	v_add_u16_e32 v11, -10, v7
	v_min_u16_sdwa v7, v7, v11 dst_sel:DWORD dst_unused:UNUSED_PAD src0_sel:BYTE_0 src1_sel:BYTE_0
	v_mul_lo_u16_e32 v17, 0xcd, v13
	v_mul_lo_u16_e32 v11, 0xcd, v7
	v_lshrrev_b16_e32 v17, 11, v17
	v_lshrrev_b16_e32 v11, 11, v11
	v_mul_lo_u16_e32 v17, 10, v17
	v_mul_lo_u16_e32 v11, 10, v11
	v_sub_u16_e32 v13, v13, v17
	v_sub_u16_e32 v7, v7, v11
	v_add_u16_e32 v7, v7, v13
	v_add_u16_e32 v11, -10, v7
	v_min_u16_sdwa v7, v7, v11 dst_sel:DWORD dst_unused:UNUSED_PAD src0_sel:BYTE_0 src1_sel:BYTE_0
	v_mul_lo_u16_e32 v12, 0xcd, v7
	v_lshrrev_b16_e32 v12, 11, v12
	v_mov_b32_dpp v11, v7 quad_perm:[1,0,3,2] row_mask:0xf bank_mask:0xf bound_ctrl:1
	v_mul_lo_u16_sdwa v13, v11, s1 dst_sel:DWORD dst_unused:UNUSED_PAD src0_sel:BYTE_0 src1_sel:DWORD
	v_mul_lo_u16_e32 v12, 10, v12
	v_lshrrev_b16_e32 v13, 11, v13
	v_sub_u16_e32 v7, v7, v12
	v_mul_lo_u16_e32 v12, 10, v13
	v_sub_u16_e32 v11, v11, v12
	v_add_u16_e32 v7, v7, v11
	v_add_u16_e32 v11, -10, v7
	v_min_u16_sdwa v7, v7, v11 dst_sel:DWORD dst_unused:UNUSED_PAD src0_sel:BYTE_0 src1_sel:BYTE_0
	s_nop 1
	v_mov_b32_dpp v11, v7 quad_perm:[2,3,0,1] row_mask:0xf bank_mask:0xf bound_ctrl:1
	v_mul_lo_u16_sdwa v12, v11, s1 dst_sel:DWORD dst_unused:UNUSED_PAD src0_sel:BYTE_0 src1_sel:DWORD
	v_lshrrev_b16_e32 v12, 11, v12
	v_mul_lo_u16_e32 v12, 10, v12
	v_sub_u16_e32 v11, v11, v12
	v_add_u16_e32 v7, v7, v11
	v_add_u16_e32 v11, -10, v7
	v_min_u16_sdwa v7, v7, v11 dst_sel:DWORD dst_unused:UNUSED_PAD src0_sel:BYTE_0 src1_sel:BYTE_0
	v_mul_lo_u16_e32 v12, 0xcd, v7
	v_lshrrev_b16_e32 v12, 11, v12
	v_mov_b32_dpp v11, v7 row_ror:4 row_mask:0xf bank_mask:0xf bound_ctrl:1
	v_mul_lo_u16_sdwa v13, v11, s1 dst_sel:DWORD dst_unused:UNUSED_PAD src0_sel:BYTE_0 src1_sel:DWORD
	v_mul_lo_u16_e32 v12, 10, v12
	v_lshrrev_b16_e32 v13, 11, v13
	v_sub_u16_e32 v7, v7, v12
	v_mul_lo_u16_e32 v12, 10, v13
	v_sub_u16_e32 v11, v11, v12
	v_add_u16_e32 v7, v7, v11
	v_add_u16_e32 v11, -10, v7
	v_min_u16_sdwa v7, v7, v11 dst_sel:DWORD dst_unused:UNUSED_PAD src0_sel:BYTE_0 src1_sel:BYTE_0
	v_mul_lo_u16_e32 v12, 0xcd, v7
	v_lshrrev_b16_e32 v12, 11, v12
	v_mov_b32_dpp v11, v7 row_ror:8 row_mask:0xf bank_mask:0xf bound_ctrl:1
	v_mul_lo_u16_sdwa v13, v11, s1 dst_sel:DWORD dst_unused:UNUSED_PAD src0_sel:BYTE_0 src1_sel:DWORD
	v_mul_lo_u16_e32 v12, 10, v12
	v_lshrrev_b16_e32 v13, 11, v13
	v_sub_u16_e32 v7, v7, v12
	v_mul_lo_u16_e32 v12, 10, v13
	v_sub_u16_e32 v11, v11, v12
	v_add_u16_e32 v7, v7, v11
	v_add_u16_e32 v11, -10, v7
	v_min_u16_sdwa v7, v7, v11 dst_sel:DWORD dst_unused:UNUSED_PAD src0_sel:BYTE_0 src1_sel:BYTE_0
	v_mul_lo_u16_e32 v12, 0xcd, v7
	v_lshrrev_b16_e32 v12, 11, v12
	v_mov_b32_dpp v11, v7 row_bcast:15 row_mask:0xf bank_mask:0xf bound_ctrl:1
	v_mul_lo_u16_sdwa v13, v11, s1 dst_sel:DWORD dst_unused:UNUSED_PAD src0_sel:BYTE_0 src1_sel:DWORD
	v_mul_lo_u16_e32 v12, 10, v12
	v_lshrrev_b16_e32 v13, 11, v13
	v_sub_u16_e32 v7, v7, v12
	v_mul_lo_u16_e32 v12, 10, v13
	v_sub_u16_e32 v11, v11, v12
	v_add_u16_e32 v7, v7, v11
	v_add_u16_e32 v11, -10, v7
	v_min_u16_sdwa v7, v7, v11 dst_sel:DWORD dst_unused:UNUSED_PAD src0_sel:BYTE_0 src1_sel:BYTE_0
	v_mul_lo_u16_e32 v12, 0xcd, v7
	v_lshrrev_b16_e32 v12, 11, v12
	v_mov_b32_dpp v11, v7 row_bcast:31 row_mask:0xf bank_mask:0xf bound_ctrl:1
	v_mul_lo_u16_sdwa v13, v11, s1 dst_sel:DWORD dst_unused:UNUSED_PAD src0_sel:BYTE_0 src1_sel:DWORD
	v_mul_lo_u16_e32 v12, 10, v12
	v_lshrrev_b16_e32 v13, 11, v13
	v_sub_u16_e32 v7, v7, v12
	v_mul_lo_u16_e32 v12, 10, v13
	v_sub_u16_e32 v11, v11, v12
	v_add_u16_e32 v7, v7, v11
	v_add_u16_e32 v11, -10, v7
	v_or_b32_e32 v12, 0xfc, v9
	v_min_u16_sdwa v7, v7, v11 dst_sel:DWORD dst_unused:UNUSED_PAD src0_sel:BYTE_0 src1_sel:BYTE_0
	ds_bpermute_b32 v7, v12, v7
	s_and_saveexec_b64 s[6:7], vcc
	s_cbranch_execz .LBB685_80
; %bb.79:
	v_lshrrev_b32_e32 v11, 6, v6
	s_waitcnt lgkmcnt(0)
	ds_write_b8 v11, v7 offset:24
.LBB685_80:
	s_or_b64 exec, exec, s[6:7]
	v_cmp_gt_u32_e32 vcc, 64, v6
	s_waitcnt lgkmcnt(0)
	s_barrier
	s_and_saveexec_b64 s[6:7], vcc
	s_cbranch_execz .LBB685_82
; %bb.81:
	v_and_b32_e32 v7, 3, v8
	ds_read_u8 v11, v7 offset:24
	v_cmp_ne_u32_e32 vcc, 3, v7
	s_nop 1
	v_addc_co_u32_e32 v7, vcc, 0, v8, vcc
	v_lshlrev_b32_e32 v7, 2, v7
	s_waitcnt lgkmcnt(0)
	v_and_b32_e32 v8, 0xffff, v11
	ds_bpermute_b32 v7, v7, v8
	v_mul_lo_u16_e32 v8, 0xcd, v11
	v_lshrrev_b16_e32 v8, 11, v8
	v_mul_lo_u16_e32 v8, 10, v8
	v_sub_u16_e32 v8, v11, v8
	s_waitcnt lgkmcnt(0)
	v_mul_lo_u16_sdwa v12, v7, s1 dst_sel:DWORD dst_unused:UNUSED_PAD src0_sel:BYTE_0 src1_sel:DWORD
	v_lshrrev_b16_e32 v12, 11, v12
	v_mul_lo_u16_e32 v12, 10, v12
	v_sub_u16_e32 v7, v7, v12
	v_add_u16_e32 v7, v7, v8
	v_add_u16_e32 v8, -10, v7
	v_min_u16_sdwa v7, v7, v8 dst_sel:DWORD dst_unused:UNUSED_PAD src0_sel:BYTE_0 src1_sel:BYTE_0
	v_or_b32_e32 v8, 8, v9
	ds_bpermute_b32 v8, v8, v7
	s_waitcnt lgkmcnt(0)
	v_mul_lo_u16_sdwa v9, v8, s1 dst_sel:DWORD dst_unused:UNUSED_PAD src0_sel:BYTE_0 src1_sel:DWORD
	v_lshrrev_b16_e32 v9, 11, v9
	v_mul_lo_u16_e32 v9, 10, v9
	v_sub_u16_e32 v8, v8, v9
	v_add_u16_e32 v7, v7, v8
	v_add_u16_e32 v8, -10, v7
	v_min_u16_sdwa v7, v7, v8 dst_sel:DWORD dst_unused:UNUSED_PAD src0_sel:BYTE_0 src1_sel:BYTE_0
.LBB685_82:
	s_or_b64 exec, exec, s[6:7]
                                        ; implicit-def: $vgpr8_vgpr9
	s_andn2_saveexec_b64 s[6:7], s[2:3]
	s_cbranch_execz .LBB685_77
.LBB685_83:
	v_subrev_u32_e32 v11, s0, v4
	v_cmp_lt_u32_e32 vcc, v6, v11
	v_mov_b32_e32 v12, 0
	s_and_saveexec_b64 s[0:1], vcc
	s_cbranch_execz .LBB685_85
; %bb.84:
	v_mov_b32_e32 v7, 0
	v_lshl_add_u64 v[12:13], v[8:9], 0, v[6:7]
	flat_load_ubyte v12, v[12:13]
.LBB685_85:
	s_or_b64 exec, exec, s[0:1]
	v_add_u32_e32 v7, 0x100, v6
	v_cmp_lt_u32_e64 s[2:3], v7, v11
	s_and_saveexec_b64 s[0:1], s[2:3]
	s_cbranch_execz .LBB685_87
; %bb.86:
	v_mov_b32_e32 v7, 0
	v_lshl_add_u64 v[14:15], v[8:9], 0, v[6:7]
	flat_load_ubyte v7, v[14:15] offset:256
	s_waitcnt vmcnt(0) lgkmcnt(0)
	v_lshlrev_b16_e32 v7, 8, v7
	v_or_b32_e32 v7, v12, v7
	v_and_b32_e32 v12, 0xffff, v7
.LBB685_87:
	s_or_b64 exec, exec, s[0:1]
	v_add_u32_e32 v7, 0x200, v6
	v_cmp_lt_u32_e64 s[0:1], v7, v11
	s_and_saveexec_b64 s[8:9], s[0:1]
	s_cbranch_execz .LBB685_89
; %bb.88:
	v_mov_b32_e32 v7, 0
	v_lshl_add_u64 v[14:15], v[8:9], 0, v[6:7]
	flat_load_ubyte v7, v[14:15] offset:512
	s_waitcnt vmcnt(0) lgkmcnt(0)
	v_lshl_or_b32 v12, v7, 16, v12
.LBB685_89:
	s_or_b64 exec, exec, s[8:9]
	v_add_u32_e32 v7, 0x300, v6
	v_cmp_lt_u32_e32 vcc, v7, v11
	s_and_saveexec_b64 s[8:9], vcc
	s_cbranch_execnz .LBB685_1122
; %bb.90:
	s_or_b64 exec, exec, s[8:9]
	s_waitcnt vmcnt(0) lgkmcnt(0)
	v_mov_b32_e32 v7, v12
	s_and_saveexec_b64 s[8:9], s[2:3]
	s_cbranch_execnz .LBB685_1123
.LBB685_91:
	s_or_b64 exec, exec, s[8:9]
	s_and_saveexec_b64 s[2:3], s[0:1]
	s_cbranch_execnz .LBB685_1124
.LBB685_92:
	s_or_b64 exec, exec, s[2:3]
	s_and_saveexec_b64 s[0:1], vcc
	s_cbranch_execz .LBB685_94
.LBB685_93:
	s_movk_i32 s2, 0xcd
	v_mul_lo_u16_sdwa v8, v12, s2 dst_sel:DWORD dst_unused:UNUSED_PAD src0_sel:BYTE_3 src1_sel:DWORD
	v_mul_lo_u16_sdwa v9, v7, s2 dst_sel:DWORD dst_unused:UNUSED_PAD src0_sel:BYTE_0 src1_sel:DWORD
	v_lshrrev_b16_e32 v8, 11, v8
	v_lshrrev_b16_e32 v9, 11, v9
	v_mul_lo_u16_e32 v8, 10, v8
	v_mul_lo_u16_e32 v9, 10, v9
	v_sub_u16_sdwa v8, v12, v8 dst_sel:DWORD dst_unused:UNUSED_PAD src0_sel:BYTE_3 src1_sel:DWORD
	v_sub_u16_e32 v7, v7, v9
	v_add_u16_e32 v7, v7, v8
	v_add_u16_e32 v8, -10, v7
	v_min_u16_sdwa v7, v7, v8 dst_sel:DWORD dst_unused:UNUSED_PAD src0_sel:BYTE_0 src1_sel:BYTE_0
.LBB685_94:
	s_or_b64 exec, exec, s[0:1]
	v_mbcnt_lo_u32_b32 v9, -1, 0
	v_mbcnt_hi_u32_b32 v9, -1, v9
	v_min_u32_e32 v8, 0x100, v11
	v_and_b32_e32 v11, 63, v9
	v_cmp_ne_u32_e32 vcc, 63, v11
	v_and_b32_e32 v13, 0xff, v7
	v_add_u32_e32 v15, 1, v11
	v_addc_co_u32_e32 v12, vcc, 0, v9, vcc
	v_lshlrev_b32_e32 v12, 2, v12
	ds_bpermute_b32 v14, v12, v13
	v_and_b32_e32 v12, 0x3c0, v6
	v_sub_u32_e64 v12, v8, v12 clamp
	v_cmp_lt_u32_e32 vcc, v15, v12
	s_and_saveexec_b64 s[0:1], vcc
	s_xor_b64 s[0:1], exec, s[0:1]
	s_cbranch_execz .LBB685_96
; %bb.95:
	s_movk_i32 s2, 0xcd
	s_waitcnt lgkmcnt(0)
	v_mul_lo_u16_sdwa v13, v14, s2 dst_sel:DWORD dst_unused:UNUSED_PAD src0_sel:BYTE_0 src1_sel:DWORD
	v_lshrrev_b16_e32 v13, 11, v13
	v_mul_lo_u16_e32 v13, 10, v13
	v_sub_u16_e32 v13, v14, v13
	v_mul_lo_u16_sdwa v14, v7, s2 dst_sel:DWORD dst_unused:UNUSED_PAD src0_sel:BYTE_0 src1_sel:DWORD
	v_lshrrev_b16_e32 v14, 11, v14
	v_mul_lo_u16_e32 v14, 10, v14
	v_sub_u16_e32 v7, v7, v14
	v_add_u16_e32 v13, v13, v7
	v_add_u16_e32 v14, -10, v13
	v_min_u16_sdwa v7, v13, v14 dst_sel:DWORD dst_unused:UNUSED_PAD src0_sel:BYTE_0 src1_sel:BYTE_0
	v_min_u16_sdwa v13, v13, v14 dst_sel:DWORD dst_unused:UNUSED_PAD src0_sel:BYTE_0 src1_sel:BYTE_0
.LBB685_96:
	s_or_b64 exec, exec, s[0:1]
	v_cmp_gt_u32_e32 vcc, 62, v11
	v_add_u32_e32 v15, 2, v11
	s_waitcnt lgkmcnt(0)
	v_cndmask_b32_e64 v14, 0, 2, vcc
	v_add_lshl_u32 v14, v14, v9, 2
	ds_bpermute_b32 v14, v14, v13
	v_cmp_lt_u32_e32 vcc, v15, v12
	s_and_saveexec_b64 s[0:1], vcc
	s_cbranch_execz .LBB685_98
; %bb.97:
	s_movk_i32 s2, 0xcd
	s_waitcnt lgkmcnt(0)
	v_mul_lo_u16_sdwa v13, v14, s2 dst_sel:DWORD dst_unused:UNUSED_PAD src0_sel:BYTE_0 src1_sel:DWORD
	v_lshrrev_b16_e32 v13, 11, v13
	v_mul_lo_u16_e32 v13, 10, v13
	v_sub_u16_e32 v13, v14, v13
	v_mul_lo_u16_sdwa v14, v7, s2 dst_sel:DWORD dst_unused:UNUSED_PAD src0_sel:BYTE_0 src1_sel:DWORD
	v_lshrrev_b16_e32 v14, 11, v14
	v_mul_lo_u16_e32 v14, 10, v14
	v_sub_u16_e32 v7, v7, v14
	v_add_u16_e32 v13, v13, v7
	v_add_u16_e32 v14, -10, v13
	v_min_u16_sdwa v7, v13, v14 dst_sel:DWORD dst_unused:UNUSED_PAD src0_sel:BYTE_0 src1_sel:BYTE_0
	v_min_u16_sdwa v13, v13, v14 dst_sel:DWORD dst_unused:UNUSED_PAD src0_sel:BYTE_0 src1_sel:BYTE_0
.LBB685_98:
	s_or_b64 exec, exec, s[0:1]
	v_cmp_gt_u32_e32 vcc, 60, v11
	v_add_u32_e32 v15, 4, v11
	s_waitcnt lgkmcnt(0)
	v_cndmask_b32_e64 v14, 0, 4, vcc
	v_add_lshl_u32 v14, v14, v9, 2
	ds_bpermute_b32 v14, v14, v13
	v_cmp_lt_u32_e32 vcc, v15, v12
	s_and_saveexec_b64 s[0:1], vcc
	s_cbranch_execz .LBB685_100
; %bb.99:
	s_movk_i32 s2, 0xcd
	s_waitcnt lgkmcnt(0)
	v_mul_lo_u16_sdwa v13, v14, s2 dst_sel:DWORD dst_unused:UNUSED_PAD src0_sel:BYTE_0 src1_sel:DWORD
	v_lshrrev_b16_e32 v13, 11, v13
	v_mul_lo_u16_e32 v13, 10, v13
	v_sub_u16_e32 v13, v14, v13
	v_mul_lo_u16_sdwa v14, v7, s2 dst_sel:DWORD dst_unused:UNUSED_PAD src0_sel:BYTE_0 src1_sel:DWORD
	v_lshrrev_b16_e32 v14, 11, v14
	v_mul_lo_u16_e32 v14, 10, v14
	v_sub_u16_e32 v7, v7, v14
	v_add_u16_e32 v13, v13, v7
	v_add_u16_e32 v14, -10, v13
	v_min_u16_sdwa v7, v13, v14 dst_sel:DWORD dst_unused:UNUSED_PAD src0_sel:BYTE_0 src1_sel:BYTE_0
	v_min_u16_sdwa v13, v13, v14 dst_sel:DWORD dst_unused:UNUSED_PAD src0_sel:BYTE_0 src1_sel:BYTE_0
.LBB685_100:
	s_or_b64 exec, exec, s[0:1]
	v_cmp_gt_u32_e32 vcc, 56, v11
	v_add_u32_e32 v15, 8, v11
	s_waitcnt lgkmcnt(0)
	v_cndmask_b32_e64 v14, 0, 8, vcc
	v_add_lshl_u32 v14, v14, v9, 2
	ds_bpermute_b32 v14, v14, v13
	v_cmp_lt_u32_e32 vcc, v15, v12
	s_and_saveexec_b64 s[0:1], vcc
	s_cbranch_execz .LBB685_102
; %bb.101:
	s_movk_i32 s2, 0xcd
	s_waitcnt lgkmcnt(0)
	v_mul_lo_u16_sdwa v13, v14, s2 dst_sel:DWORD dst_unused:UNUSED_PAD src0_sel:BYTE_0 src1_sel:DWORD
	v_lshrrev_b16_e32 v13, 11, v13
	v_mul_lo_u16_e32 v13, 10, v13
	v_sub_u16_e32 v13, v14, v13
	v_mul_lo_u16_sdwa v14, v7, s2 dst_sel:DWORD dst_unused:UNUSED_PAD src0_sel:BYTE_0 src1_sel:DWORD
	v_lshrrev_b16_e32 v14, 11, v14
	v_mul_lo_u16_e32 v14, 10, v14
	v_sub_u16_e32 v7, v7, v14
	v_add_u16_e32 v13, v13, v7
	v_add_u16_e32 v14, -10, v13
	v_min_u16_sdwa v7, v13, v14 dst_sel:DWORD dst_unused:UNUSED_PAD src0_sel:BYTE_0 src1_sel:BYTE_0
	v_min_u16_sdwa v13, v13, v14 dst_sel:DWORD dst_unused:UNUSED_PAD src0_sel:BYTE_0 src1_sel:BYTE_0
.LBB685_102:
	s_or_b64 exec, exec, s[0:1]
	v_cmp_gt_u32_e32 vcc, 48, v11
	v_add_u32_e32 v15, 16, v11
	s_waitcnt lgkmcnt(0)
	v_cndmask_b32_e64 v14, 0, 16, vcc
	v_add_lshl_u32 v14, v14, v9, 2
	ds_bpermute_b32 v14, v14, v13
	v_cmp_lt_u32_e32 vcc, v15, v12
	s_and_saveexec_b64 s[0:1], vcc
	s_cbranch_execz .LBB685_104
; %bb.103:
	s_movk_i32 s2, 0xcd
	s_waitcnt lgkmcnt(0)
	v_mul_lo_u16_sdwa v13, v14, s2 dst_sel:DWORD dst_unused:UNUSED_PAD src0_sel:BYTE_0 src1_sel:DWORD
	v_lshrrev_b16_e32 v13, 11, v13
	v_mul_lo_u16_e32 v13, 10, v13
	v_sub_u16_e32 v13, v14, v13
	v_mul_lo_u16_sdwa v14, v7, s2 dst_sel:DWORD dst_unused:UNUSED_PAD src0_sel:BYTE_0 src1_sel:DWORD
	v_lshrrev_b16_e32 v14, 11, v14
	v_mul_lo_u16_e32 v14, 10, v14
	v_sub_u16_e32 v7, v7, v14
	v_add_u16_e32 v13, v13, v7
	v_add_u16_e32 v14, -10, v13
	v_min_u16_sdwa v7, v13, v14 dst_sel:DWORD dst_unused:UNUSED_PAD src0_sel:BYTE_0 src1_sel:BYTE_0
	v_min_u16_sdwa v13, v13, v14 dst_sel:DWORD dst_unused:UNUSED_PAD src0_sel:BYTE_0 src1_sel:BYTE_0
.LBB685_104:
	s_or_b64 exec, exec, s[0:1]
	s_waitcnt lgkmcnt(0)
	v_lshlrev_b32_e32 v14, 2, v9
	v_or_b32_e32 v15, 0x80, v14
	ds_bpermute_b32 v13, v15, v13
	v_add_u32_e32 v11, 32, v11
	v_cmp_lt_u32_e32 vcc, v11, v12
	s_and_saveexec_b64 s[0:1], vcc
	s_cbranch_execz .LBB685_106
; %bb.105:
	s_movk_i32 s2, 0xcd
	s_waitcnt lgkmcnt(0)
	v_mul_lo_u16_sdwa v11, v13, s2 dst_sel:DWORD dst_unused:UNUSED_PAD src0_sel:BYTE_0 src1_sel:DWORD
	v_mul_lo_u16_sdwa v12, v7, s2 dst_sel:DWORD dst_unused:UNUSED_PAD src0_sel:BYTE_0 src1_sel:DWORD
	v_lshrrev_b16_e32 v11, 11, v11
	v_lshrrev_b16_e32 v12, 11, v12
	v_mul_lo_u16_e32 v11, 10, v11
	v_mul_lo_u16_e32 v12, 10, v12
	v_sub_u16_e32 v11, v13, v11
	v_sub_u16_e32 v7, v7, v12
	v_add_u16_e32 v7, v11, v7
	v_add_u16_e32 v11, -10, v7
	v_min_u16_sdwa v7, v7, v11 dst_sel:DWORD dst_unused:UNUSED_PAD src0_sel:BYTE_0 src1_sel:BYTE_0
.LBB685_106:
	s_or_b64 exec, exec, s[0:1]
	v_cmp_eq_u32_e32 vcc, 0, v9
	s_and_saveexec_b64 s[0:1], vcc
; %bb.107:
	v_lshrrev_b32_e32 v11, 6, v6
	ds_write_b8 v11, v7
; %bb.108:
	s_or_b64 exec, exec, s[0:1]
	v_cmp_gt_u32_e32 vcc, 4, v6
	s_waitcnt lgkmcnt(0)
	s_barrier
	s_and_saveexec_b64 s[0:1], vcc
	s_cbranch_execz .LBB685_114
; %bb.109:
	ds_read_u8 v7, v9
	v_and_b32_e32 v11, 3, v9
	v_cmp_ne_u32_e32 vcc, 3, v11
	v_add_u32_e32 v8, 63, v8
	v_lshrrev_b32_e32 v8, 6, v8
	v_addc_co_u32_e32 v9, vcc, 0, v9, vcc
	v_lshlrev_b32_e32 v12, 2, v9
	s_waitcnt lgkmcnt(0)
	v_and_b32_e32 v9, 0xff, v7
	ds_bpermute_b32 v12, v12, v9
	v_add_u32_e32 v13, 1, v11
	v_cmp_lt_u32_e32 vcc, v13, v8
	s_and_saveexec_b64 s[2:3], vcc
	s_cbranch_execz .LBB685_111
; %bb.110:
	s_movk_i32 s8, 0xcd
	s_waitcnt lgkmcnt(0)
	v_mul_lo_u16_sdwa v9, v12, s8 dst_sel:DWORD dst_unused:UNUSED_PAD src0_sel:BYTE_0 src1_sel:DWORD
	v_lshrrev_b16_e32 v9, 11, v9
	v_mul_lo_u16_e32 v9, 10, v9
	v_sub_u16_e32 v9, v12, v9
	v_mul_lo_u16_sdwa v12, v7, s8 dst_sel:DWORD dst_unused:UNUSED_PAD src0_sel:BYTE_0 src1_sel:DWORD
	v_lshrrev_b16_e32 v12, 11, v12
	v_mul_lo_u16_e32 v12, 10, v12
	v_sub_u16_e32 v7, v7, v12
	v_add_u16_e32 v9, v9, v7
	v_add_u16_e32 v12, -10, v9
	v_min_u16_sdwa v7, v9, v12 dst_sel:DWORD dst_unused:UNUSED_PAD src0_sel:BYTE_0 src1_sel:BYTE_0
	v_min_u16_sdwa v9, v9, v12 dst_sel:DWORD dst_unused:UNUSED_PAD src0_sel:BYTE_0 src1_sel:BYTE_0
.LBB685_111:
	s_or_b64 exec, exec, s[2:3]
	s_waitcnt lgkmcnt(0)
	v_or_b32_e32 v12, 8, v14
	ds_bpermute_b32 v9, v12, v9
	v_add_u32_e32 v11, 2, v11
	v_cmp_lt_u32_e32 vcc, v11, v8
	s_and_saveexec_b64 s[2:3], vcc
	s_cbranch_execz .LBB685_113
; %bb.112:
	s_movk_i32 s8, 0xcd
	s_waitcnt lgkmcnt(0)
	v_mul_lo_u16_sdwa v8, v9, s8 dst_sel:DWORD dst_unused:UNUSED_PAD src0_sel:BYTE_0 src1_sel:DWORD
	v_lshrrev_b16_e32 v8, 11, v8
	v_mul_lo_u16_e32 v8, 10, v8
	v_sub_u16_e32 v8, v9, v8
	v_mul_lo_u16_sdwa v9, v7, s8 dst_sel:DWORD dst_unused:UNUSED_PAD src0_sel:BYTE_0 src1_sel:DWORD
	v_lshrrev_b16_e32 v9, 11, v9
	v_mul_lo_u16_e32 v9, 10, v9
	v_sub_u16_e32 v7, v7, v9
	v_add_u16_e32 v7, v8, v7
	v_add_u16_e32 v8, -10, v7
	v_min_u16_sdwa v7, v7, v8 dst_sel:DWORD dst_unused:UNUSED_PAD src0_sel:BYTE_0 src1_sel:BYTE_0
.LBB685_113:
	s_or_b64 exec, exec, s[2:3]
.LBB685_114:
	s_or_b64 exec, exec, s[0:1]
	s_or_b64 exec, exec, s[6:7]
	v_cmp_eq_u32_e32 vcc, 0, v6
	s_and_b64 exec, exec, vcc
	s_cbranch_execz .LBB685_118
.LBB685_115:
	v_cmp_ne_u64_e32 vcc, 0, v[4:5]
	s_and_saveexec_b64 s[0:1], vcc
	s_cbranch_execz .LBB685_117
; %bb.116:
	s_movk_i32 s2, 0xcd
	v_mul_lo_u16_sdwa v4, v7, s2 dst_sel:DWORD dst_unused:UNUSED_PAD src0_sel:BYTE_0 src1_sel:DWORD
	v_mul_lo_u16_sdwa v5, v10, s2 dst_sel:DWORD dst_unused:UNUSED_PAD src0_sel:BYTE_0 src1_sel:DWORD
	v_lshrrev_b16_e32 v4, 11, v4
	v_lshrrev_b16_e32 v5, 11, v5
	v_mul_lo_u16_e32 v4, 10, v4
	v_mul_lo_u16_e32 v5, 10, v5
	v_sub_u16_e32 v4, v7, v4
	v_sub_u16_e32 v5, v10, v5
	v_add_u16_e32 v4, v4, v5
	v_add_u16_e32 v5, -10, v4
	v_min_u16_sdwa v10, v4, v5 dst_sel:DWORD dst_unused:UNUSED_PAD src0_sel:BYTE_0 src1_sel:BYTE_0
.LBB685_117:
	s_or_b64 exec, exec, s[0:1]
	v_lshl_add_u64 v[2:3], v[2:3], 0, s[12:13]
	flat_store_byte v[2:3], v10
.LBB685_118:
	s_or_b64 exec, exec, s[4:5]
	flat_load_dwordx2 v[2:3], v[0:1]
	s_waitcnt vmcnt(0) lgkmcnt(0)
	flat_load_dword v2, v[2:3]
	s_waitcnt vmcnt(0) lgkmcnt(0)
	v_cmp_eq_u32_e32 vcc, 8, v2
	s_and_saveexec_b64 s[14:15], vcc
	s_cbranch_execz .LBB685_174
; %bb.119:
	flat_load_dwordx4 v[6:9], v[0:1] offset:8
	flat_load_dwordx4 v[14:17], v[0:1] offset:24
	s_mov_b32 s1, 0
	s_lshl_b32 s0, s12, 11
	s_mov_b32 s13, s1
	s_waitcnt vmcnt(0) lgkmcnt(0)
	flat_load_dwordx2 v[4:5], v[8:9]
	flat_load_dwordx2 v[10:11], v[6:7]
	;; [unrolled: 1-line block ×3, first 2 shown]
	flat_load_ubyte v12, v[16:17]
	v_and_b32_e32 v6, 0x3ff, v31
                                        ; implicit-def: $vgpr7
	s_waitcnt vmcnt(0) lgkmcnt(0)
	v_lshrrev_b64 v[8:9], 11, v[4:5]
	v_cmp_ne_u64_e32 vcc, s[12:13], v[8:9]
	v_lshl_add_u64 v[10:11], v[10:11], 0, s[0:1]
	s_and_saveexec_b64 s[2:3], vcc
	s_xor_b64 s[2:3], exec, s[2:3]
	s_cbranch_execnz .LBB685_122
; %bb.120:
	s_andn2_saveexec_b64 s[16:17], s[2:3]
	s_cbranch_execnz .LBB685_127
.LBB685_121:
	s_or_b64 exec, exec, s[16:17]
	v_cmp_eq_u32_e32 vcc, 0, v6
	s_and_b64 exec, exec, vcc
	s_cbranch_execnz .LBB685_171
	s_branch .LBB685_174
.LBB685_122:
	v_mov_b32_e32 v7, 0
	v_lshl_add_u64 v[8:9], v[10:11], 0, v[6:7]
	flat_load_ubyte v7, v[8:9] offset:256
	flat_load_ubyte v10, v[8:9]
	flat_load_ubyte v11, v[8:9] offset:512
	flat_load_ubyte v13, v[8:9] offset:768
	;; [unrolled: 1-line block ×6, first 2 shown]
	s_movk_i32 s1, 0xcd
	v_mbcnt_lo_u32_b32 v8, -1, 0
	v_mbcnt_hi_u32_b32 v8, -1, v8
	v_lshlrev_b32_e32 v9, 2, v8
	v_cmp_eq_u32_e32 vcc, 0, v8
	s_waitcnt vmcnt(0) lgkmcnt(0)
	v_mul_lo_u16_e32 v18, 0xcd, v7
	v_mul_lo_u16_e32 v19, 0xcd, v10
	v_lshrrev_b16_e32 v18, 11, v18
	v_lshrrev_b16_e32 v19, 11, v19
	v_mul_lo_u16_e32 v18, 10, v18
	v_mul_lo_u16_e32 v19, 10, v19
	v_sub_u16_e32 v7, v7, v18
	v_sub_u16_e32 v10, v10, v19
	v_add_u16_e32 v7, v7, v10
	v_add_u16_e32 v10, -10, v7
	v_min_u16_sdwa v7, v7, v10 dst_sel:DWORD dst_unused:UNUSED_PAD src0_sel:BYTE_0 src1_sel:BYTE_0
	v_mul_lo_u16_e32 v20, 0xcd, v11
	v_mul_lo_u16_e32 v10, 0xcd, v7
	v_lshrrev_b16_e32 v20, 11, v20
	v_lshrrev_b16_e32 v10, 11, v10
	v_mul_lo_u16_e32 v20, 10, v20
	v_mul_lo_u16_e32 v10, 10, v10
	v_sub_u16_e32 v11, v11, v20
	v_sub_u16_e32 v7, v7, v10
	v_add_u16_e32 v7, v7, v11
	v_add_u16_e32 v10, -10, v7
	v_min_u16_sdwa v7, v7, v10 dst_sel:DWORD dst_unused:UNUSED_PAD src0_sel:BYTE_0 src1_sel:BYTE_0
	;; [unrolled: 11-line block ×7, first 2 shown]
	v_mul_lo_u16_e32 v11, 0xcd, v7
	v_lshrrev_b16_e32 v11, 11, v11
	v_mov_b32_dpp v10, v7 quad_perm:[1,0,3,2] row_mask:0xf bank_mask:0xf bound_ctrl:1
	v_mul_lo_u16_sdwa v13, v10, s1 dst_sel:DWORD dst_unused:UNUSED_PAD src0_sel:BYTE_0 src1_sel:DWORD
	v_mul_lo_u16_e32 v11, 10, v11
	v_lshrrev_b16_e32 v13, 11, v13
	v_sub_u16_e32 v7, v7, v11
	v_mul_lo_u16_e32 v11, 10, v13
	v_sub_u16_e32 v10, v10, v11
	v_add_u16_e32 v7, v7, v10
	v_add_u16_e32 v10, -10, v7
	v_min_u16_sdwa v7, v7, v10 dst_sel:DWORD dst_unused:UNUSED_PAD src0_sel:BYTE_0 src1_sel:BYTE_0
	s_nop 1
	v_mov_b32_dpp v10, v7 quad_perm:[2,3,0,1] row_mask:0xf bank_mask:0xf bound_ctrl:1
	v_mul_lo_u16_sdwa v11, v10, s1 dst_sel:DWORD dst_unused:UNUSED_PAD src0_sel:BYTE_0 src1_sel:DWORD
	v_lshrrev_b16_e32 v11, 11, v11
	v_mul_lo_u16_e32 v11, 10, v11
	v_sub_u16_e32 v10, v10, v11
	v_add_u16_e32 v7, v7, v10
	v_add_u16_e32 v10, -10, v7
	v_min_u16_sdwa v7, v7, v10 dst_sel:DWORD dst_unused:UNUSED_PAD src0_sel:BYTE_0 src1_sel:BYTE_0
	v_mul_lo_u16_e32 v11, 0xcd, v7
	v_lshrrev_b16_e32 v11, 11, v11
	v_mov_b32_dpp v10, v7 row_ror:4 row_mask:0xf bank_mask:0xf bound_ctrl:1
	v_mul_lo_u16_sdwa v13, v10, s1 dst_sel:DWORD dst_unused:UNUSED_PAD src0_sel:BYTE_0 src1_sel:DWORD
	v_mul_lo_u16_e32 v11, 10, v11
	v_lshrrev_b16_e32 v13, 11, v13
	v_sub_u16_e32 v7, v7, v11
	v_mul_lo_u16_e32 v11, 10, v13
	v_sub_u16_e32 v10, v10, v11
	v_add_u16_e32 v7, v7, v10
	v_add_u16_e32 v10, -10, v7
	v_min_u16_sdwa v7, v7, v10 dst_sel:DWORD dst_unused:UNUSED_PAD src0_sel:BYTE_0 src1_sel:BYTE_0
	v_mul_lo_u16_e32 v11, 0xcd, v7
	v_lshrrev_b16_e32 v11, 11, v11
	v_mov_b32_dpp v10, v7 row_ror:8 row_mask:0xf bank_mask:0xf bound_ctrl:1
	v_mul_lo_u16_sdwa v13, v10, s1 dst_sel:DWORD dst_unused:UNUSED_PAD src0_sel:BYTE_0 src1_sel:DWORD
	v_mul_lo_u16_e32 v11, 10, v11
	v_lshrrev_b16_e32 v13, 11, v13
	v_sub_u16_e32 v7, v7, v11
	v_mul_lo_u16_e32 v11, 10, v13
	v_sub_u16_e32 v10, v10, v11
	v_add_u16_e32 v7, v7, v10
	v_add_u16_e32 v10, -10, v7
	v_min_u16_sdwa v7, v7, v10 dst_sel:DWORD dst_unused:UNUSED_PAD src0_sel:BYTE_0 src1_sel:BYTE_0
	v_mul_lo_u16_e32 v11, 0xcd, v7
	v_lshrrev_b16_e32 v11, 11, v11
	v_mov_b32_dpp v10, v7 row_bcast:15 row_mask:0xf bank_mask:0xf bound_ctrl:1
	v_mul_lo_u16_sdwa v13, v10, s1 dst_sel:DWORD dst_unused:UNUSED_PAD src0_sel:BYTE_0 src1_sel:DWORD
	v_mul_lo_u16_e32 v11, 10, v11
	v_lshrrev_b16_e32 v13, 11, v13
	v_sub_u16_e32 v7, v7, v11
	v_mul_lo_u16_e32 v11, 10, v13
	v_sub_u16_e32 v10, v10, v11
	v_add_u16_e32 v7, v7, v10
	v_add_u16_e32 v10, -10, v7
	v_min_u16_sdwa v7, v7, v10 dst_sel:DWORD dst_unused:UNUSED_PAD src0_sel:BYTE_0 src1_sel:BYTE_0
	v_mul_lo_u16_e32 v11, 0xcd, v7
	v_lshrrev_b16_e32 v11, 11, v11
	v_mov_b32_dpp v10, v7 row_bcast:31 row_mask:0xf bank_mask:0xf bound_ctrl:1
	v_mul_lo_u16_sdwa v13, v10, s1 dst_sel:DWORD dst_unused:UNUSED_PAD src0_sel:BYTE_0 src1_sel:DWORD
	v_mul_lo_u16_e32 v11, 10, v11
	v_lshrrev_b16_e32 v13, 11, v13
	v_sub_u16_e32 v7, v7, v11
	v_mul_lo_u16_e32 v11, 10, v13
	v_sub_u16_e32 v10, v10, v11
	v_add_u16_e32 v7, v7, v10
	v_add_u16_e32 v10, -10, v7
	v_or_b32_e32 v11, 0xfc, v9
	v_min_u16_sdwa v7, v7, v10 dst_sel:DWORD dst_unused:UNUSED_PAD src0_sel:BYTE_0 src1_sel:BYTE_0
	ds_bpermute_b32 v7, v11, v7
	s_and_saveexec_b64 s[4:5], vcc
	s_cbranch_execz .LBB685_124
; %bb.123:
	v_lshrrev_b32_e32 v10, 6, v6
	s_waitcnt lgkmcnt(0)
	ds_write_b8 v10, v7 offset:32
.LBB685_124:
	s_or_b64 exec, exec, s[4:5]
	v_cmp_gt_u32_e32 vcc, 64, v6
	s_waitcnt lgkmcnt(0)
	s_barrier
	s_and_saveexec_b64 s[4:5], vcc
	s_cbranch_execz .LBB685_126
; %bb.125:
	v_and_b32_e32 v7, 3, v8
	ds_read_u8 v10, v7 offset:32
	v_cmp_ne_u32_e32 vcc, 3, v7
	s_nop 1
	v_addc_co_u32_e32 v7, vcc, 0, v8, vcc
	v_lshlrev_b32_e32 v7, 2, v7
	s_waitcnt lgkmcnt(0)
	v_and_b32_e32 v8, 0xffff, v10
	ds_bpermute_b32 v7, v7, v8
	v_mul_lo_u16_e32 v8, 0xcd, v10
	v_lshrrev_b16_e32 v8, 11, v8
	v_mul_lo_u16_e32 v8, 10, v8
	v_sub_u16_e32 v8, v10, v8
	s_waitcnt lgkmcnt(0)
	v_mul_lo_u16_sdwa v11, v7, s1 dst_sel:DWORD dst_unused:UNUSED_PAD src0_sel:BYTE_0 src1_sel:DWORD
	v_lshrrev_b16_e32 v11, 11, v11
	v_mul_lo_u16_e32 v11, 10, v11
	v_sub_u16_e32 v7, v7, v11
	v_add_u16_e32 v7, v7, v8
	v_add_u16_e32 v8, -10, v7
	v_min_u16_sdwa v7, v7, v8 dst_sel:DWORD dst_unused:UNUSED_PAD src0_sel:BYTE_0 src1_sel:BYTE_0
	v_or_b32_e32 v8, 8, v9
	ds_bpermute_b32 v8, v8, v7
	s_waitcnt lgkmcnt(0)
	v_mul_lo_u16_sdwa v9, v8, s1 dst_sel:DWORD dst_unused:UNUSED_PAD src0_sel:BYTE_0 src1_sel:DWORD
	v_lshrrev_b16_e32 v9, 11, v9
	v_mul_lo_u16_e32 v9, 10, v9
	v_sub_u16_e32 v8, v8, v9
	v_add_u16_e32 v7, v7, v8
	v_add_u16_e32 v8, -10, v7
	v_min_u16_sdwa v7, v7, v8 dst_sel:DWORD dst_unused:UNUSED_PAD src0_sel:BYTE_0 src1_sel:BYTE_0
.LBB685_126:
	s_or_b64 exec, exec, s[4:5]
                                        ; implicit-def: $vgpr10_vgpr11
	s_andn2_saveexec_b64 s[16:17], s[2:3]
	s_cbranch_execz .LBB685_121
.LBB685_127:
	v_subrev_u32_e32 v13, s0, v4
	v_mov_b32_e32 v8, 0
	v_cmp_lt_u32_e32 vcc, v6, v13
	s_mov_b32 s2, 0
	v_mov_b32_e32 v9, v8
	s_and_saveexec_b64 s[0:1], vcc
	s_cbranch_execz .LBB685_129
; %bb.128:
	v_mov_b32_e32 v7, v8
	v_lshl_add_u64 v[8:9], v[10:11], 0, v[6:7]
	flat_load_ubyte v7, v[8:9]
	v_mov_b32_e32 v9, s2
	s_waitcnt vmcnt(0) lgkmcnt(0)
	v_and_b32_e32 v8, 0xffff, v7
.LBB685_129:
	s_or_b64 exec, exec, s[0:1]
	v_add_u32_e32 v7, 0x100, v6
	v_cmp_lt_u32_e64 s[0:1], v7, v13
	s_and_saveexec_b64 s[2:3], s[0:1]
	s_cbranch_execz .LBB685_131
; %bb.130:
	v_mov_b32_e32 v7, 0
	v_lshl_add_u64 v[14:15], v[10:11], 0, v[6:7]
	flat_load_ubyte v7, v[14:15] offset:256
	s_mov_b32 s4, 0x7060004
	s_waitcnt vmcnt(0) lgkmcnt(0)
	v_perm_b32 v8, v8, v7, s4
.LBB685_131:
	s_or_b64 exec, exec, s[2:3]
	v_add_u32_e32 v7, 0x200, v6
	v_cmp_lt_u32_e32 vcc, v7, v13
	s_and_saveexec_b64 s[2:3], vcc
	s_cbranch_execz .LBB685_133
; %bb.132:
	v_mov_b32_e32 v7, 0
	v_lshl_add_u64 v[14:15], v[10:11], 0, v[6:7]
	flat_load_ubyte v7, v[14:15] offset:512
	s_mov_b32 s4, 0xc0c0304
	s_waitcnt vmcnt(0) lgkmcnt(0)
	v_perm_b32 v7, v7, v8, s4
	v_lshlrev_b32_e32 v7, 16, v7
	s_mov_b32 s4, 0xffff
	v_and_or_b32 v8, v8, s4, v7
.LBB685_133:
	s_or_b64 exec, exec, s[2:3]
	v_add_u32_e32 v7, 0x300, v6
	v_cmp_lt_u32_e64 s[2:3], v7, v13
	s_and_saveexec_b64 s[4:5], s[2:3]
	s_cbranch_execz .LBB685_135
; %bb.134:
	v_mov_b32_e32 v7, 0
	v_lshl_add_u64 v[14:15], v[10:11], 0, v[6:7]
	flat_load_ubyte v7, v[14:15] offset:768
	s_mov_b32 s6, 0xc0c0006
	s_waitcnt vmcnt(0) lgkmcnt(0)
	v_perm_b32 v7, v8, v7, s6
	v_lshlrev_b32_e32 v7, 16, v7
	s_mov_b32 s6, 0xffff
	v_and_or_b32 v8, v8, s6, v7
.LBB685_135:
	s_or_b64 exec, exec, s[4:5]
	v_or_b32_e32 v7, 0x400, v6
	v_cmp_lt_u32_e64 s[4:5], v7, v13
	s_and_saveexec_b64 s[6:7], s[4:5]
	s_cbranch_execz .LBB685_137
; %bb.136:
	v_mov_b32_e32 v7, 0
	v_lshl_add_u64 v[14:15], v[10:11], 0, v[6:7]
	flat_load_ubyte v7, v[14:15] offset:1024
	s_mov_b32 s8, 0x3020104
	s_waitcnt vmcnt(0) lgkmcnt(0)
	v_perm_b32 v9, v7, v9, s8
.LBB685_137:
	s_or_b64 exec, exec, s[6:7]
	v_add_u32_e32 v7, 0x500, v6
	v_cmp_lt_u32_e64 s[8:9], v7, v13
	s_and_saveexec_b64 s[6:7], s[8:9]
	s_cbranch_execz .LBB685_139
; %bb.138:
	v_mov_b32_e32 v7, 0
	v_lshl_add_u64 v[14:15], v[10:11], 0, v[6:7]
	flat_load_ubyte v7, v[14:15] offset:1280
	s_mov_b32 s10, 0x7060004
	s_waitcnt vmcnt(0) lgkmcnt(0)
	v_perm_b32 v9, v9, v7, s10
.LBB685_139:
	s_or_b64 exec, exec, s[6:7]
	v_add_u32_e32 v7, 0x600, v6
	;; [unrolled: 13-line block ×3, first 2 shown]
	v_cmp_lt_u32_e64 s[6:7], v7, v13
	s_and_saveexec_b64 s[18:19], s[6:7]
	s_cbranch_execnz .LBB685_1125
; %bb.142:
	s_or_b64 exec, exec, s[18:19]
	v_mov_b32_e32 v7, v8
	s_and_saveexec_b64 s[18:19], s[0:1]
	s_cbranch_execnz .LBB685_1126
.LBB685_143:
	s_or_b64 exec, exec, s[18:19]
	s_and_saveexec_b64 s[0:1], vcc
	s_cbranch_execnz .LBB685_1127
.LBB685_144:
	s_or_b64 exec, exec, s[0:1]
	s_and_saveexec_b64 s[0:1], s[2:3]
	s_cbranch_execnz .LBB685_1128
.LBB685_145:
	s_or_b64 exec, exec, s[0:1]
	s_and_saveexec_b64 s[0:1], s[4:5]
	s_cbranch_execnz .LBB685_1129
.LBB685_146:
	s_or_b64 exec, exec, s[0:1]
	s_and_saveexec_b64 s[0:1], s[8:9]
	s_cbranch_execnz .LBB685_1130
.LBB685_147:
	s_or_b64 exec, exec, s[0:1]
	s_and_saveexec_b64 s[0:1], s[10:11]
	s_cbranch_execnz .LBB685_1131
.LBB685_148:
	s_or_b64 exec, exec, s[0:1]
	s_and_saveexec_b64 s[0:1], s[6:7]
	s_cbranch_execz .LBB685_150
.LBB685_149:
	s_movk_i32 s2, 0xcd
	v_mul_lo_u16_sdwa v8, v9, s2 dst_sel:DWORD dst_unused:UNUSED_PAD src0_sel:BYTE_3 src1_sel:DWORD
	v_lshrrev_b16_e32 v8, 11, v8
	v_mul_lo_u16_e32 v8, 10, v8
	v_sub_u16_sdwa v8, v9, v8 dst_sel:DWORD dst_unused:UNUSED_PAD src0_sel:BYTE_3 src1_sel:DWORD
	v_mul_lo_u16_sdwa v9, v7, s2 dst_sel:DWORD dst_unused:UNUSED_PAD src0_sel:BYTE_0 src1_sel:DWORD
	v_lshrrev_b16_e32 v9, 11, v9
	v_mul_lo_u16_e32 v9, 10, v9
	v_sub_u16_e32 v7, v7, v9
	v_add_u16_e32 v7, v7, v8
	v_add_u16_e32 v8, -10, v7
	v_min_u16_sdwa v7, v7, v8 dst_sel:DWORD dst_unused:UNUSED_PAD src0_sel:BYTE_0 src1_sel:BYTE_0
.LBB685_150:
	s_or_b64 exec, exec, s[0:1]
	v_mbcnt_lo_u32_b32 v9, -1, 0
	v_mbcnt_hi_u32_b32 v9, -1, v9
	v_and_b32_e32 v10, 63, v9
	v_cmp_ne_u32_e32 vcc, 63, v10
	v_min_u32_e32 v8, 0x100, v13
	v_and_b32_e32 v13, 0xff, v7
	v_addc_co_u32_e32 v11, vcc, 0, v9, vcc
	v_lshlrev_b32_e32 v11, 2, v11
	ds_bpermute_b32 v14, v11, v13
	v_and_b32_e32 v11, 0x3c0, v6
	v_sub_u32_e64 v11, v8, v11 clamp
	v_add_u32_e32 v15, 1, v10
	v_cmp_lt_u32_e32 vcc, v15, v11
	s_and_saveexec_b64 s[0:1], vcc
	s_xor_b64 s[0:1], exec, s[0:1]
	s_cbranch_execz .LBB685_152
; %bb.151:
	s_movk_i32 s2, 0xcd
	s_waitcnt lgkmcnt(0)
	v_mul_lo_u16_sdwa v13, v14, s2 dst_sel:DWORD dst_unused:UNUSED_PAD src0_sel:BYTE_0 src1_sel:DWORD
	v_lshrrev_b16_e32 v13, 11, v13
	v_mul_lo_u16_e32 v13, 10, v13
	v_sub_u16_e32 v13, v14, v13
	v_mul_lo_u16_sdwa v14, v7, s2 dst_sel:DWORD dst_unused:UNUSED_PAD src0_sel:BYTE_0 src1_sel:DWORD
	v_lshrrev_b16_e32 v14, 11, v14
	v_mul_lo_u16_e32 v14, 10, v14
	v_sub_u16_e32 v7, v7, v14
	v_add_u16_e32 v13, v13, v7
	v_add_u16_e32 v14, -10, v13
	v_min_u16_sdwa v7, v13, v14 dst_sel:DWORD dst_unused:UNUSED_PAD src0_sel:BYTE_0 src1_sel:BYTE_0
	v_min_u16_sdwa v13, v13, v14 dst_sel:DWORD dst_unused:UNUSED_PAD src0_sel:BYTE_0 src1_sel:BYTE_0
.LBB685_152:
	s_or_b64 exec, exec, s[0:1]
	v_cmp_gt_u32_e32 vcc, 62, v10
	v_add_u32_e32 v15, 2, v10
	s_waitcnt lgkmcnt(0)
	v_cndmask_b32_e64 v14, 0, 2, vcc
	v_add_lshl_u32 v14, v14, v9, 2
	ds_bpermute_b32 v14, v14, v13
	v_cmp_lt_u32_e32 vcc, v15, v11
	s_and_saveexec_b64 s[0:1], vcc
	s_cbranch_execz .LBB685_154
; %bb.153:
	s_movk_i32 s2, 0xcd
	s_waitcnt lgkmcnt(0)
	v_mul_lo_u16_sdwa v13, v14, s2 dst_sel:DWORD dst_unused:UNUSED_PAD src0_sel:BYTE_0 src1_sel:DWORD
	v_lshrrev_b16_e32 v13, 11, v13
	v_mul_lo_u16_e32 v13, 10, v13
	v_sub_u16_e32 v13, v14, v13
	v_mul_lo_u16_sdwa v14, v7, s2 dst_sel:DWORD dst_unused:UNUSED_PAD src0_sel:BYTE_0 src1_sel:DWORD
	v_lshrrev_b16_e32 v14, 11, v14
	v_mul_lo_u16_e32 v14, 10, v14
	v_sub_u16_e32 v7, v7, v14
	v_add_u16_e32 v13, v13, v7
	v_add_u16_e32 v14, -10, v13
	v_min_u16_sdwa v7, v13, v14 dst_sel:DWORD dst_unused:UNUSED_PAD src0_sel:BYTE_0 src1_sel:BYTE_0
	v_min_u16_sdwa v13, v13, v14 dst_sel:DWORD dst_unused:UNUSED_PAD src0_sel:BYTE_0 src1_sel:BYTE_0
.LBB685_154:
	s_or_b64 exec, exec, s[0:1]
	v_cmp_gt_u32_e32 vcc, 60, v10
	v_add_u32_e32 v15, 4, v10
	s_waitcnt lgkmcnt(0)
	v_cndmask_b32_e64 v14, 0, 4, vcc
	v_add_lshl_u32 v14, v14, v9, 2
	ds_bpermute_b32 v14, v14, v13
	v_cmp_lt_u32_e32 vcc, v15, v11
	s_and_saveexec_b64 s[0:1], vcc
	;; [unrolled: 26-line block ×4, first 2 shown]
	s_cbranch_execz .LBB685_160
; %bb.159:
	s_movk_i32 s2, 0xcd
	s_waitcnt lgkmcnt(0)
	v_mul_lo_u16_sdwa v13, v14, s2 dst_sel:DWORD dst_unused:UNUSED_PAD src0_sel:BYTE_0 src1_sel:DWORD
	v_lshrrev_b16_e32 v13, 11, v13
	v_mul_lo_u16_e32 v13, 10, v13
	v_sub_u16_e32 v13, v14, v13
	v_mul_lo_u16_sdwa v14, v7, s2 dst_sel:DWORD dst_unused:UNUSED_PAD src0_sel:BYTE_0 src1_sel:DWORD
	v_lshrrev_b16_e32 v14, 11, v14
	v_mul_lo_u16_e32 v14, 10, v14
	v_sub_u16_e32 v7, v7, v14
	v_add_u16_e32 v13, v13, v7
	v_add_u16_e32 v14, -10, v13
	v_min_u16_sdwa v7, v13, v14 dst_sel:DWORD dst_unused:UNUSED_PAD src0_sel:BYTE_0 src1_sel:BYTE_0
	v_min_u16_sdwa v13, v13, v14 dst_sel:DWORD dst_unused:UNUSED_PAD src0_sel:BYTE_0 src1_sel:BYTE_0
.LBB685_160:
	s_or_b64 exec, exec, s[0:1]
	s_waitcnt lgkmcnt(0)
	v_lshlrev_b32_e32 v14, 2, v9
	v_or_b32_e32 v15, 0x80, v14
	ds_bpermute_b32 v13, v15, v13
	v_add_u32_e32 v10, 32, v10
	v_cmp_lt_u32_e32 vcc, v10, v11
	s_and_saveexec_b64 s[0:1], vcc
	s_cbranch_execz .LBB685_162
; %bb.161:
	s_movk_i32 s2, 0xcd
	s_waitcnt lgkmcnt(0)
	v_mul_lo_u16_sdwa v10, v13, s2 dst_sel:DWORD dst_unused:UNUSED_PAD src0_sel:BYTE_0 src1_sel:DWORD
	v_mul_lo_u16_sdwa v11, v7, s2 dst_sel:DWORD dst_unused:UNUSED_PAD src0_sel:BYTE_0 src1_sel:DWORD
	v_lshrrev_b16_e32 v10, 11, v10
	v_lshrrev_b16_e32 v11, 11, v11
	v_mul_lo_u16_e32 v10, 10, v10
	v_mul_lo_u16_e32 v11, 10, v11
	v_sub_u16_e32 v10, v13, v10
	v_sub_u16_e32 v7, v7, v11
	v_add_u16_e32 v7, v10, v7
	v_add_u16_e32 v10, -10, v7
	v_min_u16_sdwa v7, v7, v10 dst_sel:DWORD dst_unused:UNUSED_PAD src0_sel:BYTE_0 src1_sel:BYTE_0
.LBB685_162:
	s_or_b64 exec, exec, s[0:1]
	v_cmp_eq_u32_e32 vcc, 0, v9
	s_and_saveexec_b64 s[0:1], vcc
; %bb.163:
	v_lshrrev_b32_e32 v10, 6, v6
	ds_write_b8 v10, v7
; %bb.164:
	s_or_b64 exec, exec, s[0:1]
	v_cmp_gt_u32_e32 vcc, 4, v6
	s_waitcnt lgkmcnt(0)
	s_barrier
	s_and_saveexec_b64 s[0:1], vcc
	s_cbranch_execz .LBB685_170
; %bb.165:
	ds_read_u8 v7, v9
	v_and_b32_e32 v10, 3, v9
	v_cmp_ne_u32_e32 vcc, 3, v10
	v_add_u32_e32 v8, 63, v8
	v_lshrrev_b32_e32 v8, 6, v8
	v_addc_co_u32_e32 v9, vcc, 0, v9, vcc
	v_lshlrev_b32_e32 v11, 2, v9
	s_waitcnt lgkmcnt(0)
	v_and_b32_e32 v9, 0xff, v7
	ds_bpermute_b32 v11, v11, v9
	v_add_u32_e32 v13, 1, v10
	v_cmp_lt_u32_e32 vcc, v13, v8
	s_and_saveexec_b64 s[2:3], vcc
	s_cbranch_execz .LBB685_167
; %bb.166:
	s_movk_i32 s4, 0xcd
	s_waitcnt lgkmcnt(0)
	v_mul_lo_u16_sdwa v9, v11, s4 dst_sel:DWORD dst_unused:UNUSED_PAD src0_sel:BYTE_0 src1_sel:DWORD
	v_lshrrev_b16_e32 v9, 11, v9
	v_mul_lo_u16_e32 v9, 10, v9
	v_sub_u16_e32 v9, v11, v9
	v_mul_lo_u16_sdwa v11, v7, s4 dst_sel:DWORD dst_unused:UNUSED_PAD src0_sel:BYTE_0 src1_sel:DWORD
	v_lshrrev_b16_e32 v11, 11, v11
	v_mul_lo_u16_e32 v11, 10, v11
	v_sub_u16_e32 v7, v7, v11
	v_add_u16_e32 v9, v9, v7
	v_add_u16_e32 v11, -10, v9
	v_min_u16_sdwa v7, v9, v11 dst_sel:DWORD dst_unused:UNUSED_PAD src0_sel:BYTE_0 src1_sel:BYTE_0
	v_min_u16_sdwa v9, v9, v11 dst_sel:DWORD dst_unused:UNUSED_PAD src0_sel:BYTE_0 src1_sel:BYTE_0
.LBB685_167:
	s_or_b64 exec, exec, s[2:3]
	s_waitcnt lgkmcnt(0)
	v_or_b32_e32 v11, 8, v14
	ds_bpermute_b32 v9, v11, v9
	v_add_u32_e32 v10, 2, v10
	v_cmp_lt_u32_e32 vcc, v10, v8
	s_and_saveexec_b64 s[2:3], vcc
	s_cbranch_execz .LBB685_169
; %bb.168:
	s_movk_i32 s4, 0xcd
	s_waitcnt lgkmcnt(0)
	v_mul_lo_u16_sdwa v8, v9, s4 dst_sel:DWORD dst_unused:UNUSED_PAD src0_sel:BYTE_0 src1_sel:DWORD
	v_lshrrev_b16_e32 v8, 11, v8
	v_mul_lo_u16_e32 v8, 10, v8
	v_sub_u16_e32 v8, v9, v8
	v_mul_lo_u16_sdwa v9, v7, s4 dst_sel:DWORD dst_unused:UNUSED_PAD src0_sel:BYTE_0 src1_sel:DWORD
	v_lshrrev_b16_e32 v9, 11, v9
	v_mul_lo_u16_e32 v9, 10, v9
	v_sub_u16_e32 v7, v7, v9
	v_add_u16_e32 v7, v8, v7
	v_add_u16_e32 v8, -10, v7
	v_min_u16_sdwa v7, v7, v8 dst_sel:DWORD dst_unused:UNUSED_PAD src0_sel:BYTE_0 src1_sel:BYTE_0
.LBB685_169:
	s_or_b64 exec, exec, s[2:3]
.LBB685_170:
	s_or_b64 exec, exec, s[0:1]
	s_or_b64 exec, exec, s[16:17]
	v_cmp_eq_u32_e32 vcc, 0, v6
	s_and_b64 exec, exec, vcc
	s_cbranch_execz .LBB685_174
.LBB685_171:
	v_cmp_ne_u64_e32 vcc, 0, v[4:5]
	s_and_saveexec_b64 s[0:1], vcc
	s_cbranch_execz .LBB685_173
; %bb.172:
	s_movk_i32 s2, 0xcd
	v_mul_lo_u16_sdwa v4, v7, s2 dst_sel:DWORD dst_unused:UNUSED_PAD src0_sel:BYTE_0 src1_sel:DWORD
	v_mul_lo_u16_sdwa v5, v12, s2 dst_sel:DWORD dst_unused:UNUSED_PAD src0_sel:BYTE_0 src1_sel:DWORD
	v_lshrrev_b16_e32 v4, 11, v4
	v_lshrrev_b16_e32 v5, 11, v5
	v_mul_lo_u16_e32 v4, 10, v4
	v_mul_lo_u16_e32 v5, 10, v5
	v_sub_u16_e32 v4, v7, v4
	v_sub_u16_e32 v5, v12, v5
	v_add_u16_e32 v4, v4, v5
	v_add_u16_e32 v5, -10, v4
	v_min_u16_sdwa v12, v4, v5 dst_sel:DWORD dst_unused:UNUSED_PAD src0_sel:BYTE_0 src1_sel:BYTE_0
.LBB685_173:
	s_or_b64 exec, exec, s[0:1]
	v_lshl_add_u64 v[2:3], v[2:3], 0, s[12:13]
	flat_store_byte v[2:3], v12
.LBB685_174:
	s_or_b64 exec, exec, s[14:15]
	flat_load_dwordx2 v[2:3], v[0:1]
	s_waitcnt vmcnt(0) lgkmcnt(0)
	flat_load_dword v2, v[2:3]
	s_waitcnt vmcnt(0) lgkmcnt(0)
	v_cmp_eq_u32_e32 vcc, 16, v2
	s_and_saveexec_b64 s[40:41], vcc
	s_cbranch_execz .LBB685_254
; %bb.175:
	flat_load_dwordx4 v[2:5], v[0:1] offset:8
	flat_load_dwordx4 v[10:13], v[0:1] offset:24
	s_mov_b32 s1, 0
	s_lshl_b32 s0, s12, 12
	s_mov_b32 s13, s1
	s_waitcnt vmcnt(0) lgkmcnt(0)
	flat_load_dwordx2 v[8:9], v[4:5]
	flat_load_dwordx2 v[16:17], v[2:3]
	;; [unrolled: 1-line block ×3, first 2 shown]
	flat_load_ubyte v14, v[12:13]
	v_and_b32_e32 v10, 0x3ff, v31
                                        ; implicit-def: $vgpr11
	s_waitcnt vmcnt(0) lgkmcnt(0)
	v_lshrrev_b64 v[2:3], 12, v[8:9]
	v_cmp_ne_u64_e32 vcc, s[12:13], v[2:3]
	v_lshl_add_u64 v[12:13], v[16:17], 0, s[0:1]
	s_and_saveexec_b64 s[2:3], vcc
	s_xor_b64 s[2:3], exec, s[2:3]
	s_cbranch_execnz .LBB685_178
; %bb.176:
	s_andn2_saveexec_b64 s[42:43], s[2:3]
	s_cbranch_execnz .LBB685_183
.LBB685_177:
	s_or_b64 exec, exec, s[42:43]
	v_cmp_eq_u32_e32 vcc, 0, v10
	s_and_b64 exec, exec, vcc
	s_cbranch_execnz .LBB685_251
	s_branch .LBB685_254
.LBB685_178:
	v_mov_b32_e32 v11, 0
	v_lshl_add_u64 v[2:3], v[12:13], 0, v[10:11]
	flat_load_ubyte v4, v[2:3] offset:256
	flat_load_ubyte v5, v[2:3]
	flat_load_ubyte v11, v[2:3] offset:512
	flat_load_ubyte v12, v[2:3] offset:768
	;; [unrolled: 1-line block ×13, first 2 shown]
	s_nop 0
	flat_load_ubyte v3, v[2:3] offset:3840
	s_movk_i32 s1, 0xcd
	v_mbcnt_lo_u32_b32 v2, -1, 0
	v_mbcnt_hi_u32_b32 v2, -1, v2
	v_cmp_eq_u32_e32 vcc, 0, v2
	s_waitcnt vmcnt(0) lgkmcnt(0)
	v_mul_lo_u16_e32 v25, 0xcd, v4
	v_mul_lo_u16_e32 v26, 0xcd, v5
	v_lshrrev_b16_e32 v25, 11, v25
	v_lshrrev_b16_e32 v26, 11, v26
	v_mul_lo_u16_e32 v25, 10, v25
	v_mul_lo_u16_e32 v26, 10, v26
	v_sub_u16_e32 v4, v4, v25
	v_sub_u16_e32 v5, v5, v26
	v_add_u16_e32 v4, v4, v5
	v_add_u16_e32 v5, -10, v4
	v_min_u16_sdwa v4, v4, v5 dst_sel:DWORD dst_unused:UNUSED_PAD src0_sel:BYTE_0 src1_sel:BYTE_0
	v_mul_lo_u16_e32 v27, 0xcd, v11
	v_mul_lo_u16_e32 v5, 0xcd, v4
	v_lshrrev_b16_e32 v27, 11, v27
	v_lshrrev_b16_e32 v5, 11, v5
	v_mul_lo_u16_e32 v27, 10, v27
	v_mul_lo_u16_e32 v5, 10, v5
	v_sub_u16_e32 v11, v11, v27
	v_sub_u16_e32 v4, v4, v5
	v_add_u16_e32 v4, v4, v11
	v_add_u16_e32 v5, -10, v4
	v_min_u16_sdwa v4, v4, v5 dst_sel:DWORD dst_unused:UNUSED_PAD src0_sel:BYTE_0 src1_sel:BYTE_0
	;; [unrolled: 11-line block ×15, first 2 shown]
	v_mul_lo_u16_e32 v5, 0xcd, v3
	v_lshrrev_b16_e32 v5, 11, v5
	v_mov_b32_dpp v4, v3 quad_perm:[1,0,3,2] row_mask:0xf bank_mask:0xf bound_ctrl:1
	v_mul_lo_u16_e32 v5, 10, v5
	v_sub_u16_e32 v3, v3, v5
	v_mul_lo_u16_sdwa v5, v4, s1 dst_sel:DWORD dst_unused:UNUSED_PAD src0_sel:BYTE_0 src1_sel:DWORD
	v_lshrrev_b16_e32 v5, 11, v5
	v_mul_lo_u16_e32 v5, 10, v5
	v_sub_u16_e32 v4, v4, v5
	v_add_u16_e32 v3, v3, v4
	v_add_u16_e32 v4, -10, v3
	v_min_u16_sdwa v3, v3, v4 dst_sel:DWORD dst_unused:UNUSED_PAD src0_sel:BYTE_0 src1_sel:BYTE_0
	s_nop 1
	v_mov_b32_dpp v4, v3 quad_perm:[2,3,0,1] row_mask:0xf bank_mask:0xf bound_ctrl:1
	v_mul_lo_u16_sdwa v5, v4, s1 dst_sel:DWORD dst_unused:UNUSED_PAD src0_sel:BYTE_0 src1_sel:DWORD
	v_lshrrev_b16_e32 v5, 11, v5
	v_mul_lo_u16_e32 v5, 10, v5
	v_sub_u16_e32 v4, v4, v5
	v_add_u16_e32 v3, v3, v4
	v_add_u16_e32 v4, -10, v3
	v_min_u16_sdwa v3, v3, v4 dst_sel:DWORD dst_unused:UNUSED_PAD src0_sel:BYTE_0 src1_sel:BYTE_0
	v_mul_lo_u16_e32 v5, 0xcd, v3
	v_lshrrev_b16_e32 v5, 11, v5
	v_mov_b32_dpp v4, v3 row_ror:4 row_mask:0xf bank_mask:0xf bound_ctrl:1
	v_mul_lo_u16_e32 v5, 10, v5
	v_sub_u16_e32 v3, v3, v5
	v_mul_lo_u16_sdwa v5, v4, s1 dst_sel:DWORD dst_unused:UNUSED_PAD src0_sel:BYTE_0 src1_sel:DWORD
	v_lshrrev_b16_e32 v5, 11, v5
	v_mul_lo_u16_e32 v5, 10, v5
	v_sub_u16_e32 v4, v4, v5
	v_add_u16_e32 v3, v3, v4
	v_add_u16_e32 v4, -10, v3
	v_min_u16_sdwa v3, v3, v4 dst_sel:DWORD dst_unused:UNUSED_PAD src0_sel:BYTE_0 src1_sel:BYTE_0
	v_mul_lo_u16_e32 v5, 0xcd, v3
	v_lshrrev_b16_e32 v5, 11, v5
	v_mov_b32_dpp v4, v3 row_ror:8 row_mask:0xf bank_mask:0xf bound_ctrl:1
	v_mul_lo_u16_e32 v5, 10, v5
	v_sub_u16_e32 v3, v3, v5
	v_mul_lo_u16_sdwa v5, v4, s1 dst_sel:DWORD dst_unused:UNUSED_PAD src0_sel:BYTE_0 src1_sel:DWORD
	v_lshrrev_b16_e32 v5, 11, v5
	v_mul_lo_u16_e32 v5, 10, v5
	v_sub_u16_e32 v4, v4, v5
	v_add_u16_e32 v3, v3, v4
	v_add_u16_e32 v4, -10, v3
	v_min_u16_sdwa v3, v3, v4 dst_sel:DWORD dst_unused:UNUSED_PAD src0_sel:BYTE_0 src1_sel:BYTE_0
	v_mul_lo_u16_e32 v5, 0xcd, v3
	v_lshrrev_b16_e32 v5, 11, v5
	v_mov_b32_dpp v4, v3 row_bcast:15 row_mask:0xf bank_mask:0xf bound_ctrl:1
	v_mul_lo_u16_e32 v5, 10, v5
	v_sub_u16_e32 v3, v3, v5
	v_mul_lo_u16_sdwa v5, v4, s1 dst_sel:DWORD dst_unused:UNUSED_PAD src0_sel:BYTE_0 src1_sel:DWORD
	v_lshrrev_b16_e32 v5, 11, v5
	v_mul_lo_u16_e32 v5, 10, v5
	v_sub_u16_e32 v4, v4, v5
	v_add_u16_e32 v3, v3, v4
	v_add_u16_e32 v4, -10, v3
	v_min_u16_sdwa v3, v3, v4 dst_sel:DWORD dst_unused:UNUSED_PAD src0_sel:BYTE_0 src1_sel:BYTE_0
	v_mul_lo_u16_e32 v5, 0xcd, v3
	v_lshrrev_b16_e32 v5, 11, v5
	v_mov_b32_dpp v4, v3 row_bcast:31 row_mask:0xf bank_mask:0xf bound_ctrl:1
	v_mul_lo_u16_e32 v5, 10, v5
	v_sub_u16_e32 v3, v3, v5
	v_mul_lo_u16_sdwa v5, v4, s1 dst_sel:DWORD dst_unused:UNUSED_PAD src0_sel:BYTE_0 src1_sel:DWORD
	v_lshrrev_b16_e32 v5, 11, v5
	v_mul_lo_u16_e32 v5, 10, v5
	v_sub_u16_e32 v4, v4, v5
	v_add_u16_e32 v4, v3, v4
	v_add_u16_e32 v5, -10, v4
	v_lshlrev_b32_e32 v3, 2, v2
	v_or_b32_e32 v11, 0xfc, v3
	v_min_u16_sdwa v4, v4, v5 dst_sel:DWORD dst_unused:UNUSED_PAD src0_sel:BYTE_0 src1_sel:BYTE_0
	ds_bpermute_b32 v11, v11, v4
	s_and_saveexec_b64 s[4:5], vcc
	s_cbranch_execz .LBB685_180
; %bb.179:
	v_lshrrev_b32_e32 v4, 6, v10
	s_waitcnt lgkmcnt(0)
	ds_write_b8 v4, v11 offset:8
.LBB685_180:
	s_or_b64 exec, exec, s[4:5]
	v_cmp_gt_u32_e32 vcc, 64, v10
	s_waitcnt lgkmcnt(0)
	s_barrier
	s_and_saveexec_b64 s[4:5], vcc
	s_cbranch_execz .LBB685_182
; %bb.181:
	v_and_b32_e32 v4, 3, v2
	ds_read_u8 v5, v4 offset:8
	v_cmp_ne_u32_e32 vcc, 3, v4
	v_or_b32_e32 v3, 8, v3
	s_waitcnt lgkmcnt(0)
	v_and_b32_e32 v4, 0xffff, v5
	v_addc_co_u32_e32 v2, vcc, 0, v2, vcc
	v_lshlrev_b32_e32 v2, 2, v2
	ds_bpermute_b32 v2, v2, v4
	v_mul_lo_u16_e32 v4, 0xcd, v5
	v_lshrrev_b16_e32 v4, 11, v4
	v_mul_lo_u16_e32 v4, 10, v4
	v_sub_u16_e32 v4, v5, v4
	s_waitcnt lgkmcnt(0)
	v_mul_lo_u16_sdwa v11, v2, s1 dst_sel:DWORD dst_unused:UNUSED_PAD src0_sel:BYTE_0 src1_sel:DWORD
	v_lshrrev_b16_e32 v11, 11, v11
	v_mul_lo_u16_e32 v11, 10, v11
	v_sub_u16_e32 v2, v2, v11
	v_add_u16_e32 v2, v2, v4
	v_add_u16_e32 v4, -10, v2
	v_min_u16_sdwa v2, v2, v4 dst_sel:DWORD dst_unused:UNUSED_PAD src0_sel:BYTE_0 src1_sel:BYTE_0
	ds_bpermute_b32 v3, v3, v2
	s_waitcnt lgkmcnt(0)
	v_mul_lo_u16_sdwa v4, v3, s1 dst_sel:DWORD dst_unused:UNUSED_PAD src0_sel:BYTE_0 src1_sel:DWORD
	v_lshrrev_b16_e32 v4, 11, v4
	v_mul_lo_u16_e32 v4, 10, v4
	v_sub_u16_e32 v3, v3, v4
	v_add_u16_e32 v2, v2, v3
	v_add_u16_e32 v3, -10, v2
	v_min_u16_sdwa v11, v2, v3 dst_sel:DWORD dst_unused:UNUSED_PAD src0_sel:BYTE_0 src1_sel:BYTE_0
.LBB685_182:
	s_or_b64 exec, exec, s[4:5]
                                        ; implicit-def: $vgpr12_vgpr13
	s_andn2_saveexec_b64 s[42:43], s[2:3]
	s_cbranch_execz .LBB685_177
.LBB685_183:
	v_subrev_u32_e32 v15, s0, v8
	v_mov_b32_e32 v2, 0
	v_cmp_lt_u32_e32 vcc, v10, v15
	s_mov_b32 s2, 0
	v_mov_b32_e32 v3, v2
	v_mov_b32_e32 v4, v2
	;; [unrolled: 1-line block ×3, first 2 shown]
	s_and_saveexec_b64 s[0:1], vcc
	s_cbranch_execz .LBB685_185
; %bb.184:
	v_mov_b32_e32 v11, v2
	v_lshl_add_u64 v[4:5], v[12:13], 0, v[10:11]
	flat_load_ubyte v3, v[4:5]
	v_mov_b32_e32 v17, s2
	v_mov_b32_e32 v18, v2
	;; [unrolled: 1-line block ×3, first 2 shown]
	s_waitcnt vmcnt(0) lgkmcnt(0)
	v_and_b32_e32 v16, 0xffff, v3
	v_mov_b64_e32 v[2:3], v[16:17]
	v_mov_b64_e32 v[4:5], v[18:19]
.LBB685_185:
	s_or_b64 exec, exec, s[0:1]
	v_add_u32_e32 v11, 0x100, v10
	v_cmp_lt_u32_e32 vcc, v11, v15
	s_and_saveexec_b64 s[0:1], vcc
	s_cbranch_execz .LBB685_187
; %bb.186:
	v_mov_b32_e32 v11, 0
	v_lshl_add_u64 v[16:17], v[12:13], 0, v[10:11]
	flat_load_ubyte v11, v[16:17] offset:256
	s_mov_b32 s2, 0x7060004
	s_waitcnt vmcnt(0) lgkmcnt(0)
	v_perm_b32 v2, v2, v11, s2
.LBB685_187:
	s_or_b64 exec, exec, s[0:1]
	v_add_u32_e32 v11, 0x200, v10
	v_cmp_lt_u32_e64 s[2:3], v11, v15
	s_and_saveexec_b64 s[0:1], s[2:3]
	s_cbranch_execz .LBB685_189
; %bb.188:
	v_mov_b32_e32 v11, 0
	v_lshl_add_u64 v[16:17], v[12:13], 0, v[10:11]
	flat_load_ubyte v11, v[16:17] offset:512
	s_mov_b32 s4, 0x7000504
	s_waitcnt vmcnt(0) lgkmcnt(0)
	v_perm_b32 v2, v2, v11, s4
.LBB685_189:
	s_or_b64 exec, exec, s[0:1]
	v_add_u32_e32 v11, 0x300, v10
	v_cmp_lt_u32_e64 s[4:5], v11, v15
	s_and_saveexec_b64 s[0:1], s[4:5]
	s_cbranch_execz .LBB685_191
; %bb.190:
	v_mov_b32_e32 v11, 0
	v_lshl_add_u64 v[16:17], v[12:13], 0, v[10:11]
	flat_load_ubyte v11, v[16:17] offset:768
	s_mov_b32 s6, 0x60504
	s_waitcnt vmcnt(0) lgkmcnt(0)
	v_perm_b32 v2, v2, v11, s6
.LBB685_191:
	s_or_b64 exec, exec, s[0:1]
	v_or_b32_e32 v11, 0x400, v10
	v_cmp_lt_u32_e64 s[0:1], v11, v15
	s_and_saveexec_b64 s[6:7], s[0:1]
	s_cbranch_execz .LBB685_193
; %bb.192:
	v_mov_b32_e32 v11, 0
	v_lshl_add_u64 v[16:17], v[12:13], 0, v[10:11]
	flat_load_ubyte v11, v[16:17] offset:1024
	s_mov_b32 s8, 0x3020104
	s_waitcnt vmcnt(0) lgkmcnt(0)
	v_perm_b32 v3, v11, v3, s8
.LBB685_193:
	s_or_b64 exec, exec, s[6:7]
	v_add_u32_e32 v11, 0x500, v10
	v_cmp_lt_u32_e64 s[6:7], v11, v15
	s_and_saveexec_b64 s[8:9], s[6:7]
	s_cbranch_execz .LBB685_195
; %bb.194:
	v_mov_b32_e32 v11, 0
	v_lshl_add_u64 v[16:17], v[12:13], 0, v[10:11]
	flat_load_ubyte v11, v[16:17] offset:1280
	s_mov_b32 s10, 0x7060004
	s_waitcnt vmcnt(0) lgkmcnt(0)
	v_perm_b32 v3, v3, v11, s10
.LBB685_195:
	s_or_b64 exec, exec, s[8:9]
	v_add_u32_e32 v11, 0x600, v10
	v_cmp_lt_u32_e64 s[8:9], v11, v15
	s_and_saveexec_b64 s[10:11], s[8:9]
	s_cbranch_execz .LBB685_197
; %bb.196:
	v_mov_b32_e32 v11, 0
	v_lshl_add_u64 v[16:17], v[12:13], 0, v[10:11]
	flat_load_ubyte v11, v[16:17] offset:1536
	s_mov_b32 s14, 0x7000504
	s_waitcnt vmcnt(0) lgkmcnt(0)
	v_perm_b32 v3, v3, v11, s14
.LBB685_197:
	s_or_b64 exec, exec, s[10:11]
	v_add_u32_e32 v11, 0x700, v10
	v_cmp_lt_u32_e64 s[10:11], v11, v15
	s_and_saveexec_b64 s[14:15], s[10:11]
	s_cbranch_execz .LBB685_199
; %bb.198:
	v_mov_b32_e32 v11, 0
	v_lshl_add_u64 v[16:17], v[12:13], 0, v[10:11]
	flat_load_ubyte v11, v[16:17] offset:1792
	s_mov_b32 s16, 0x60504
	s_waitcnt vmcnt(0) lgkmcnt(0)
	v_perm_b32 v3, v3, v11, s16
.LBB685_199:
	s_or_b64 exec, exec, s[14:15]
	v_or_b32_e32 v11, 0x800, v10
	v_cmp_lt_u32_e64 s[14:15], v11, v15
	s_and_saveexec_b64 s[16:17], s[14:15]
	s_cbranch_execz .LBB685_201
; %bb.200:
	v_mov_b32_e32 v11, 0
	v_lshl_add_u64 v[16:17], v[12:13], 0, v[10:11]
	flat_load_ubyte v11, v[16:17] offset:2048
	s_mov_b32 s18, 0x3020104
	s_waitcnt vmcnt(0) lgkmcnt(0)
	v_perm_b32 v4, v11, v4, s18
.LBB685_201:
	s_or_b64 exec, exec, s[16:17]
	v_add_u32_e32 v11, 0x900, v10
	v_cmp_lt_u32_e64 s[16:17], v11, v15
	s_and_saveexec_b64 s[18:19], s[16:17]
	;; [unrolled: 52-line block ×3, first 2 shown]
	s_cbranch_execz .LBB685_211
; %bb.210:
	v_mov_b32_e32 v11, 0
	v_lshl_add_u64 v[16:17], v[12:13], 0, v[10:11]
	flat_load_ubyte v11, v[16:17] offset:3328
	s_mov_b32 s28, 0x7060004
	s_waitcnt vmcnt(0) lgkmcnt(0)
	v_perm_b32 v5, v5, v11, s28
.LBB685_211:
	s_or_b64 exec, exec, s[26:27]
	v_add_u32_e32 v11, 0xe00, v10
	v_cmp_lt_u32_e64 s[26:27], v11, v15
	s_and_saveexec_b64 s[28:29], s[26:27]
	s_cbranch_execz .LBB685_213
; %bb.212:
	v_mov_b32_e32 v11, 0
	v_lshl_add_u64 v[16:17], v[12:13], 0, v[10:11]
	flat_load_ubyte v11, v[16:17] offset:3584
	s_mov_b32 s44, 0x7000504
	s_waitcnt vmcnt(0) lgkmcnt(0)
	v_perm_b32 v5, v5, v11, s44
.LBB685_213:
	s_or_b64 exec, exec, s[28:29]
	v_add_u32_e32 v11, 0xf00, v10
	v_cmp_lt_u32_e64 s[28:29], v11, v15
	s_and_saveexec_b64 s[44:45], s[28:29]
	s_cbranch_execnz .LBB685_1132
; %bb.214:
	s_or_b64 exec, exec, s[44:45]
	v_mov_b32_e32 v11, v2
	s_and_saveexec_b64 s[44:45], vcc
	s_cbranch_execnz .LBB685_1133
.LBB685_215:
	s_or_b64 exec, exec, s[44:45]
	s_and_saveexec_b64 s[44:45], s[2:3]
	s_cbranch_execnz .LBB685_1134
.LBB685_216:
	s_or_b64 exec, exec, s[44:45]
	s_and_saveexec_b64 s[2:3], s[4:5]
	s_cbranch_execnz .LBB685_1135
.LBB685_217:
	s_or_b64 exec, exec, s[2:3]
	s_and_saveexec_b64 s[2:3], s[0:1]
	s_cbranch_execnz .LBB685_1136
.LBB685_218:
	s_or_b64 exec, exec, s[2:3]
	s_and_saveexec_b64 s[0:1], s[6:7]
	s_cbranch_execnz .LBB685_1137
.LBB685_219:
	s_or_b64 exec, exec, s[0:1]
	s_and_saveexec_b64 s[0:1], s[8:9]
	s_cbranch_execnz .LBB685_1138
.LBB685_220:
	s_or_b64 exec, exec, s[0:1]
	s_and_saveexec_b64 s[0:1], s[10:11]
	s_cbranch_execnz .LBB685_1139
.LBB685_221:
	s_or_b64 exec, exec, s[0:1]
	s_and_saveexec_b64 s[0:1], s[14:15]
	s_cbranch_execnz .LBB685_1140
.LBB685_222:
	s_or_b64 exec, exec, s[0:1]
	s_and_saveexec_b64 s[0:1], s[16:17]
	s_cbranch_execnz .LBB685_1141
.LBB685_223:
	s_or_b64 exec, exec, s[0:1]
	s_and_saveexec_b64 s[0:1], s[20:21]
	s_cbranch_execnz .LBB685_1142
.LBB685_224:
	s_or_b64 exec, exec, s[0:1]
	s_and_saveexec_b64 s[0:1], s[22:23]
	s_cbranch_execnz .LBB685_1143
.LBB685_225:
	s_or_b64 exec, exec, s[0:1]
	s_and_saveexec_b64 s[0:1], s[18:19]
	s_cbranch_execnz .LBB685_1144
.LBB685_226:
	s_or_b64 exec, exec, s[0:1]
	s_and_saveexec_b64 s[0:1], s[24:25]
	s_cbranch_execnz .LBB685_1145
.LBB685_227:
	s_or_b64 exec, exec, s[0:1]
	s_and_saveexec_b64 s[0:1], s[26:27]
	s_cbranch_execnz .LBB685_1146
.LBB685_228:
	s_or_b64 exec, exec, s[0:1]
	s_and_saveexec_b64 s[0:1], s[28:29]
	s_cbranch_execz .LBB685_230
.LBB685_229:
	s_movk_i32 s2, 0xcd
	v_mul_lo_u16_sdwa v2, v5, s2 dst_sel:DWORD dst_unused:UNUSED_PAD src0_sel:BYTE_3 src1_sel:DWORD
	v_mul_lo_u16_sdwa v3, v11, s2 dst_sel:DWORD dst_unused:UNUSED_PAD src0_sel:BYTE_0 src1_sel:DWORD
	v_lshrrev_b16_e32 v2, 11, v2
	v_lshrrev_b16_e32 v3, 11, v3
	v_mul_lo_u16_e32 v2, 10, v2
	v_mul_lo_u16_e32 v3, 10, v3
	v_sub_u16_sdwa v2, v5, v2 dst_sel:DWORD dst_unused:UNUSED_PAD src0_sel:BYTE_3 src1_sel:DWORD
	v_sub_u16_e32 v3, v11, v3
	v_add_u16_e32 v2, v3, v2
	v_add_u16_e32 v3, -10, v2
	v_min_u16_sdwa v11, v2, v3 dst_sel:DWORD dst_unused:UNUSED_PAD src0_sel:BYTE_0 src1_sel:BYTE_0
.LBB685_230:
	s_or_b64 exec, exec, s[0:1]
	v_mbcnt_lo_u32_b32 v3, -1, 0
	v_mbcnt_hi_u32_b32 v3, -1, v3
	v_and_b32_e32 v4, 63, v3
	v_cmp_ne_u32_e32 vcc, 63, v4
	v_and_b32_e32 v12, 0xff, v11
	v_min_u32_e32 v2, 0x100, v15
	v_addc_co_u32_e32 v5, vcc, 0, v3, vcc
	v_lshlrev_b32_e32 v5, 2, v5
	ds_bpermute_b32 v13, v5, v12
	v_and_b32_e32 v5, 0x3c0, v10
	v_sub_u32_e64 v5, v2, v5 clamp
	v_add_u32_e32 v15, 1, v4
	v_cmp_lt_u32_e32 vcc, v15, v5
	s_and_saveexec_b64 s[0:1], vcc
	s_xor_b64 s[0:1], exec, s[0:1]
	s_cbranch_execz .LBB685_232
; %bb.231:
	s_movk_i32 s2, 0xcd
	s_waitcnt lgkmcnt(0)
	v_mul_lo_u16_sdwa v12, v13, s2 dst_sel:DWORD dst_unused:UNUSED_PAD src0_sel:BYTE_0 src1_sel:DWORD
	v_lshrrev_b16_e32 v12, 11, v12
	v_mul_lo_u16_e32 v12, 10, v12
	v_sub_u16_e32 v12, v13, v12
	v_mul_lo_u16_sdwa v13, v11, s2 dst_sel:DWORD dst_unused:UNUSED_PAD src0_sel:BYTE_0 src1_sel:DWORD
	v_lshrrev_b16_e32 v13, 11, v13
	v_mul_lo_u16_e32 v13, 10, v13
	v_sub_u16_e32 v11, v11, v13
	v_add_u16_e32 v12, v12, v11
	v_add_u16_e32 v13, -10, v12
	v_min_u16_sdwa v11, v12, v13 dst_sel:DWORD dst_unused:UNUSED_PAD src0_sel:BYTE_0 src1_sel:BYTE_0
	v_min_u16_sdwa v12, v12, v13 dst_sel:DWORD dst_unused:UNUSED_PAD src0_sel:BYTE_0 src1_sel:BYTE_0
.LBB685_232:
	s_or_b64 exec, exec, s[0:1]
	v_cmp_gt_u32_e32 vcc, 62, v4
	v_add_u32_e32 v15, 2, v4
	s_waitcnt lgkmcnt(0)
	v_cndmask_b32_e64 v13, 0, 2, vcc
	v_add_lshl_u32 v13, v13, v3, 2
	ds_bpermute_b32 v13, v13, v12
	v_cmp_lt_u32_e32 vcc, v15, v5
	s_and_saveexec_b64 s[0:1], vcc
	s_cbranch_execz .LBB685_234
; %bb.233:
	s_movk_i32 s2, 0xcd
	s_waitcnt lgkmcnt(0)
	v_mul_lo_u16_sdwa v12, v13, s2 dst_sel:DWORD dst_unused:UNUSED_PAD src0_sel:BYTE_0 src1_sel:DWORD
	v_lshrrev_b16_e32 v12, 11, v12
	v_mul_lo_u16_e32 v12, 10, v12
	v_sub_u16_e32 v12, v13, v12
	v_mul_lo_u16_sdwa v13, v11, s2 dst_sel:DWORD dst_unused:UNUSED_PAD src0_sel:BYTE_0 src1_sel:DWORD
	v_lshrrev_b16_e32 v13, 11, v13
	v_mul_lo_u16_e32 v13, 10, v13
	v_sub_u16_e32 v11, v11, v13
	v_add_u16_e32 v12, v12, v11
	v_add_u16_e32 v13, -10, v12
	v_min_u16_sdwa v11, v12, v13 dst_sel:DWORD dst_unused:UNUSED_PAD src0_sel:BYTE_0 src1_sel:BYTE_0
	v_min_u16_sdwa v12, v12, v13 dst_sel:DWORD dst_unused:UNUSED_PAD src0_sel:BYTE_0 src1_sel:BYTE_0
.LBB685_234:
	s_or_b64 exec, exec, s[0:1]
	v_cmp_gt_u32_e32 vcc, 60, v4
	v_add_u32_e32 v15, 4, v4
	s_waitcnt lgkmcnt(0)
	v_cndmask_b32_e64 v13, 0, 4, vcc
	v_add_lshl_u32 v13, v13, v3, 2
	ds_bpermute_b32 v13, v13, v12
	v_cmp_lt_u32_e32 vcc, v15, v5
	s_and_saveexec_b64 s[0:1], vcc
	;; [unrolled: 26-line block ×4, first 2 shown]
	s_cbranch_execz .LBB685_240
; %bb.239:
	s_movk_i32 s2, 0xcd
	s_waitcnt lgkmcnt(0)
	v_mul_lo_u16_sdwa v12, v13, s2 dst_sel:DWORD dst_unused:UNUSED_PAD src0_sel:BYTE_0 src1_sel:DWORD
	v_lshrrev_b16_e32 v12, 11, v12
	v_mul_lo_u16_e32 v12, 10, v12
	v_sub_u16_e32 v12, v13, v12
	v_mul_lo_u16_sdwa v13, v11, s2 dst_sel:DWORD dst_unused:UNUSED_PAD src0_sel:BYTE_0 src1_sel:DWORD
	v_lshrrev_b16_e32 v13, 11, v13
	v_mul_lo_u16_e32 v13, 10, v13
	v_sub_u16_e32 v11, v11, v13
	v_add_u16_e32 v12, v12, v11
	v_add_u16_e32 v13, -10, v12
	v_min_u16_sdwa v11, v12, v13 dst_sel:DWORD dst_unused:UNUSED_PAD src0_sel:BYTE_0 src1_sel:BYTE_0
	v_min_u16_sdwa v12, v12, v13 dst_sel:DWORD dst_unused:UNUSED_PAD src0_sel:BYTE_0 src1_sel:BYTE_0
.LBB685_240:
	s_or_b64 exec, exec, s[0:1]
	s_waitcnt lgkmcnt(0)
	v_lshlrev_b32_e32 v13, 2, v3
	v_or_b32_e32 v15, 0x80, v13
	ds_bpermute_b32 v12, v15, v12
	v_add_u32_e32 v4, 32, v4
	v_cmp_lt_u32_e32 vcc, v4, v5
	s_and_saveexec_b64 s[0:1], vcc
	s_cbranch_execz .LBB685_242
; %bb.241:
	s_movk_i32 s2, 0xcd
	s_waitcnt lgkmcnt(0)
	v_mul_lo_u16_sdwa v4, v12, s2 dst_sel:DWORD dst_unused:UNUSED_PAD src0_sel:BYTE_0 src1_sel:DWORD
	v_mul_lo_u16_sdwa v5, v11, s2 dst_sel:DWORD dst_unused:UNUSED_PAD src0_sel:BYTE_0 src1_sel:DWORD
	v_lshrrev_b16_e32 v4, 11, v4
	v_lshrrev_b16_e32 v5, 11, v5
	v_mul_lo_u16_e32 v4, 10, v4
	v_mul_lo_u16_e32 v5, 10, v5
	v_sub_u16_e32 v4, v12, v4
	v_sub_u16_e32 v5, v11, v5
	v_add_u16_e32 v4, v4, v5
	v_add_u16_e32 v5, -10, v4
	v_min_u16_sdwa v11, v4, v5 dst_sel:DWORD dst_unused:UNUSED_PAD src0_sel:BYTE_0 src1_sel:BYTE_0
.LBB685_242:
	s_or_b64 exec, exec, s[0:1]
	v_cmp_eq_u32_e32 vcc, 0, v3
	s_and_saveexec_b64 s[0:1], vcc
; %bb.243:
	v_lshrrev_b32_e32 v4, 6, v10
	ds_write_b8 v4, v11
; %bb.244:
	s_or_b64 exec, exec, s[0:1]
	v_cmp_gt_u32_e32 vcc, 4, v10
	s_waitcnt lgkmcnt(0)
	s_barrier
	s_and_saveexec_b64 s[0:1], vcc
	s_cbranch_execz .LBB685_250
; %bb.245:
	ds_read_u8 v11, v3
	v_and_b32_e32 v4, 3, v3
	v_cmp_ne_u32_e32 vcc, 3, v4
	v_add_u32_e32 v2, 63, v2
	v_lshrrev_b32_e32 v2, 6, v2
	v_addc_co_u32_e32 v3, vcc, 0, v3, vcc
	v_lshlrev_b32_e32 v5, 2, v3
	s_waitcnt lgkmcnt(0)
	v_and_b32_e32 v3, 0xff, v11
	ds_bpermute_b32 v5, v5, v3
	v_add_u32_e32 v12, 1, v4
	v_cmp_lt_u32_e32 vcc, v12, v2
	s_and_saveexec_b64 s[2:3], vcc
	s_cbranch_execz .LBB685_247
; %bb.246:
	s_movk_i32 s4, 0xcd
	s_waitcnt lgkmcnt(0)
	v_mul_lo_u16_sdwa v3, v5, s4 dst_sel:DWORD dst_unused:UNUSED_PAD src0_sel:BYTE_0 src1_sel:DWORD
	v_lshrrev_b16_e32 v3, 11, v3
	v_mul_lo_u16_e32 v3, 10, v3
	v_sub_u16_e32 v3, v5, v3
	v_mul_lo_u16_sdwa v5, v11, s4 dst_sel:DWORD dst_unused:UNUSED_PAD src0_sel:BYTE_0 src1_sel:DWORD
	v_lshrrev_b16_e32 v5, 11, v5
	v_mul_lo_u16_e32 v5, 10, v5
	v_sub_u16_e32 v5, v11, v5
	v_add_u16_e32 v3, v3, v5
	v_add_u16_e32 v5, -10, v3
	v_min_u16_sdwa v11, v3, v5 dst_sel:DWORD dst_unused:UNUSED_PAD src0_sel:BYTE_0 src1_sel:BYTE_0
	v_min_u16_sdwa v3, v3, v5 dst_sel:DWORD dst_unused:UNUSED_PAD src0_sel:BYTE_0 src1_sel:BYTE_0
.LBB685_247:
	s_or_b64 exec, exec, s[2:3]
	s_waitcnt lgkmcnt(0)
	v_or_b32_e32 v5, 8, v13
	ds_bpermute_b32 v3, v5, v3
	v_add_u32_e32 v4, 2, v4
	v_cmp_lt_u32_e32 vcc, v4, v2
	s_and_saveexec_b64 s[2:3], vcc
	s_cbranch_execz .LBB685_249
; %bb.248:
	s_movk_i32 s4, 0xcd
	s_waitcnt lgkmcnt(0)
	v_mul_lo_u16_sdwa v2, v3, s4 dst_sel:DWORD dst_unused:UNUSED_PAD src0_sel:BYTE_0 src1_sel:DWORD
	v_lshrrev_b16_e32 v2, 11, v2
	v_mul_lo_u16_e32 v2, 10, v2
	v_sub_u16_e32 v2, v3, v2
	v_mul_lo_u16_sdwa v3, v11, s4 dst_sel:DWORD dst_unused:UNUSED_PAD src0_sel:BYTE_0 src1_sel:DWORD
	v_lshrrev_b16_e32 v3, 11, v3
	v_mul_lo_u16_e32 v3, 10, v3
	v_sub_u16_e32 v3, v11, v3
	v_add_u16_e32 v2, v2, v3
	v_add_u16_e32 v3, -10, v2
	v_min_u16_sdwa v11, v2, v3 dst_sel:DWORD dst_unused:UNUSED_PAD src0_sel:BYTE_0 src1_sel:BYTE_0
.LBB685_249:
	s_or_b64 exec, exec, s[2:3]
.LBB685_250:
	s_or_b64 exec, exec, s[0:1]
	s_or_b64 exec, exec, s[42:43]
	v_cmp_eq_u32_e32 vcc, 0, v10
	s_and_b64 exec, exec, vcc
	s_cbranch_execz .LBB685_254
.LBB685_251:
	v_cmp_ne_u64_e32 vcc, 0, v[8:9]
	s_and_saveexec_b64 s[0:1], vcc
	s_cbranch_execz .LBB685_253
; %bb.252:
	s_movk_i32 s2, 0xcd
	v_mul_lo_u16_sdwa v2, v11, s2 dst_sel:DWORD dst_unused:UNUSED_PAD src0_sel:BYTE_0 src1_sel:DWORD
	s_waitcnt lgkmcnt(0)
	v_mul_lo_u16_sdwa v3, v14, s2 dst_sel:DWORD dst_unused:UNUSED_PAD src0_sel:BYTE_0 src1_sel:DWORD
	v_lshrrev_b16_e32 v2, 11, v2
	v_lshrrev_b16_e32 v3, 11, v3
	v_mul_lo_u16_e32 v2, 10, v2
	v_mul_lo_u16_e32 v3, 10, v3
	v_sub_u16_e32 v2, v11, v2
	v_sub_u16_e32 v3, v14, v3
	v_add_u16_e32 v2, v2, v3
	v_add_u16_e32 v3, -10, v2
	v_min_u16_sdwa v14, v2, v3 dst_sel:DWORD dst_unused:UNUSED_PAD src0_sel:BYTE_0 src1_sel:BYTE_0
.LBB685_253:
	s_or_b64 exec, exec, s[0:1]
	s_waitcnt lgkmcnt(0)
	v_lshl_add_u64 v[2:3], v[6:7], 0, s[12:13]
	flat_store_byte v[2:3], v14
.LBB685_254:
	s_or_b64 exec, exec, s[40:41]
	s_waitcnt lgkmcnt(0)
	flat_load_dwordx2 v[2:3], v[0:1]
	s_waitcnt vmcnt(0) lgkmcnt(0)
	flat_load_dword v2, v[2:3]
	s_waitcnt vmcnt(0) lgkmcnt(0)
	v_cmp_eq_u32_e32 vcc, 32, v2
	s_and_saveexec_b64 s[30:31], vcc
	s_cbranch_execz .LBB685_382
; %bb.255:
	flat_load_dwordx4 v[2:5], v[0:1] offset:8
	flat_load_dwordx4 v[6:9], v[0:1] offset:24
	s_mov_b32 s1, 0
	s_lshl_b32 s0, s12, 13
	s_mov_b32 s13, s1
	v_and_b32_e32 v14, 0x3ff, v31
                                        ; implicit-def: $vgpr15
	s_waitcnt vmcnt(0) lgkmcnt(0)
	flat_load_dwordx2 v[12:13], v[4:5]
	flat_load_dwordx2 v[16:17], v[2:3]
	flat_load_dwordx2 v[10:11], v[6:7]
	flat_load_ubyte v20, v[8:9]
	s_waitcnt vmcnt(0) lgkmcnt(0)
	v_lshrrev_b64 v[2:3], 13, v[12:13]
	v_cmp_ne_u64_e32 vcc, s[12:13], v[2:3]
	v_lshl_add_u64 v[16:17], v[16:17], 0, s[0:1]
	s_and_saveexec_b64 s[2:3], vcc
	s_xor_b64 s[2:3], exec, s[2:3]
	s_cbranch_execnz .LBB685_258
; %bb.256:
	s_andn2_saveexec_b64 s[34:35], s[2:3]
	s_cbranch_execnz .LBB685_263
.LBB685_257:
	s_or_b64 exec, exec, s[34:35]
	v_cmp_eq_u32_e32 vcc, 0, v14
	s_and_b64 exec, exec, vcc
	s_cbranch_execnz .LBB685_379
	s_branch .LBB685_382
.LBB685_258:
	v_mov_b32_e32 v15, 0
	v_lshl_add_u64 v[2:3], v[16:17], 0, v[14:15]
	flat_load_ubyte v4, v[2:3] offset:256
	flat_load_ubyte v5, v[2:3]
	flat_load_ubyte v6, v[2:3] offset:512
	flat_load_ubyte v7, v[2:3] offset:768
	;; [unrolled: 1-line block ×10, first 2 shown]
	s_movk_i32 s4, 0x1000
	flat_load_ubyte v22, v[2:3] offset:3072
	flat_load_ubyte v23, v[2:3] offset:3328
	;; [unrolled: 1-line block ×4, first 2 shown]
	v_add_co_u32_e32 v2, vcc, s4, v2
	s_movk_i32 s1, 0xcd
	s_nop 0
	v_addc_co_u32_e32 v3, vcc, 0, v3, vcc
	flat_load_ubyte v26, v[2:3]
	flat_load_ubyte v27, v[2:3] offset:256
	flat_load_ubyte v28, v[2:3] offset:512
	;; [unrolled: 1-line block ×14, first 2 shown]
	s_nop 0
	flat_load_ubyte v2, v[2:3] offset:3840
	s_waitcnt vmcnt(0) lgkmcnt(0)
	v_mul_lo_u16_e32 v3, 0xcd, v4
	v_mul_lo_u16_e32 v50, 0xcd, v5
	v_lshrrev_b16_e32 v3, 11, v3
	v_lshrrev_b16_e32 v50, 11, v50
	v_mul_lo_u16_e32 v3, 10, v3
	v_mul_lo_u16_e32 v50, 10, v50
	v_sub_u16_e32 v3, v4, v3
	v_sub_u16_e32 v4, v5, v50
	v_add_u16_e32 v3, v3, v4
	v_add_u16_e32 v4, -10, v3
	v_min_u16_sdwa v3, v3, v4 dst_sel:DWORD dst_unused:UNUSED_PAD src0_sel:BYTE_0 src1_sel:BYTE_0
	v_mul_lo_u16_e32 v51, 0xcd, v6
	v_mul_lo_u16_e32 v4, 0xcd, v3
	v_lshrrev_b16_e32 v51, 11, v51
	v_lshrrev_b16_e32 v4, 11, v4
	v_mul_lo_u16_e32 v51, 10, v51
	v_mul_lo_u16_e32 v4, 10, v4
	v_sub_u16_e32 v5, v6, v51
	v_sub_u16_e32 v3, v3, v4
	v_add_u16_e32 v3, v3, v5
	v_add_u16_e32 v4, -10, v3
	v_min_u16_sdwa v3, v3, v4 dst_sel:DWORD dst_unused:UNUSED_PAD src0_sel:BYTE_0 src1_sel:BYTE_0
	;; [unrolled: 11-line block ×30, first 2 shown]
	v_mul_lo_u16_e32 v4, 0xcd, v2
	v_lshrrev_b16_e32 v4, 11, v4
	v_mul_lo_u16_e32 v4, 10, v4
	v_sub_u16_e32 v2, v2, v4
	v_mul_lo_u16_e32 v4, 0xcd, v3
	v_lshrrev_b16_e32 v4, 11, v4
	v_mul_lo_u16_e32 v4, 10, v4
	v_sub_u16_e32 v3, v3, v4
	v_add_u16_e32 v2, v3, v2
	v_add_u16_e32 v3, -10, v2
	v_min_u16_sdwa v3, v2, v3 dst_sel:DWORD dst_unused:UNUSED_PAD src0_sel:BYTE_0 src1_sel:BYTE_0
	v_mul_lo_u16_e32 v5, 0xcd, v3
	v_lshrrev_b16_e32 v5, 11, v5
	v_mov_b32_dpp v4, v3 quad_perm:[1,0,3,2] row_mask:0xf bank_mask:0xf bound_ctrl:1
	v_mul_lo_u16_e32 v5, 10, v5
	v_sub_u16_e32 v3, v3, v5
	v_mul_lo_u16_sdwa v5, v4, s1 dst_sel:DWORD dst_unused:UNUSED_PAD src0_sel:BYTE_0 src1_sel:DWORD
	v_lshrrev_b16_e32 v5, 11, v5
	v_mul_lo_u16_e32 v5, 10, v5
	v_sub_u16_e32 v4, v4, v5
	v_add_u16_e32 v3, v3, v4
	v_add_u16_e32 v4, -10, v3
	v_min_u16_sdwa v3, v3, v4 dst_sel:DWORD dst_unused:UNUSED_PAD src0_sel:BYTE_0 src1_sel:BYTE_0
	v_mbcnt_lo_u32_b32 v2, -1, 0
	v_mbcnt_hi_u32_b32 v2, -1, v2
	v_mov_b32_dpp v4, v3 quad_perm:[2,3,0,1] row_mask:0xf bank_mask:0xf bound_ctrl:1
	v_mul_lo_u16_sdwa v5, v4, s1 dst_sel:DWORD dst_unused:UNUSED_PAD src0_sel:BYTE_0 src1_sel:DWORD
	v_lshrrev_b16_e32 v5, 11, v5
	v_mul_lo_u16_e32 v5, 10, v5
	v_sub_u16_e32 v4, v4, v5
	v_add_u16_e32 v3, v3, v4
	v_add_u16_e32 v4, -10, v3
	v_min_u16_sdwa v3, v3, v4 dst_sel:DWORD dst_unused:UNUSED_PAD src0_sel:BYTE_0 src1_sel:BYTE_0
	v_mul_lo_u16_e32 v5, 0xcd, v3
	v_lshrrev_b16_e32 v5, 11, v5
	v_mov_b32_dpp v4, v3 row_ror:4 row_mask:0xf bank_mask:0xf bound_ctrl:1
	v_mul_lo_u16_e32 v5, 10, v5
	v_sub_u16_e32 v3, v3, v5
	v_mul_lo_u16_sdwa v5, v4, s1 dst_sel:DWORD dst_unused:UNUSED_PAD src0_sel:BYTE_0 src1_sel:DWORD
	v_lshrrev_b16_e32 v5, 11, v5
	v_mul_lo_u16_e32 v5, 10, v5
	v_sub_u16_e32 v4, v4, v5
	v_add_u16_e32 v3, v3, v4
	v_add_u16_e32 v4, -10, v3
	v_min_u16_sdwa v3, v3, v4 dst_sel:DWORD dst_unused:UNUSED_PAD src0_sel:BYTE_0 src1_sel:BYTE_0
	v_mul_lo_u16_e32 v5, 0xcd, v3
	v_lshrrev_b16_e32 v5, 11, v5
	v_mov_b32_dpp v4, v3 row_ror:8 row_mask:0xf bank_mask:0xf bound_ctrl:1
	v_mul_lo_u16_e32 v5, 10, v5
	v_sub_u16_e32 v3, v3, v5
	v_mul_lo_u16_sdwa v5, v4, s1 dst_sel:DWORD dst_unused:UNUSED_PAD src0_sel:BYTE_0 src1_sel:DWORD
	v_lshrrev_b16_e32 v5, 11, v5
	v_mul_lo_u16_e32 v5, 10, v5
	v_sub_u16_e32 v4, v4, v5
	v_add_u16_e32 v3, v3, v4
	v_add_u16_e32 v4, -10, v3
	v_min_u16_sdwa v3, v3, v4 dst_sel:DWORD dst_unused:UNUSED_PAD src0_sel:BYTE_0 src1_sel:BYTE_0
	v_mul_lo_u16_e32 v5, 0xcd, v3
	v_lshrrev_b16_e32 v5, 11, v5
	v_mov_b32_dpp v4, v3 row_bcast:15 row_mask:0xf bank_mask:0xf bound_ctrl:1
	v_mul_lo_u16_e32 v5, 10, v5
	v_sub_u16_e32 v3, v3, v5
	v_mul_lo_u16_sdwa v5, v4, s1 dst_sel:DWORD dst_unused:UNUSED_PAD src0_sel:BYTE_0 src1_sel:DWORD
	v_lshrrev_b16_e32 v5, 11, v5
	v_mul_lo_u16_e32 v5, 10, v5
	v_sub_u16_e32 v4, v4, v5
	v_add_u16_e32 v3, v3, v4
	v_add_u16_e32 v4, -10, v3
	v_min_u16_sdwa v3, v3, v4 dst_sel:DWORD dst_unused:UNUSED_PAD src0_sel:BYTE_0 src1_sel:BYTE_0
	v_mul_lo_u16_e32 v5, 0xcd, v3
	v_lshrrev_b16_e32 v5, 11, v5
	v_mov_b32_dpp v4, v3 row_bcast:31 row_mask:0xf bank_mask:0xf bound_ctrl:1
	v_mul_lo_u16_e32 v5, 10, v5
	v_sub_u16_e32 v3, v3, v5
	v_mul_lo_u16_sdwa v5, v4, s1 dst_sel:DWORD dst_unused:UNUSED_PAD src0_sel:BYTE_0 src1_sel:DWORD
	v_lshrrev_b16_e32 v5, 11, v5
	v_mul_lo_u16_e32 v5, 10, v5
	v_sub_u16_e32 v4, v4, v5
	v_add_u16_e32 v4, v3, v4
	v_add_u16_e32 v5, -10, v4
	v_lshlrev_b32_e32 v3, 2, v2
	v_or_b32_e32 v6, 0xfc, v3
	v_min_u16_sdwa v4, v4, v5 dst_sel:DWORD dst_unused:UNUSED_PAD src0_sel:BYTE_0 src1_sel:BYTE_0
	ds_bpermute_b32 v15, v6, v4
	v_cmp_eq_u32_e32 vcc, 0, v2
	s_and_saveexec_b64 s[4:5], vcc
	s_cbranch_execz .LBB685_260
; %bb.259:
	v_lshrrev_b32_e32 v4, 6, v14
	s_waitcnt lgkmcnt(0)
	ds_write_b8 v4, v15 offset:20
.LBB685_260:
	s_or_b64 exec, exec, s[4:5]
	v_cmp_gt_u32_e32 vcc, 64, v14
	s_waitcnt lgkmcnt(0)
	s_barrier
	s_and_saveexec_b64 s[4:5], vcc
	s_cbranch_execz .LBB685_262
; %bb.261:
	v_and_b32_e32 v4, 3, v2
	ds_read_u8 v5, v4 offset:20
	v_cmp_ne_u32_e32 vcc, 3, v4
	v_or_b32_e32 v3, 8, v3
	s_waitcnt lgkmcnt(0)
	v_and_b32_e32 v4, 0xffff, v5
	v_addc_co_u32_e32 v2, vcc, 0, v2, vcc
	v_lshlrev_b32_e32 v2, 2, v2
	ds_bpermute_b32 v2, v2, v4
	v_mul_lo_u16_e32 v4, 0xcd, v5
	v_lshrrev_b16_e32 v4, 11, v4
	v_mul_lo_u16_e32 v4, 10, v4
	v_sub_u16_e32 v4, v5, v4
	s_waitcnt lgkmcnt(0)
	v_mul_lo_u16_sdwa v6, v2, s1 dst_sel:DWORD dst_unused:UNUSED_PAD src0_sel:BYTE_0 src1_sel:DWORD
	v_lshrrev_b16_e32 v6, 11, v6
	v_mul_lo_u16_e32 v6, 10, v6
	v_sub_u16_e32 v2, v2, v6
	v_add_u16_e32 v2, v2, v4
	v_add_u16_e32 v4, -10, v2
	v_min_u16_sdwa v2, v2, v4 dst_sel:DWORD dst_unused:UNUSED_PAD src0_sel:BYTE_0 src1_sel:BYTE_0
	ds_bpermute_b32 v3, v3, v2
	s_waitcnt lgkmcnt(0)
	v_mul_lo_u16_sdwa v4, v3, s1 dst_sel:DWORD dst_unused:UNUSED_PAD src0_sel:BYTE_0 src1_sel:DWORD
	v_lshrrev_b16_e32 v4, 11, v4
	v_mul_lo_u16_e32 v4, 10, v4
	v_sub_u16_e32 v3, v3, v4
	v_add_u16_e32 v2, v2, v3
	v_add_u16_e32 v3, -10, v2
	v_min_u16_sdwa v15, v2, v3 dst_sel:DWORD dst_unused:UNUSED_PAD src0_sel:BYTE_0 src1_sel:BYTE_0
.LBB685_262:
	s_or_b64 exec, exec, s[4:5]
                                        ; implicit-def: $vgpr16_vgpr17
	s_andn2_saveexec_b64 s[34:35], s[2:3]
	s_cbranch_execz .LBB685_257
.LBB685_263:
	v_subrev_u32_e32 v21, s0, v12
	v_mov_b32_e32 v2, 0
	v_cmp_lt_u32_e32 vcc, v14, v21
	v_mov_b32_e32 v3, v2
	v_mov_b32_e32 v4, v2
	;; [unrolled: 1-line block ×7, first 2 shown]
	s_and_saveexec_b64 s[0:1], vcc
	s_cbranch_execz .LBB685_265
; %bb.264:
	v_mov_b32_e32 v15, v2
	v_lshl_add_u64 v[4:5], v[16:17], 0, v[14:15]
	flat_load_ubyte v22, v[4:5]
	v_mov_b32_e32 v23, v2
	v_mov_b32_e32 v24, v2
	;; [unrolled: 1-line block ×7, first 2 shown]
	s_waitcnt vmcnt(0) lgkmcnt(0)
	v_mov_b64_e32 v[2:3], v[22:23]
	v_mov_b64_e32 v[4:5], v[24:25]
	;; [unrolled: 1-line block ×4, first 2 shown]
.LBB685_265:
	s_or_b64 exec, exec, s[0:1]
	v_add_u32_e32 v15, 0x100, v14
	v_cmp_lt_u32_e32 vcc, v15, v21
	s_and_saveexec_b64 s[0:1], vcc
	s_cbranch_execz .LBB685_267
; %bb.266:
	v_mov_b32_e32 v15, 0
	v_lshl_add_u64 v[18:19], v[16:17], 0, v[14:15]
	flat_load_ubyte v15, v[18:19] offset:256
	s_mov_b32 s2, 0x7060004
	s_waitcnt vmcnt(0) lgkmcnt(0)
	v_perm_b32 v2, v2, v15, s2
.LBB685_267:
	s_or_b64 exec, exec, s[0:1]
	v_add_u32_e32 v15, 0x200, v14
	v_cmp_lt_u32_e64 s[0:1], v15, v21
	s_and_saveexec_b64 s[2:3], s[0:1]
	s_cbranch_execz .LBB685_269
; %bb.268:
	v_mov_b32_e32 v15, 0
	v_lshl_add_u64 v[18:19], v[16:17], 0, v[14:15]
	flat_load_ubyte v15, v[18:19] offset:512
	s_mov_b32 s4, 0x7000504
	s_waitcnt vmcnt(0) lgkmcnt(0)
	v_perm_b32 v2, v2, v15, s4
.LBB685_269:
	s_or_b64 exec, exec, s[2:3]
	v_add_u32_e32 v15, 0x300, v14
	v_cmp_lt_u32_e64 s[2:3], v15, v21
	s_and_saveexec_b64 s[4:5], s[2:3]
	s_cbranch_execz .LBB685_271
; %bb.270:
	v_mov_b32_e32 v15, 0
	v_lshl_add_u64 v[18:19], v[16:17], 0, v[14:15]
	flat_load_ubyte v15, v[18:19] offset:768
	s_mov_b32 s6, 0x60504
	s_waitcnt vmcnt(0) lgkmcnt(0)
	v_perm_b32 v2, v2, v15, s6
.LBB685_271:
	s_or_b64 exec, exec, s[4:5]
	v_or_b32_e32 v15, 0x400, v14
	v_cmp_lt_u32_e64 s[4:5], v15, v21
	s_and_saveexec_b64 s[6:7], s[4:5]
	s_cbranch_execz .LBB685_273
; %bb.272:
	v_mov_b32_e32 v15, 0
	v_lshl_add_u64 v[18:19], v[16:17], 0, v[14:15]
	flat_load_ubyte v15, v[18:19] offset:1024
	s_mov_b32 s8, 0x3020104
	s_waitcnt vmcnt(0) lgkmcnt(0)
	v_perm_b32 v3, v15, v3, s8
.LBB685_273:
	s_or_b64 exec, exec, s[6:7]
	v_add_u32_e32 v15, 0x500, v14
	v_cmp_lt_u32_e64 s[6:7], v15, v21
	s_and_saveexec_b64 s[8:9], s[6:7]
	s_cbranch_execz .LBB685_275
; %bb.274:
	v_mov_b32_e32 v15, 0
	v_lshl_add_u64 v[18:19], v[16:17], 0, v[14:15]
	flat_load_ubyte v15, v[18:19] offset:1280
	s_mov_b32 s10, 0x7060004
	s_waitcnt vmcnt(0) lgkmcnt(0)
	v_perm_b32 v3, v3, v15, s10
.LBB685_275:
	s_or_b64 exec, exec, s[8:9]
	v_add_u32_e32 v15, 0x600, v14
	v_cmp_lt_u32_e64 s[8:9], v15, v21
	s_and_saveexec_b64 s[10:11], s[8:9]
	s_cbranch_execz .LBB685_277
; %bb.276:
	v_mov_b32_e32 v15, 0
	v_lshl_add_u64 v[18:19], v[16:17], 0, v[14:15]
	flat_load_ubyte v15, v[18:19] offset:1536
	s_mov_b32 s14, 0x7000504
	s_waitcnt vmcnt(0) lgkmcnt(0)
	v_perm_b32 v3, v3, v15, s14
.LBB685_277:
	s_or_b64 exec, exec, s[10:11]
	v_add_u32_e32 v15, 0x700, v14
	v_cmp_lt_u32_e64 s[10:11], v15, v21
	s_and_saveexec_b64 s[14:15], s[10:11]
	s_cbranch_execz .LBB685_279
; %bb.278:
	v_mov_b32_e32 v15, 0
	v_lshl_add_u64 v[18:19], v[16:17], 0, v[14:15]
	flat_load_ubyte v15, v[18:19] offset:1792
	s_mov_b32 s16, 0x60504
	s_waitcnt vmcnt(0) lgkmcnt(0)
	v_perm_b32 v3, v3, v15, s16
.LBB685_279:
	s_or_b64 exec, exec, s[14:15]
	v_or_b32_e32 v15, 0x800, v14
	v_cmp_lt_u32_e64 s[14:15], v15, v21
	s_and_saveexec_b64 s[16:17], s[14:15]
	s_cbranch_execz .LBB685_281
; %bb.280:
	v_mov_b32_e32 v15, 0
	v_lshl_add_u64 v[18:19], v[16:17], 0, v[14:15]
	flat_load_ubyte v15, v[18:19] offset:2048
	s_mov_b32 s18, 0x3020104
	s_waitcnt vmcnt(0) lgkmcnt(0)
	v_perm_b32 v4, v15, v4, s18
.LBB685_281:
	s_or_b64 exec, exec, s[16:17]
	v_add_u32_e32 v15, 0x900, v14
	v_cmp_lt_u32_e64 s[16:17], v15, v21
	s_and_saveexec_b64 s[18:19], s[16:17]
	;; [unrolled: 52-line block ×3, first 2 shown]
	s_cbranch_execz .LBB685_291
; %bb.290:
	v_mov_b32_e32 v15, 0
	v_lshl_add_u64 v[18:19], v[16:17], 0, v[14:15]
	flat_load_ubyte v15, v[18:19] offset:3328
	s_mov_b32 s28, 0x7060004
	s_waitcnt vmcnt(0) lgkmcnt(0)
	v_perm_b32 v5, v5, v15, s28
.LBB685_291:
	s_or_b64 exec, exec, s[26:27]
	v_add_u32_e32 v15, 0xe00, v14
	v_cmp_lt_u32_e64 s[26:27], v15, v21
	s_and_saveexec_b64 s[28:29], s[26:27]
	s_cbranch_execz .LBB685_293
; %bb.292:
	v_mov_b32_e32 v15, 0
	v_lshl_add_u64 v[18:19], v[16:17], 0, v[14:15]
	flat_load_ubyte v15, v[18:19] offset:3584
	s_mov_b32 s40, 0x7000504
	s_waitcnt vmcnt(0) lgkmcnt(0)
	v_perm_b32 v5, v5, v15, s40
.LBB685_293:
	s_or_b64 exec, exec, s[28:29]
	v_add_u32_e32 v15, 0xf00, v14
	v_cmp_lt_u32_e64 s[28:29], v15, v21
	s_and_saveexec_b64 s[40:41], s[28:29]
	s_cbranch_execz .LBB685_295
; %bb.294:
	v_mov_b32_e32 v15, 0
	v_lshl_add_u64 v[18:19], v[16:17], 0, v[14:15]
	flat_load_ubyte v15, v[18:19] offset:3840
	s_mov_b32 s42, 0x60504
	s_waitcnt vmcnt(0) lgkmcnt(0)
	v_perm_b32 v5, v5, v15, s42
.LBB685_295:
	s_or_b64 exec, exec, s[40:41]
	v_or_b32_e32 v18, 0x1000, v14
	v_cmp_lt_u32_e64 s[40:41], v18, v21
	s_and_saveexec_b64 s[42:43], s[40:41]
	s_cbranch_execz .LBB685_297
; %bb.296:
	v_mov_b32_e32 v19, 0
	v_lshl_add_u64 v[18:19], v[16:17], 0, v[18:19]
	flat_load_ubyte v15, v[18:19]
	s_mov_b32 s44, 0x3020104
	s_waitcnt vmcnt(0) lgkmcnt(0)
	v_perm_b32 v6, v15, v6, s44
.LBB685_297:
	s_or_b64 exec, exec, s[42:43]
	v_add_u32_e32 v18, 0x1100, v14
	v_cmp_lt_u32_e64 s[42:43], v18, v21
	s_and_saveexec_b64 s[44:45], s[42:43]
	s_cbranch_execz .LBB685_299
; %bb.298:
	v_mov_b32_e32 v19, 0
	v_lshl_add_u64 v[18:19], v[16:17], 0, v[18:19]
	flat_load_ubyte v15, v[18:19]
	s_mov_b32 s46, 0x7060004
	s_waitcnt vmcnt(0) lgkmcnt(0)
	v_perm_b32 v6, v6, v15, s46
.LBB685_299:
	s_or_b64 exec, exec, s[44:45]
	v_add_u32_e32 v18, 0x1200, v14
	v_cmp_lt_u32_e64 s[44:45], v18, v21
	s_and_saveexec_b64 s[46:47], s[44:45]
	s_cbranch_execz .LBB685_301
; %bb.300:
	v_mov_b32_e32 v19, 0
	v_lshl_add_u64 v[18:19], v[16:17], 0, v[18:19]
	flat_load_ubyte v15, v[18:19]
	s_mov_b32 s56, 0x7000504
	s_waitcnt vmcnt(0) lgkmcnt(0)
	v_perm_b32 v6, v6, v15, s56
.LBB685_301:
	s_or_b64 exec, exec, s[46:47]
	v_add_u32_e32 v18, 0x1300, v14
	v_cmp_lt_u32_e64 s[46:47], v18, v21
	s_and_saveexec_b64 s[56:57], s[46:47]
	s_cbranch_execz .LBB685_303
; %bb.302:
	v_mov_b32_e32 v19, 0
	v_lshl_add_u64 v[18:19], v[16:17], 0, v[18:19]
	flat_load_ubyte v15, v[18:19]
	s_mov_b32 s58, 0x60504
	s_waitcnt vmcnt(0) lgkmcnt(0)
	v_perm_b32 v6, v6, v15, s58
.LBB685_303:
	s_or_b64 exec, exec, s[56:57]
	v_or_b32_e32 v18, 0x1400, v14
	v_cmp_lt_u32_e64 s[56:57], v18, v21
	s_and_saveexec_b64 s[58:59], s[56:57]
	s_cbranch_execz .LBB685_305
; %bb.304:
	v_mov_b32_e32 v19, 0
	v_lshl_add_u64 v[18:19], v[16:17], 0, v[18:19]
	flat_load_ubyte v15, v[18:19]
	s_mov_b32 s60, 0x3020104
	s_waitcnt vmcnt(0) lgkmcnt(0)
	v_perm_b32 v7, v15, v7, s60
.LBB685_305:
	s_or_b64 exec, exec, s[58:59]
	v_add_u32_e32 v18, 0x1500, v14
	v_cmp_lt_u32_e64 s[58:59], v18, v21
	s_and_saveexec_b64 s[60:61], s[58:59]
	s_cbranch_execz .LBB685_307
; %bb.306:
	v_mov_b32_e32 v19, 0
	v_lshl_add_u64 v[18:19], v[16:17], 0, v[18:19]
	flat_load_ubyte v15, v[18:19]
	s_mov_b32 s62, 0x7060004
	s_waitcnt vmcnt(0) lgkmcnt(0)
	v_perm_b32 v7, v7, v15, s62
.LBB685_307:
	s_or_b64 exec, exec, s[60:61]
	v_add_u32_e32 v18, 0x1600, v14
	v_cmp_lt_u32_e64 s[60:61], v18, v21
	s_and_saveexec_b64 s[62:63], s[60:61]
	s_cbranch_execz .LBB685_309
; %bb.308:
	v_mov_b32_e32 v19, 0
	v_lshl_add_u64 v[18:19], v[16:17], 0, v[18:19]
	flat_load_ubyte v15, v[18:19]
	s_mov_b32 s72, 0x7000504
	s_waitcnt vmcnt(0) lgkmcnt(0)
	v_perm_b32 v7, v7, v15, s72
.LBB685_309:
	s_or_b64 exec, exec, s[62:63]
	v_add_u32_e32 v18, 0x1700, v14
	v_cmp_lt_u32_e64 s[62:63], v18, v21
	s_and_saveexec_b64 s[72:73], s[62:63]
	s_cbranch_execz .LBB685_311
; %bb.310:
	v_mov_b32_e32 v19, 0
	v_lshl_add_u64 v[18:19], v[16:17], 0, v[18:19]
	flat_load_ubyte v15, v[18:19]
	s_mov_b32 s74, 0x60504
	s_waitcnt vmcnt(0) lgkmcnt(0)
	v_perm_b32 v7, v7, v15, s74
.LBB685_311:
	;; [unrolled: 52-line block ×3, first 2 shown]
	s_or_b64 exec, exec, s[88:89]
	v_or_b32_e32 v18, 0x1c00, v14
	v_cmp_lt_u32_e64 s[88:89], v18, v21
	s_and_saveexec_b64 s[90:91], s[88:89]
	s_cbranch_execz .LBB685_321
; %bb.320:
	v_mov_b32_e32 v19, 0
	v_lshl_add_u64 v[18:19], v[16:17], 0, v[18:19]
	flat_load_ubyte v15, v[18:19]
	s_mov_b32 s92, 0x3020104
	s_waitcnt vmcnt(0) lgkmcnt(0)
	v_perm_b32 v9, v15, v9, s92
.LBB685_321:
	s_or_b64 exec, exec, s[90:91]
	v_add_u32_e32 v18, 0x1d00, v14
	v_cmp_lt_u32_e64 s[90:91], v18, v21
	s_and_saveexec_b64 s[92:93], s[90:91]
	s_cbranch_execz .LBB685_323
; %bb.322:
	v_mov_b32_e32 v19, 0
	v_lshl_add_u64 v[18:19], v[16:17], 0, v[18:19]
	flat_load_ubyte v15, v[18:19]
	s_mov_b32 s94, 0x7060004
	s_waitcnt vmcnt(0) lgkmcnt(0)
	v_perm_b32 v9, v9, v15, s94
.LBB685_323:
	s_or_b64 exec, exec, s[92:93]
	v_add_u32_e32 v18, 0x1e00, v14
	;; [unrolled: 13-line block ×3, first 2 shown]
	v_cmp_lt_u32_e64 s[94:95], v18, v21
	s_and_saveexec_b64 s[36:37], s[94:95]
	s_cbranch_execnz .LBB685_1147
; %bb.326:
	s_or_b64 exec, exec, s[36:37]
	v_mov_b32_e32 v15, v2
	s_and_saveexec_b64 s[36:37], vcc
	s_cbranch_execnz .LBB685_1148
.LBB685_327:
	s_or_b64 exec, exec, s[36:37]
	s_and_saveexec_b64 vcc, s[0:1]
	s_cbranch_execnz .LBB685_1149
.LBB685_328:
	s_or_b64 exec, exec, vcc
	s_and_saveexec_b64 s[0:1], s[2:3]
	s_cbranch_execnz .LBB685_1150
.LBB685_329:
	s_or_b64 exec, exec, s[0:1]
	s_and_saveexec_b64 s[0:1], s[4:5]
	s_cbranch_execnz .LBB685_1151
.LBB685_330:
	s_or_b64 exec, exec, s[0:1]
	s_and_saveexec_b64 s[0:1], s[6:7]
	s_cbranch_execnz .LBB685_1152
.LBB685_331:
	s_or_b64 exec, exec, s[0:1]
	s_and_saveexec_b64 s[0:1], s[8:9]
	s_cbranch_execnz .LBB685_1153
.LBB685_332:
	s_or_b64 exec, exec, s[0:1]
	s_and_saveexec_b64 s[0:1], s[10:11]
	s_cbranch_execnz .LBB685_1154
.LBB685_333:
	s_or_b64 exec, exec, s[0:1]
	s_and_saveexec_b64 s[0:1], s[14:15]
	s_cbranch_execnz .LBB685_1155
.LBB685_334:
	s_or_b64 exec, exec, s[0:1]
	s_and_saveexec_b64 s[0:1], s[16:17]
	s_cbranch_execnz .LBB685_1156
.LBB685_335:
	s_or_b64 exec, exec, s[0:1]
	s_and_saveexec_b64 s[0:1], s[18:19]
	s_cbranch_execnz .LBB685_1157
.LBB685_336:
	s_or_b64 exec, exec, s[0:1]
	s_and_saveexec_b64 s[0:1], s[20:21]
	s_cbranch_execnz .LBB685_1158
.LBB685_337:
	s_or_b64 exec, exec, s[0:1]
	s_and_saveexec_b64 s[0:1], s[22:23]
	s_cbranch_execnz .LBB685_1159
.LBB685_338:
	s_or_b64 exec, exec, s[0:1]
	s_and_saveexec_b64 s[0:1], s[24:25]
	s_cbranch_execnz .LBB685_1160
.LBB685_339:
	s_or_b64 exec, exec, s[0:1]
	s_and_saveexec_b64 s[0:1], s[26:27]
	s_cbranch_execnz .LBB685_1161
.LBB685_340:
	s_or_b64 exec, exec, s[0:1]
	s_and_saveexec_b64 s[0:1], s[28:29]
	s_cbranch_execnz .LBB685_1162
.LBB685_341:
	s_or_b64 exec, exec, s[0:1]
	s_and_saveexec_b64 s[0:1], s[40:41]
	s_cbranch_execnz .LBB685_1163
.LBB685_342:
	s_or_b64 exec, exec, s[0:1]
	s_and_saveexec_b64 s[0:1], s[42:43]
	s_cbranch_execnz .LBB685_1164
.LBB685_343:
	s_or_b64 exec, exec, s[0:1]
	s_and_saveexec_b64 s[0:1], s[44:45]
	s_cbranch_execnz .LBB685_1165
.LBB685_344:
	s_or_b64 exec, exec, s[0:1]
	s_and_saveexec_b64 s[0:1], s[46:47]
	s_cbranch_execnz .LBB685_1166
.LBB685_345:
	s_or_b64 exec, exec, s[0:1]
	s_and_saveexec_b64 s[0:1], s[56:57]
	s_cbranch_execnz .LBB685_1167
.LBB685_346:
	s_or_b64 exec, exec, s[0:1]
	s_and_saveexec_b64 s[0:1], s[58:59]
	s_cbranch_execnz .LBB685_1168
.LBB685_347:
	s_or_b64 exec, exec, s[0:1]
	s_and_saveexec_b64 s[0:1], s[60:61]
	s_cbranch_execnz .LBB685_1169
.LBB685_348:
	s_or_b64 exec, exec, s[0:1]
	s_and_saveexec_b64 s[0:1], s[62:63]
	s_cbranch_execnz .LBB685_1170
.LBB685_349:
	s_or_b64 exec, exec, s[0:1]
	s_and_saveexec_b64 s[0:1], s[72:73]
	s_cbranch_execnz .LBB685_1171
.LBB685_350:
	s_or_b64 exec, exec, s[0:1]
	s_and_saveexec_b64 s[0:1], s[74:75]
	s_cbranch_execnz .LBB685_1172
.LBB685_351:
	s_or_b64 exec, exec, s[0:1]
	s_and_saveexec_b64 s[0:1], s[76:77]
	s_cbranch_execnz .LBB685_1173
.LBB685_352:
	s_or_b64 exec, exec, s[0:1]
	s_and_saveexec_b64 s[0:1], s[78:79]
	s_cbranch_execnz .LBB685_1174
.LBB685_353:
	s_or_b64 exec, exec, s[0:1]
	s_and_saveexec_b64 s[0:1], s[88:89]
	s_cbranch_execnz .LBB685_1175
.LBB685_354:
	s_or_b64 exec, exec, s[0:1]
	s_and_saveexec_b64 s[0:1], s[90:91]
	s_cbranch_execnz .LBB685_1176
.LBB685_355:
	s_or_b64 exec, exec, s[0:1]
	s_and_saveexec_b64 s[0:1], s[92:93]
	s_cbranch_execnz .LBB685_1177
.LBB685_356:
	s_or_b64 exec, exec, s[0:1]
	s_and_saveexec_b64 s[0:1], s[94:95]
	s_cbranch_execz .LBB685_358
.LBB685_357:
	s_movk_i32 s2, 0xcd
	v_mul_lo_u16_sdwa v2, v9, s2 dst_sel:DWORD dst_unused:UNUSED_PAD src0_sel:BYTE_3 src1_sel:DWORD
	v_mul_lo_u16_sdwa v3, v15, s2 dst_sel:DWORD dst_unused:UNUSED_PAD src0_sel:BYTE_0 src1_sel:DWORD
	v_lshrrev_b16_e32 v2, 11, v2
	v_lshrrev_b16_e32 v3, 11, v3
	v_mul_lo_u16_e32 v2, 10, v2
	v_mul_lo_u16_e32 v3, 10, v3
	v_sub_u16_sdwa v2, v9, v2 dst_sel:DWORD dst_unused:UNUSED_PAD src0_sel:BYTE_3 src1_sel:DWORD
	v_sub_u16_e32 v3, v15, v3
	v_add_u16_e32 v2, v3, v2
	v_add_u16_e32 v3, -10, v2
	v_min_u16_sdwa v15, v2, v3 dst_sel:DWORD dst_unused:UNUSED_PAD src0_sel:BYTE_0 src1_sel:BYTE_0
.LBB685_358:
	s_or_b64 exec, exec, s[0:1]
	v_mbcnt_lo_u32_b32 v3, -1, 0
	v_mbcnt_hi_u32_b32 v3, -1, v3
	v_and_b32_e32 v4, 63, v3
	v_cmp_ne_u32_e32 vcc, 63, v4
	v_and_b32_e32 v6, 0xff, v15
	v_min_u32_e32 v2, 0x100, v21
	v_addc_co_u32_e32 v5, vcc, 0, v3, vcc
	v_lshlrev_b32_e32 v5, 2, v5
	ds_bpermute_b32 v7, v5, v6
	v_and_b32_e32 v5, 0x3c0, v14
	v_sub_u32_e64 v5, v2, v5 clamp
	v_add_u32_e32 v8, 1, v4
	v_cmp_lt_u32_e32 vcc, v8, v5
	s_and_saveexec_b64 s[0:1], vcc
	s_xor_b64 s[0:1], exec, s[0:1]
	s_cbranch_execz .LBB685_360
; %bb.359:
	s_movk_i32 s2, 0xcd
	s_waitcnt lgkmcnt(0)
	v_mul_lo_u16_sdwa v6, v7, s2 dst_sel:DWORD dst_unused:UNUSED_PAD src0_sel:BYTE_0 src1_sel:DWORD
	v_lshrrev_b16_e32 v6, 11, v6
	v_mul_lo_u16_e32 v6, 10, v6
	v_sub_u16_e32 v6, v7, v6
	v_mul_lo_u16_sdwa v7, v15, s2 dst_sel:DWORD dst_unused:UNUSED_PAD src0_sel:BYTE_0 src1_sel:DWORD
	v_lshrrev_b16_e32 v7, 11, v7
	v_mul_lo_u16_e32 v7, 10, v7
	v_sub_u16_e32 v7, v15, v7
	v_add_u16_e32 v6, v6, v7
	v_add_u16_e32 v7, -10, v6
	v_min_u16_sdwa v15, v6, v7 dst_sel:DWORD dst_unused:UNUSED_PAD src0_sel:BYTE_0 src1_sel:BYTE_0
	v_min_u16_sdwa v6, v6, v7 dst_sel:DWORD dst_unused:UNUSED_PAD src0_sel:BYTE_0 src1_sel:BYTE_0
.LBB685_360:
	s_or_b64 exec, exec, s[0:1]
	v_cmp_gt_u32_e32 vcc, 62, v4
	v_add_u32_e32 v8, 2, v4
	s_waitcnt lgkmcnt(0)
	v_cndmask_b32_e64 v7, 0, 2, vcc
	v_add_lshl_u32 v7, v7, v3, 2
	ds_bpermute_b32 v7, v7, v6
	v_cmp_lt_u32_e32 vcc, v8, v5
	s_and_saveexec_b64 s[0:1], vcc
	s_cbranch_execz .LBB685_362
; %bb.361:
	s_movk_i32 s2, 0xcd
	s_waitcnt lgkmcnt(0)
	v_mul_lo_u16_sdwa v6, v7, s2 dst_sel:DWORD dst_unused:UNUSED_PAD src0_sel:BYTE_0 src1_sel:DWORD
	v_lshrrev_b16_e32 v6, 11, v6
	v_mul_lo_u16_e32 v6, 10, v6
	v_sub_u16_e32 v6, v7, v6
	v_mul_lo_u16_sdwa v7, v15, s2 dst_sel:DWORD dst_unused:UNUSED_PAD src0_sel:BYTE_0 src1_sel:DWORD
	v_lshrrev_b16_e32 v7, 11, v7
	v_mul_lo_u16_e32 v7, 10, v7
	v_sub_u16_e32 v7, v15, v7
	v_add_u16_e32 v6, v6, v7
	v_add_u16_e32 v7, -10, v6
	v_min_u16_sdwa v15, v6, v7 dst_sel:DWORD dst_unused:UNUSED_PAD src0_sel:BYTE_0 src1_sel:BYTE_0
	v_min_u16_sdwa v6, v6, v7 dst_sel:DWORD dst_unused:UNUSED_PAD src0_sel:BYTE_0 src1_sel:BYTE_0
.LBB685_362:
	s_or_b64 exec, exec, s[0:1]
	v_cmp_gt_u32_e32 vcc, 60, v4
	v_add_u32_e32 v8, 4, v4
	s_waitcnt lgkmcnt(0)
	v_cndmask_b32_e64 v7, 0, 4, vcc
	v_add_lshl_u32 v7, v7, v3, 2
	ds_bpermute_b32 v7, v7, v6
	v_cmp_lt_u32_e32 vcc, v8, v5
	s_and_saveexec_b64 s[0:1], vcc
	;; [unrolled: 26-line block ×4, first 2 shown]
	s_cbranch_execz .LBB685_368
; %bb.367:
	s_movk_i32 s2, 0xcd
	s_waitcnt lgkmcnt(0)
	v_mul_lo_u16_sdwa v6, v7, s2 dst_sel:DWORD dst_unused:UNUSED_PAD src0_sel:BYTE_0 src1_sel:DWORD
	v_lshrrev_b16_e32 v6, 11, v6
	v_mul_lo_u16_e32 v6, 10, v6
	v_sub_u16_e32 v6, v7, v6
	v_mul_lo_u16_sdwa v7, v15, s2 dst_sel:DWORD dst_unused:UNUSED_PAD src0_sel:BYTE_0 src1_sel:DWORD
	v_lshrrev_b16_e32 v7, 11, v7
	v_mul_lo_u16_e32 v7, 10, v7
	v_sub_u16_e32 v7, v15, v7
	v_add_u16_e32 v6, v6, v7
	v_add_u16_e32 v7, -10, v6
	v_min_u16_sdwa v15, v6, v7 dst_sel:DWORD dst_unused:UNUSED_PAD src0_sel:BYTE_0 src1_sel:BYTE_0
	v_min_u16_sdwa v6, v6, v7 dst_sel:DWORD dst_unused:UNUSED_PAD src0_sel:BYTE_0 src1_sel:BYTE_0
.LBB685_368:
	s_or_b64 exec, exec, s[0:1]
	s_waitcnt lgkmcnt(0)
	v_lshlrev_b32_e32 v7, 2, v3
	v_or_b32_e32 v8, 0x80, v7
	ds_bpermute_b32 v6, v8, v6
	v_add_u32_e32 v4, 32, v4
	v_cmp_lt_u32_e32 vcc, v4, v5
	s_and_saveexec_b64 s[0:1], vcc
	s_cbranch_execz .LBB685_370
; %bb.369:
	s_movk_i32 s2, 0xcd
	s_waitcnt lgkmcnt(0)
	v_mul_lo_u16_sdwa v4, v6, s2 dst_sel:DWORD dst_unused:UNUSED_PAD src0_sel:BYTE_0 src1_sel:DWORD
	v_mul_lo_u16_sdwa v5, v15, s2 dst_sel:DWORD dst_unused:UNUSED_PAD src0_sel:BYTE_0 src1_sel:DWORD
	v_lshrrev_b16_e32 v4, 11, v4
	v_lshrrev_b16_e32 v5, 11, v5
	v_mul_lo_u16_e32 v4, 10, v4
	v_mul_lo_u16_e32 v5, 10, v5
	v_sub_u16_e32 v4, v6, v4
	v_sub_u16_e32 v5, v15, v5
	v_add_u16_e32 v4, v4, v5
	v_add_u16_e32 v5, -10, v4
	v_min_u16_sdwa v15, v4, v5 dst_sel:DWORD dst_unused:UNUSED_PAD src0_sel:BYTE_0 src1_sel:BYTE_0
.LBB685_370:
	s_or_b64 exec, exec, s[0:1]
	v_cmp_eq_u32_e32 vcc, 0, v3
	s_and_saveexec_b64 s[0:1], vcc
; %bb.371:
	v_lshrrev_b32_e32 v4, 6, v14
	ds_write_b8 v4, v15
; %bb.372:
	s_or_b64 exec, exec, s[0:1]
	v_cmp_gt_u32_e32 vcc, 4, v14
	s_waitcnt lgkmcnt(0)
	s_barrier
	s_and_saveexec_b64 s[0:1], vcc
	s_cbranch_execz .LBB685_378
; %bb.373:
	ds_read_u8 v15, v3
	v_and_b32_e32 v4, 3, v3
	v_cmp_ne_u32_e32 vcc, 3, v4
	v_add_u32_e32 v2, 63, v2
	v_lshrrev_b32_e32 v2, 6, v2
	v_addc_co_u32_e32 v3, vcc, 0, v3, vcc
	v_lshlrev_b32_e32 v5, 2, v3
	s_waitcnt lgkmcnt(0)
	v_and_b32_e32 v3, 0xff, v15
	ds_bpermute_b32 v5, v5, v3
	v_add_u32_e32 v6, 1, v4
	v_cmp_lt_u32_e32 vcc, v6, v2
	s_and_saveexec_b64 s[2:3], vcc
	s_cbranch_execz .LBB685_375
; %bb.374:
	s_movk_i32 s4, 0xcd
	s_waitcnt lgkmcnt(0)
	v_mul_lo_u16_sdwa v3, v5, s4 dst_sel:DWORD dst_unused:UNUSED_PAD src0_sel:BYTE_0 src1_sel:DWORD
	v_lshrrev_b16_e32 v3, 11, v3
	v_mul_lo_u16_e32 v3, 10, v3
	v_sub_u16_e32 v3, v5, v3
	v_mul_lo_u16_sdwa v5, v15, s4 dst_sel:DWORD dst_unused:UNUSED_PAD src0_sel:BYTE_0 src1_sel:DWORD
	v_lshrrev_b16_e32 v5, 11, v5
	v_mul_lo_u16_e32 v5, 10, v5
	v_sub_u16_e32 v5, v15, v5
	v_add_u16_e32 v3, v3, v5
	v_add_u16_e32 v5, -10, v3
	v_min_u16_sdwa v15, v3, v5 dst_sel:DWORD dst_unused:UNUSED_PAD src0_sel:BYTE_0 src1_sel:BYTE_0
	v_min_u16_sdwa v3, v3, v5 dst_sel:DWORD dst_unused:UNUSED_PAD src0_sel:BYTE_0 src1_sel:BYTE_0
.LBB685_375:
	s_or_b64 exec, exec, s[2:3]
	s_waitcnt lgkmcnt(0)
	v_or_b32_e32 v5, 8, v7
	ds_bpermute_b32 v3, v5, v3
	v_add_u32_e32 v4, 2, v4
	v_cmp_lt_u32_e32 vcc, v4, v2
	s_and_saveexec_b64 s[2:3], vcc
	s_cbranch_execz .LBB685_377
; %bb.376:
	s_movk_i32 s4, 0xcd
	s_waitcnt lgkmcnt(0)
	v_mul_lo_u16_sdwa v2, v3, s4 dst_sel:DWORD dst_unused:UNUSED_PAD src0_sel:BYTE_0 src1_sel:DWORD
	v_lshrrev_b16_e32 v2, 11, v2
	v_mul_lo_u16_e32 v2, 10, v2
	v_sub_u16_e32 v2, v3, v2
	v_mul_lo_u16_sdwa v3, v15, s4 dst_sel:DWORD dst_unused:UNUSED_PAD src0_sel:BYTE_0 src1_sel:DWORD
	v_lshrrev_b16_e32 v3, 11, v3
	v_mul_lo_u16_e32 v3, 10, v3
	v_sub_u16_e32 v3, v15, v3
	v_add_u16_e32 v2, v2, v3
	v_add_u16_e32 v3, -10, v2
	v_min_u16_sdwa v15, v2, v3 dst_sel:DWORD dst_unused:UNUSED_PAD src0_sel:BYTE_0 src1_sel:BYTE_0
.LBB685_377:
	s_or_b64 exec, exec, s[2:3]
.LBB685_378:
	s_or_b64 exec, exec, s[0:1]
	s_or_b64 exec, exec, s[34:35]
	v_cmp_eq_u32_e32 vcc, 0, v14
	s_and_b64 exec, exec, vcc
	s_cbranch_execz .LBB685_382
.LBB685_379:
	v_cmp_ne_u64_e32 vcc, 0, v[12:13]
	s_and_saveexec_b64 s[0:1], vcc
	s_cbranch_execz .LBB685_381
; %bb.380:
	s_movk_i32 s2, 0xcd
	v_mul_lo_u16_sdwa v2, v15, s2 dst_sel:DWORD dst_unused:UNUSED_PAD src0_sel:BYTE_0 src1_sel:DWORD
	s_waitcnt lgkmcnt(0)
	v_mul_lo_u16_sdwa v3, v20, s2 dst_sel:DWORD dst_unused:UNUSED_PAD src0_sel:BYTE_0 src1_sel:DWORD
	v_lshrrev_b16_e32 v2, 11, v2
	v_lshrrev_b16_e32 v3, 11, v3
	v_mul_lo_u16_e32 v2, 10, v2
	v_mul_lo_u16_e32 v3, 10, v3
	v_sub_u16_e32 v2, v15, v2
	v_sub_u16_e32 v3, v20, v3
	v_add_u16_e32 v2, v2, v3
	v_add_u16_e32 v3, -10, v2
	v_min_u16_sdwa v20, v2, v3 dst_sel:DWORD dst_unused:UNUSED_PAD src0_sel:BYTE_0 src1_sel:BYTE_0
.LBB685_381:
	s_or_b64 exec, exec, s[0:1]
	s_waitcnt lgkmcnt(0)
	v_lshl_add_u64 v[2:3], v[10:11], 0, s[12:13]
	flat_store_byte v[2:3], v20
.LBB685_382:
	s_or_b64 exec, exec, s[30:31]
	s_waitcnt lgkmcnt(0)
	flat_load_dwordx2 v[2:3], v[0:1]
	s_waitcnt vmcnt(0) lgkmcnt(0)
	flat_load_dword v2, v[2:3]
	s_waitcnt vmcnt(0) lgkmcnt(0)
	v_cmp_eq_u32_e32 vcc, 64, v2
	s_and_saveexec_b64 s[28:29], vcc
                                        ; implicit-def: $vgpr43 : SGPR spill to VGPR lane
	s_cbranch_execz .LBB685_624
; %bb.383:
	flat_load_dwordx4 v[2:5], v[0:1] offset:8
	flat_load_dwordx4 v[6:9], v[0:1] offset:24
	s_mov_b32 s1, 0
	s_lshl_b32 s0, s12, 14
	s_mov_b32 s13, s1
	v_and_b32_e32 v22, 0x3ff, v31
                                        ; implicit-def: $vgpr23
	s_waitcnt vmcnt(0) lgkmcnt(0)
	flat_load_dwordx2 v[20:21], v[4:5]
	flat_load_dwordx2 v[10:11], v[2:3]
	flat_load_dwordx2 v[18:19], v[6:7]
	flat_load_ubyte v28, v[8:9]
	s_waitcnt vmcnt(0) lgkmcnt(0)
	v_lshrrev_b64 v[2:3], 14, v[20:21]
	v_cmp_ne_u64_e32 vcc, s[12:13], v[2:3]
	v_lshl_add_u64 v[24:25], v[10:11], 0, s[0:1]
	s_and_saveexec_b64 s[2:3], vcc
	s_xor_b64 s[2:3], exec, s[2:3]
	s_cbranch_execnz .LBB685_386
; %bb.384:
	s_andn2_saveexec_b64 s[40:41], s[2:3]
	s_cbranch_execnz .LBB685_391
.LBB685_385:
	s_or_b64 exec, exec, s[40:41]
	v_cmp_eq_u32_e32 vcc, 0, v22
	s_and_b64 exec, exec, vcc
	s_cbranch_execnz .LBB685_621
	s_branch .LBB685_624
.LBB685_386:
	v_mov_b32_e32 v23, 0
	v_lshl_add_u64 v[2:3], v[24:25], 0, v[22:23]
	flat_load_ubyte v29, v[2:3] offset:256
	flat_load_ubyte v30, v[2:3]
	flat_load_ubyte v34, v[2:3] offset:512
	flat_load_ubyte v35, v[2:3] offset:768
	;; [unrolled: 1-line block ×14, first 2 shown]
	s_movk_i32 s4, 0x1000
	v_add_co_u32_e32 v4, vcc, s4, v2
	s_movk_i32 s5, 0x2000
	s_nop 0
	v_addc_co_u32_e32 v5, vcc, 0, v3, vcc
	v_add_co_u32_e32 v26, vcc, s5, v2
	s_movk_i32 s6, 0x3000
	s_nop 0
	v_addc_co_u32_e32 v27, vcc, 0, v3, vcc
	v_add_co_u32_e32 v32, vcc, s6, v2
	s_movk_i32 s1, 0xcd
	s_nop 0
	v_addc_co_u32_e32 v33, vcc, 0, v3, vcc
	flat_load_ubyte v64, v[4:5]
	flat_load_ubyte v65, v[4:5] offset:256
	flat_load_ubyte v66, v[4:5] offset:512
	;; [unrolled: 1-line block ×15, first 2 shown]
	flat_load_ubyte v96, v[26:27]
	flat_load_ubyte v97, v[26:27] offset:256
	flat_load_ubyte v98, v[26:27] offset:512
	;; [unrolled: 1-line block ×13, first 2 shown]
                                        ; kill: killed $vgpr4 killed $vgpr5
	flat_load_ubyte v24, v[26:27] offset:3584
	flat_load_ubyte v23, v[26:27] offset:3840
	flat_load_ubyte v17, v[32:33]
	flat_load_ubyte v16, v[32:33] offset:256
	flat_load_ubyte v15, v[32:33] offset:512
	;; [unrolled: 1-line block ×12, first 2 shown]
                                        ; kill: killed $vgpr26 killed $vgpr27
	flat_load_ubyte v4, v[32:33] offset:3328
	flat_load_ubyte v3, v[32:33] offset:3584
	;; [unrolled: 1-line block ×3, first 2 shown]
	s_waitcnt vmcnt(0) lgkmcnt(0)
	v_mul_lo_u16_e32 v26, 0xcd, v29
	v_mul_lo_u16_e32 v27, 0xcd, v30
	v_lshrrev_b16_e32 v26, 11, v26
	v_lshrrev_b16_e32 v27, 11, v27
	v_mul_lo_u16_e32 v26, 10, v26
	v_mul_lo_u16_e32 v27, 10, v27
	v_sub_u16_e32 v26, v29, v26
	v_sub_u16_e32 v27, v30, v27
	v_add_u16_e32 v26, v26, v27
	v_add_u16_e32 v27, -10, v26
	v_min_u16_sdwa v26, v26, v27 dst_sel:DWORD dst_unused:UNUSED_PAD src0_sel:BYTE_0 src1_sel:BYTE_0
	v_mul_lo_u16_e32 v27, 0xcd, v34
	v_mul_lo_u16_e32 v29, 0xcd, v26
	v_lshrrev_b16_e32 v27, 11, v27
	v_lshrrev_b16_e32 v29, 11, v29
	v_mul_lo_u16_e32 v27, 10, v27
	v_mul_lo_u16_e32 v29, 10, v29
	v_sub_u16_e32 v27, v34, v27
	v_sub_u16_e32 v26, v26, v29
	v_add_u16_e32 v26, v26, v27
	v_add_u16_e32 v27, -10, v26
	v_min_u16_sdwa v26, v26, v27 dst_sel:DWORD dst_unused:UNUSED_PAD src0_sel:BYTE_0 src1_sel:BYTE_0
	;; [unrolled: 11-line block ×44, first 2 shown]
	v_mul_lo_u16_e32 v27, 0xcd, v25
	v_lshrrev_b16_e32 v27, 11, v27
	v_mul_lo_u16_e32 v27, 10, v27
	v_sub_u16_e32 v25, v25, v27
	v_mul_lo_u16_e32 v27, 0xcd, v26
	v_lshrrev_b16_e32 v27, 11, v27
	v_mul_lo_u16_e32 v27, 10, v27
	v_sub_u16_e32 v26, v26, v27
	v_add_u16_e32 v25, v26, v25
	v_add_u16_e32 v26, -10, v25
	v_min_u16_sdwa v25, v25, v26 dst_sel:DWORD dst_unused:UNUSED_PAD src0_sel:BYTE_0 src1_sel:BYTE_0
	v_mul_lo_u16_e32 v26, 0xcd, v24
	v_lshrrev_b16_e32 v26, 11, v26
	v_mul_lo_u16_e32 v26, 10, v26
	v_sub_u16_e32 v24, v24, v26
	v_mul_lo_u16_e32 v26, 0xcd, v25
	v_lshrrev_b16_e32 v26, 11, v26
	v_mul_lo_u16_e32 v26, 10, v26
	v_sub_u16_e32 v25, v25, v26
	v_add_u16_e32 v24, v25, v24
	v_add_u16_e32 v25, -10, v24
	v_min_u16_sdwa v24, v24, v25 dst_sel:DWORD dst_unused:UNUSED_PAD src0_sel:BYTE_0 src1_sel:BYTE_0
	;; [unrolled: 11-line block ×19, first 2 shown]
	v_mul_lo_u16_e32 v5, 0xcd, v3
	v_lshrrev_b16_e32 v5, 11, v5
	v_mov_b32_dpp v4, v3 quad_perm:[1,0,3,2] row_mask:0xf bank_mask:0xf bound_ctrl:1
	v_mul_lo_u16_e32 v5, 10, v5
	v_sub_u16_e32 v3, v3, v5
	v_mul_lo_u16_sdwa v5, v4, s1 dst_sel:DWORD dst_unused:UNUSED_PAD src0_sel:BYTE_0 src1_sel:DWORD
	v_lshrrev_b16_e32 v5, 11, v5
	v_mul_lo_u16_e32 v5, 10, v5
	v_sub_u16_e32 v4, v4, v5
	v_add_u16_e32 v3, v3, v4
	v_add_u16_e32 v4, -10, v3
	v_min_u16_sdwa v3, v3, v4 dst_sel:DWORD dst_unused:UNUSED_PAD src0_sel:BYTE_0 src1_sel:BYTE_0
	v_mbcnt_lo_u32_b32 v2, -1, 0
	v_mbcnt_hi_u32_b32 v2, -1, v2
	v_mov_b32_dpp v4, v3 quad_perm:[2,3,0,1] row_mask:0xf bank_mask:0xf bound_ctrl:1
	v_mul_lo_u16_sdwa v5, v4, s1 dst_sel:DWORD dst_unused:UNUSED_PAD src0_sel:BYTE_0 src1_sel:DWORD
	v_lshrrev_b16_e32 v5, 11, v5
	v_mul_lo_u16_e32 v5, 10, v5
	v_sub_u16_e32 v4, v4, v5
	v_add_u16_e32 v3, v3, v4
	v_add_u16_e32 v4, -10, v3
	v_min_u16_sdwa v3, v3, v4 dst_sel:DWORD dst_unused:UNUSED_PAD src0_sel:BYTE_0 src1_sel:BYTE_0
	v_mul_lo_u16_e32 v5, 0xcd, v3
	v_lshrrev_b16_e32 v5, 11, v5
	v_mov_b32_dpp v4, v3 row_ror:4 row_mask:0xf bank_mask:0xf bound_ctrl:1
	v_mul_lo_u16_e32 v5, 10, v5
	v_sub_u16_e32 v3, v3, v5
	v_mul_lo_u16_sdwa v5, v4, s1 dst_sel:DWORD dst_unused:UNUSED_PAD src0_sel:BYTE_0 src1_sel:DWORD
	v_lshrrev_b16_e32 v5, 11, v5
	v_mul_lo_u16_e32 v5, 10, v5
	v_sub_u16_e32 v4, v4, v5
	v_add_u16_e32 v3, v3, v4
	v_add_u16_e32 v4, -10, v3
	v_min_u16_sdwa v3, v3, v4 dst_sel:DWORD dst_unused:UNUSED_PAD src0_sel:BYTE_0 src1_sel:BYTE_0
	v_mul_lo_u16_e32 v5, 0xcd, v3
	v_lshrrev_b16_e32 v5, 11, v5
	v_mov_b32_dpp v4, v3 row_ror:8 row_mask:0xf bank_mask:0xf bound_ctrl:1
	v_mul_lo_u16_e32 v5, 10, v5
	v_sub_u16_e32 v3, v3, v5
	v_mul_lo_u16_sdwa v5, v4, s1 dst_sel:DWORD dst_unused:UNUSED_PAD src0_sel:BYTE_0 src1_sel:DWORD
	v_lshrrev_b16_e32 v5, 11, v5
	v_mul_lo_u16_e32 v5, 10, v5
	v_sub_u16_e32 v4, v4, v5
	v_add_u16_e32 v3, v3, v4
	v_add_u16_e32 v4, -10, v3
	v_min_u16_sdwa v3, v3, v4 dst_sel:DWORD dst_unused:UNUSED_PAD src0_sel:BYTE_0 src1_sel:BYTE_0
	v_mul_lo_u16_e32 v5, 0xcd, v3
	v_lshrrev_b16_e32 v5, 11, v5
	v_mov_b32_dpp v4, v3 row_bcast:15 row_mask:0xf bank_mask:0xf bound_ctrl:1
	v_mul_lo_u16_e32 v5, 10, v5
	v_sub_u16_e32 v3, v3, v5
	v_mul_lo_u16_sdwa v5, v4, s1 dst_sel:DWORD dst_unused:UNUSED_PAD src0_sel:BYTE_0 src1_sel:DWORD
	v_lshrrev_b16_e32 v5, 11, v5
	v_mul_lo_u16_e32 v5, 10, v5
	v_sub_u16_e32 v4, v4, v5
	v_add_u16_e32 v3, v3, v4
	v_add_u16_e32 v4, -10, v3
	v_min_u16_sdwa v3, v3, v4 dst_sel:DWORD dst_unused:UNUSED_PAD src0_sel:BYTE_0 src1_sel:BYTE_0
	v_mul_lo_u16_e32 v5, 0xcd, v3
	v_lshrrev_b16_e32 v5, 11, v5
	v_mov_b32_dpp v4, v3 row_bcast:31 row_mask:0xf bank_mask:0xf bound_ctrl:1
	v_mul_lo_u16_e32 v5, 10, v5
	v_sub_u16_e32 v3, v3, v5
	v_mul_lo_u16_sdwa v5, v4, s1 dst_sel:DWORD dst_unused:UNUSED_PAD src0_sel:BYTE_0 src1_sel:DWORD
	v_lshrrev_b16_e32 v5, 11, v5
	v_mul_lo_u16_e32 v5, 10, v5
	v_sub_u16_e32 v4, v4, v5
	v_add_u16_e32 v4, v3, v4
	v_add_u16_e32 v5, -10, v4
	v_lshlrev_b32_e32 v3, 2, v2
	v_or_b32_e32 v6, 0xfc, v3
	v_min_u16_sdwa v4, v4, v5 dst_sel:DWORD dst_unused:UNUSED_PAD src0_sel:BYTE_0 src1_sel:BYTE_0
	ds_bpermute_b32 v23, v6, v4
	v_cmp_eq_u32_e32 vcc, 0, v2
	s_and_saveexec_b64 s[4:5], vcc
	s_cbranch_execz .LBB685_388
; %bb.387:
	v_lshrrev_b32_e32 v4, 6, v22
	s_waitcnt lgkmcnt(0)
	ds_write_b8 v4, v23 offset:28
.LBB685_388:
	s_or_b64 exec, exec, s[4:5]
	v_cmp_gt_u32_e32 vcc, 64, v22
	s_waitcnt lgkmcnt(0)
	s_barrier
	s_and_saveexec_b64 s[4:5], vcc
	s_cbranch_execz .LBB685_390
; %bb.389:
	v_and_b32_e32 v4, 3, v2
	ds_read_u8 v5, v4 offset:28
	v_cmp_ne_u32_e32 vcc, 3, v4
	v_or_b32_e32 v3, 8, v3
	s_waitcnt lgkmcnt(0)
	v_and_b32_e32 v4, 0xffff, v5
	v_addc_co_u32_e32 v2, vcc, 0, v2, vcc
	v_lshlrev_b32_e32 v2, 2, v2
	ds_bpermute_b32 v2, v2, v4
	v_mul_lo_u16_e32 v4, 0xcd, v5
	v_lshrrev_b16_e32 v4, 11, v4
	v_mul_lo_u16_e32 v4, 10, v4
	v_sub_u16_e32 v4, v5, v4
	s_waitcnt lgkmcnt(0)
	v_mul_lo_u16_sdwa v6, v2, s1 dst_sel:DWORD dst_unused:UNUSED_PAD src0_sel:BYTE_0 src1_sel:DWORD
	v_lshrrev_b16_e32 v6, 11, v6
	v_mul_lo_u16_e32 v6, 10, v6
	v_sub_u16_e32 v2, v2, v6
	v_add_u16_e32 v2, v2, v4
	v_add_u16_e32 v4, -10, v2
	v_min_u16_sdwa v2, v2, v4 dst_sel:DWORD dst_unused:UNUSED_PAD src0_sel:BYTE_0 src1_sel:BYTE_0
	ds_bpermute_b32 v3, v3, v2
	s_waitcnt lgkmcnt(0)
	v_mul_lo_u16_sdwa v4, v3, s1 dst_sel:DWORD dst_unused:UNUSED_PAD src0_sel:BYTE_0 src1_sel:DWORD
	v_lshrrev_b16_e32 v4, 11, v4
	v_mul_lo_u16_e32 v4, 10, v4
	v_sub_u16_e32 v3, v3, v4
	v_add_u16_e32 v2, v2, v3
	v_add_u16_e32 v3, -10, v2
	v_min_u16_sdwa v23, v2, v3 dst_sel:DWORD dst_unused:UNUSED_PAD src0_sel:BYTE_0 src1_sel:BYTE_0
.LBB685_390:
	s_or_b64 exec, exec, s[4:5]
                                        ; implicit-def: $vgpr24_vgpr25
	s_andn2_saveexec_b64 s[40:41], s[2:3]
	s_cbranch_execz .LBB685_385
.LBB685_391:
	v_subrev_u32_e32 v29, s0, v20
	v_mov_b32_e32 v2, 0
	v_cmp_lt_u32_e32 vcc, v22, v29
	v_mov_b32_e32 v3, v2
	v_mov_b32_e32 v4, v2
	;; [unrolled: 1-line block ×15, first 2 shown]
	s_and_saveexec_b64 s[0:1], vcc
	s_cbranch_execz .LBB685_393
; %bb.392:
	v_mov_b32_e32 v23, v2
	v_lshl_add_u64 v[4:5], v[24:25], 0, v[22:23]
	flat_load_ubyte a0, v[4:5]
	v_accvgpr_write_b32 a15, v2
	v_accvgpr_write_b32 a1, v2
	;; [unrolled: 1-line block ×15, first 2 shown]
	s_waitcnt vmcnt(0) lgkmcnt(0)
	v_accvgpr_read_b32 v17, a15
	v_accvgpr_read_b32 v16, a14
	;; [unrolled: 1-line block ×16, first 2 shown]
.LBB685_393:
	s_or_b64 exec, exec, s[0:1]
	v_add_u32_e32 v23, 0x100, v22
	v_cmp_lt_u32_e64 s[2:3], v23, v29
	s_mov_b64 s[0:1], exec
	s_nop 0
	v_writelane_b32 v43, s2, 0
	s_nop 1
	v_writelane_b32 v43, s3, 1
	s_and_b64 s[2:3], s[0:1], s[2:3]
	s_mov_b64 exec, s[2:3]
	s_cbranch_execz .LBB685_395
; %bb.394:
	v_mov_b32_e32 v23, 0
	v_lshl_add_u64 v[26:27], v[24:25], 0, v[22:23]
	flat_load_ubyte v23, v[26:27] offset:256
	s_mov_b32 s2, 0x7060004
	s_waitcnt vmcnt(0) lgkmcnt(0)
	v_perm_b32 v2, v2, v23, s2
.LBB685_395:
	s_or_b64 exec, exec, s[0:1]
	v_add_u32_e32 v23, 0x200, v22
	v_cmp_lt_u32_e64 s[2:3], v23, v29
	s_mov_b64 s[0:1], exec
	s_nop 0
	v_writelane_b32 v43, s2, 2
	s_nop 1
	v_writelane_b32 v43, s3, 3
	s_and_b64 s[2:3], s[0:1], s[2:3]
	s_mov_b64 exec, s[2:3]
	s_cbranch_execz .LBB685_397
; %bb.396:
	v_mov_b32_e32 v23, 0
	v_lshl_add_u64 v[26:27], v[24:25], 0, v[22:23]
	flat_load_ubyte v23, v[26:27] offset:512
	s_mov_b32 s2, 0x7000504
	s_waitcnt vmcnt(0) lgkmcnt(0)
	v_perm_b32 v2, v2, v23, s2
.LBB685_397:
	;; [unrolled: 19-line block ×3, first 2 shown]
	s_or_b64 exec, exec, s[0:1]
	v_or_b32_e32 v23, 0x400, v22
	v_cmp_lt_u32_e64 s[2:3], v23, v29
	s_mov_b64 s[0:1], exec
	s_nop 0
	v_writelane_b32 v43, s2, 6
	s_nop 1
	v_writelane_b32 v43, s3, 7
	s_and_b64 s[2:3], s[0:1], s[2:3]
	s_mov_b64 exec, s[2:3]
	s_cbranch_execz .LBB685_401
; %bb.400:
	v_mov_b32_e32 v23, 0
	v_lshl_add_u64 v[26:27], v[24:25], 0, v[22:23]
	flat_load_ubyte v23, v[26:27] offset:1024
	s_mov_b32 s2, 0x3020104
	s_waitcnt vmcnt(0) lgkmcnt(0)
	v_perm_b32 v3, v23, v3, s2
.LBB685_401:
	s_or_b64 exec, exec, s[0:1]
	v_add_u32_e32 v23, 0x500, v22
	v_cmp_lt_u32_e64 s[2:3], v23, v29
	s_mov_b64 s[0:1], exec
	s_nop 0
	v_writelane_b32 v43, s2, 8
	s_nop 1
	v_writelane_b32 v43, s3, 9
	s_and_b64 s[2:3], s[0:1], s[2:3]
	s_mov_b64 exec, s[2:3]
	s_cbranch_execz .LBB685_403
; %bb.402:
	v_mov_b32_e32 v23, 0
	v_lshl_add_u64 v[26:27], v[24:25], 0, v[22:23]
	flat_load_ubyte v23, v[26:27] offset:1280
	s_mov_b32 s2, 0x7060004
	s_waitcnt vmcnt(0) lgkmcnt(0)
	v_perm_b32 v3, v3, v23, s2
.LBB685_403:
	s_or_b64 exec, exec, s[0:1]
	v_add_u32_e32 v23, 0x600, v22
	;; [unrolled: 19-line block ×3, first 2 shown]
	v_cmp_lt_u32_e64 s[2:3], v23, v29
	s_mov_b64 s[0:1], exec
	s_nop 0
	v_writelane_b32 v43, s2, 12
	s_nop 1
	v_writelane_b32 v43, s3, 13
	s_and_b64 s[2:3], s[0:1], s[2:3]
	s_mov_b64 exec, s[2:3]
	s_cbranch_execz .LBB685_407
; %bb.406:
	v_mov_b32_e32 v23, 0
	v_lshl_add_u64 v[26:27], v[24:25], 0, v[22:23]
	flat_load_ubyte v23, v[26:27] offset:1792
	s_mov_b32 s2, 0x60504
	s_waitcnt vmcnt(0) lgkmcnt(0)
	v_perm_b32 v3, v3, v23, s2
.LBB685_407:
	s_or_b64 exec, exec, s[0:1]
	v_or_b32_e32 v23, 0x800, v22
	v_cmp_lt_u32_e64 s[2:3], v23, v29
	s_mov_b64 s[0:1], exec
	s_nop 0
	v_writelane_b32 v43, s2, 14
	s_nop 1
	v_writelane_b32 v43, s3, 15
	s_and_b64 s[2:3], s[0:1], s[2:3]
	s_mov_b64 exec, s[2:3]
	s_cbranch_execz .LBB685_409
; %bb.408:
	v_mov_b32_e32 v23, 0
	v_lshl_add_u64 v[26:27], v[24:25], 0, v[22:23]
	flat_load_ubyte v23, v[26:27] offset:2048
	s_mov_b32 s2, 0x3020104
	s_waitcnt vmcnt(0) lgkmcnt(0)
	v_perm_b32 v4, v23, v4, s2
.LBB685_409:
	s_or_b64 exec, exec, s[0:1]
	v_add_u32_e32 v23, 0x900, v22
	v_cmp_lt_u32_e64 s[2:3], v23, v29
	s_mov_b64 s[0:1], exec
	s_nop 0
	v_writelane_b32 v43, s2, 16
	s_nop 1
	v_writelane_b32 v43, s3, 17
	s_and_b64 s[2:3], s[0:1], s[2:3]
	s_mov_b64 exec, s[2:3]
	s_cbranch_execz .LBB685_411
; %bb.410:
	v_mov_b32_e32 v23, 0
	v_lshl_add_u64 v[26:27], v[24:25], 0, v[22:23]
	flat_load_ubyte v23, v[26:27] offset:2304
	s_mov_b32 s2, 0x7060004
	s_waitcnt vmcnt(0) lgkmcnt(0)
	v_perm_b32 v4, v4, v23, s2
.LBB685_411:
	s_or_b64 exec, exec, s[0:1]
	v_add_u32_e32 v23, 0xa00, v22
	;; [unrolled: 19-line block ×3, first 2 shown]
	v_cmp_lt_u32_e64 s[2:3], v23, v29
	s_mov_b64 s[0:1], exec
	s_nop 0
	v_writelane_b32 v43, s2, 20
	s_nop 1
	v_writelane_b32 v43, s3, 21
	s_and_b64 s[2:3], s[0:1], s[2:3]
	s_mov_b64 exec, s[2:3]
	s_cbranch_execz .LBB685_415
; %bb.414:
	v_mov_b32_e32 v23, 0
	v_lshl_add_u64 v[26:27], v[24:25], 0, v[22:23]
	flat_load_ubyte v23, v[26:27] offset:2816
	s_mov_b32 s2, 0x60504
	s_waitcnt vmcnt(0) lgkmcnt(0)
	v_perm_b32 v4, v4, v23, s2
.LBB685_415:
	s_or_b64 exec, exec, s[0:1]
	v_or_b32_e32 v23, 0xc00, v22
	v_cmp_lt_u32_e64 s[2:3], v23, v29
	s_mov_b64 s[0:1], exec
	s_nop 0
	v_writelane_b32 v43, s2, 22
	s_nop 1
	v_writelane_b32 v43, s3, 23
	s_and_b64 s[2:3], s[0:1], s[2:3]
	s_mov_b64 exec, s[2:3]
	s_cbranch_execz .LBB685_417
; %bb.416:
	v_mov_b32_e32 v23, 0
	v_lshl_add_u64 v[26:27], v[24:25], 0, v[22:23]
	flat_load_ubyte v23, v[26:27] offset:3072
	s_mov_b32 s2, 0x3020104
	s_waitcnt vmcnt(0) lgkmcnt(0)
	v_perm_b32 v5, v23, v5, s2
.LBB685_417:
	s_or_b64 exec, exec, s[0:1]
	v_add_u32_e32 v23, 0xd00, v22
	v_cmp_lt_u32_e64 s[2:3], v23, v29
	s_mov_b64 s[0:1], exec
	s_nop 0
	v_writelane_b32 v43, s2, 24
	s_nop 1
	v_writelane_b32 v43, s3, 25
	s_and_b64 s[2:3], s[0:1], s[2:3]
	s_mov_b64 exec, s[2:3]
	s_cbranch_execz .LBB685_419
; %bb.418:
	v_mov_b32_e32 v23, 0
	v_lshl_add_u64 v[26:27], v[24:25], 0, v[22:23]
	flat_load_ubyte v23, v[26:27] offset:3328
	s_mov_b32 s2, 0x7060004
	s_waitcnt vmcnt(0) lgkmcnt(0)
	v_perm_b32 v5, v5, v23, s2
.LBB685_419:
	s_or_b64 exec, exec, s[0:1]
	v_add_u32_e32 v23, 0xe00, v22
	;; [unrolled: 19-line block ×3, first 2 shown]
	v_cmp_lt_u32_e64 s[2:3], v23, v29
	s_mov_b64 s[0:1], exec
	s_nop 0
	v_writelane_b32 v43, s2, 28
	s_nop 1
	v_writelane_b32 v43, s3, 29
	s_and_b64 s[2:3], s[0:1], s[2:3]
	s_mov_b64 exec, s[2:3]
	s_cbranch_execz .LBB685_423
; %bb.422:
	v_mov_b32_e32 v23, 0
	v_lshl_add_u64 v[26:27], v[24:25], 0, v[22:23]
	flat_load_ubyte v23, v[26:27] offset:3840
	s_mov_b32 s2, 0x60504
	s_waitcnt vmcnt(0) lgkmcnt(0)
	v_perm_b32 v5, v5, v23, s2
.LBB685_423:
	s_or_b64 exec, exec, s[0:1]
	v_or_b32_e32 v26, 0x1000, v22
	v_cmp_lt_u32_e64 s[2:3], v26, v29
	s_mov_b64 s[0:1], exec
	s_nop 0
	v_writelane_b32 v43, s2, 30
	s_nop 1
	v_writelane_b32 v43, s3, 31
	s_and_b64 s[2:3], s[0:1], s[2:3]
	s_mov_b64 exec, s[2:3]
	s_cbranch_execz .LBB685_425
; %bb.424:
	v_mov_b32_e32 v27, 0
	v_lshl_add_u64 v[26:27], v[24:25], 0, v[26:27]
	flat_load_ubyte v23, v[26:27]
	s_mov_b32 s2, 0x3020104
	s_waitcnt vmcnt(0) lgkmcnt(0)
	v_perm_b32 v6, v23, v6, s2
.LBB685_425:
	s_or_b64 exec, exec, s[0:1]
	v_add_u32_e32 v26, 0x1100, v22
	v_cmp_lt_u32_e64 s[2:3], v26, v29
	s_mov_b64 s[0:1], exec
	s_nop 0
	v_writelane_b32 v43, s2, 32
	s_nop 1
	v_writelane_b32 v43, s3, 33
	s_and_b64 s[2:3], s[0:1], s[2:3]
	s_mov_b64 exec, s[2:3]
	s_cbranch_execz .LBB685_427
; %bb.426:
	v_mov_b32_e32 v27, 0
	v_lshl_add_u64 v[26:27], v[24:25], 0, v[26:27]
	flat_load_ubyte v23, v[26:27]
	s_mov_b32 s2, 0x7060004
	s_waitcnt vmcnt(0) lgkmcnt(0)
	v_perm_b32 v6, v6, v23, s2
.LBB685_427:
	s_or_b64 exec, exec, s[0:1]
	v_add_u32_e32 v26, 0x1200, v22
	;; [unrolled: 19-line block ×3, first 2 shown]
	v_cmp_lt_u32_e64 s[46:47], v26, v29
	s_and_saveexec_b64 s[0:1], s[46:47]
	s_cbranch_execz .LBB685_431
; %bb.430:
	v_mov_b32_e32 v27, 0
	v_lshl_add_u64 v[26:27], v[24:25], 0, v[26:27]
	flat_load_ubyte v23, v[26:27]
	s_mov_b32 s2, 0x60504
	s_waitcnt vmcnt(0) lgkmcnt(0)
	v_perm_b32 v6, v6, v23, s2
.LBB685_431:
	s_or_b64 exec, exec, s[0:1]
	v_or_b32_e32 v26, 0x1400, v22
	v_cmp_lt_u32_e64 s[56:57], v26, v29
	s_and_saveexec_b64 s[0:1], s[56:57]
	s_cbranch_execz .LBB685_433
; %bb.432:
	v_mov_b32_e32 v27, 0
	v_lshl_add_u64 v[26:27], v[24:25], 0, v[26:27]
	flat_load_ubyte v23, v[26:27]
	s_mov_b32 s2, 0x3020104
	s_waitcnt vmcnt(0) lgkmcnt(0)
	v_perm_b32 v7, v23, v7, s2
.LBB685_433:
	s_or_b64 exec, exec, s[0:1]
	v_add_u32_e32 v26, 0x1500, v22
	v_cmp_lt_u32_e64 s[58:59], v26, v29
	s_and_saveexec_b64 s[0:1], s[58:59]
	s_cbranch_execz .LBB685_435
; %bb.434:
	v_mov_b32_e32 v27, 0
	v_lshl_add_u64 v[26:27], v[24:25], 0, v[26:27]
	flat_load_ubyte v23, v[26:27]
	s_mov_b32 s2, 0x7060004
	s_waitcnt vmcnt(0) lgkmcnt(0)
	v_perm_b32 v7, v7, v23, s2
.LBB685_435:
	s_or_b64 exec, exec, s[0:1]
	v_add_u32_e32 v26, 0x1600, v22
	v_cmp_lt_u32_e64 s[60:61], v26, v29
	s_and_saveexec_b64 s[0:1], s[60:61]
	s_cbranch_execz .LBB685_437
; %bb.436:
	v_mov_b32_e32 v27, 0
	v_lshl_add_u64 v[26:27], v[24:25], 0, v[26:27]
	flat_load_ubyte v23, v[26:27]
	s_mov_b32 s2, 0x7000504
	s_waitcnt vmcnt(0) lgkmcnt(0)
	v_perm_b32 v7, v7, v23, s2
.LBB685_437:
	s_or_b64 exec, exec, s[0:1]
	v_add_u32_e32 v26, 0x1700, v22
	v_cmp_lt_u32_e64 s[62:63], v26, v29
	s_and_saveexec_b64 s[0:1], s[62:63]
	s_cbranch_execz .LBB685_439
; %bb.438:
	v_mov_b32_e32 v27, 0
	v_lshl_add_u64 v[26:27], v[24:25], 0, v[26:27]
	flat_load_ubyte v23, v[26:27]
	s_mov_b32 s2, 0x60504
	s_waitcnt vmcnt(0) lgkmcnt(0)
	v_perm_b32 v7, v7, v23, s2
.LBB685_439:
	s_or_b64 exec, exec, s[0:1]
	v_or_b32_e32 v26, 0x1800, v22
	v_cmp_lt_u32_e64 s[72:73], v26, v29
	s_and_saveexec_b64 s[0:1], s[72:73]
	s_cbranch_execz .LBB685_441
; %bb.440:
	v_mov_b32_e32 v27, 0
	v_lshl_add_u64 v[26:27], v[24:25], 0, v[26:27]
	flat_load_ubyte v23, v[26:27]
	s_mov_b32 s2, 0x3020104
	s_waitcnt vmcnt(0) lgkmcnt(0)
	v_perm_b32 v8, v23, v8, s2
.LBB685_441:
	s_or_b64 exec, exec, s[0:1]
	v_add_u32_e32 v26, 0x1900, v22
	v_cmp_lt_u32_e64 s[74:75], v26, v29
	s_and_saveexec_b64 s[0:1], s[74:75]
	s_cbranch_execz .LBB685_443
; %bb.442:
	v_mov_b32_e32 v27, 0
	v_lshl_add_u64 v[26:27], v[24:25], 0, v[26:27]
	flat_load_ubyte v23, v[26:27]
	s_mov_b32 s2, 0x7060004
	s_waitcnt vmcnt(0) lgkmcnt(0)
	v_perm_b32 v8, v8, v23, s2
.LBB685_443:
	s_or_b64 exec, exec, s[0:1]
	v_add_u32_e32 v26, 0x1a00, v22
	v_cmp_lt_u32_e64 s[76:77], v26, v29
	s_and_saveexec_b64 s[0:1], s[76:77]
	s_cbranch_execz .LBB685_445
; %bb.444:
	v_mov_b32_e32 v27, 0
	v_lshl_add_u64 v[26:27], v[24:25], 0, v[26:27]
	flat_load_ubyte v23, v[26:27]
	s_mov_b32 s2, 0x7000504
	s_waitcnt vmcnt(0) lgkmcnt(0)
	v_perm_b32 v8, v8, v23, s2
.LBB685_445:
	s_or_b64 exec, exec, s[0:1]
	v_add_u32_e32 v26, 0x1b00, v22
	;; [unrolled: 52-line block ×10, first 2 shown]
	v_cmp_lt_u32_e64 s[20:21], v26, v29
	s_and_saveexec_b64 s[22:23], s[20:21]
	s_cbranch_execz .LBB685_511
; %bb.510:
	v_mov_b32_e32 v27, 0
	v_lshl_add_u64 v[26:27], v[24:25], 0, v[26:27]
	flat_load_ubyte v23, v[26:27]
	s_mov_b32 s24, 0x60504
	s_waitcnt vmcnt(0) lgkmcnt(0)
	v_perm_b32 v16, v16, v23, s24
.LBB685_511:
	s_or_b64 exec, exec, s[22:23]
	v_or_b32_e32 v26, 0x3c00, v22
	v_cmp_lt_u32_e64 s[22:23], v26, v29
	s_and_saveexec_b64 s[24:25], s[22:23]
	s_cbranch_execz .LBB685_513
; %bb.512:
	v_mov_b32_e32 v27, 0
	v_lshl_add_u64 v[26:27], v[24:25], 0, v[26:27]
	flat_load_ubyte v23, v[26:27]
	s_mov_b32 s26, 0x3020104
	s_waitcnt vmcnt(0) lgkmcnt(0)
	v_perm_b32 v17, v23, v17, s26
.LBB685_513:
	s_or_b64 exec, exec, s[24:25]
	v_add_u32_e32 v26, 0x3d00, v22
	v_cmp_lt_u32_e64 s[24:25], v26, v29
	s_and_saveexec_b64 s[26:27], s[24:25]
	s_cbranch_execz .LBB685_515
; %bb.514:
	v_mov_b32_e32 v27, 0
	v_lshl_add_u64 v[26:27], v[24:25], 0, v[26:27]
	flat_load_ubyte v23, v[26:27]
	s_mov_b32 s42, 0x7060004
	s_waitcnt vmcnt(0) lgkmcnt(0)
	v_perm_b32 v17, v17, v23, s42
.LBB685_515:
	s_or_b64 exec, exec, s[26:27]
	v_add_u32_e32 v26, 0x3e00, v22
	v_cmp_lt_u32_e64 s[26:27], v26, v29
	s_and_saveexec_b64 vcc, s[26:27]
	s_cbranch_execz .LBB685_517
; %bb.516:
	v_mov_b32_e32 v27, 0
	v_lshl_add_u64 v[26:27], v[24:25], 0, v[26:27]
	flat_load_ubyte v23, v[26:27]
	s_mov_b32 s42, 0x7000504
	s_waitcnt vmcnt(0) lgkmcnt(0)
	v_perm_b32 v17, v17, v23, s42
.LBB685_517:
	s_or_b64 exec, exec, vcc
	v_add_u32_e32 v26, 0x3f00, v22
	v_cmp_lt_u32_e32 vcc, v26, v29
	s_and_saveexec_b64 s[42:43], vcc
	s_cbranch_execz .LBB685_519
; %bb.518:
	v_mov_b32_e32 v27, 0
	v_lshl_add_u64 v[24:25], v[24:25], 0, v[26:27]
	flat_load_ubyte v23, v[24:25]
	s_mov_b32 s44, 0x60504
	s_waitcnt vmcnt(0) lgkmcnt(0)
	v_perm_b32 v17, v17, v23, s44
.LBB685_519:
	s_or_b64 exec, exec, s[42:43]
	v_mov_b32_e32 v23, v2
	s_mov_b64 s[42:43], exec
	v_readlane_b32 s44, v43, 0
	v_readlane_b32 s45, v43, 1
	s_and_b64 s[44:45], s[42:43], s[44:45]
	s_mov_b64 exec, s[44:45]
	s_cbranch_execz .LBB685_521
; %bb.520:
	v_lshrrev_b32_e32 v23, 8, v2
	s_movk_i32 s44, 0xcd
	v_mul_lo_u16_sdwa v24, v23, s44 dst_sel:DWORD dst_unused:UNUSED_PAD src0_sel:BYTE_0 src1_sel:DWORD
	v_lshrrev_b16_e32 v24, 11, v24
	v_mul_lo_u16_e32 v24, 10, v24
	v_sub_u16_e32 v23, v23, v24
	v_mul_lo_u16_sdwa v24, v2, s44 dst_sel:DWORD dst_unused:UNUSED_PAD src0_sel:BYTE_0 src1_sel:DWORD
	v_lshrrev_b16_e32 v24, 11, v24
	v_mul_lo_u16_e32 v24, 10, v24
	v_sub_u16_e32 v24, v2, v24
	v_add_u16_e32 v23, v23, v24
	v_add_u16_e32 v24, -10, v23
	v_min_u16_sdwa v23, v23, v24 dst_sel:DWORD dst_unused:UNUSED_PAD src0_sel:BYTE_0 src1_sel:BYTE_0
.LBB685_521:
	s_or_b64 exec, exec, s[42:43]
	s_mov_b64 s[42:43], exec
	v_readlane_b32 s44, v43, 2
	v_readlane_b32 s45, v43, 3
	s_and_b64 s[44:45], s[42:43], s[44:45]
	s_mov_b64 exec, s[44:45]
	s_cbranch_execz .LBB685_523
; %bb.522:
	s_movk_i32 s44, 0xff
	v_and_b32_sdwa v24, v2, s44 dst_sel:DWORD dst_unused:UNUSED_PAD src0_sel:WORD_1 src1_sel:DWORD
	s_movk_i32 s44, 0xcd
	v_mul_lo_u16_e32 v24, 0xcd, v24
	v_mul_lo_u16_sdwa v25, v23, s44 dst_sel:DWORD dst_unused:UNUSED_PAD src0_sel:BYTE_0 src1_sel:DWORD
	v_lshrrev_b16_e32 v24, 11, v24
	v_lshrrev_b16_e32 v25, 11, v25
	v_mul_lo_u16_e32 v24, 10, v24
	v_mul_lo_u16_e32 v25, 10, v25
	v_sub_u16_sdwa v24, v2, v24 dst_sel:DWORD dst_unused:UNUSED_PAD src0_sel:WORD_1 src1_sel:DWORD
	v_sub_u16_e32 v23, v23, v25
	v_add_u16_e32 v23, v23, v24
	v_add_u16_e32 v24, -10, v23
	v_min_u16_sdwa v23, v23, v24 dst_sel:DWORD dst_unused:UNUSED_PAD src0_sel:BYTE_0 src1_sel:BYTE_0
.LBB685_523:
	s_or_b64 exec, exec, s[42:43]
	s_mov_b64 s[42:43], exec
	v_readlane_b32 s44, v43, 4
	v_readlane_b32 s45, v43, 5
	s_and_b64 s[44:45], s[42:43], s[44:45]
	s_mov_b64 exec, s[44:45]
	s_cbranch_execz .LBB685_525
; %bb.524:
	v_lshrrev_b64 v[24:25], 24, v[2:3]
	s_movk_i32 s44, 0xcd
	v_mul_lo_u16_sdwa v2, v24, s44 dst_sel:DWORD dst_unused:UNUSED_PAD src0_sel:BYTE_0 src1_sel:DWORD
	v_lshrrev_b16_e32 v2, 11, v2
	v_mul_lo_u16_e32 v2, 10, v2
	v_sub_u16_e32 v2, v24, v2
	v_mul_lo_u16_sdwa v24, v23, s44 dst_sel:DWORD dst_unused:UNUSED_PAD src0_sel:BYTE_0 src1_sel:DWORD
	v_lshrrev_b16_e32 v24, 11, v24
	v_mul_lo_u16_e32 v24, 10, v24
	v_sub_u16_e32 v23, v23, v24
	v_add_u16_e32 v2, v23, v2
	v_add_u16_e32 v23, -10, v2
	v_min_u16_sdwa v23, v2, v23 dst_sel:DWORD dst_unused:UNUSED_PAD src0_sel:BYTE_0 src1_sel:BYTE_0
.LBB685_525:
	s_or_b64 exec, exec, s[42:43]
	s_mov_b64 s[42:43], exec
	v_readlane_b32 s44, v43, 6
	v_readlane_b32 s45, v43, 7
	s_and_b64 s[44:45], s[42:43], s[44:45]
	s_mov_b64 exec, s[44:45]
	s_cbranch_execz .LBB685_527
; %bb.526:
	s_movk_i32 s44, 0xcd
	v_mul_lo_u16_sdwa v2, v3, s44 dst_sel:DWORD dst_unused:UNUSED_PAD src0_sel:BYTE_0 src1_sel:DWORD
	v_mul_lo_u16_sdwa v24, v23, s44 dst_sel:DWORD dst_unused:UNUSED_PAD src0_sel:BYTE_0 src1_sel:DWORD
	v_lshrrev_b16_e32 v2, 11, v2
	v_lshrrev_b16_e32 v24, 11, v24
	v_mul_lo_u16_e32 v2, 10, v2
	v_mul_lo_u16_e32 v24, 10, v24
	v_sub_u16_e32 v2, v3, v2
	v_sub_u16_e32 v23, v23, v24
	v_add_u16_e32 v2, v23, v2
	v_add_u16_e32 v23, -10, v2
	v_min_u16_sdwa v23, v2, v23 dst_sel:DWORD dst_unused:UNUSED_PAD src0_sel:BYTE_0 src1_sel:BYTE_0
.LBB685_527:
	s_or_b64 exec, exec, s[42:43]
	s_mov_b64 s[42:43], exec
	v_readlane_b32 s44, v43, 8
	v_readlane_b32 s45, v43, 9
	s_and_b64 s[44:45], s[42:43], s[44:45]
	s_mov_b64 exec, s[44:45]
	s_cbranch_execz .LBB685_529
; %bb.528:
	v_lshrrev_b32_e32 v2, 8, v3
	s_movk_i32 s44, 0xcd
	v_mul_lo_u16_sdwa v24, v2, s44 dst_sel:DWORD dst_unused:UNUSED_PAD src0_sel:BYTE_0 src1_sel:DWORD
	v_lshrrev_b16_e32 v24, 11, v24
	v_mul_lo_u16_e32 v24, 10, v24
	v_sub_u16_e32 v2, v2, v24
	v_mul_lo_u16_sdwa v24, v23, s44 dst_sel:DWORD dst_unused:UNUSED_PAD src0_sel:BYTE_0 src1_sel:DWORD
	v_lshrrev_b16_e32 v24, 11, v24
	v_mul_lo_u16_e32 v24, 10, v24
	v_sub_u16_e32 v23, v23, v24
	v_add_u16_e32 v2, v23, v2
	v_add_u16_e32 v23, -10, v2
	v_min_u16_sdwa v23, v2, v23 dst_sel:DWORD dst_unused:UNUSED_PAD src0_sel:BYTE_0 src1_sel:BYTE_0
.LBB685_529:
	s_or_b64 exec, exec, s[42:43]
	s_mov_b64 s[42:43], exec
	v_readlane_b32 s44, v43, 10
	v_readlane_b32 s45, v43, 11
	s_and_b64 s[44:45], s[42:43], s[44:45]
	s_mov_b64 exec, s[44:45]
	s_cbranch_execz .LBB685_531
; %bb.530:
	s_movk_i32 s44, 0xff
	v_and_b32_sdwa v2, v3, s44 dst_sel:DWORD dst_unused:UNUSED_PAD src0_sel:WORD_1 src1_sel:DWORD
	s_movk_i32 s44, 0xcd
	v_mul_lo_u16_e32 v2, 0xcd, v2
	v_mul_lo_u16_sdwa v24, v23, s44 dst_sel:DWORD dst_unused:UNUSED_PAD src0_sel:BYTE_0 src1_sel:DWORD
	v_lshrrev_b16_e32 v2, 11, v2
	v_lshrrev_b16_e32 v24, 11, v24
	v_mul_lo_u16_e32 v2, 10, v2
	v_mul_lo_u16_e32 v24, 10, v24
	v_sub_u16_sdwa v2, v3, v2 dst_sel:DWORD dst_unused:UNUSED_PAD src0_sel:WORD_1 src1_sel:DWORD
	v_sub_u16_e32 v23, v23, v24
	v_add_u16_e32 v2, v23, v2
	v_add_u16_e32 v23, -10, v2
	v_min_u16_sdwa v23, v2, v23 dst_sel:DWORD dst_unused:UNUSED_PAD src0_sel:BYTE_0 src1_sel:BYTE_0
.LBB685_531:
	s_or_b64 exec, exec, s[42:43]
	s_mov_b64 s[42:43], exec
	v_readlane_b32 s44, v43, 12
	v_readlane_b32 s45, v43, 13
	s_and_b64 s[44:45], s[42:43], s[44:45]
	s_mov_b64 exec, s[44:45]
	s_cbranch_execz .LBB685_533
; %bb.532:
	s_movk_i32 s44, 0xcd
	v_mul_lo_u16_sdwa v2, v3, s44 dst_sel:DWORD dst_unused:UNUSED_PAD src0_sel:BYTE_3 src1_sel:DWORD
	v_lshrrev_b16_e32 v2, 11, v2
	v_mul_lo_u16_e32 v2, 10, v2
	v_sub_u16_sdwa v2, v3, v2 dst_sel:DWORD dst_unused:UNUSED_PAD src0_sel:BYTE_3 src1_sel:DWORD
	v_mul_lo_u16_sdwa v3, v23, s44 dst_sel:DWORD dst_unused:UNUSED_PAD src0_sel:BYTE_0 src1_sel:DWORD
	v_lshrrev_b16_e32 v3, 11, v3
	v_mul_lo_u16_e32 v3, 10, v3
	v_sub_u16_e32 v3, v23, v3
	v_add_u16_e32 v2, v3, v2
	v_add_u16_e32 v3, -10, v2
	v_min_u16_sdwa v23, v2, v3 dst_sel:DWORD dst_unused:UNUSED_PAD src0_sel:BYTE_0 src1_sel:BYTE_0
.LBB685_533:
	s_or_b64 exec, exec, s[42:43]
	s_mov_b64 s[42:43], exec
	v_readlane_b32 s44, v43, 14
	v_readlane_b32 s45, v43, 15
	s_and_b64 s[44:45], s[42:43], s[44:45]
	s_mov_b64 exec, s[44:45]
	s_cbranch_execz .LBB685_535
; %bb.534:
	s_movk_i32 s44, 0xcd
	v_mul_lo_u16_sdwa v2, v4, s44 dst_sel:DWORD dst_unused:UNUSED_PAD src0_sel:BYTE_0 src1_sel:DWORD
	v_mul_lo_u16_sdwa v3, v23, s44 dst_sel:DWORD dst_unused:UNUSED_PAD src0_sel:BYTE_0 src1_sel:DWORD
	v_lshrrev_b16_e32 v2, 11, v2
	v_lshrrev_b16_e32 v3, 11, v3
	v_mul_lo_u16_e32 v2, 10, v2
	v_mul_lo_u16_e32 v3, 10, v3
	v_sub_u16_e32 v2, v4, v2
	v_sub_u16_e32 v3, v23, v3
	v_add_u16_e32 v2, v3, v2
	v_add_u16_e32 v3, -10, v2
	v_min_u16_sdwa v23, v2, v3 dst_sel:DWORD dst_unused:UNUSED_PAD src0_sel:BYTE_0 src1_sel:BYTE_0
.LBB685_535:
	s_or_b64 exec, exec, s[42:43]
	s_mov_b64 s[42:43], exec
	v_readlane_b32 s44, v43, 16
	v_readlane_b32 s45, v43, 17
	s_and_b64 s[44:45], s[42:43], s[44:45]
	s_mov_b64 exec, s[44:45]
	s_cbranch_execz .LBB685_537
; %bb.536:
	v_lshrrev_b32_e32 v2, 8, v4
	s_movk_i32 s44, 0xcd
	v_mul_lo_u16_sdwa v3, v2, s44 dst_sel:DWORD dst_unused:UNUSED_PAD src0_sel:BYTE_0 src1_sel:DWORD
	v_lshrrev_b16_e32 v3, 11, v3
	v_mul_lo_u16_e32 v3, 10, v3
	v_sub_u16_e32 v2, v2, v3
	v_mul_lo_u16_sdwa v3, v23, s44 dst_sel:DWORD dst_unused:UNUSED_PAD src0_sel:BYTE_0 src1_sel:DWORD
	v_lshrrev_b16_e32 v3, 11, v3
	v_mul_lo_u16_e32 v3, 10, v3
	v_sub_u16_e32 v3, v23, v3
	v_add_u16_e32 v2, v3, v2
	v_add_u16_e32 v3, -10, v2
	v_min_u16_sdwa v23, v2, v3 dst_sel:DWORD dst_unused:UNUSED_PAD src0_sel:BYTE_0 src1_sel:BYTE_0
.LBB685_537:
	s_or_b64 exec, exec, s[42:43]
	s_mov_b64 s[42:43], exec
	v_readlane_b32 s44, v43, 18
	v_readlane_b32 s45, v43, 19
	s_and_b64 s[44:45], s[42:43], s[44:45]
	s_mov_b64 exec, s[44:45]
	s_cbranch_execz .LBB685_539
; %bb.538:
	s_movk_i32 s44, 0xff
	v_and_b32_sdwa v2, v4, s44 dst_sel:DWORD dst_unused:UNUSED_PAD src0_sel:WORD_1 src1_sel:DWORD
	s_movk_i32 s44, 0xcd
	v_mul_lo_u16_e32 v2, 0xcd, v2
	v_mul_lo_u16_sdwa v3, v23, s44 dst_sel:DWORD dst_unused:UNUSED_PAD src0_sel:BYTE_0 src1_sel:DWORD
	v_lshrrev_b16_e32 v2, 11, v2
	v_lshrrev_b16_e32 v3, 11, v3
	v_mul_lo_u16_e32 v2, 10, v2
	v_mul_lo_u16_e32 v3, 10, v3
	v_sub_u16_sdwa v2, v4, v2 dst_sel:DWORD dst_unused:UNUSED_PAD src0_sel:WORD_1 src1_sel:DWORD
	v_sub_u16_e32 v3, v23, v3
	v_add_u16_e32 v2, v3, v2
	v_add_u16_e32 v3, -10, v2
	v_min_u16_sdwa v23, v2, v3 dst_sel:DWORD dst_unused:UNUSED_PAD src0_sel:BYTE_0 src1_sel:BYTE_0
.LBB685_539:
	s_or_b64 exec, exec, s[42:43]
	s_mov_b64 s[42:43], exec
	v_readlane_b32 s44, v43, 20
	v_readlane_b32 s45, v43, 21
	s_and_b64 s[44:45], s[42:43], s[44:45]
	s_mov_b64 exec, s[44:45]
	s_cbranch_execz .LBB685_541
; %bb.540:
	v_lshrrev_b64 v[2:3], 24, v[4:5]
	s_movk_i32 s44, 0xcd
	v_mul_lo_u16_sdwa v3, v2, s44 dst_sel:DWORD dst_unused:UNUSED_PAD src0_sel:BYTE_0 src1_sel:DWORD
	v_lshrrev_b16_e32 v3, 11, v3
	v_mul_lo_u16_e32 v3, 10, v3
	v_sub_u16_e32 v2, v2, v3
	v_mul_lo_u16_sdwa v3, v23, s44 dst_sel:DWORD dst_unused:UNUSED_PAD src0_sel:BYTE_0 src1_sel:DWORD
	v_lshrrev_b16_e32 v3, 11, v3
	v_mul_lo_u16_e32 v3, 10, v3
	v_sub_u16_e32 v3, v23, v3
	v_add_u16_e32 v2, v3, v2
	v_add_u16_e32 v3, -10, v2
	v_min_u16_sdwa v23, v2, v3 dst_sel:DWORD dst_unused:UNUSED_PAD src0_sel:BYTE_0 src1_sel:BYTE_0
.LBB685_541:
	s_or_b64 exec, exec, s[42:43]
	s_mov_b64 s[42:43], exec
	v_readlane_b32 s44, v43, 22
	v_readlane_b32 s45, v43, 23
	s_and_b64 s[44:45], s[42:43], s[44:45]
	s_mov_b64 exec, s[44:45]
	s_cbranch_execz .LBB685_543
; %bb.542:
	s_movk_i32 s44, 0xcd
	v_mul_lo_u16_sdwa v2, v5, s44 dst_sel:DWORD dst_unused:UNUSED_PAD src0_sel:BYTE_0 src1_sel:DWORD
	v_mul_lo_u16_sdwa v3, v23, s44 dst_sel:DWORD dst_unused:UNUSED_PAD src0_sel:BYTE_0 src1_sel:DWORD
	v_lshrrev_b16_e32 v2, 11, v2
	v_lshrrev_b16_e32 v3, 11, v3
	v_mul_lo_u16_e32 v2, 10, v2
	v_mul_lo_u16_e32 v3, 10, v3
	v_sub_u16_e32 v2, v5, v2
	v_sub_u16_e32 v3, v23, v3
	v_add_u16_e32 v2, v3, v2
	v_add_u16_e32 v3, -10, v2
	v_min_u16_sdwa v23, v2, v3 dst_sel:DWORD dst_unused:UNUSED_PAD src0_sel:BYTE_0 src1_sel:BYTE_0
.LBB685_543:
	s_or_b64 exec, exec, s[42:43]
	s_mov_b64 s[42:43], exec
	v_readlane_b32 s44, v43, 24
	v_readlane_b32 s45, v43, 25
	s_and_b64 s[44:45], s[42:43], s[44:45]
	s_mov_b64 exec, s[44:45]
	s_cbranch_execz .LBB685_545
; %bb.544:
	v_lshrrev_b32_e32 v2, 8, v5
	s_movk_i32 s44, 0xcd
	v_mul_lo_u16_sdwa v3, v2, s44 dst_sel:DWORD dst_unused:UNUSED_PAD src0_sel:BYTE_0 src1_sel:DWORD
	v_lshrrev_b16_e32 v3, 11, v3
	v_mul_lo_u16_e32 v3, 10, v3
	v_sub_u16_e32 v2, v2, v3
	v_mul_lo_u16_sdwa v3, v23, s44 dst_sel:DWORD dst_unused:UNUSED_PAD src0_sel:BYTE_0 src1_sel:DWORD
	v_lshrrev_b16_e32 v3, 11, v3
	v_mul_lo_u16_e32 v3, 10, v3
	v_sub_u16_e32 v3, v23, v3
	v_add_u16_e32 v2, v3, v2
	v_add_u16_e32 v3, -10, v2
	v_min_u16_sdwa v23, v2, v3 dst_sel:DWORD dst_unused:UNUSED_PAD src0_sel:BYTE_0 src1_sel:BYTE_0
.LBB685_545:
	s_or_b64 exec, exec, s[42:43]
	s_mov_b64 s[42:43], exec
	v_readlane_b32 s44, v43, 26
	v_readlane_b32 s45, v43, 27
	s_and_b64 s[44:45], s[42:43], s[44:45]
	s_mov_b64 exec, s[44:45]
	s_cbranch_execz .LBB685_547
; %bb.546:
	s_movk_i32 s44, 0xff
	v_and_b32_sdwa v2, v5, s44 dst_sel:DWORD dst_unused:UNUSED_PAD src0_sel:WORD_1 src1_sel:DWORD
	s_movk_i32 s44, 0xcd
	v_mul_lo_u16_e32 v2, 0xcd, v2
	v_mul_lo_u16_sdwa v3, v23, s44 dst_sel:DWORD dst_unused:UNUSED_PAD src0_sel:BYTE_0 src1_sel:DWORD
	v_lshrrev_b16_e32 v2, 11, v2
	v_lshrrev_b16_e32 v3, 11, v3
	v_mul_lo_u16_e32 v2, 10, v2
	v_mul_lo_u16_e32 v3, 10, v3
	v_sub_u16_sdwa v2, v5, v2 dst_sel:DWORD dst_unused:UNUSED_PAD src0_sel:WORD_1 src1_sel:DWORD
	v_sub_u16_e32 v3, v23, v3
	v_add_u16_e32 v2, v3, v2
	v_add_u16_e32 v3, -10, v2
	v_min_u16_sdwa v23, v2, v3 dst_sel:DWORD dst_unused:UNUSED_PAD src0_sel:BYTE_0 src1_sel:BYTE_0
.LBB685_547:
	s_or_b64 exec, exec, s[42:43]
	s_mov_b64 s[42:43], exec
	v_readlane_b32 s44, v43, 28
	v_readlane_b32 s45, v43, 29
	s_and_b64 s[44:45], s[42:43], s[44:45]
	s_mov_b64 exec, s[44:45]
	s_cbranch_execz .LBB685_549
; %bb.548:
	s_movk_i32 s44, 0xcd
	v_mul_lo_u16_sdwa v2, v5, s44 dst_sel:DWORD dst_unused:UNUSED_PAD src0_sel:BYTE_3 src1_sel:DWORD
	v_mul_lo_u16_sdwa v3, v23, s44 dst_sel:DWORD dst_unused:UNUSED_PAD src0_sel:BYTE_0 src1_sel:DWORD
	v_lshrrev_b16_e32 v2, 11, v2
	v_lshrrev_b16_e32 v3, 11, v3
	v_mul_lo_u16_e32 v2, 10, v2
	v_mul_lo_u16_e32 v3, 10, v3
	v_sub_u16_sdwa v2, v5, v2 dst_sel:DWORD dst_unused:UNUSED_PAD src0_sel:BYTE_3 src1_sel:DWORD
	v_sub_u16_e32 v3, v23, v3
	v_add_u16_e32 v2, v3, v2
	v_add_u16_e32 v3, -10, v2
	v_min_u16_sdwa v23, v2, v3 dst_sel:DWORD dst_unused:UNUSED_PAD src0_sel:BYTE_0 src1_sel:BYTE_0
.LBB685_549:
	s_or_b64 exec, exec, s[42:43]
	s_mov_b64 s[42:43], exec
	v_readlane_b32 s44, v43, 30
	v_readlane_b32 s45, v43, 31
	s_and_b64 s[44:45], s[42:43], s[44:45]
	s_mov_b64 exec, s[44:45]
	s_cbranch_execz .LBB685_551
; %bb.550:
	s_movk_i32 s44, 0xcd
	v_mul_lo_u16_sdwa v2, v6, s44 dst_sel:DWORD dst_unused:UNUSED_PAD src0_sel:BYTE_0 src1_sel:DWORD
	v_mul_lo_u16_sdwa v3, v23, s44 dst_sel:DWORD dst_unused:UNUSED_PAD src0_sel:BYTE_0 src1_sel:DWORD
	v_lshrrev_b16_e32 v2, 11, v2
	v_lshrrev_b16_e32 v3, 11, v3
	v_mul_lo_u16_e32 v2, 10, v2
	v_mul_lo_u16_e32 v3, 10, v3
	v_sub_u16_e32 v2, v6, v2
	v_sub_u16_e32 v3, v23, v3
	v_add_u16_e32 v2, v3, v2
	v_add_u16_e32 v3, -10, v2
	v_min_u16_sdwa v23, v2, v3 dst_sel:DWORD dst_unused:UNUSED_PAD src0_sel:BYTE_0 src1_sel:BYTE_0
.LBB685_551:
	s_or_b64 exec, exec, s[42:43]
	s_mov_b64 s[42:43], exec
	v_readlane_b32 s44, v43, 32
	v_readlane_b32 s45, v43, 33
	s_and_b64 s[44:45], s[42:43], s[44:45]
	s_mov_b64 exec, s[44:45]
	s_cbranch_execz .LBB685_553
; %bb.552:
	v_lshrrev_b32_e32 v2, 8, v6
	s_movk_i32 s44, 0xcd
	v_mul_lo_u16_sdwa v3, v2, s44 dst_sel:DWORD dst_unused:UNUSED_PAD src0_sel:BYTE_0 src1_sel:DWORD
	v_lshrrev_b16_e32 v3, 11, v3
	v_mul_lo_u16_e32 v3, 10, v3
	v_sub_u16_e32 v2, v2, v3
	v_mul_lo_u16_sdwa v3, v23, s44 dst_sel:DWORD dst_unused:UNUSED_PAD src0_sel:BYTE_0 src1_sel:DWORD
	v_lshrrev_b16_e32 v3, 11, v3
	v_mul_lo_u16_e32 v3, 10, v3
	v_sub_u16_e32 v3, v23, v3
	v_add_u16_e32 v2, v3, v2
	v_add_u16_e32 v3, -10, v2
	v_min_u16_sdwa v23, v2, v3 dst_sel:DWORD dst_unused:UNUSED_PAD src0_sel:BYTE_0 src1_sel:BYTE_0
.LBB685_553:
	s_or_b64 exec, exec, s[42:43]
	s_mov_b64 s[42:43], exec
	v_readlane_b32 s44, v43, 34
	v_readlane_b32 s45, v43, 35
	s_and_b64 s[44:45], s[42:43], s[44:45]
	s_mov_b64 exec, s[44:45]
	s_cbranch_execnz .LBB685_1178
; %bb.554:
	s_or_b64 exec, exec, s[42:43]
	s_and_saveexec_b64 s[42:43], s[46:47]
	s_cbranch_execnz .LBB685_1179
.LBB685_555:
	s_or_b64 exec, exec, s[42:43]
	s_and_saveexec_b64 s[42:43], s[56:57]
	s_cbranch_execnz .LBB685_1180
.LBB685_556:
	s_or_b64 exec, exec, s[42:43]
	s_and_saveexec_b64 s[42:43], s[58:59]
	s_cbranch_execnz .LBB685_1181
.LBB685_557:
	s_or_b64 exec, exec, s[42:43]
	s_and_saveexec_b64 s[42:43], s[60:61]
	s_cbranch_execnz .LBB685_1182
.LBB685_558:
	s_or_b64 exec, exec, s[42:43]
	s_and_saveexec_b64 s[42:43], s[62:63]
	s_cbranch_execnz .LBB685_1183
.LBB685_559:
	s_or_b64 exec, exec, s[42:43]
	s_and_saveexec_b64 s[42:43], s[72:73]
	s_cbranch_execnz .LBB685_1184
.LBB685_560:
	s_or_b64 exec, exec, s[42:43]
	s_and_saveexec_b64 s[42:43], s[74:75]
	s_cbranch_execnz .LBB685_1185
.LBB685_561:
	s_or_b64 exec, exec, s[42:43]
	s_and_saveexec_b64 s[42:43], s[76:77]
	s_cbranch_execnz .LBB685_1186
.LBB685_562:
	s_or_b64 exec, exec, s[42:43]
	s_and_saveexec_b64 s[42:43], s[78:79]
	s_cbranch_execnz .LBB685_1187
.LBB685_563:
	s_or_b64 exec, exec, s[42:43]
	s_and_saveexec_b64 s[42:43], s[88:89]
	s_cbranch_execnz .LBB685_1188
.LBB685_564:
	s_or_b64 exec, exec, s[42:43]
	s_and_saveexec_b64 s[42:43], s[90:91]
	s_cbranch_execnz .LBB685_1189
.LBB685_565:
	s_or_b64 exec, exec, s[42:43]
	s_and_saveexec_b64 s[42:43], s[92:93]
	s_cbranch_execnz .LBB685_1190
.LBB685_566:
	s_or_b64 exec, exec, s[42:43]
	s_and_saveexec_b64 s[42:43], s[94:95]
	s_cbranch_execnz .LBB685_1191
.LBB685_567:
	s_or_b64 exec, exec, s[42:43]
	s_and_saveexec_b64 s[42:43], s[30:31]
	s_cbranch_execnz .LBB685_1192
.LBB685_568:
	s_or_b64 exec, exec, s[42:43]
	s_and_saveexec_b64 s[42:43], s[34:35]
	s_cbranch_execnz .LBB685_1193
.LBB685_569:
	s_or_b64 exec, exec, s[42:43]
	s_and_saveexec_b64 s[42:43], s[36:37]
	s_cbranch_execnz .LBB685_1194
.LBB685_570:
	s_or_b64 exec, exec, s[42:43]
	s_and_saveexec_b64 s[42:43], s[38:39]
	s_cbranch_execnz .LBB685_1195
.LBB685_571:
	s_or_b64 exec, exec, s[42:43]
	s_and_saveexec_b64 s[42:43], s[48:49]
	s_cbranch_execnz .LBB685_1196
.LBB685_572:
	s_or_b64 exec, exec, s[42:43]
	s_and_saveexec_b64 s[42:43], s[50:51]
	s_cbranch_execnz .LBB685_1197
.LBB685_573:
	s_or_b64 exec, exec, s[42:43]
	s_and_saveexec_b64 s[42:43], s[52:53]
	s_cbranch_execnz .LBB685_1198
.LBB685_574:
	s_or_b64 exec, exec, s[42:43]
	s_and_saveexec_b64 s[42:43], s[54:55]
	s_cbranch_execnz .LBB685_1199
.LBB685_575:
	s_or_b64 exec, exec, s[42:43]
	s_and_saveexec_b64 s[42:43], s[64:65]
	s_cbranch_execnz .LBB685_1200
.LBB685_576:
	s_or_b64 exec, exec, s[42:43]
	s_and_saveexec_b64 s[42:43], s[66:67]
	s_cbranch_execnz .LBB685_1201
.LBB685_577:
	s_or_b64 exec, exec, s[42:43]
	s_and_saveexec_b64 s[42:43], s[68:69]
	s_cbranch_execnz .LBB685_1202
.LBB685_578:
	s_or_b64 exec, exec, s[42:43]
	s_and_saveexec_b64 s[42:43], s[70:71]
	s_cbranch_execnz .LBB685_1203
.LBB685_579:
	s_or_b64 exec, exec, s[42:43]
	s_and_saveexec_b64 s[42:43], s[80:81]
	s_cbranch_execnz .LBB685_1204
.LBB685_580:
	s_or_b64 exec, exec, s[42:43]
	s_and_saveexec_b64 s[42:43], s[82:83]
	s_cbranch_execnz .LBB685_1205
.LBB685_581:
	s_or_b64 exec, exec, s[42:43]
	s_and_saveexec_b64 s[42:43], s[84:85]
	s_cbranch_execnz .LBB685_1206
.LBB685_582:
	s_or_b64 exec, exec, s[42:43]
	s_and_saveexec_b64 s[42:43], s[86:87]
	s_cbranch_execnz .LBB685_1207
.LBB685_583:
	s_or_b64 exec, exec, s[42:43]
	s_and_saveexec_b64 s[42:43], s[96:97]
	s_cbranch_execnz .LBB685_1208
.LBB685_584:
	s_or_b64 exec, exec, s[42:43]
	s_and_saveexec_b64 s[42:43], s[98:99]
	s_cbranch_execnz .LBB685_1209
.LBB685_585:
	s_or_b64 exec, exec, s[42:43]
	s_and_saveexec_b64 s[42:43], s[0:1]
	s_cbranch_execnz .LBB685_1210
.LBB685_586:
	s_or_b64 exec, exec, s[42:43]
	s_and_saveexec_b64 s[0:1], s[2:3]
	s_cbranch_execnz .LBB685_1211
.LBB685_587:
	s_or_b64 exec, exec, s[0:1]
	s_and_saveexec_b64 s[0:1], s[4:5]
	s_cbranch_execnz .LBB685_1212
.LBB685_588:
	s_or_b64 exec, exec, s[0:1]
	s_and_saveexec_b64 s[0:1], s[6:7]
	s_cbranch_execnz .LBB685_1213
.LBB685_589:
	s_or_b64 exec, exec, s[0:1]
	s_and_saveexec_b64 s[0:1], s[8:9]
	s_cbranch_execnz .LBB685_1214
.LBB685_590:
	s_or_b64 exec, exec, s[0:1]
	s_and_saveexec_b64 s[0:1], s[10:11]
	s_cbranch_execnz .LBB685_1215
.LBB685_591:
	s_or_b64 exec, exec, s[0:1]
	s_and_saveexec_b64 s[0:1], s[14:15]
	s_cbranch_execnz .LBB685_1216
.LBB685_592:
	s_or_b64 exec, exec, s[0:1]
	s_and_saveexec_b64 s[0:1], s[16:17]
	s_cbranch_execnz .LBB685_1217
.LBB685_593:
	s_or_b64 exec, exec, s[0:1]
	s_and_saveexec_b64 s[0:1], s[18:19]
	s_cbranch_execnz .LBB685_1218
.LBB685_594:
	s_or_b64 exec, exec, s[0:1]
	s_and_saveexec_b64 s[0:1], s[20:21]
	s_cbranch_execnz .LBB685_1219
.LBB685_595:
	s_or_b64 exec, exec, s[0:1]
	s_and_saveexec_b64 s[0:1], s[22:23]
	s_cbranch_execnz .LBB685_1220
.LBB685_596:
	s_or_b64 exec, exec, s[0:1]
	s_and_saveexec_b64 s[0:1], s[24:25]
	s_cbranch_execnz .LBB685_1221
.LBB685_597:
	s_or_b64 exec, exec, s[0:1]
	s_and_saveexec_b64 s[0:1], s[26:27]
	s_cbranch_execnz .LBB685_1222
.LBB685_598:
	s_or_b64 exec, exec, s[0:1]
	s_and_saveexec_b64 s[0:1], vcc
	s_cbranch_execz .LBB685_600
.LBB685_599:
	s_movk_i32 s2, 0xcd
	v_mul_lo_u16_sdwa v2, v17, s2 dst_sel:DWORD dst_unused:UNUSED_PAD src0_sel:BYTE_3 src1_sel:DWORD
	v_mul_lo_u16_sdwa v3, v23, s2 dst_sel:DWORD dst_unused:UNUSED_PAD src0_sel:BYTE_0 src1_sel:DWORD
	v_lshrrev_b16_e32 v2, 11, v2
	v_lshrrev_b16_e32 v3, 11, v3
	v_mul_lo_u16_e32 v2, 10, v2
	v_mul_lo_u16_e32 v3, 10, v3
	v_sub_u16_sdwa v2, v17, v2 dst_sel:DWORD dst_unused:UNUSED_PAD src0_sel:BYTE_3 src1_sel:DWORD
	v_sub_u16_e32 v3, v23, v3
	v_add_u16_e32 v2, v3, v2
	v_add_u16_e32 v3, -10, v2
	v_min_u16_sdwa v23, v2, v3 dst_sel:DWORD dst_unused:UNUSED_PAD src0_sel:BYTE_0 src1_sel:BYTE_0
.LBB685_600:
	s_or_b64 exec, exec, s[0:1]
	v_mbcnt_lo_u32_b32 v3, -1, 0
	v_mbcnt_hi_u32_b32 v3, -1, v3
	v_and_b32_e32 v4, 63, v3
	v_cmp_ne_u32_e32 vcc, 63, v4
	v_and_b32_e32 v6, 0xff, v23
	v_min_u32_e32 v2, 0x100, v29
	v_addc_co_u32_e32 v5, vcc, 0, v3, vcc
	v_lshlrev_b32_e32 v5, 2, v5
	ds_bpermute_b32 v7, v5, v6
	v_and_b32_e32 v5, 0x3c0, v22
	v_sub_u32_e64 v5, v2, v5 clamp
	v_add_u32_e32 v8, 1, v4
	v_cmp_lt_u32_e32 vcc, v8, v5
	s_and_saveexec_b64 s[0:1], vcc
	s_xor_b64 s[0:1], exec, s[0:1]
	s_cbranch_execz .LBB685_602
; %bb.601:
	s_movk_i32 s2, 0xcd
	s_waitcnt lgkmcnt(0)
	v_mul_lo_u16_sdwa v6, v7, s2 dst_sel:DWORD dst_unused:UNUSED_PAD src0_sel:BYTE_0 src1_sel:DWORD
	v_lshrrev_b16_e32 v6, 11, v6
	v_mul_lo_u16_e32 v6, 10, v6
	v_sub_u16_e32 v6, v7, v6
	v_mul_lo_u16_sdwa v7, v23, s2 dst_sel:DWORD dst_unused:UNUSED_PAD src0_sel:BYTE_0 src1_sel:DWORD
	v_lshrrev_b16_e32 v7, 11, v7
	v_mul_lo_u16_e32 v7, 10, v7
	v_sub_u16_e32 v7, v23, v7
	v_add_u16_e32 v6, v6, v7
	v_add_u16_e32 v7, -10, v6
	v_min_u16_sdwa v23, v6, v7 dst_sel:DWORD dst_unused:UNUSED_PAD src0_sel:BYTE_0 src1_sel:BYTE_0
	v_min_u16_sdwa v6, v6, v7 dst_sel:DWORD dst_unused:UNUSED_PAD src0_sel:BYTE_0 src1_sel:BYTE_0
.LBB685_602:
	s_or_b64 exec, exec, s[0:1]
	v_cmp_gt_u32_e32 vcc, 62, v4
	v_add_u32_e32 v8, 2, v4
	s_waitcnt lgkmcnt(0)
	v_cndmask_b32_e64 v7, 0, 2, vcc
	v_add_lshl_u32 v7, v7, v3, 2
	ds_bpermute_b32 v7, v7, v6
	v_cmp_lt_u32_e32 vcc, v8, v5
	s_and_saveexec_b64 s[0:1], vcc
	s_cbranch_execz .LBB685_604
; %bb.603:
	s_movk_i32 s2, 0xcd
	s_waitcnt lgkmcnt(0)
	v_mul_lo_u16_sdwa v6, v7, s2 dst_sel:DWORD dst_unused:UNUSED_PAD src0_sel:BYTE_0 src1_sel:DWORD
	v_lshrrev_b16_e32 v6, 11, v6
	v_mul_lo_u16_e32 v6, 10, v6
	v_sub_u16_e32 v6, v7, v6
	v_mul_lo_u16_sdwa v7, v23, s2 dst_sel:DWORD dst_unused:UNUSED_PAD src0_sel:BYTE_0 src1_sel:DWORD
	v_lshrrev_b16_e32 v7, 11, v7
	v_mul_lo_u16_e32 v7, 10, v7
	v_sub_u16_e32 v7, v23, v7
	v_add_u16_e32 v6, v6, v7
	v_add_u16_e32 v7, -10, v6
	v_min_u16_sdwa v23, v6, v7 dst_sel:DWORD dst_unused:UNUSED_PAD src0_sel:BYTE_0 src1_sel:BYTE_0
	v_min_u16_sdwa v6, v6, v7 dst_sel:DWORD dst_unused:UNUSED_PAD src0_sel:BYTE_0 src1_sel:BYTE_0
.LBB685_604:
	s_or_b64 exec, exec, s[0:1]
	v_cmp_gt_u32_e32 vcc, 60, v4
	v_add_u32_e32 v8, 4, v4
	s_waitcnt lgkmcnt(0)
	v_cndmask_b32_e64 v7, 0, 4, vcc
	v_add_lshl_u32 v7, v7, v3, 2
	ds_bpermute_b32 v7, v7, v6
	v_cmp_lt_u32_e32 vcc, v8, v5
	s_and_saveexec_b64 s[0:1], vcc
	;; [unrolled: 26-line block ×4, first 2 shown]
	s_cbranch_execz .LBB685_610
; %bb.609:
	s_movk_i32 s2, 0xcd
	s_waitcnt lgkmcnt(0)
	v_mul_lo_u16_sdwa v6, v7, s2 dst_sel:DWORD dst_unused:UNUSED_PAD src0_sel:BYTE_0 src1_sel:DWORD
	v_lshrrev_b16_e32 v6, 11, v6
	v_mul_lo_u16_e32 v6, 10, v6
	v_sub_u16_e32 v6, v7, v6
	v_mul_lo_u16_sdwa v7, v23, s2 dst_sel:DWORD dst_unused:UNUSED_PAD src0_sel:BYTE_0 src1_sel:DWORD
	v_lshrrev_b16_e32 v7, 11, v7
	v_mul_lo_u16_e32 v7, 10, v7
	v_sub_u16_e32 v7, v23, v7
	v_add_u16_e32 v6, v6, v7
	v_add_u16_e32 v7, -10, v6
	v_min_u16_sdwa v23, v6, v7 dst_sel:DWORD dst_unused:UNUSED_PAD src0_sel:BYTE_0 src1_sel:BYTE_0
	v_min_u16_sdwa v6, v6, v7 dst_sel:DWORD dst_unused:UNUSED_PAD src0_sel:BYTE_0 src1_sel:BYTE_0
.LBB685_610:
	s_or_b64 exec, exec, s[0:1]
	s_waitcnt lgkmcnt(0)
	v_lshlrev_b32_e32 v7, 2, v3
	v_or_b32_e32 v8, 0x80, v7
	ds_bpermute_b32 v6, v8, v6
	v_add_u32_e32 v4, 32, v4
	v_cmp_lt_u32_e32 vcc, v4, v5
	s_and_saveexec_b64 s[0:1], vcc
	s_cbranch_execz .LBB685_612
; %bb.611:
	s_movk_i32 s2, 0xcd
	s_waitcnt lgkmcnt(0)
	v_mul_lo_u16_sdwa v4, v6, s2 dst_sel:DWORD dst_unused:UNUSED_PAD src0_sel:BYTE_0 src1_sel:DWORD
	v_mul_lo_u16_sdwa v5, v23, s2 dst_sel:DWORD dst_unused:UNUSED_PAD src0_sel:BYTE_0 src1_sel:DWORD
	v_lshrrev_b16_e32 v4, 11, v4
	v_lshrrev_b16_e32 v5, 11, v5
	v_mul_lo_u16_e32 v4, 10, v4
	v_mul_lo_u16_e32 v5, 10, v5
	v_sub_u16_e32 v4, v6, v4
	v_sub_u16_e32 v5, v23, v5
	v_add_u16_e32 v4, v4, v5
	v_add_u16_e32 v5, -10, v4
	v_min_u16_sdwa v23, v4, v5 dst_sel:DWORD dst_unused:UNUSED_PAD src0_sel:BYTE_0 src1_sel:BYTE_0
.LBB685_612:
	s_or_b64 exec, exec, s[0:1]
	v_cmp_eq_u32_e32 vcc, 0, v3
	s_and_saveexec_b64 s[0:1], vcc
; %bb.613:
	v_lshrrev_b32_e32 v4, 6, v22
	ds_write_b8 v4, v23
; %bb.614:
	s_or_b64 exec, exec, s[0:1]
	v_cmp_gt_u32_e32 vcc, 4, v22
	s_waitcnt lgkmcnt(0)
	s_barrier
	s_and_saveexec_b64 s[0:1], vcc
	s_cbranch_execz .LBB685_620
; %bb.615:
	ds_read_u8 v23, v3
	v_and_b32_e32 v4, 3, v3
	v_cmp_ne_u32_e32 vcc, 3, v4
	v_add_u32_e32 v2, 63, v2
	v_lshrrev_b32_e32 v2, 6, v2
	v_addc_co_u32_e32 v3, vcc, 0, v3, vcc
	v_lshlrev_b32_e32 v5, 2, v3
	s_waitcnt lgkmcnt(0)
	v_and_b32_e32 v3, 0xff, v23
	ds_bpermute_b32 v5, v5, v3
	v_add_u32_e32 v6, 1, v4
	v_cmp_lt_u32_e32 vcc, v6, v2
	s_and_saveexec_b64 s[2:3], vcc
	s_cbranch_execz .LBB685_617
; %bb.616:
	s_movk_i32 s4, 0xcd
	s_waitcnt lgkmcnt(0)
	v_mul_lo_u16_sdwa v3, v5, s4 dst_sel:DWORD dst_unused:UNUSED_PAD src0_sel:BYTE_0 src1_sel:DWORD
	v_lshrrev_b16_e32 v3, 11, v3
	v_mul_lo_u16_e32 v3, 10, v3
	v_sub_u16_e32 v3, v5, v3
	v_mul_lo_u16_sdwa v5, v23, s4 dst_sel:DWORD dst_unused:UNUSED_PAD src0_sel:BYTE_0 src1_sel:DWORD
	v_lshrrev_b16_e32 v5, 11, v5
	v_mul_lo_u16_e32 v5, 10, v5
	v_sub_u16_e32 v5, v23, v5
	v_add_u16_e32 v3, v3, v5
	v_add_u16_e32 v5, -10, v3
	v_min_u16_sdwa v23, v3, v5 dst_sel:DWORD dst_unused:UNUSED_PAD src0_sel:BYTE_0 src1_sel:BYTE_0
	v_min_u16_sdwa v3, v3, v5 dst_sel:DWORD dst_unused:UNUSED_PAD src0_sel:BYTE_0 src1_sel:BYTE_0
.LBB685_617:
	s_or_b64 exec, exec, s[2:3]
	s_waitcnt lgkmcnt(0)
	v_or_b32_e32 v5, 8, v7
	ds_bpermute_b32 v3, v5, v3
	v_add_u32_e32 v4, 2, v4
	v_cmp_lt_u32_e32 vcc, v4, v2
	s_and_saveexec_b64 s[2:3], vcc
	s_cbranch_execz .LBB685_619
; %bb.618:
	s_movk_i32 s4, 0xcd
	s_waitcnt lgkmcnt(0)
	v_mul_lo_u16_sdwa v2, v3, s4 dst_sel:DWORD dst_unused:UNUSED_PAD src0_sel:BYTE_0 src1_sel:DWORD
	v_lshrrev_b16_e32 v2, 11, v2
	v_mul_lo_u16_e32 v2, 10, v2
	v_sub_u16_e32 v2, v3, v2
	v_mul_lo_u16_sdwa v3, v23, s4 dst_sel:DWORD dst_unused:UNUSED_PAD src0_sel:BYTE_0 src1_sel:DWORD
	v_lshrrev_b16_e32 v3, 11, v3
	v_mul_lo_u16_e32 v3, 10, v3
	v_sub_u16_e32 v3, v23, v3
	v_add_u16_e32 v2, v2, v3
	v_add_u16_e32 v3, -10, v2
	v_min_u16_sdwa v23, v2, v3 dst_sel:DWORD dst_unused:UNUSED_PAD src0_sel:BYTE_0 src1_sel:BYTE_0
.LBB685_619:
	s_or_b64 exec, exec, s[2:3]
.LBB685_620:
	s_or_b64 exec, exec, s[0:1]
	s_or_b64 exec, exec, s[40:41]
	v_cmp_eq_u32_e32 vcc, 0, v22
	s_and_b64 exec, exec, vcc
	s_cbranch_execz .LBB685_624
.LBB685_621:
	v_cmp_ne_u64_e32 vcc, 0, v[20:21]
	s_and_saveexec_b64 s[0:1], vcc
	s_cbranch_execz .LBB685_623
; %bb.622:
	s_movk_i32 s2, 0xcd
	v_mul_lo_u16_sdwa v2, v23, s2 dst_sel:DWORD dst_unused:UNUSED_PAD src0_sel:BYTE_0 src1_sel:DWORD
	s_waitcnt lgkmcnt(0)
	v_mul_lo_u16_sdwa v3, v28, s2 dst_sel:DWORD dst_unused:UNUSED_PAD src0_sel:BYTE_0 src1_sel:DWORD
	v_lshrrev_b16_e32 v2, 11, v2
	v_lshrrev_b16_e32 v3, 11, v3
	v_mul_lo_u16_e32 v2, 10, v2
	v_mul_lo_u16_e32 v3, 10, v3
	v_sub_u16_e32 v2, v23, v2
	v_sub_u16_e32 v3, v28, v3
	v_add_u16_e32 v2, v2, v3
	v_add_u16_e32 v3, -10, v2
	v_min_u16_sdwa v28, v2, v3 dst_sel:DWORD dst_unused:UNUSED_PAD src0_sel:BYTE_0 src1_sel:BYTE_0
.LBB685_623:
	s_or_b64 exec, exec, s[0:1]
	s_waitcnt lgkmcnt(0)
	v_lshl_add_u64 v[2:3], v[18:19], 0, s[12:13]
	flat_store_byte v[2:3], v28
.LBB685_624:
	s_or_b64 exec, exec, s[28:29]
	s_waitcnt lgkmcnt(0)
	flat_load_dwordx2 v[2:3], v[0:1]
	s_movk_i32 s0, 0x80
	s_waitcnt vmcnt(0) lgkmcnt(0)
	flat_load_dword v2, v[2:3]
	s_waitcnt vmcnt(0) lgkmcnt(0)
	v_cmp_eq_u32_e32 vcc, s0, v2
	s_and_saveexec_b64 s[94:95], vcc
	s_cbranch_execz .LBB685_1121
; %bb.625:
	flat_load_dwordx4 v[2:5], v[0:1] offset:8
	flat_load_dwordx4 v[6:9], v[0:1] offset:24
	s_mov_b32 s1, 0
	s_lshl_b32 s0, s12, 15
	s_mov_b32 s13, s1
	v_and_b32_e32 v36, 0x3ff, v31
                                        ; implicit-def: $vgpr37
	s_waitcnt vmcnt(0) lgkmcnt(0)
	flat_load_dwordx2 v[34:35], v[4:5]
	flat_load_dwordx2 v[0:1], v[2:3]
	;; [unrolled: 1-line block ×3, first 2 shown]
	flat_load_ubyte v50, v[8:9]
	s_waitcnt vmcnt(0) lgkmcnt(0)
	v_lshrrev_b64 v[2:3], 15, v[34:35]
	v_cmp_ne_u64_e32 vcc, s[12:13], v[2:3]
	v_lshl_add_u64 v[38:39], v[0:1], 0, s[0:1]
	s_and_saveexec_b64 s[2:3], vcc
	s_xor_b64 s[2:3], exec, s[2:3]
	s_cbranch_execz .LBB685_631
; %bb.626:
	v_mov_b32_e32 v37, 0
	v_lshl_add_u64 v[0:1], v[38:39], 0, v[36:37]
	flat_load_ubyte v167, v[0:1]
	flat_load_ubyte v178, v[0:1] offset:256
	flat_load_ubyte v179, v[0:1] offset:512
	;; [unrolled: 1-line block ×15, first 2 shown]
	s_movk_i32 s1, 0x1000
	v_add_co_u32_e32 v2, vcc, s1, v0
	s_movk_i32 s1, 0x2000
	s_nop 0
	v_addc_co_u32_e32 v3, vcc, 0, v1, vcc
	flat_load_ubyte v209, v[2:3]
	flat_load_ubyte v210, v[2:3] offset:256
	flat_load_ubyte v211, v[2:3] offset:512
	flat_load_ubyte v212, v[2:3] offset:768
	flat_load_ubyte v213, v[2:3] offset:1024
	flat_load_ubyte v214, v[2:3] offset:1280
	flat_load_ubyte v215, v[2:3] offset:1536
	flat_load_ubyte v224, v[2:3] offset:1792
	flat_load_ubyte v225, v[2:3] offset:2048
	flat_load_ubyte v226, v[2:3] offset:2304
	flat_load_ubyte v227, v[2:3] offset:2560
	flat_load_ubyte v228, v[2:3] offset:2816
	flat_load_ubyte v229, v[2:3] offset:3072
	flat_load_ubyte v230, v[2:3] offset:3328
	flat_load_ubyte v231, v[2:3] offset:3584
	flat_load_ubyte v166, v[2:3] offset:3840
	v_add_co_u32_e32 v2, vcc, s1, v0
	s_movk_i32 s1, 0x3000
	s_nop 0
	v_addc_co_u32_e32 v3, vcc, 0, v1, vcc
	flat_load_ubyte v165, v[2:3]
	flat_load_ubyte v164, v[2:3] offset:256
	flat_load_ubyte v163, v[2:3] offset:512
	flat_load_ubyte v162, v[2:3] offset:768
	flat_load_ubyte v161, v[2:3] offset:1024
	flat_load_ubyte v160, v[2:3] offset:1280
	flat_load_ubyte v151, v[2:3] offset:1536
	flat_load_ubyte v150, v[2:3] offset:1792
	flat_load_ubyte v149, v[2:3] offset:2048
	flat_load_ubyte v148, v[2:3] offset:2304
	flat_load_ubyte v147, v[2:3] offset:2560
	flat_load_ubyte v146, v[2:3] offset:2816
	flat_load_ubyte v145, v[2:3] offset:3072
	flat_load_ubyte v144, v[2:3] offset:3328
	flat_load_ubyte v135, v[2:3] offset:3584
	flat_load_ubyte v134, v[2:3] offset:3840
	v_add_co_u32_e32 v2, vcc, s1, v0
	s_movk_i32 s1, 0x4000
	s_nop 0
	v_addc_co_u32_e32 v3, vcc, 0, v1, vcc
	flat_load_ubyte v133, v[2:3]
	flat_load_ubyte v132, v[2:3] offset:256
	flat_load_ubyte v131, v[2:3] offset:512
	flat_load_ubyte v130, v[2:3] offset:768
	flat_load_ubyte v129, v[2:3] offset:1024
	flat_load_ubyte v128, v[2:3] offset:1280
	flat_load_ubyte v119, v[2:3] offset:1536
	flat_load_ubyte v118, v[2:3] offset:1792
	flat_load_ubyte v117, v[2:3] offset:2048
	flat_load_ubyte v116, v[2:3] offset:2304
	flat_load_ubyte v114, v[2:3] offset:2560
	flat_load_ubyte v112, v[2:3] offset:2816
	flat_load_ubyte v102, v[2:3] offset:3072
	flat_load_ubyte v100, v[2:3] offset:3328
	flat_load_ubyte v98, v[2:3] offset:3584
	flat_load_ubyte v96, v[2:3] offset:3840
	v_add_co_u32_e32 v2, vcc, s1, v0
	s_movk_i32 s1, 0x5000
	s_nop 0
	v_addc_co_u32_e32 v3, vcc, 0, v1, vcc
	v_add_co_u32_e32 v4, vcc, s1, v0
	s_movk_i32 s1, 0x6000
	s_nop 0
	v_addc_co_u32_e32 v5, vcc, 0, v1, vcc
	;; [unrolled: 4-line block ×4, first 2 shown]
	flat_load_ubyte v115, v[2:3]
	flat_load_ubyte v113, v[2:3] offset:256
	flat_load_ubyte v103, v[2:3] offset:512
	;; [unrolled: 1-line block ×15, first 2 shown]
	flat_load_ubyte v69, v[4:5]
	flat_load_ubyte v68, v[4:5] offset:256
	flat_load_ubyte v67, v[4:5] offset:512
	;; [unrolled: 1-line block ×13, first 2 shown]
                                        ; kill: killed $vgpr2 killed $vgpr3
	flat_load_ubyte v38, v[4:5] offset:3584
	flat_load_ubyte v37, v[4:5] offset:3840
	flat_load_ubyte v31, v[6:7]
	flat_load_ubyte v30, v[6:7] offset:256
	flat_load_ubyte v29, v[6:7] offset:512
	;; [unrolled: 1-line block ×12, first 2 shown]
                                        ; kill: killed $vgpr4 killed $vgpr5
	flat_load_ubyte v18, v[6:7] offset:3328
	flat_load_ubyte v17, v[6:7] offset:3584
	;; [unrolled: 1-line block ×3, first 2 shown]
	flat_load_ubyte v15, v[176:177]
	flat_load_ubyte v14, v[176:177] offset:256
	flat_load_ubyte v13, v[176:177] offset:512
	;; [unrolled: 1-line block ×5, first 2 shown]
                                        ; kill: killed $vgpr6 killed $vgpr7
	flat_load_ubyte v9, v[176:177] offset:1536
	flat_load_ubyte v8, v[176:177] offset:1792
	s_nop 0
	flat_load_ubyte v7, v[176:177] offset:2048
	flat_load_ubyte v6, v[176:177] offset:2304
	;; [unrolled: 1-line block ×8, first 2 shown]
	s_waitcnt vmcnt(0) lgkmcnt(0)
	v_mul_lo_u16_e32 v177, 0xcd, v167
	v_mul_lo_u16_e32 v176, 0xcd, v178
	v_lshrrev_b16_e32 v176, 11, v176
	v_lshrrev_b16_e32 v177, 11, v177
	v_mul_lo_u16_e32 v176, 10, v176
	v_mul_lo_u16_e32 v177, 10, v177
	v_sub_u16_e32 v176, v178, v176
	v_sub_u16_e32 v167, v167, v177
	v_add_u16_e32 v167, v176, v167
	v_add_u16_e32 v176, -10, v167
	v_min_u16_sdwa v167, v167, v176 dst_sel:DWORD dst_unused:UNUSED_PAD src0_sel:BYTE_0 src1_sel:BYTE_0
	v_mul_lo_u16_e32 v176, 0xcd, v179
	v_mul_lo_u16_e32 v177, 0xcd, v167
	v_lshrrev_b16_e32 v176, 11, v176
	v_lshrrev_b16_e32 v177, 11, v177
	v_mul_lo_u16_e32 v176, 10, v176
	v_mul_lo_u16_e32 v177, 10, v177
	v_sub_u16_e32 v176, v179, v176
	v_sub_u16_e32 v167, v167, v177
	v_add_u16_e32 v167, v167, v176
	v_add_u16_e32 v176, -10, v167
	v_min_u16_sdwa v167, v167, v176 dst_sel:DWORD dst_unused:UNUSED_PAD src0_sel:BYTE_0 src1_sel:BYTE_0
	;; [unrolled: 11-line block ×30, first 2 shown]
	v_mul_lo_u16_e32 v176, 0xcd, v166
	v_lshrrev_b16_e32 v176, 11, v176
	v_mul_lo_u16_e32 v176, 10, v176
	v_sub_u16_e32 v166, v166, v176
	v_mul_lo_u16_e32 v176, 0xcd, v167
	v_lshrrev_b16_e32 v176, 11, v176
	v_mul_lo_u16_e32 v176, 10, v176
	v_sub_u16_e32 v167, v167, v176
	v_add_u16_e32 v166, v167, v166
	v_add_u16_e32 v167, -10, v166
	v_min_u16_sdwa v166, v166, v167 dst_sel:DWORD dst_unused:UNUSED_PAD src0_sel:BYTE_0 src1_sel:BYTE_0
	v_mul_lo_u16_e32 v167, 0xcd, v165
	v_lshrrev_b16_e32 v167, 11, v167
	v_mul_lo_u16_e32 v167, 10, v167
	v_sub_u16_e32 v165, v165, v167
	v_mul_lo_u16_e32 v167, 0xcd, v166
	v_lshrrev_b16_e32 v167, 11, v167
	v_mul_lo_u16_e32 v167, 10, v167
	v_sub_u16_e32 v166, v166, v167
	v_add_u16_e32 v165, v166, v165
	v_add_u16_e32 v166, -10, v165
	v_min_u16_sdwa v165, v165, v166 dst_sel:DWORD dst_unused:UNUSED_PAD src0_sel:BYTE_0 src1_sel:BYTE_0
	;; [unrolled: 11-line block ×33, first 2 shown]
	v_mul_lo_u16_e32 v98, 0xcd, v115
	v_mul_lo_u16_e32 v100, 0xcd, v96
	v_lshrrev_b16_e32 v98, 11, v98
	v_lshrrev_b16_e32 v100, 11, v100
	v_mul_lo_u16_e32 v98, 10, v98
	v_mul_lo_u16_e32 v100, 10, v100
	v_sub_u16_e32 v98, v115, v98
	v_sub_u16_e32 v96, v96, v100
	v_add_u16_e32 v96, v96, v98
	v_add_u16_e32 v98, -10, v96
	v_min_u16_sdwa v96, v96, v98 dst_sel:DWORD dst_unused:UNUSED_PAD src0_sel:BYTE_0 src1_sel:BYTE_0
	v_mul_lo_u16_e32 v98, 0xcd, v113
	v_mul_lo_u16_e32 v100, 0xcd, v96
	v_lshrrev_b16_e32 v98, 11, v98
	v_lshrrev_b16_e32 v100, 11, v100
	v_mul_lo_u16_e32 v98, 10, v98
	v_mul_lo_u16_e32 v100, 10, v100
	v_sub_u16_e32 v98, v113, v98
	v_sub_u16_e32 v96, v96, v100
	v_add_u16_e32 v96, v96, v98
	v_add_u16_e32 v98, -10, v96
	v_min_u16_sdwa v96, v96, v98 dst_sel:DWORD dst_unused:UNUSED_PAD src0_sel:BYTE_0 src1_sel:BYTE_0
	;; [unrolled: 11-line block ×4, first 2 shown]
	v_mul_lo_u16_e32 v98, 0xcd, v99
	v_lshrrev_b16_e32 v98, 11, v98
	v_mul_lo_u16_e32 v98, 10, v98
	v_sub_u16_e32 v98, v99, v98
	v_mul_lo_u16_e32 v99, 0xcd, v96
	v_lshrrev_b16_e32 v99, 11, v99
	v_mul_lo_u16_e32 v99, 10, v99
	v_sub_u16_e32 v96, v96, v99
	v_add_u16_e32 v96, v96, v98
	v_add_u16_e32 v98, -10, v96
	v_min_u16_sdwa v96, v96, v98 dst_sel:DWORD dst_unused:UNUSED_PAD src0_sel:BYTE_0 src1_sel:BYTE_0
	v_mul_lo_u16_e32 v98, 0xcd, v97
	v_lshrrev_b16_e32 v98, 11, v98
	v_mul_lo_u16_e32 v98, 10, v98
	v_sub_u16_e32 v97, v97, v98
	v_mul_lo_u16_e32 v98, 0xcd, v96
	v_lshrrev_b16_e32 v98, 11, v98
	v_mul_lo_u16_e32 v98, 10, v98
	v_sub_u16_e32 v96, v96, v98
	v_add_u16_e32 v96, v96, v97
	v_add_u16_e32 v97, -10, v96
	v_min_u16_sdwa v96, v96, v97 dst_sel:DWORD dst_unused:UNUSED_PAD src0_sel:BYTE_0 src1_sel:BYTE_0
	;; [unrolled: 11-line block ×60, first 2 shown]
	v_mul_lo_u16_e32 v3, 0xcd, v1
	v_lshrrev_b16_e32 v3, 11, v3
	v_mov_b32_dpp v2, v1 quad_perm:[1,0,3,2] row_mask:0xf bank_mask:0xf bound_ctrl:1
	v_mul_lo_u16_e32 v3, 10, v3
	v_sub_u16_e32 v1, v1, v3
	v_mul_lo_u16_sdwa v3, v2, s1 dst_sel:DWORD dst_unused:UNUSED_PAD src0_sel:BYTE_0 src1_sel:DWORD
	v_lshrrev_b16_e32 v3, 11, v3
	v_mul_lo_u16_e32 v3, 10, v3
	v_sub_u16_e32 v2, v2, v3
	v_add_u16_e32 v1, v1, v2
	v_add_u16_e32 v2, -10, v1
	v_min_u16_sdwa v1, v1, v2 dst_sel:DWORD dst_unused:UNUSED_PAD src0_sel:BYTE_0 src1_sel:BYTE_0
	v_mbcnt_lo_u32_b32 v0, -1, 0
	v_mbcnt_hi_u32_b32 v0, -1, v0
	v_mov_b32_dpp v2, v1 quad_perm:[2,3,0,1] row_mask:0xf bank_mask:0xf bound_ctrl:1
	v_mul_lo_u16_sdwa v3, v2, s1 dst_sel:DWORD dst_unused:UNUSED_PAD src0_sel:BYTE_0 src1_sel:DWORD
	v_lshrrev_b16_e32 v3, 11, v3
	v_mul_lo_u16_e32 v3, 10, v3
	v_sub_u16_e32 v2, v2, v3
	v_add_u16_e32 v1, v1, v2
	v_add_u16_e32 v2, -10, v1
	v_min_u16_sdwa v1, v1, v2 dst_sel:DWORD dst_unused:UNUSED_PAD src0_sel:BYTE_0 src1_sel:BYTE_0
	v_mul_lo_u16_e32 v3, 0xcd, v1
	v_lshrrev_b16_e32 v3, 11, v3
	v_mov_b32_dpp v2, v1 row_ror:4 row_mask:0xf bank_mask:0xf bound_ctrl:1
	v_mul_lo_u16_e32 v3, 10, v3
	v_sub_u16_e32 v1, v1, v3
	v_mul_lo_u16_sdwa v3, v2, s1 dst_sel:DWORD dst_unused:UNUSED_PAD src0_sel:BYTE_0 src1_sel:DWORD
	v_lshrrev_b16_e32 v3, 11, v3
	v_mul_lo_u16_e32 v3, 10, v3
	v_sub_u16_e32 v2, v2, v3
	v_add_u16_e32 v1, v1, v2
	v_add_u16_e32 v2, -10, v1
	v_min_u16_sdwa v1, v1, v2 dst_sel:DWORD dst_unused:UNUSED_PAD src0_sel:BYTE_0 src1_sel:BYTE_0
	v_mul_lo_u16_e32 v3, 0xcd, v1
	v_lshrrev_b16_e32 v3, 11, v3
	v_mov_b32_dpp v2, v1 row_ror:8 row_mask:0xf bank_mask:0xf bound_ctrl:1
	v_mul_lo_u16_e32 v3, 10, v3
	v_sub_u16_e32 v1, v1, v3
	v_mul_lo_u16_sdwa v3, v2, s1 dst_sel:DWORD dst_unused:UNUSED_PAD src0_sel:BYTE_0 src1_sel:DWORD
	v_lshrrev_b16_e32 v3, 11, v3
	v_mul_lo_u16_e32 v3, 10, v3
	v_sub_u16_e32 v2, v2, v3
	v_add_u16_e32 v1, v1, v2
	v_add_u16_e32 v2, -10, v1
	v_min_u16_sdwa v1, v1, v2 dst_sel:DWORD dst_unused:UNUSED_PAD src0_sel:BYTE_0 src1_sel:BYTE_0
	v_mul_lo_u16_e32 v3, 0xcd, v1
	v_lshrrev_b16_e32 v3, 11, v3
	v_mov_b32_dpp v2, v1 row_bcast:15 row_mask:0xf bank_mask:0xf bound_ctrl:1
	v_mul_lo_u16_e32 v3, 10, v3
	v_sub_u16_e32 v1, v1, v3
	v_mul_lo_u16_sdwa v3, v2, s1 dst_sel:DWORD dst_unused:UNUSED_PAD src0_sel:BYTE_0 src1_sel:DWORD
	v_lshrrev_b16_e32 v3, 11, v3
	v_mul_lo_u16_e32 v3, 10, v3
	v_sub_u16_e32 v2, v2, v3
	v_add_u16_e32 v1, v1, v2
	v_add_u16_e32 v2, -10, v1
	v_min_u16_sdwa v1, v1, v2 dst_sel:DWORD dst_unused:UNUSED_PAD src0_sel:BYTE_0 src1_sel:BYTE_0
	v_mul_lo_u16_e32 v3, 0xcd, v1
	v_lshrrev_b16_e32 v3, 11, v3
	v_mov_b32_dpp v2, v1 row_bcast:31 row_mask:0xf bank_mask:0xf bound_ctrl:1
	v_mul_lo_u16_e32 v3, 10, v3
	v_sub_u16_e32 v1, v1, v3
	v_mul_lo_u16_sdwa v3, v2, s1 dst_sel:DWORD dst_unused:UNUSED_PAD src0_sel:BYTE_0 src1_sel:DWORD
	v_lshrrev_b16_e32 v3, 11, v3
	v_mul_lo_u16_e32 v3, 10, v3
	v_sub_u16_e32 v2, v2, v3
	v_add_u16_e32 v2, v1, v2
	v_add_u16_e32 v3, -10, v2
	v_lshlrev_b32_e32 v1, 2, v0
	v_or_b32_e32 v4, 0xfc, v1
	v_min_u16_sdwa v2, v2, v3 dst_sel:DWORD dst_unused:UNUSED_PAD src0_sel:BYTE_0 src1_sel:BYTE_0
	ds_bpermute_b32 v37, v4, v2
	v_cmp_eq_u32_e32 vcc, 0, v0
	s_and_saveexec_b64 s[4:5], vcc
	s_cbranch_execz .LBB685_628
; %bb.627:
	v_lshrrev_b32_e32 v2, 6, v36
	s_waitcnt lgkmcnt(0)
	ds_write_b8 v2, v37 offset:4
.LBB685_628:
	s_or_b64 exec, exec, s[4:5]
	v_cmp_gt_u32_e32 vcc, 64, v36
	s_waitcnt lgkmcnt(0)
	s_barrier
	s_and_saveexec_b64 s[4:5], vcc
	s_cbranch_execz .LBB685_630
; %bb.629:
	v_and_b32_e32 v2, 3, v0
	ds_read_u8 v3, v2 offset:4
	v_cmp_ne_u32_e32 vcc, 3, v2
	v_or_b32_e32 v1, 8, v1
	s_waitcnt lgkmcnt(0)
	v_and_b32_e32 v2, 0xffff, v3
	v_addc_co_u32_e32 v0, vcc, 0, v0, vcc
	v_lshlrev_b32_e32 v0, 2, v0
	ds_bpermute_b32 v0, v0, v2
	v_mul_lo_u16_e32 v2, 0xcd, v3
	v_lshrrev_b16_e32 v2, 11, v2
	v_mul_lo_u16_e32 v2, 10, v2
	v_sub_u16_e32 v2, v3, v2
	s_waitcnt lgkmcnt(0)
	v_mul_lo_u16_sdwa v4, v0, s1 dst_sel:DWORD dst_unused:UNUSED_PAD src0_sel:BYTE_0 src1_sel:DWORD
	v_lshrrev_b16_e32 v4, 11, v4
	v_mul_lo_u16_e32 v4, 10, v4
	v_sub_u16_e32 v0, v0, v4
	v_add_u16_e32 v0, v0, v2
	v_add_u16_e32 v2, -10, v0
	v_min_u16_sdwa v0, v0, v2 dst_sel:DWORD dst_unused:UNUSED_PAD src0_sel:BYTE_0 src1_sel:BYTE_0
	ds_bpermute_b32 v1, v1, v0
	s_waitcnt lgkmcnt(0)
	v_mul_lo_u16_sdwa v2, v1, s1 dst_sel:DWORD dst_unused:UNUSED_PAD src0_sel:BYTE_0 src1_sel:DWORD
	v_lshrrev_b16_e32 v2, 11, v2
	v_mul_lo_u16_e32 v2, 10, v2
	v_sub_u16_e32 v1, v1, v2
	v_add_u16_e32 v0, v0, v1
	v_add_u16_e32 v1, -10, v0
	v_min_u16_sdwa v37, v0, v1 dst_sel:DWORD dst_unused:UNUSED_PAD src0_sel:BYTE_0 src1_sel:BYTE_0
.LBB685_630:
	s_or_b64 exec, exec, s[4:5]
                                        ; implicit-def: $vgpr38_vgpr39
.LBB685_631:
	s_or_saveexec_b64 s[2:3], s[2:3]
	v_writelane_b32 v43, s2, 0
	s_nop 1
	v_writelane_b32 v43, s3, 1
	s_xor_b64 exec, exec, s[2:3]
	s_cbranch_execz .LBB685_1117
; %bb.632:
	v_subrev_u32_e32 v51, s0, v34
	v_mov_b32_e32 v0, 0
	v_cmp_lt_u32_e32 vcc, v36, v51
	v_mov_b32_e32 v1, v0
	v_mov_b32_e32 v2, v0
	;; [unrolled: 1-line block ×31, first 2 shown]
	s_and_saveexec_b64 s[0:1], vcc
	s_cbranch_execz .LBB685_634
; %bb.633:
	v_mov_b32_e32 v37, v0
	v_lshl_add_u64 v[2:3], v[38:39], 0, v[36:37]
	flat_load_ubyte a0, v[2:3]
	v_accvgpr_write_b32 a1, v0
	v_accvgpr_write_b32 a2, v0
	;; [unrolled: 1-line block ×31, first 2 shown]
	s_waitcnt vmcnt(0) lgkmcnt(0)
	v_accvgpr_read_b32 v0, a0
	v_accvgpr_read_b32 v1, a1
	;; [unrolled: 1-line block ×32, first 2 shown]
.LBB685_634:
	s_or_b64 exec, exec, s[0:1]
	v_add_u32_e32 v37, 0x100, v36
	v_cmp_lt_u32_e64 s[2:3], v37, v51
	s_mov_b64 s[0:1], exec
	s_nop 0
	v_writelane_b32 v43, s2, 2
	s_nop 1
	v_writelane_b32 v43, s3, 3
	s_and_b64 s[2:3], s[0:1], s[2:3]
	s_mov_b64 exec, s[2:3]
	s_cbranch_execz .LBB685_636
; %bb.635:
	v_mov_b32_e32 v37, 0
	v_lshl_add_u64 v[48:49], v[38:39], 0, v[36:37]
	flat_load_ubyte v37, v[48:49] offset:256
	s_mov_b32 s2, 0x7060004
	s_waitcnt vmcnt(0) lgkmcnt(0)
	v_perm_b32 v0, v0, v37, s2
.LBB685_636:
	s_or_b64 exec, exec, s[0:1]
	v_add_u32_e32 v37, 0x200, v36
	v_cmp_lt_u32_e64 s[2:3], v37, v51
	s_mov_b64 s[0:1], exec
	s_nop 0
	v_writelane_b32 v43, s2, 4
	s_nop 1
	v_writelane_b32 v43, s3, 5
	s_and_b64 s[2:3], s[0:1], s[2:3]
	s_mov_b64 exec, s[2:3]
	s_cbranch_execz .LBB685_638
; %bb.637:
	v_mov_b32_e32 v37, 0
	v_lshl_add_u64 v[48:49], v[38:39], 0, v[36:37]
	flat_load_ubyte v37, v[48:49] offset:512
	s_mov_b32 s2, 0x7000504
	s_waitcnt vmcnt(0) lgkmcnt(0)
	v_perm_b32 v0, v0, v37, s2
.LBB685_638:
	;; [unrolled: 19-line block ×3, first 2 shown]
	s_or_b64 exec, exec, s[0:1]
	v_or_b32_e32 v37, 0x400, v36
	v_cmp_lt_u32_e64 s[2:3], v37, v51
	s_mov_b64 s[0:1], exec
	s_nop 0
	v_writelane_b32 v43, s2, 8
	s_nop 1
	v_writelane_b32 v43, s3, 9
	s_and_b64 s[2:3], s[0:1], s[2:3]
	s_mov_b64 exec, s[2:3]
	s_cbranch_execz .LBB685_642
; %bb.641:
	v_mov_b32_e32 v37, 0
	v_lshl_add_u64 v[48:49], v[38:39], 0, v[36:37]
	flat_load_ubyte v37, v[48:49] offset:1024
	s_mov_b32 s2, 0x3020104
	s_waitcnt vmcnt(0) lgkmcnt(0)
	v_perm_b32 v1, v37, v1, s2
.LBB685_642:
	s_or_b64 exec, exec, s[0:1]
	v_add_u32_e32 v37, 0x500, v36
	v_cmp_lt_u32_e64 s[2:3], v37, v51
	s_mov_b64 s[0:1], exec
	s_nop 0
	v_writelane_b32 v43, s2, 10
	s_nop 1
	v_writelane_b32 v43, s3, 11
	s_and_b64 s[2:3], s[0:1], s[2:3]
	s_mov_b64 exec, s[2:3]
	s_cbranch_execz .LBB685_644
; %bb.643:
	v_mov_b32_e32 v37, 0
	v_lshl_add_u64 v[48:49], v[38:39], 0, v[36:37]
	flat_load_ubyte v37, v[48:49] offset:1280
	s_mov_b32 s2, 0x7060004
	s_waitcnt vmcnt(0) lgkmcnt(0)
	v_perm_b32 v1, v1, v37, s2
.LBB685_644:
	s_or_b64 exec, exec, s[0:1]
	v_add_u32_e32 v37, 0x600, v36
	v_cmp_lt_u32_e64 s[2:3], v37, v51
	s_mov_b64 s[0:1], exec
	s_nop 0
	v_writelane_b32 v43, s2, 12
	s_nop 1
	v_writelane_b32 v43, s3, 13
	s_and_b64 s[2:3], s[0:1], s[2:3]
	s_mov_b64 exec, s[2:3]
	s_cbranch_execz .LBB685_646
; %bb.645:
	v_mov_b32_e32 v37, 0
	v_lshl_add_u64 v[48:49], v[38:39], 0, v[36:37]
	flat_load_ubyte v37, v[48:49] offset:1536
	s_mov_b32 s2, 0x7000504
	s_waitcnt vmcnt(0) lgkmcnt(0)
	v_perm_b32 v1, v1, v37, s2
.LBB685_646:
	s_or_b64 exec, exec, s[0:1]
	v_add_u32_e32 v37, 0x700, v36
	v_cmp_lt_u32_e64 s[2:3], v37, v51
	s_mov_b64 s[0:1], exec
	s_nop 0
	v_writelane_b32 v43, s2, 14
	s_nop 1
	v_writelane_b32 v43, s3, 15
	s_and_b64 s[2:3], s[0:1], s[2:3]
	s_mov_b64 exec, s[2:3]
	s_cbranch_execz .LBB685_648
; %bb.647:
	v_mov_b32_e32 v37, 0
	v_lshl_add_u64 v[48:49], v[38:39], 0, v[36:37]
	flat_load_ubyte v37, v[48:49] offset:1792
	s_mov_b32 s2, 0x60504
	s_waitcnt vmcnt(0) lgkmcnt(0)
	v_perm_b32 v1, v1, v37, s2
.LBB685_648:
	s_or_b64 exec, exec, s[0:1]
	v_or_b32_e32 v37, 0x800, v36
	v_cmp_lt_u32_e64 s[2:3], v37, v51
	s_mov_b64 s[0:1], exec
	s_nop 0
	v_writelane_b32 v43, s2, 16
	s_nop 1
	v_writelane_b32 v43, s3, 17
	s_and_b64 s[2:3], s[0:1], s[2:3]
	s_mov_b64 exec, s[2:3]
	s_cbranch_execz .LBB685_650
; %bb.649:
	v_mov_b32_e32 v37, 0
	v_lshl_add_u64 v[48:49], v[38:39], 0, v[36:37]
	flat_load_ubyte v37, v[48:49] offset:2048
	s_mov_b32 s2, 0x3020104
	s_waitcnt vmcnt(0) lgkmcnt(0)
	v_perm_b32 v2, v37, v2, s2
.LBB685_650:
	s_or_b64 exec, exec, s[0:1]
	v_add_u32_e32 v37, 0x900, v36
	v_cmp_lt_u32_e64 s[2:3], v37, v51
	s_mov_b64 s[0:1], exec
	s_nop 0
	v_writelane_b32 v43, s2, 18
	s_nop 1
	v_writelane_b32 v43, s3, 19
	s_and_b64 s[2:3], s[0:1], s[2:3]
	s_mov_b64 exec, s[2:3]
	s_cbranch_execz .LBB685_652
; %bb.651:
	v_mov_b32_e32 v37, 0
	v_lshl_add_u64 v[48:49], v[38:39], 0, v[36:37]
	flat_load_ubyte v37, v[48:49] offset:2304
	s_mov_b32 s2, 0x7060004
	s_waitcnt vmcnt(0) lgkmcnt(0)
	v_perm_b32 v2, v2, v37, s2
.LBB685_652:
	s_or_b64 exec, exec, s[0:1]
	v_add_u32_e32 v37, 0xa00, v36
	v_cmp_lt_u32_e64 s[2:3], v37, v51
	s_mov_b64 s[0:1], exec
	s_nop 0
	v_writelane_b32 v43, s2, 20
	s_nop 1
	v_writelane_b32 v43, s3, 21
	s_and_b64 s[2:3], s[0:1], s[2:3]
	s_mov_b64 exec, s[2:3]
	s_cbranch_execz .LBB685_654
; %bb.653:
	v_mov_b32_e32 v37, 0
	v_lshl_add_u64 v[48:49], v[38:39], 0, v[36:37]
	flat_load_ubyte v37, v[48:49] offset:2560
	s_mov_b32 s2, 0x7000504
	s_waitcnt vmcnt(0) lgkmcnt(0)
	v_perm_b32 v2, v2, v37, s2
.LBB685_654:
	s_or_b64 exec, exec, s[0:1]
	v_add_u32_e32 v37, 0xb00, v36
	v_cmp_lt_u32_e64 s[2:3], v37, v51
	s_mov_b64 s[0:1], exec
	s_nop 0
	v_writelane_b32 v43, s2, 22
	s_nop 1
	v_writelane_b32 v43, s3, 23
	s_and_b64 s[2:3], s[0:1], s[2:3]
	s_mov_b64 exec, s[2:3]
	s_cbranch_execz .LBB685_656
; %bb.655:
	v_mov_b32_e32 v37, 0
	v_lshl_add_u64 v[48:49], v[38:39], 0, v[36:37]
	flat_load_ubyte v37, v[48:49] offset:2816
	s_mov_b32 s2, 0x60504
	s_waitcnt vmcnt(0) lgkmcnt(0)
	v_perm_b32 v2, v2, v37, s2
.LBB685_656:
	s_or_b64 exec, exec, s[0:1]
	v_or_b32_e32 v37, 0xc00, v36
	v_cmp_lt_u32_e64 s[2:3], v37, v51
	s_mov_b64 s[0:1], exec
	s_nop 0
	v_writelane_b32 v43, s2, 24
	s_nop 1
	v_writelane_b32 v43, s3, 25
	s_and_b64 s[2:3], s[0:1], s[2:3]
	s_mov_b64 exec, s[2:3]
	s_cbranch_execz .LBB685_658
; %bb.657:
	v_mov_b32_e32 v37, 0
	v_lshl_add_u64 v[48:49], v[38:39], 0, v[36:37]
	flat_load_ubyte v37, v[48:49] offset:3072
	s_mov_b32 s2, 0x3020104
	s_waitcnt vmcnt(0) lgkmcnt(0)
	v_perm_b32 v3, v37, v3, s2
.LBB685_658:
	s_or_b64 exec, exec, s[0:1]
	v_add_u32_e32 v37, 0xd00, v36
	v_cmp_lt_u32_e64 s[2:3], v37, v51
	s_mov_b64 s[0:1], exec
	s_nop 0
	v_writelane_b32 v43, s2, 26
	s_nop 1
	v_writelane_b32 v43, s3, 27
	s_and_b64 s[2:3], s[0:1], s[2:3]
	s_mov_b64 exec, s[2:3]
	s_cbranch_execz .LBB685_660
; %bb.659:
	v_mov_b32_e32 v37, 0
	v_lshl_add_u64 v[48:49], v[38:39], 0, v[36:37]
	flat_load_ubyte v37, v[48:49] offset:3328
	s_mov_b32 s2, 0x7060004
	s_waitcnt vmcnt(0) lgkmcnt(0)
	v_perm_b32 v3, v3, v37, s2
.LBB685_660:
	s_or_b64 exec, exec, s[0:1]
	v_add_u32_e32 v37, 0xe00, v36
	;; [unrolled: 19-line block ×3, first 2 shown]
	v_cmp_lt_u32_e64 s[2:3], v37, v51
	s_mov_b64 s[0:1], exec
	s_nop 0
	v_writelane_b32 v43, s2, 30
	s_nop 1
	v_writelane_b32 v43, s3, 31
	s_and_b64 s[2:3], s[0:1], s[2:3]
	s_mov_b64 exec, s[2:3]
	s_cbranch_execz .LBB685_664
; %bb.663:
	v_mov_b32_e32 v37, 0
	v_lshl_add_u64 v[48:49], v[38:39], 0, v[36:37]
	flat_load_ubyte v37, v[48:49] offset:3840
	s_mov_b32 s2, 0x60504
	s_waitcnt vmcnt(0) lgkmcnt(0)
	v_perm_b32 v3, v3, v37, s2
.LBB685_664:
	s_or_b64 exec, exec, s[0:1]
	v_or_b32_e32 v48, 0x1000, v36
	v_cmp_lt_u32_e64 s[2:3], v48, v51
	s_mov_b64 s[0:1], exec
	s_nop 0
	v_writelane_b32 v43, s2, 32
	s_nop 1
	v_writelane_b32 v43, s3, 33
	s_and_b64 s[2:3], s[0:1], s[2:3]
	s_mov_b64 exec, s[2:3]
	s_cbranch_execz .LBB685_666
; %bb.665:
	v_mov_b32_e32 v49, 0
	v_lshl_add_u64 v[48:49], v[38:39], 0, v[48:49]
	flat_load_ubyte v37, v[48:49]
	s_mov_b32 s2, 0x3020104
	s_waitcnt vmcnt(0) lgkmcnt(0)
	v_perm_b32 v4, v37, v4, s2
.LBB685_666:
	s_or_b64 exec, exec, s[0:1]
	v_add_u32_e32 v48, 0x1100, v36
	v_cmp_lt_u32_e64 s[2:3], v48, v51
	s_mov_b64 s[0:1], exec
	s_nop 0
	v_writelane_b32 v43, s2, 34
	s_nop 1
	v_writelane_b32 v43, s3, 35
	s_and_b64 s[2:3], s[0:1], s[2:3]
	s_mov_b64 exec, s[2:3]
	s_cbranch_execz .LBB685_668
; %bb.667:
	v_mov_b32_e32 v49, 0
	v_lshl_add_u64 v[48:49], v[38:39], 0, v[48:49]
	flat_load_ubyte v37, v[48:49]
	s_mov_b32 s2, 0x7060004
	s_waitcnt vmcnt(0) lgkmcnt(0)
	v_perm_b32 v4, v4, v37, s2
.LBB685_668:
	s_or_b64 exec, exec, s[0:1]
	v_add_u32_e32 v48, 0x1200, v36
	;; [unrolled: 19-line block ×3, first 2 shown]
	v_cmp_lt_u32_e64 s[2:3], v48, v51
	s_mov_b64 s[0:1], exec
	s_nop 0
	v_writelane_b32 v43, s2, 38
	s_nop 1
	v_writelane_b32 v43, s3, 39
	s_and_b64 s[2:3], s[0:1], s[2:3]
	s_mov_b64 exec, s[2:3]
	s_cbranch_execz .LBB685_672
; %bb.671:
	v_mov_b32_e32 v49, 0
	v_lshl_add_u64 v[48:49], v[38:39], 0, v[48:49]
	flat_load_ubyte v37, v[48:49]
	s_mov_b32 s2, 0x60504
	s_waitcnt vmcnt(0) lgkmcnt(0)
	v_perm_b32 v4, v4, v37, s2
.LBB685_672:
	s_or_b64 exec, exec, s[0:1]
	v_or_b32_e32 v48, 0x1400, v36
	v_cmp_lt_u32_e64 s[2:3], v48, v51
	s_mov_b64 s[0:1], exec
	s_nop 0
	v_writelane_b32 v43, s2, 40
	s_nop 1
	v_writelane_b32 v43, s3, 41
	s_and_b64 s[2:3], s[0:1], s[2:3]
	s_mov_b64 exec, s[2:3]
	s_cbranch_execz .LBB685_674
; %bb.673:
	v_mov_b32_e32 v49, 0
	v_lshl_add_u64 v[48:49], v[38:39], 0, v[48:49]
	flat_load_ubyte v37, v[48:49]
	s_mov_b32 s2, 0x3020104
	s_waitcnt vmcnt(0) lgkmcnt(0)
	v_perm_b32 v5, v37, v5, s2
.LBB685_674:
	s_or_b64 exec, exec, s[0:1]
	v_add_u32_e32 v48, 0x1500, v36
	v_cmp_lt_u32_e64 s[2:3], v48, v51
	s_mov_b64 s[0:1], exec
	s_nop 0
	v_writelane_b32 v43, s2, 42
	s_nop 1
	v_writelane_b32 v43, s3, 43
	s_and_b64 s[2:3], s[0:1], s[2:3]
	s_mov_b64 exec, s[2:3]
	s_cbranch_execz .LBB685_676
; %bb.675:
	v_mov_b32_e32 v49, 0
	v_lshl_add_u64 v[48:49], v[38:39], 0, v[48:49]
	flat_load_ubyte v37, v[48:49]
	s_mov_b32 s2, 0x7060004
	s_waitcnt vmcnt(0) lgkmcnt(0)
	v_perm_b32 v5, v5, v37, s2
.LBB685_676:
	s_or_b64 exec, exec, s[0:1]
	v_add_u32_e32 v48, 0x1600, v36
	;; [unrolled: 19-line block ×3, first 2 shown]
	v_cmp_lt_u32_e64 s[2:3], v48, v51
	s_mov_b64 s[0:1], exec
	s_nop 0
	v_writelane_b32 v43, s2, 46
	s_nop 1
	v_writelane_b32 v43, s3, 47
	s_and_b64 s[2:3], s[0:1], s[2:3]
	s_mov_b64 exec, s[2:3]
	s_cbranch_execz .LBB685_680
; %bb.679:
	v_mov_b32_e32 v49, 0
	v_lshl_add_u64 v[48:49], v[38:39], 0, v[48:49]
	flat_load_ubyte v37, v[48:49]
	s_mov_b32 s2, 0x60504
	s_waitcnt vmcnt(0) lgkmcnt(0)
	v_perm_b32 v5, v5, v37, s2
.LBB685_680:
	s_or_b64 exec, exec, s[0:1]
	v_or_b32_e32 v48, 0x1800, v36
	v_cmp_lt_u32_e64 s[2:3], v48, v51
	s_mov_b64 s[0:1], exec
	s_nop 0
	v_writelane_b32 v43, s2, 48
	s_nop 1
	v_writelane_b32 v43, s3, 49
	s_and_b64 s[2:3], s[0:1], s[2:3]
	s_mov_b64 exec, s[2:3]
	s_cbranch_execz .LBB685_682
; %bb.681:
	v_mov_b32_e32 v49, 0
	v_lshl_add_u64 v[48:49], v[38:39], 0, v[48:49]
	flat_load_ubyte v37, v[48:49]
	s_mov_b32 s2, 0x3020104
	s_waitcnt vmcnt(0) lgkmcnt(0)
	v_perm_b32 v6, v37, v6, s2
.LBB685_682:
	s_or_b64 exec, exec, s[0:1]
	v_add_u32_e32 v48, 0x1900, v36
	v_cmp_lt_u32_e64 s[2:3], v48, v51
	s_mov_b64 s[0:1], exec
	s_nop 0
	v_writelane_b32 v43, s2, 50
	s_nop 1
	v_writelane_b32 v43, s3, 51
	s_and_b64 s[2:3], s[0:1], s[2:3]
	s_mov_b64 exec, s[2:3]
	s_cbranch_execz .LBB685_684
; %bb.683:
	v_mov_b32_e32 v49, 0
	v_lshl_add_u64 v[48:49], v[38:39], 0, v[48:49]
	flat_load_ubyte v37, v[48:49]
	s_mov_b32 s2, 0x7060004
	s_waitcnt vmcnt(0) lgkmcnt(0)
	v_perm_b32 v6, v6, v37, s2
.LBB685_684:
	s_or_b64 exec, exec, s[0:1]
	v_add_u32_e32 v48, 0x1a00, v36
	;; [unrolled: 19-line block ×3, first 2 shown]
	v_cmp_lt_u32_e64 s[2:3], v48, v51
	s_mov_b64 s[0:1], exec
	s_nop 0
	v_writelane_b32 v43, s2, 54
	s_nop 1
	v_writelane_b32 v43, s3, 55
	s_and_b64 s[2:3], s[0:1], s[2:3]
	s_mov_b64 exec, s[2:3]
	s_cbranch_execz .LBB685_688
; %bb.687:
	v_mov_b32_e32 v49, 0
	v_lshl_add_u64 v[48:49], v[38:39], 0, v[48:49]
	flat_load_ubyte v37, v[48:49]
	s_mov_b32 s2, 0x60504
	s_waitcnt vmcnt(0) lgkmcnt(0)
	v_perm_b32 v6, v6, v37, s2
.LBB685_688:
	s_or_b64 exec, exec, s[0:1]
	v_or_b32_e32 v48, 0x1c00, v36
	v_cmp_lt_u32_e64 s[2:3], v48, v51
	s_mov_b64 s[0:1], exec
	s_nop 0
	v_writelane_b32 v43, s2, 56
	s_nop 1
	v_writelane_b32 v43, s3, 57
	s_and_b64 s[2:3], s[0:1], s[2:3]
	s_mov_b64 exec, s[2:3]
	s_cbranch_execz .LBB685_690
; %bb.689:
	v_mov_b32_e32 v49, 0
	v_lshl_add_u64 v[48:49], v[38:39], 0, v[48:49]
	flat_load_ubyte v37, v[48:49]
	s_mov_b32 s2, 0x3020104
	s_waitcnt vmcnt(0) lgkmcnt(0)
	v_perm_b32 v7, v37, v7, s2
.LBB685_690:
	s_or_b64 exec, exec, s[0:1]
	v_add_u32_e32 v48, 0x1d00, v36
	v_cmp_lt_u32_e64 s[2:3], v48, v51
	s_mov_b64 s[0:1], exec
	s_nop 0
	v_writelane_b32 v43, s2, 58
	s_nop 1
	v_writelane_b32 v43, s3, 59
	s_and_b64 s[2:3], s[0:1], s[2:3]
	s_mov_b64 exec, s[2:3]
	s_cbranch_execz .LBB685_692
; %bb.691:
	v_mov_b32_e32 v49, 0
	v_lshl_add_u64 v[48:49], v[38:39], 0, v[48:49]
	flat_load_ubyte v37, v[48:49]
	s_mov_b32 s2, 0x7060004
	s_waitcnt vmcnt(0) lgkmcnt(0)
	v_perm_b32 v7, v7, v37, s2
.LBB685_692:
	s_or_b64 exec, exec, s[0:1]
	v_add_u32_e32 v48, 0x1e00, v36
	;; [unrolled: 19-line block ×3, first 2 shown]
	v_cmp_lt_u32_e64 s[2:3], v48, v51
	s_mov_b64 s[0:1], exec
	s_nop 0
	v_writelane_b32 v43, s2, 62
	s_nop 1
	v_writelane_b32 v43, s3, 63
	s_and_b64 s[2:3], s[0:1], s[2:3]
	s_mov_b64 exec, s[2:3]
	s_cbranch_execz .LBB685_696
; %bb.695:
	v_mov_b32_e32 v49, 0
	v_lshl_add_u64 v[48:49], v[38:39], 0, v[48:49]
	flat_load_ubyte v37, v[48:49]
	s_mov_b32 s2, 0x60504
	s_waitcnt vmcnt(0) lgkmcnt(0)
	v_perm_b32 v7, v7, v37, s2
.LBB685_696:
	s_or_b64 exec, exec, s[0:1]
	v_or_b32_e32 v48, 0x2000, v36
	v_cmp_lt_u32_e64 s[2:3], v48, v51
	s_mov_b64 s[0:1], exec
                                        ; implicit-def: $vgpr42 : SGPR spill to VGPR lane
	s_nop 0
	v_writelane_b32 v42, s2, 0
	s_nop 1
	v_writelane_b32 v42, s3, 1
	s_and_b64 s[2:3], s[0:1], s[2:3]
	s_mov_b64 exec, s[2:3]
	s_cbranch_execz .LBB685_698
; %bb.697:
	v_mov_b32_e32 v49, 0
	v_lshl_add_u64 v[48:49], v[38:39], 0, v[48:49]
	flat_load_ubyte v37, v[48:49]
	s_mov_b32 s2, 0x3020104
	s_waitcnt vmcnt(0) lgkmcnt(0)
	v_perm_b32 v8, v37, v8, s2
.LBB685_698:
	s_or_b64 exec, exec, s[0:1]
	v_add_u32_e32 v48, 0x2100, v36
	v_cmp_lt_u32_e64 s[2:3], v48, v51
	s_mov_b64 s[0:1], exec
	s_nop 0
	v_writelane_b32 v42, s2, 2
	s_nop 1
	v_writelane_b32 v42, s3, 3
	s_and_b64 s[2:3], s[0:1], s[2:3]
	s_mov_b64 exec, s[2:3]
	s_cbranch_execz .LBB685_700
; %bb.699:
	v_mov_b32_e32 v49, 0
	v_lshl_add_u64 v[48:49], v[38:39], 0, v[48:49]
	flat_load_ubyte v37, v[48:49]
	s_mov_b32 s2, 0x7060004
	s_waitcnt vmcnt(0) lgkmcnt(0)
	v_perm_b32 v8, v8, v37, s2
.LBB685_700:
	s_or_b64 exec, exec, s[0:1]
	v_add_u32_e32 v48, 0x2200, v36
	v_cmp_lt_u32_e64 s[2:3], v48, v51
	s_mov_b64 s[0:1], exec
	;; [unrolled: 19-line block ×3, first 2 shown]
	s_nop 0
	v_writelane_b32 v42, s2, 6
	s_nop 1
	v_writelane_b32 v42, s3, 7
	s_and_b64 s[2:3], s[0:1], s[2:3]
	s_mov_b64 exec, s[2:3]
	s_cbranch_execz .LBB685_704
; %bb.703:
	v_mov_b32_e32 v49, 0
	v_lshl_add_u64 v[48:49], v[38:39], 0, v[48:49]
	flat_load_ubyte v37, v[48:49]
	s_mov_b32 s2, 0x60504
	s_waitcnt vmcnt(0) lgkmcnt(0)
	v_perm_b32 v8, v8, v37, s2
.LBB685_704:
	s_or_b64 exec, exec, s[0:1]
	v_or_b32_e32 v48, 0x2400, v36
	v_cmp_lt_u32_e64 s[2:3], v48, v51
	s_mov_b64 s[0:1], exec
	s_nop 0
	v_writelane_b32 v42, s2, 8
	s_nop 1
	v_writelane_b32 v42, s3, 9
	s_and_b64 s[2:3], s[0:1], s[2:3]
	s_mov_b64 exec, s[2:3]
	s_cbranch_execz .LBB685_706
; %bb.705:
	v_mov_b32_e32 v49, 0
	v_lshl_add_u64 v[48:49], v[38:39], 0, v[48:49]
	flat_load_ubyte v37, v[48:49]
	s_mov_b32 s2, 0x3020104
	s_waitcnt vmcnt(0) lgkmcnt(0)
	v_perm_b32 v9, v37, v9, s2
.LBB685_706:
	s_or_b64 exec, exec, s[0:1]
	v_add_u32_e32 v48, 0x2500, v36
	v_cmp_lt_u32_e64 s[2:3], v48, v51
	s_mov_b64 s[0:1], exec
	s_nop 0
	v_writelane_b32 v42, s2, 10
	s_nop 1
	v_writelane_b32 v42, s3, 11
	s_and_b64 s[2:3], s[0:1], s[2:3]
	s_mov_b64 exec, s[2:3]
	s_cbranch_execz .LBB685_708
; %bb.707:
	v_mov_b32_e32 v49, 0
	v_lshl_add_u64 v[48:49], v[38:39], 0, v[48:49]
	flat_load_ubyte v37, v[48:49]
	s_mov_b32 s2, 0x7060004
	s_waitcnt vmcnt(0) lgkmcnt(0)
	v_perm_b32 v9, v9, v37, s2
.LBB685_708:
	s_or_b64 exec, exec, s[0:1]
	v_add_u32_e32 v48, 0x2600, v36
	;; [unrolled: 19-line block ×3, first 2 shown]
	v_cmp_lt_u32_e64 s[2:3], v48, v51
	s_mov_b64 s[0:1], exec
	s_nop 0
	v_writelane_b32 v42, s2, 14
	s_nop 1
	v_writelane_b32 v42, s3, 15
	s_and_b64 s[2:3], s[0:1], s[2:3]
	s_mov_b64 exec, s[2:3]
	s_cbranch_execz .LBB685_712
; %bb.711:
	v_mov_b32_e32 v49, 0
	v_lshl_add_u64 v[48:49], v[38:39], 0, v[48:49]
	flat_load_ubyte v37, v[48:49]
	s_mov_b32 s2, 0x60504
	s_waitcnt vmcnt(0) lgkmcnt(0)
	v_perm_b32 v9, v9, v37, s2
.LBB685_712:
	s_or_b64 exec, exec, s[0:1]
	v_or_b32_e32 v48, 0x2800, v36
	v_cmp_lt_u32_e64 s[2:3], v48, v51
	s_mov_b64 s[0:1], exec
	s_nop 0
	v_writelane_b32 v42, s2, 16
	s_nop 1
	v_writelane_b32 v42, s3, 17
	s_and_b64 s[2:3], s[0:1], s[2:3]
	s_mov_b64 exec, s[2:3]
	s_cbranch_execz .LBB685_714
; %bb.713:
	v_mov_b32_e32 v49, 0
	v_lshl_add_u64 v[48:49], v[38:39], 0, v[48:49]
	flat_load_ubyte v37, v[48:49]
	s_mov_b32 s2, 0x3020104
	s_waitcnt vmcnt(0) lgkmcnt(0)
	v_perm_b32 v10, v37, v10, s2
.LBB685_714:
	s_or_b64 exec, exec, s[0:1]
	v_add_u32_e32 v48, 0x2900, v36
	v_cmp_lt_u32_e64 s[2:3], v48, v51
	s_mov_b64 s[0:1], exec
	s_nop 0
	v_writelane_b32 v42, s2, 18
	s_nop 1
	v_writelane_b32 v42, s3, 19
	s_and_b64 s[2:3], s[0:1], s[2:3]
	s_mov_b64 exec, s[2:3]
	s_cbranch_execz .LBB685_716
; %bb.715:
	v_mov_b32_e32 v49, 0
	v_lshl_add_u64 v[48:49], v[38:39], 0, v[48:49]
	flat_load_ubyte v37, v[48:49]
	s_mov_b32 s2, 0x7060004
	s_waitcnt vmcnt(0) lgkmcnt(0)
	v_perm_b32 v10, v10, v37, s2
.LBB685_716:
	s_or_b64 exec, exec, s[0:1]
	v_add_u32_e32 v48, 0x2a00, v36
	;; [unrolled: 19-line block ×3, first 2 shown]
	v_cmp_lt_u32_e64 s[2:3], v48, v51
	s_mov_b64 s[0:1], exec
	s_nop 0
	v_writelane_b32 v42, s2, 22
	s_nop 1
	v_writelane_b32 v42, s3, 23
	s_and_b64 s[2:3], s[0:1], s[2:3]
	s_mov_b64 exec, s[2:3]
	s_cbranch_execz .LBB685_720
; %bb.719:
	v_mov_b32_e32 v49, 0
	v_lshl_add_u64 v[48:49], v[38:39], 0, v[48:49]
	flat_load_ubyte v37, v[48:49]
	s_mov_b32 s2, 0x60504
	s_waitcnt vmcnt(0) lgkmcnt(0)
	v_perm_b32 v10, v10, v37, s2
.LBB685_720:
	s_or_b64 exec, exec, s[0:1]
	v_or_b32_e32 v48, 0x2c00, v36
	v_cmp_lt_u32_e64 s[2:3], v48, v51
	s_mov_b64 s[0:1], exec
	s_nop 0
	v_writelane_b32 v42, s2, 24
	s_nop 1
	v_writelane_b32 v42, s3, 25
	s_and_b64 s[2:3], s[0:1], s[2:3]
	s_mov_b64 exec, s[2:3]
	s_cbranch_execz .LBB685_722
; %bb.721:
	v_mov_b32_e32 v49, 0
	v_lshl_add_u64 v[48:49], v[38:39], 0, v[48:49]
	flat_load_ubyte v37, v[48:49]
	s_mov_b32 s2, 0x3020104
	s_waitcnt vmcnt(0) lgkmcnt(0)
	v_perm_b32 v11, v37, v11, s2
.LBB685_722:
	s_or_b64 exec, exec, s[0:1]
	v_add_u32_e32 v48, 0x2d00, v36
	v_cmp_lt_u32_e64 s[2:3], v48, v51
	s_mov_b64 s[0:1], exec
	s_nop 0
	v_writelane_b32 v42, s2, 26
	s_nop 1
	v_writelane_b32 v42, s3, 27
	s_and_b64 s[2:3], s[0:1], s[2:3]
	s_mov_b64 exec, s[2:3]
	s_cbranch_execz .LBB685_724
; %bb.723:
	v_mov_b32_e32 v49, 0
	v_lshl_add_u64 v[48:49], v[38:39], 0, v[48:49]
	flat_load_ubyte v37, v[48:49]
	s_mov_b32 s2, 0x7060004
	s_waitcnt vmcnt(0) lgkmcnt(0)
	v_perm_b32 v11, v11, v37, s2
.LBB685_724:
	s_or_b64 exec, exec, s[0:1]
	v_add_u32_e32 v48, 0x2e00, v36
	;; [unrolled: 19-line block ×3, first 2 shown]
	v_cmp_lt_u32_e64 s[2:3], v48, v51
	s_mov_b64 s[0:1], exec
	s_nop 0
	v_writelane_b32 v42, s2, 30
	s_nop 1
	v_writelane_b32 v42, s3, 31
	s_and_b64 s[2:3], s[0:1], s[2:3]
	s_mov_b64 exec, s[2:3]
	s_cbranch_execz .LBB685_728
; %bb.727:
	v_mov_b32_e32 v49, 0
	v_lshl_add_u64 v[48:49], v[38:39], 0, v[48:49]
	flat_load_ubyte v37, v[48:49]
	s_mov_b32 s2, 0x60504
	s_waitcnt vmcnt(0) lgkmcnt(0)
	v_perm_b32 v11, v11, v37, s2
.LBB685_728:
	s_or_b64 exec, exec, s[0:1]
	v_or_b32_e32 v48, 0x3000, v36
	v_cmp_lt_u32_e64 s[2:3], v48, v51
	s_mov_b64 s[0:1], exec
	s_nop 0
	v_writelane_b32 v42, s2, 32
	s_nop 1
	v_writelane_b32 v42, s3, 33
	s_and_b64 s[2:3], s[0:1], s[2:3]
	s_mov_b64 exec, s[2:3]
	s_cbranch_execz .LBB685_730
; %bb.729:
	v_mov_b32_e32 v49, 0
	v_lshl_add_u64 v[48:49], v[38:39], 0, v[48:49]
	flat_load_ubyte v37, v[48:49]
	s_mov_b32 s2, 0x3020104
	s_waitcnt vmcnt(0) lgkmcnt(0)
	v_perm_b32 v12, v37, v12, s2
.LBB685_730:
	s_or_b64 exec, exec, s[0:1]
	v_add_u32_e32 v48, 0x3100, v36
	v_cmp_lt_u32_e64 s[2:3], v48, v51
	s_mov_b64 s[0:1], exec
	s_nop 0
	v_writelane_b32 v42, s2, 34
	s_nop 1
	v_writelane_b32 v42, s3, 35
	s_and_b64 s[2:3], s[0:1], s[2:3]
	s_mov_b64 exec, s[2:3]
	s_cbranch_execz .LBB685_732
; %bb.731:
	v_mov_b32_e32 v49, 0
	v_lshl_add_u64 v[48:49], v[38:39], 0, v[48:49]
	flat_load_ubyte v37, v[48:49]
	s_mov_b32 s2, 0x7060004
	s_waitcnt vmcnt(0) lgkmcnt(0)
	v_perm_b32 v12, v12, v37, s2
.LBB685_732:
	s_or_b64 exec, exec, s[0:1]
	v_add_u32_e32 v48, 0x3200, v36
	;; [unrolled: 19-line block ×3, first 2 shown]
	v_cmp_lt_u32_e64 s[2:3], v48, v51
	s_mov_b64 s[0:1], exec
	s_nop 0
	v_writelane_b32 v42, s2, 38
	s_nop 1
	v_writelane_b32 v42, s3, 39
	s_and_b64 s[2:3], s[0:1], s[2:3]
	s_mov_b64 exec, s[2:3]
	s_cbranch_execz .LBB685_736
; %bb.735:
	v_mov_b32_e32 v49, 0
	v_lshl_add_u64 v[48:49], v[38:39], 0, v[48:49]
	flat_load_ubyte v37, v[48:49]
	s_mov_b32 s2, 0x60504
	s_waitcnt vmcnt(0) lgkmcnt(0)
	v_perm_b32 v12, v12, v37, s2
.LBB685_736:
	s_or_b64 exec, exec, s[0:1]
	v_or_b32_e32 v48, 0x3400, v36
	v_cmp_lt_u32_e64 s[2:3], v48, v51
	s_mov_b64 s[0:1], exec
	s_nop 0
	v_writelane_b32 v42, s2, 40
	s_nop 1
	v_writelane_b32 v42, s3, 41
	s_and_b64 s[2:3], s[0:1], s[2:3]
	s_mov_b64 exec, s[2:3]
	s_cbranch_execz .LBB685_738
; %bb.737:
	v_mov_b32_e32 v49, 0
	v_lshl_add_u64 v[48:49], v[38:39], 0, v[48:49]
	flat_load_ubyte v37, v[48:49]
	s_mov_b32 s2, 0x3020104
	s_waitcnt vmcnt(0) lgkmcnt(0)
	v_perm_b32 v13, v37, v13, s2
.LBB685_738:
	s_or_b64 exec, exec, s[0:1]
	v_add_u32_e32 v48, 0x3500, v36
	v_cmp_lt_u32_e64 s[2:3], v48, v51
	s_mov_b64 s[0:1], exec
	s_nop 0
	v_writelane_b32 v42, s2, 42
	s_nop 1
	v_writelane_b32 v42, s3, 43
	s_and_b64 s[2:3], s[0:1], s[2:3]
	s_mov_b64 exec, s[2:3]
	s_cbranch_execz .LBB685_740
; %bb.739:
	v_mov_b32_e32 v49, 0
	v_lshl_add_u64 v[48:49], v[38:39], 0, v[48:49]
	flat_load_ubyte v37, v[48:49]
	s_mov_b32 s2, 0x7060004
	s_waitcnt vmcnt(0) lgkmcnt(0)
	v_perm_b32 v13, v13, v37, s2
.LBB685_740:
	s_or_b64 exec, exec, s[0:1]
	v_add_u32_e32 v48, 0x3600, v36
	;; [unrolled: 19-line block ×3, first 2 shown]
	v_cmp_lt_u32_e64 s[2:3], v48, v51
	s_mov_b64 s[0:1], exec
	s_nop 0
	v_writelane_b32 v42, s2, 46
	s_nop 1
	v_writelane_b32 v42, s3, 47
	s_and_b64 s[2:3], s[0:1], s[2:3]
	s_mov_b64 exec, s[2:3]
	s_cbranch_execz .LBB685_744
; %bb.743:
	v_mov_b32_e32 v49, 0
	v_lshl_add_u64 v[48:49], v[38:39], 0, v[48:49]
	flat_load_ubyte v37, v[48:49]
	s_mov_b32 s2, 0x60504
	s_waitcnt vmcnt(0) lgkmcnt(0)
	v_perm_b32 v13, v13, v37, s2
.LBB685_744:
	s_or_b64 exec, exec, s[0:1]
	v_or_b32_e32 v48, 0x3800, v36
	v_cmp_lt_u32_e64 s[2:3], v48, v51
	s_mov_b64 s[0:1], exec
	s_nop 0
	v_writelane_b32 v42, s2, 48
	s_nop 1
	v_writelane_b32 v42, s3, 49
	s_and_b64 s[2:3], s[0:1], s[2:3]
	s_mov_b64 exec, s[2:3]
	s_cbranch_execz .LBB685_746
; %bb.745:
	v_mov_b32_e32 v49, 0
	v_lshl_add_u64 v[48:49], v[38:39], 0, v[48:49]
	flat_load_ubyte v37, v[48:49]
	s_mov_b32 s2, 0x3020104
	s_waitcnt vmcnt(0) lgkmcnt(0)
	v_perm_b32 v14, v37, v14, s2
.LBB685_746:
	s_or_b64 exec, exec, s[0:1]
	v_add_u32_e32 v48, 0x3900, v36
	v_cmp_lt_u32_e64 s[2:3], v48, v51
	s_mov_b64 s[0:1], exec
	s_nop 0
	v_writelane_b32 v42, s2, 50
	s_nop 1
	v_writelane_b32 v42, s3, 51
	s_and_b64 s[2:3], s[0:1], s[2:3]
	s_mov_b64 exec, s[2:3]
	s_cbranch_execz .LBB685_748
; %bb.747:
	v_mov_b32_e32 v49, 0
	v_lshl_add_u64 v[48:49], v[38:39], 0, v[48:49]
	flat_load_ubyte v37, v[48:49]
	s_mov_b32 s2, 0x7060004
	s_waitcnt vmcnt(0) lgkmcnt(0)
	v_perm_b32 v14, v14, v37, s2
.LBB685_748:
	s_or_b64 exec, exec, s[0:1]
	v_add_u32_e32 v48, 0x3a00, v36
	;; [unrolled: 19-line block ×3, first 2 shown]
	v_cmp_lt_u32_e64 s[2:3], v48, v51
	s_mov_b64 s[0:1], exec
	s_nop 0
	v_writelane_b32 v42, s2, 54
	s_nop 1
	v_writelane_b32 v42, s3, 55
	s_and_b64 s[2:3], s[0:1], s[2:3]
	s_mov_b64 exec, s[2:3]
	s_cbranch_execz .LBB685_752
; %bb.751:
	v_mov_b32_e32 v49, 0
	v_lshl_add_u64 v[48:49], v[38:39], 0, v[48:49]
	flat_load_ubyte v37, v[48:49]
	s_mov_b32 s2, 0x60504
	s_waitcnt vmcnt(0) lgkmcnt(0)
	v_perm_b32 v14, v14, v37, s2
.LBB685_752:
	s_or_b64 exec, exec, s[0:1]
	v_or_b32_e32 v48, 0x3c00, v36
	v_cmp_lt_u32_e64 s[2:3], v48, v51
	s_mov_b64 s[0:1], exec
	s_nop 0
	v_writelane_b32 v42, s2, 56
	s_nop 1
	v_writelane_b32 v42, s3, 57
	s_and_b64 s[2:3], s[0:1], s[2:3]
	s_mov_b64 exec, s[2:3]
	s_cbranch_execz .LBB685_754
; %bb.753:
	v_mov_b32_e32 v49, 0
	v_lshl_add_u64 v[48:49], v[38:39], 0, v[48:49]
	flat_load_ubyte v37, v[48:49]
	s_mov_b32 s2, 0x3020104
	s_waitcnt vmcnt(0) lgkmcnt(0)
	v_perm_b32 v15, v37, v15, s2
.LBB685_754:
	s_or_b64 exec, exec, s[0:1]
	v_add_u32_e32 v48, 0x3d00, v36
	v_cmp_lt_u32_e64 s[2:3], v48, v51
	s_mov_b64 s[0:1], exec
	s_nop 0
	v_writelane_b32 v42, s2, 58
	s_nop 1
	v_writelane_b32 v42, s3, 59
	s_and_b64 s[2:3], s[0:1], s[2:3]
	s_mov_b64 exec, s[2:3]
	s_cbranch_execz .LBB685_756
; %bb.755:
	v_mov_b32_e32 v49, 0
	v_lshl_add_u64 v[48:49], v[38:39], 0, v[48:49]
	flat_load_ubyte v37, v[48:49]
	s_mov_b32 s2, 0x7060004
	s_waitcnt vmcnt(0) lgkmcnt(0)
	v_perm_b32 v15, v15, v37, s2
.LBB685_756:
	s_or_b64 exec, exec, s[0:1]
	v_add_u32_e32 v48, 0x3e00, v36
	;; [unrolled: 19-line block ×3, first 2 shown]
	v_cmp_lt_u32_e64 s[2:3], v48, v51
	s_mov_b64 s[0:1], exec
	s_nop 0
	v_writelane_b32 v42, s2, 62
	s_nop 1
	v_writelane_b32 v42, s3, 63
	s_and_b64 s[2:3], s[0:1], s[2:3]
	s_mov_b64 exec, s[2:3]
	s_cbranch_execz .LBB685_760
; %bb.759:
	v_mov_b32_e32 v49, 0
	v_lshl_add_u64 v[48:49], v[38:39], 0, v[48:49]
	flat_load_ubyte v37, v[48:49]
	s_mov_b32 s2, 0x60504
	s_waitcnt vmcnt(0) lgkmcnt(0)
	v_perm_b32 v15, v15, v37, s2
.LBB685_760:
	s_or_b64 exec, exec, s[0:1]
	v_or_b32_e32 v48, 0x4000, v36
	v_cmp_lt_u32_e64 s[2:3], v48, v51
	s_mov_b64 s[0:1], exec
                                        ; implicit-def: $vgpr41 : SGPR spill to VGPR lane
	s_nop 0
	v_writelane_b32 v41, s2, 0
	s_nop 1
	v_writelane_b32 v41, s3, 1
	s_and_b64 s[2:3], s[0:1], s[2:3]
	s_mov_b64 exec, s[2:3]
	s_cbranch_execz .LBB685_762
; %bb.761:
	v_mov_b32_e32 v49, 0
	v_lshl_add_u64 v[48:49], v[38:39], 0, v[48:49]
	flat_load_ubyte v37, v[48:49]
	s_mov_b32 s2, 0x3020104
	s_waitcnt vmcnt(0) lgkmcnt(0)
	v_perm_b32 v16, v37, v16, s2
.LBB685_762:
	s_or_b64 exec, exec, s[0:1]
	v_add_u32_e32 v48, 0x4100, v36
	v_cmp_lt_u32_e64 s[2:3], v48, v51
	s_mov_b64 s[0:1], exec
	s_nop 0
	v_writelane_b32 v41, s2, 2
	s_nop 1
	v_writelane_b32 v41, s3, 3
	s_and_b64 s[2:3], s[0:1], s[2:3]
	s_mov_b64 exec, s[2:3]
	s_cbranch_execz .LBB685_764
; %bb.763:
	v_mov_b32_e32 v49, 0
	v_lshl_add_u64 v[48:49], v[38:39], 0, v[48:49]
	flat_load_ubyte v37, v[48:49]
	s_mov_b32 s2, 0x7060004
	s_waitcnt vmcnt(0) lgkmcnt(0)
	v_perm_b32 v16, v16, v37, s2
.LBB685_764:
	s_or_b64 exec, exec, s[0:1]
	v_add_u32_e32 v48, 0x4200, v36
	v_cmp_lt_u32_e64 s[2:3], v48, v51
	s_mov_b64 s[0:1], exec
	;; [unrolled: 19-line block ×3, first 2 shown]
	s_nop 0
	v_writelane_b32 v41, s2, 6
	s_nop 1
	v_writelane_b32 v41, s3, 7
	s_and_b64 s[2:3], s[0:1], s[2:3]
	s_mov_b64 exec, s[2:3]
	s_cbranch_execz .LBB685_768
; %bb.767:
	v_mov_b32_e32 v49, 0
	v_lshl_add_u64 v[48:49], v[38:39], 0, v[48:49]
	flat_load_ubyte v37, v[48:49]
	s_mov_b32 s2, 0x60504
	s_waitcnt vmcnt(0) lgkmcnt(0)
	v_perm_b32 v16, v16, v37, s2
.LBB685_768:
	s_or_b64 exec, exec, s[0:1]
	v_or_b32_e32 v48, 0x4400, v36
	v_cmp_lt_u32_e64 s[2:3], v48, v51
	s_mov_b64 s[0:1], exec
	s_nop 0
	v_writelane_b32 v41, s2, 8
	s_nop 1
	v_writelane_b32 v41, s3, 9
	s_and_b64 s[2:3], s[0:1], s[2:3]
	s_mov_b64 exec, s[2:3]
	s_cbranch_execz .LBB685_770
; %bb.769:
	v_mov_b32_e32 v49, 0
	v_lshl_add_u64 v[48:49], v[38:39], 0, v[48:49]
	flat_load_ubyte v37, v[48:49]
	s_mov_b32 s2, 0x3020104
	s_waitcnt vmcnt(0) lgkmcnt(0)
	v_perm_b32 v17, v37, v17, s2
.LBB685_770:
	s_or_b64 exec, exec, s[0:1]
	v_add_u32_e32 v48, 0x4500, v36
	v_cmp_lt_u32_e64 s[2:3], v48, v51
	s_mov_b64 s[0:1], exec
	s_nop 0
	v_writelane_b32 v41, s2, 10
	s_nop 1
	v_writelane_b32 v41, s3, 11
	s_and_b64 s[2:3], s[0:1], s[2:3]
	s_mov_b64 exec, s[2:3]
	s_cbranch_execz .LBB685_772
; %bb.771:
	v_mov_b32_e32 v49, 0
	v_lshl_add_u64 v[48:49], v[38:39], 0, v[48:49]
	flat_load_ubyte v37, v[48:49]
	s_mov_b32 s2, 0x7060004
	s_waitcnt vmcnt(0) lgkmcnt(0)
	v_perm_b32 v17, v17, v37, s2
.LBB685_772:
	s_or_b64 exec, exec, s[0:1]
	v_add_u32_e32 v48, 0x4600, v36
	;; [unrolled: 19-line block ×3, first 2 shown]
	v_cmp_lt_u32_e64 s[2:3], v48, v51
	s_mov_b64 s[0:1], exec
	s_nop 0
	v_writelane_b32 v41, s2, 14
	s_nop 1
	v_writelane_b32 v41, s3, 15
	s_and_b64 s[2:3], s[0:1], s[2:3]
	s_mov_b64 exec, s[2:3]
	s_cbranch_execz .LBB685_776
; %bb.775:
	v_mov_b32_e32 v49, 0
	v_lshl_add_u64 v[48:49], v[38:39], 0, v[48:49]
	flat_load_ubyte v37, v[48:49]
	s_mov_b32 s2, 0x60504
	s_waitcnt vmcnt(0) lgkmcnt(0)
	v_perm_b32 v17, v17, v37, s2
.LBB685_776:
	s_or_b64 exec, exec, s[0:1]
	v_or_b32_e32 v48, 0x4800, v36
	v_cmp_lt_u32_e64 s[2:3], v48, v51
	s_mov_b64 s[0:1], exec
	s_nop 0
	v_writelane_b32 v41, s2, 16
	s_nop 1
	v_writelane_b32 v41, s3, 17
	s_and_b64 s[2:3], s[0:1], s[2:3]
	s_mov_b64 exec, s[2:3]
	s_cbranch_execz .LBB685_778
; %bb.777:
	v_mov_b32_e32 v49, 0
	v_lshl_add_u64 v[48:49], v[38:39], 0, v[48:49]
	flat_load_ubyte v37, v[48:49]
	s_mov_b32 s2, 0x3020104
	s_waitcnt vmcnt(0) lgkmcnt(0)
	v_perm_b32 v18, v37, v18, s2
.LBB685_778:
	s_or_b64 exec, exec, s[0:1]
	v_add_u32_e32 v48, 0x4900, v36
	v_cmp_lt_u32_e64 s[2:3], v48, v51
	s_mov_b64 s[0:1], exec
	s_nop 0
	v_writelane_b32 v41, s2, 18
	s_nop 1
	v_writelane_b32 v41, s3, 19
	s_and_b64 s[2:3], s[0:1], s[2:3]
	s_mov_b64 exec, s[2:3]
	s_cbranch_execz .LBB685_780
; %bb.779:
	v_mov_b32_e32 v49, 0
	v_lshl_add_u64 v[48:49], v[38:39], 0, v[48:49]
	flat_load_ubyte v37, v[48:49]
	s_mov_b32 s2, 0x7060004
	s_waitcnt vmcnt(0) lgkmcnt(0)
	v_perm_b32 v18, v18, v37, s2
.LBB685_780:
	s_or_b64 exec, exec, s[0:1]
	v_add_u32_e32 v48, 0x4a00, v36
	;; [unrolled: 19-line block ×3, first 2 shown]
	v_cmp_lt_u32_e64 s[2:3], v48, v51
	s_mov_b64 s[0:1], exec
	s_nop 0
	v_writelane_b32 v41, s2, 22
	s_nop 1
	v_writelane_b32 v41, s3, 23
	s_and_b64 s[2:3], s[0:1], s[2:3]
	s_mov_b64 exec, s[2:3]
	s_cbranch_execz .LBB685_784
; %bb.783:
	v_mov_b32_e32 v49, 0
	v_lshl_add_u64 v[48:49], v[38:39], 0, v[48:49]
	flat_load_ubyte v37, v[48:49]
	s_mov_b32 s2, 0x60504
	s_waitcnt vmcnt(0) lgkmcnt(0)
	v_perm_b32 v18, v18, v37, s2
.LBB685_784:
	s_or_b64 exec, exec, s[0:1]
	v_or_b32_e32 v48, 0x4c00, v36
	v_cmp_lt_u32_e64 s[2:3], v48, v51
	s_mov_b64 s[0:1], exec
	s_nop 0
	v_writelane_b32 v41, s2, 24
	s_nop 1
	v_writelane_b32 v41, s3, 25
	s_and_b64 s[2:3], s[0:1], s[2:3]
	s_mov_b64 exec, s[2:3]
	s_cbranch_execz .LBB685_786
; %bb.785:
	v_mov_b32_e32 v49, 0
	v_lshl_add_u64 v[48:49], v[38:39], 0, v[48:49]
	flat_load_ubyte v37, v[48:49]
	s_mov_b32 s2, 0x3020104
	s_waitcnt vmcnt(0) lgkmcnt(0)
	v_perm_b32 v19, v37, v19, s2
.LBB685_786:
	s_or_b64 exec, exec, s[0:1]
	v_add_u32_e32 v48, 0x4d00, v36
	v_cmp_lt_u32_e64 s[2:3], v48, v51
	s_mov_b64 s[0:1], exec
	s_nop 0
	v_writelane_b32 v41, s2, 26
	s_nop 1
	v_writelane_b32 v41, s3, 27
	s_and_b64 s[2:3], s[0:1], s[2:3]
	s_mov_b64 exec, s[2:3]
	s_cbranch_execz .LBB685_788
; %bb.787:
	v_mov_b32_e32 v49, 0
	v_lshl_add_u64 v[48:49], v[38:39], 0, v[48:49]
	flat_load_ubyte v37, v[48:49]
	s_mov_b32 s2, 0x7060004
	s_waitcnt vmcnt(0) lgkmcnt(0)
	v_perm_b32 v19, v19, v37, s2
.LBB685_788:
	s_or_b64 exec, exec, s[0:1]
	v_add_u32_e32 v48, 0x4e00, v36
	;; [unrolled: 19-line block ×3, first 2 shown]
	v_cmp_lt_u32_e64 s[2:3], v48, v51
	s_mov_b64 s[0:1], exec
	s_nop 0
	v_writelane_b32 v41, s2, 30
	s_nop 1
	v_writelane_b32 v41, s3, 31
	s_and_b64 s[2:3], s[0:1], s[2:3]
	s_mov_b64 exec, s[2:3]
	s_cbranch_execz .LBB685_792
; %bb.791:
	v_mov_b32_e32 v49, 0
	v_lshl_add_u64 v[48:49], v[38:39], 0, v[48:49]
	flat_load_ubyte v37, v[48:49]
	s_mov_b32 s2, 0x60504
	s_waitcnt vmcnt(0) lgkmcnt(0)
	v_perm_b32 v19, v19, v37, s2
.LBB685_792:
	s_or_b64 exec, exec, s[0:1]
	v_or_b32_e32 v48, 0x5000, v36
	v_cmp_lt_u32_e64 s[2:3], v48, v51
	s_mov_b64 s[0:1], exec
	s_nop 0
	v_writelane_b32 v41, s2, 32
	s_nop 1
	v_writelane_b32 v41, s3, 33
	s_and_b64 s[2:3], s[0:1], s[2:3]
	s_mov_b64 exec, s[2:3]
	s_cbranch_execz .LBB685_794
; %bb.793:
	v_mov_b32_e32 v49, 0
	v_lshl_add_u64 v[48:49], v[38:39], 0, v[48:49]
	flat_load_ubyte v37, v[48:49]
	s_mov_b32 s2, 0x3020104
	s_waitcnt vmcnt(0) lgkmcnt(0)
	v_perm_b32 v20, v37, v20, s2
.LBB685_794:
	s_or_b64 exec, exec, s[0:1]
	v_add_u32_e32 v48, 0x5100, v36
	v_cmp_lt_u32_e64 s[2:3], v48, v51
	s_mov_b64 s[0:1], exec
	s_nop 0
	v_writelane_b32 v41, s2, 34
	s_nop 1
	v_writelane_b32 v41, s3, 35
	s_and_b64 s[2:3], s[0:1], s[2:3]
	s_mov_b64 exec, s[2:3]
	s_cbranch_execz .LBB685_796
; %bb.795:
	v_mov_b32_e32 v49, 0
	v_lshl_add_u64 v[48:49], v[38:39], 0, v[48:49]
	flat_load_ubyte v37, v[48:49]
	s_mov_b32 s2, 0x7060004
	s_waitcnt vmcnt(0) lgkmcnt(0)
	v_perm_b32 v20, v20, v37, s2
.LBB685_796:
	s_or_b64 exec, exec, s[0:1]
	v_add_u32_e32 v48, 0x5200, v36
	v_cmp_lt_u32_e64 s[36:37], v48, v51
	s_and_saveexec_b64 s[0:1], s[36:37]
	s_cbranch_execz .LBB685_798
; %bb.797:
	v_mov_b32_e32 v49, 0
	v_lshl_add_u64 v[48:49], v[38:39], 0, v[48:49]
	flat_load_ubyte v37, v[48:49]
	s_mov_b32 s2, 0x7000504
	s_waitcnt vmcnt(0) lgkmcnt(0)
	v_perm_b32 v20, v20, v37, s2
.LBB685_798:
	s_or_b64 exec, exec, s[0:1]
	v_add_u32_e32 v48, 0x5300, v36
	v_cmp_lt_u32_e64 s[38:39], v48, v51
	s_and_saveexec_b64 s[0:1], s[38:39]
	s_cbranch_execz .LBB685_800
; %bb.799:
	v_mov_b32_e32 v49, 0
	v_lshl_add_u64 v[48:49], v[38:39], 0, v[48:49]
	flat_load_ubyte v37, v[48:49]
	s_mov_b32 s2, 0x60504
	s_waitcnt vmcnt(0) lgkmcnt(0)
	v_perm_b32 v20, v20, v37, s2
.LBB685_800:
	s_or_b64 exec, exec, s[0:1]
	v_or_b32_e32 v48, 0x5400, v36
	v_cmp_lt_u32_e64 s[48:49], v48, v51
	s_and_saveexec_b64 s[0:1], s[48:49]
	s_cbranch_execz .LBB685_802
; %bb.801:
	v_mov_b32_e32 v49, 0
	v_lshl_add_u64 v[48:49], v[38:39], 0, v[48:49]
	flat_load_ubyte v37, v[48:49]
	s_mov_b32 s2, 0x3020104
	s_waitcnt vmcnt(0) lgkmcnt(0)
	v_perm_b32 v21, v37, v21, s2
.LBB685_802:
	s_or_b64 exec, exec, s[0:1]
	v_add_u32_e32 v48, 0x5500, v36
	v_cmp_lt_u32_e64 s[50:51], v48, v51
	s_and_saveexec_b64 s[0:1], s[50:51]
	s_cbranch_execz .LBB685_804
; %bb.803:
	v_mov_b32_e32 v49, 0
	v_lshl_add_u64 v[48:49], v[38:39], 0, v[48:49]
	flat_load_ubyte v37, v[48:49]
	s_mov_b32 s2, 0x7060004
	s_waitcnt vmcnt(0) lgkmcnt(0)
	v_perm_b32 v21, v21, v37, s2
.LBB685_804:
	s_or_b64 exec, exec, s[0:1]
	v_add_u32_e32 v48, 0x5600, v36
	v_cmp_lt_u32_e64 s[52:53], v48, v51
	s_and_saveexec_b64 s[0:1], s[52:53]
	s_cbranch_execz .LBB685_806
; %bb.805:
	v_mov_b32_e32 v49, 0
	v_lshl_add_u64 v[48:49], v[38:39], 0, v[48:49]
	flat_load_ubyte v37, v[48:49]
	s_mov_b32 s2, 0x7000504
	s_waitcnt vmcnt(0) lgkmcnt(0)
	v_perm_b32 v21, v21, v37, s2
.LBB685_806:
	s_or_b64 exec, exec, s[0:1]
	v_add_u32_e32 v48, 0x5700, v36
	v_cmp_lt_u32_e64 s[54:55], v48, v51
	s_and_saveexec_b64 s[0:1], s[54:55]
	s_cbranch_execz .LBB685_808
; %bb.807:
	v_mov_b32_e32 v49, 0
	v_lshl_add_u64 v[48:49], v[38:39], 0, v[48:49]
	flat_load_ubyte v37, v[48:49]
	s_mov_b32 s2, 0x60504
	s_waitcnt vmcnt(0) lgkmcnt(0)
	v_perm_b32 v21, v21, v37, s2
.LBB685_808:
	s_or_b64 exec, exec, s[0:1]
	v_or_b32_e32 v48, 0x5800, v36
	v_cmp_lt_u32_e64 s[64:65], v48, v51
	s_and_saveexec_b64 s[0:1], s[64:65]
	s_cbranch_execz .LBB685_810
; %bb.809:
	v_mov_b32_e32 v49, 0
	v_lshl_add_u64 v[48:49], v[38:39], 0, v[48:49]
	flat_load_ubyte v37, v[48:49]
	s_mov_b32 s2, 0x3020104
	s_waitcnt vmcnt(0) lgkmcnt(0)
	v_perm_b32 v22, v37, v22, s2
.LBB685_810:
	s_or_b64 exec, exec, s[0:1]
	v_add_u32_e32 v48, 0x5900, v36
	v_cmp_lt_u32_e64 s[66:67], v48, v51
	s_and_saveexec_b64 s[0:1], s[66:67]
	;; [unrolled: 52-line block ×11, first 2 shown]
	s_cbranch_execz .LBB685_884
; %bb.883:
	v_mov_b32_e32 v49, 0
	v_lshl_add_u64 v[48:49], v[38:39], 0, v[48:49]
	flat_load_ubyte v37, v[48:49]
	s_mov_b32 vcc_lo, 0x7060004
	s_waitcnt vmcnt(0) lgkmcnt(0)
	v_perm_b32 v31, v31, v37, vcc_lo
.LBB685_884:
	s_or_b64 exec, exec, s[92:93]
	v_add_u32_e32 v48, 0x7e00, v36
	v_cmp_lt_u32_e64 s[92:93], v48, v51
	s_and_saveexec_b64 vcc, s[92:93]
	s_cbranch_execz .LBB685_886
; %bb.885:
	v_mov_b32_e32 v49, 0
	v_lshl_add_u64 v[48:49], v[38:39], 0, v[48:49]
	flat_load_ubyte v37, v[48:49]
	s_mov_b32 s30, 0x7000504
	s_waitcnt vmcnt(0) lgkmcnt(0)
	v_perm_b32 v31, v31, v37, s30
.LBB685_886:
	s_or_b64 exec, exec, vcc
	v_add_u32_e32 v48, 0x7f00, v36
	v_cmp_lt_u32_e32 vcc, v48, v51
	s_and_saveexec_b64 s[30:31], vcc
	s_cbranch_execz .LBB685_888
; %bb.887:
	v_mov_b32_e32 v49, 0
	v_lshl_add_u64 v[38:39], v[38:39], 0, v[48:49]
	flat_load_ubyte v37, v[38:39]
	s_mov_b32 s34, 0x60504
	s_waitcnt vmcnt(0) lgkmcnt(0)
	v_perm_b32 v31, v31, v37, s34
.LBB685_888:
	s_or_b64 exec, exec, s[30:31]
	v_mov_b32_e32 v37, v0
	s_mov_b64 s[30:31], exec
	v_readlane_b32 s34, v43, 2
	v_readlane_b32 s35, v43, 3
	s_and_b64 s[34:35], s[30:31], s[34:35]
	s_mov_b64 exec, s[34:35]
	s_cbranch_execz .LBB685_890
; %bb.889:
	v_lshrrev_b32_e32 v37, 8, v0
	s_movk_i32 s34, 0xcd
	v_mul_lo_u16_sdwa v38, v37, s34 dst_sel:DWORD dst_unused:UNUSED_PAD src0_sel:BYTE_0 src1_sel:DWORD
	v_lshrrev_b16_e32 v38, 11, v38
	v_mul_lo_u16_e32 v38, 10, v38
	v_sub_u16_e32 v37, v37, v38
	v_mul_lo_u16_sdwa v38, v0, s34 dst_sel:DWORD dst_unused:UNUSED_PAD src0_sel:BYTE_0 src1_sel:DWORD
	v_lshrrev_b16_e32 v38, 11, v38
	v_mul_lo_u16_e32 v38, 10, v38
	v_sub_u16_e32 v38, v0, v38
	v_add_u16_e32 v37, v37, v38
	v_add_u16_e32 v38, -10, v37
	v_min_u16_sdwa v37, v37, v38 dst_sel:DWORD dst_unused:UNUSED_PAD src0_sel:BYTE_0 src1_sel:BYTE_0
.LBB685_890:
	s_or_b64 exec, exec, s[30:31]
	s_mov_b64 s[30:31], exec
	v_readlane_b32 s34, v43, 4
	v_readlane_b32 s35, v43, 5
	s_and_b64 s[34:35], s[30:31], s[34:35]
	s_mov_b64 exec, s[34:35]
	s_cbranch_execz .LBB685_892
; %bb.891:
	s_movk_i32 s34, 0xff
	v_and_b32_sdwa v38, v0, s34 dst_sel:DWORD dst_unused:UNUSED_PAD src0_sel:WORD_1 src1_sel:DWORD
	s_movk_i32 s34, 0xcd
	v_mul_lo_u16_e32 v38, 0xcd, v38
	v_mul_lo_u16_sdwa v39, v37, s34 dst_sel:DWORD dst_unused:UNUSED_PAD src0_sel:BYTE_0 src1_sel:DWORD
	v_lshrrev_b16_e32 v38, 11, v38
	v_lshrrev_b16_e32 v39, 11, v39
	v_mul_lo_u16_e32 v38, 10, v38
	v_mul_lo_u16_e32 v39, 10, v39
	v_sub_u16_sdwa v38, v0, v38 dst_sel:DWORD dst_unused:UNUSED_PAD src0_sel:WORD_1 src1_sel:DWORD
	v_sub_u16_e32 v37, v37, v39
	v_add_u16_e32 v37, v37, v38
	v_add_u16_e32 v38, -10, v37
	v_min_u16_sdwa v37, v37, v38 dst_sel:DWORD dst_unused:UNUSED_PAD src0_sel:BYTE_0 src1_sel:BYTE_0
.LBB685_892:
	s_or_b64 exec, exec, s[30:31]
	s_mov_b64 s[30:31], exec
	v_readlane_b32 s34, v43, 6
	v_readlane_b32 s35, v43, 7
	s_and_b64 s[34:35], s[30:31], s[34:35]
	s_mov_b64 exec, s[34:35]
	s_cbranch_execz .LBB685_894
; %bb.893:
	v_lshrrev_b64 v[38:39], 24, v[0:1]
	s_movk_i32 s34, 0xcd
	v_mul_lo_u16_sdwa v0, v38, s34 dst_sel:DWORD dst_unused:UNUSED_PAD src0_sel:BYTE_0 src1_sel:DWORD
	v_lshrrev_b16_e32 v0, 11, v0
	v_mul_lo_u16_e32 v0, 10, v0
	v_sub_u16_e32 v0, v38, v0
	v_mul_lo_u16_sdwa v38, v37, s34 dst_sel:DWORD dst_unused:UNUSED_PAD src0_sel:BYTE_0 src1_sel:DWORD
	v_lshrrev_b16_e32 v38, 11, v38
	v_mul_lo_u16_e32 v38, 10, v38
	v_sub_u16_e32 v37, v37, v38
	v_add_u16_e32 v0, v37, v0
	v_add_u16_e32 v37, -10, v0
	v_min_u16_sdwa v37, v0, v37 dst_sel:DWORD dst_unused:UNUSED_PAD src0_sel:BYTE_0 src1_sel:BYTE_0
.LBB685_894:
	s_or_b64 exec, exec, s[30:31]
	s_mov_b64 s[30:31], exec
	v_readlane_b32 s34, v43, 8
	v_readlane_b32 s35, v43, 9
	s_and_b64 s[34:35], s[30:31], s[34:35]
	s_mov_b64 exec, s[34:35]
	s_cbranch_execz .LBB685_896
; %bb.895:
	s_movk_i32 s34, 0xcd
	v_mul_lo_u16_sdwa v0, v1, s34 dst_sel:DWORD dst_unused:UNUSED_PAD src0_sel:BYTE_0 src1_sel:DWORD
	v_mul_lo_u16_sdwa v38, v37, s34 dst_sel:DWORD dst_unused:UNUSED_PAD src0_sel:BYTE_0 src1_sel:DWORD
	v_lshrrev_b16_e32 v0, 11, v0
	v_lshrrev_b16_e32 v38, 11, v38
	v_mul_lo_u16_e32 v0, 10, v0
	v_mul_lo_u16_e32 v38, 10, v38
	v_sub_u16_e32 v0, v1, v0
	v_sub_u16_e32 v37, v37, v38
	v_add_u16_e32 v0, v37, v0
	v_add_u16_e32 v37, -10, v0
	v_min_u16_sdwa v37, v0, v37 dst_sel:DWORD dst_unused:UNUSED_PAD src0_sel:BYTE_0 src1_sel:BYTE_0
.LBB685_896:
	s_or_b64 exec, exec, s[30:31]
	s_mov_b64 s[30:31], exec
	v_readlane_b32 s34, v43, 10
	v_readlane_b32 s35, v43, 11
	s_and_b64 s[34:35], s[30:31], s[34:35]
	s_mov_b64 exec, s[34:35]
	s_cbranch_execz .LBB685_898
; %bb.897:
	v_lshrrev_b32_e32 v0, 8, v1
	s_movk_i32 s34, 0xcd
	v_mul_lo_u16_sdwa v38, v0, s34 dst_sel:DWORD dst_unused:UNUSED_PAD src0_sel:BYTE_0 src1_sel:DWORD
	v_lshrrev_b16_e32 v38, 11, v38
	v_mul_lo_u16_e32 v38, 10, v38
	v_sub_u16_e32 v0, v0, v38
	v_mul_lo_u16_sdwa v38, v37, s34 dst_sel:DWORD dst_unused:UNUSED_PAD src0_sel:BYTE_0 src1_sel:DWORD
	v_lshrrev_b16_e32 v38, 11, v38
	v_mul_lo_u16_e32 v38, 10, v38
	v_sub_u16_e32 v37, v37, v38
	v_add_u16_e32 v0, v37, v0
	v_add_u16_e32 v37, -10, v0
	v_min_u16_sdwa v37, v0, v37 dst_sel:DWORD dst_unused:UNUSED_PAD src0_sel:BYTE_0 src1_sel:BYTE_0
.LBB685_898:
	s_or_b64 exec, exec, s[30:31]
	s_mov_b64 s[30:31], exec
	v_readlane_b32 s34, v43, 12
	v_readlane_b32 s35, v43, 13
	s_and_b64 s[34:35], s[30:31], s[34:35]
	s_mov_b64 exec, s[34:35]
	s_cbranch_execz .LBB685_900
; %bb.899:
	s_movk_i32 s34, 0xff
	v_and_b32_sdwa v0, v1, s34 dst_sel:DWORD dst_unused:UNUSED_PAD src0_sel:WORD_1 src1_sel:DWORD
	s_movk_i32 s34, 0xcd
	v_mul_lo_u16_e32 v0, 0xcd, v0
	v_mul_lo_u16_sdwa v38, v37, s34 dst_sel:DWORD dst_unused:UNUSED_PAD src0_sel:BYTE_0 src1_sel:DWORD
	v_lshrrev_b16_e32 v0, 11, v0
	v_lshrrev_b16_e32 v38, 11, v38
	v_mul_lo_u16_e32 v0, 10, v0
	v_mul_lo_u16_e32 v38, 10, v38
	v_sub_u16_sdwa v0, v1, v0 dst_sel:DWORD dst_unused:UNUSED_PAD src0_sel:WORD_1 src1_sel:DWORD
	v_sub_u16_e32 v37, v37, v38
	v_add_u16_e32 v0, v37, v0
	v_add_u16_e32 v37, -10, v0
	v_min_u16_sdwa v37, v0, v37 dst_sel:DWORD dst_unused:UNUSED_PAD src0_sel:BYTE_0 src1_sel:BYTE_0
.LBB685_900:
	s_or_b64 exec, exec, s[30:31]
	s_mov_b64 s[30:31], exec
	v_readlane_b32 s34, v43, 14
	v_readlane_b32 s35, v43, 15
	s_and_b64 s[34:35], s[30:31], s[34:35]
	s_mov_b64 exec, s[34:35]
	s_cbranch_execz .LBB685_902
; %bb.901:
	s_movk_i32 s34, 0xcd
	v_mul_lo_u16_sdwa v0, v1, s34 dst_sel:DWORD dst_unused:UNUSED_PAD src0_sel:BYTE_3 src1_sel:DWORD
	v_lshrrev_b16_e32 v0, 11, v0
	v_mul_lo_u16_e32 v0, 10, v0
	v_sub_u16_sdwa v0, v1, v0 dst_sel:DWORD dst_unused:UNUSED_PAD src0_sel:BYTE_3 src1_sel:DWORD
	v_mul_lo_u16_sdwa v1, v37, s34 dst_sel:DWORD dst_unused:UNUSED_PAD src0_sel:BYTE_0 src1_sel:DWORD
	v_lshrrev_b16_e32 v1, 11, v1
	v_mul_lo_u16_e32 v1, 10, v1
	v_sub_u16_e32 v1, v37, v1
	v_add_u16_e32 v0, v1, v0
	v_add_u16_e32 v1, -10, v0
	v_min_u16_sdwa v37, v0, v1 dst_sel:DWORD dst_unused:UNUSED_PAD src0_sel:BYTE_0 src1_sel:BYTE_0
.LBB685_902:
	s_or_b64 exec, exec, s[30:31]
	s_mov_b64 s[30:31], exec
	v_readlane_b32 s34, v43, 16
	v_readlane_b32 s35, v43, 17
	s_and_b64 s[34:35], s[30:31], s[34:35]
	s_mov_b64 exec, s[34:35]
	s_cbranch_execz .LBB685_904
; %bb.903:
	s_movk_i32 s34, 0xcd
	v_mul_lo_u16_sdwa v0, v2, s34 dst_sel:DWORD dst_unused:UNUSED_PAD src0_sel:BYTE_0 src1_sel:DWORD
	v_mul_lo_u16_sdwa v1, v37, s34 dst_sel:DWORD dst_unused:UNUSED_PAD src0_sel:BYTE_0 src1_sel:DWORD
	v_lshrrev_b16_e32 v0, 11, v0
	v_lshrrev_b16_e32 v1, 11, v1
	v_mul_lo_u16_e32 v0, 10, v0
	v_mul_lo_u16_e32 v1, 10, v1
	v_sub_u16_e32 v0, v2, v0
	v_sub_u16_e32 v1, v37, v1
	v_add_u16_e32 v0, v1, v0
	v_add_u16_e32 v1, -10, v0
	v_min_u16_sdwa v37, v0, v1 dst_sel:DWORD dst_unused:UNUSED_PAD src0_sel:BYTE_0 src1_sel:BYTE_0
.LBB685_904:
	s_or_b64 exec, exec, s[30:31]
	s_mov_b64 s[30:31], exec
	v_readlane_b32 s34, v43, 18
	v_readlane_b32 s35, v43, 19
	s_and_b64 s[34:35], s[30:31], s[34:35]
	s_mov_b64 exec, s[34:35]
	s_cbranch_execz .LBB685_906
; %bb.905:
	v_lshrrev_b32_e32 v0, 8, v2
	s_movk_i32 s34, 0xcd
	v_mul_lo_u16_sdwa v1, v0, s34 dst_sel:DWORD dst_unused:UNUSED_PAD src0_sel:BYTE_0 src1_sel:DWORD
	v_lshrrev_b16_e32 v1, 11, v1
	v_mul_lo_u16_e32 v1, 10, v1
	v_sub_u16_e32 v0, v0, v1
	v_mul_lo_u16_sdwa v1, v37, s34 dst_sel:DWORD dst_unused:UNUSED_PAD src0_sel:BYTE_0 src1_sel:DWORD
	v_lshrrev_b16_e32 v1, 11, v1
	v_mul_lo_u16_e32 v1, 10, v1
	v_sub_u16_e32 v1, v37, v1
	v_add_u16_e32 v0, v1, v0
	v_add_u16_e32 v1, -10, v0
	v_min_u16_sdwa v37, v0, v1 dst_sel:DWORD dst_unused:UNUSED_PAD src0_sel:BYTE_0 src1_sel:BYTE_0
.LBB685_906:
	s_or_b64 exec, exec, s[30:31]
	s_mov_b64 s[30:31], exec
	v_readlane_b32 s34, v43, 20
	v_readlane_b32 s35, v43, 21
	s_and_b64 s[34:35], s[30:31], s[34:35]
	s_mov_b64 exec, s[34:35]
	s_cbranch_execz .LBB685_908
; %bb.907:
	s_movk_i32 s34, 0xff
	v_and_b32_sdwa v0, v2, s34 dst_sel:DWORD dst_unused:UNUSED_PAD src0_sel:WORD_1 src1_sel:DWORD
	s_movk_i32 s34, 0xcd
	v_mul_lo_u16_e32 v0, 0xcd, v0
	v_mul_lo_u16_sdwa v1, v37, s34 dst_sel:DWORD dst_unused:UNUSED_PAD src0_sel:BYTE_0 src1_sel:DWORD
	v_lshrrev_b16_e32 v0, 11, v0
	v_lshrrev_b16_e32 v1, 11, v1
	v_mul_lo_u16_e32 v0, 10, v0
	v_mul_lo_u16_e32 v1, 10, v1
	v_sub_u16_sdwa v0, v2, v0 dst_sel:DWORD dst_unused:UNUSED_PAD src0_sel:WORD_1 src1_sel:DWORD
	v_sub_u16_e32 v1, v37, v1
	v_add_u16_e32 v0, v1, v0
	v_add_u16_e32 v1, -10, v0
	v_min_u16_sdwa v37, v0, v1 dst_sel:DWORD dst_unused:UNUSED_PAD src0_sel:BYTE_0 src1_sel:BYTE_0
.LBB685_908:
	s_or_b64 exec, exec, s[30:31]
	s_mov_b64 s[30:31], exec
	v_readlane_b32 s34, v43, 22
	v_readlane_b32 s35, v43, 23
	s_and_b64 s[34:35], s[30:31], s[34:35]
	s_mov_b64 exec, s[34:35]
	s_cbranch_execz .LBB685_910
; %bb.909:
	v_lshrrev_b64 v[0:1], 24, v[2:3]
	s_movk_i32 s34, 0xcd
	v_mul_lo_u16_sdwa v1, v0, s34 dst_sel:DWORD dst_unused:UNUSED_PAD src0_sel:BYTE_0 src1_sel:DWORD
	v_lshrrev_b16_e32 v1, 11, v1
	v_mul_lo_u16_e32 v1, 10, v1
	v_sub_u16_e32 v0, v0, v1
	v_mul_lo_u16_sdwa v1, v37, s34 dst_sel:DWORD dst_unused:UNUSED_PAD src0_sel:BYTE_0 src1_sel:DWORD
	v_lshrrev_b16_e32 v1, 11, v1
	v_mul_lo_u16_e32 v1, 10, v1
	v_sub_u16_e32 v1, v37, v1
	v_add_u16_e32 v0, v1, v0
	v_add_u16_e32 v1, -10, v0
	v_min_u16_sdwa v37, v0, v1 dst_sel:DWORD dst_unused:UNUSED_PAD src0_sel:BYTE_0 src1_sel:BYTE_0
.LBB685_910:
	s_or_b64 exec, exec, s[30:31]
	s_mov_b64 s[30:31], exec
	v_readlane_b32 s34, v43, 24
	v_readlane_b32 s35, v43, 25
	s_and_b64 s[34:35], s[30:31], s[34:35]
	s_mov_b64 exec, s[34:35]
	s_cbranch_execz .LBB685_912
; %bb.911:
	s_movk_i32 s34, 0xcd
	v_mul_lo_u16_sdwa v0, v3, s34 dst_sel:DWORD dst_unused:UNUSED_PAD src0_sel:BYTE_0 src1_sel:DWORD
	v_mul_lo_u16_sdwa v1, v37, s34 dst_sel:DWORD dst_unused:UNUSED_PAD src0_sel:BYTE_0 src1_sel:DWORD
	v_lshrrev_b16_e32 v0, 11, v0
	v_lshrrev_b16_e32 v1, 11, v1
	v_mul_lo_u16_e32 v0, 10, v0
	v_mul_lo_u16_e32 v1, 10, v1
	v_sub_u16_e32 v0, v3, v0
	v_sub_u16_e32 v1, v37, v1
	v_add_u16_e32 v0, v1, v0
	v_add_u16_e32 v1, -10, v0
	v_min_u16_sdwa v37, v0, v1 dst_sel:DWORD dst_unused:UNUSED_PAD src0_sel:BYTE_0 src1_sel:BYTE_0
.LBB685_912:
	s_or_b64 exec, exec, s[30:31]
	s_mov_b64 s[30:31], exec
	v_readlane_b32 s34, v43, 26
	v_readlane_b32 s35, v43, 27
	s_and_b64 s[34:35], s[30:31], s[34:35]
	s_mov_b64 exec, s[34:35]
	s_cbranch_execz .LBB685_914
; %bb.913:
	v_lshrrev_b32_e32 v0, 8, v3
	s_movk_i32 s34, 0xcd
	v_mul_lo_u16_sdwa v1, v0, s34 dst_sel:DWORD dst_unused:UNUSED_PAD src0_sel:BYTE_0 src1_sel:DWORD
	v_lshrrev_b16_e32 v1, 11, v1
	v_mul_lo_u16_e32 v1, 10, v1
	v_sub_u16_e32 v0, v0, v1
	v_mul_lo_u16_sdwa v1, v37, s34 dst_sel:DWORD dst_unused:UNUSED_PAD src0_sel:BYTE_0 src1_sel:DWORD
	v_lshrrev_b16_e32 v1, 11, v1
	v_mul_lo_u16_e32 v1, 10, v1
	v_sub_u16_e32 v1, v37, v1
	v_add_u16_e32 v0, v1, v0
	v_add_u16_e32 v1, -10, v0
	v_min_u16_sdwa v37, v0, v1 dst_sel:DWORD dst_unused:UNUSED_PAD src0_sel:BYTE_0 src1_sel:BYTE_0
.LBB685_914:
	s_or_b64 exec, exec, s[30:31]
	s_mov_b64 s[30:31], exec
	v_readlane_b32 s34, v43, 28
	v_readlane_b32 s35, v43, 29
	s_and_b64 s[34:35], s[30:31], s[34:35]
	s_mov_b64 exec, s[34:35]
	s_cbranch_execz .LBB685_916
; %bb.915:
	s_movk_i32 s34, 0xff
	v_and_b32_sdwa v0, v3, s34 dst_sel:DWORD dst_unused:UNUSED_PAD src0_sel:WORD_1 src1_sel:DWORD
	s_movk_i32 s34, 0xcd
	v_mul_lo_u16_e32 v0, 0xcd, v0
	v_mul_lo_u16_sdwa v1, v37, s34 dst_sel:DWORD dst_unused:UNUSED_PAD src0_sel:BYTE_0 src1_sel:DWORD
	v_lshrrev_b16_e32 v0, 11, v0
	v_lshrrev_b16_e32 v1, 11, v1
	v_mul_lo_u16_e32 v0, 10, v0
	v_mul_lo_u16_e32 v1, 10, v1
	v_sub_u16_sdwa v0, v3, v0 dst_sel:DWORD dst_unused:UNUSED_PAD src0_sel:WORD_1 src1_sel:DWORD
	v_sub_u16_e32 v1, v37, v1
	v_add_u16_e32 v0, v1, v0
	v_add_u16_e32 v1, -10, v0
	v_min_u16_sdwa v37, v0, v1 dst_sel:DWORD dst_unused:UNUSED_PAD src0_sel:BYTE_0 src1_sel:BYTE_0
.LBB685_916:
	s_or_b64 exec, exec, s[30:31]
	s_mov_b64 s[30:31], exec
	v_readlane_b32 s34, v43, 30
	v_readlane_b32 s35, v43, 31
	s_and_b64 s[34:35], s[30:31], s[34:35]
	s_mov_b64 exec, s[34:35]
	s_cbranch_execz .LBB685_918
; %bb.917:
	s_movk_i32 s34, 0xcd
	v_mul_lo_u16_sdwa v0, v3, s34 dst_sel:DWORD dst_unused:UNUSED_PAD src0_sel:BYTE_3 src1_sel:DWORD
	v_mul_lo_u16_sdwa v1, v37, s34 dst_sel:DWORD dst_unused:UNUSED_PAD src0_sel:BYTE_0 src1_sel:DWORD
	v_lshrrev_b16_e32 v0, 11, v0
	v_lshrrev_b16_e32 v1, 11, v1
	v_mul_lo_u16_e32 v0, 10, v0
	v_mul_lo_u16_e32 v1, 10, v1
	v_sub_u16_sdwa v0, v3, v0 dst_sel:DWORD dst_unused:UNUSED_PAD src0_sel:BYTE_3 src1_sel:DWORD
	v_sub_u16_e32 v1, v37, v1
	v_add_u16_e32 v0, v1, v0
	v_add_u16_e32 v1, -10, v0
	v_min_u16_sdwa v37, v0, v1 dst_sel:DWORD dst_unused:UNUSED_PAD src0_sel:BYTE_0 src1_sel:BYTE_0
.LBB685_918:
	s_or_b64 exec, exec, s[30:31]
	s_mov_b64 s[30:31], exec
	v_readlane_b32 s34, v43, 32
	v_readlane_b32 s35, v43, 33
	s_and_b64 s[34:35], s[30:31], s[34:35]
	s_mov_b64 exec, s[34:35]
	s_cbranch_execz .LBB685_920
; %bb.919:
	s_movk_i32 s34, 0xcd
	v_mul_lo_u16_sdwa v0, v4, s34 dst_sel:DWORD dst_unused:UNUSED_PAD src0_sel:BYTE_0 src1_sel:DWORD
	v_mul_lo_u16_sdwa v1, v37, s34 dst_sel:DWORD dst_unused:UNUSED_PAD src0_sel:BYTE_0 src1_sel:DWORD
	v_lshrrev_b16_e32 v0, 11, v0
	v_lshrrev_b16_e32 v1, 11, v1
	v_mul_lo_u16_e32 v0, 10, v0
	v_mul_lo_u16_e32 v1, 10, v1
	v_sub_u16_e32 v0, v4, v0
	v_sub_u16_e32 v1, v37, v1
	v_add_u16_e32 v0, v1, v0
	v_add_u16_e32 v1, -10, v0
	v_min_u16_sdwa v37, v0, v1 dst_sel:DWORD dst_unused:UNUSED_PAD src0_sel:BYTE_0 src1_sel:BYTE_0
.LBB685_920:
	s_or_b64 exec, exec, s[30:31]
	s_mov_b64 s[30:31], exec
	v_readlane_b32 s34, v43, 34
	v_readlane_b32 s35, v43, 35
	s_and_b64 s[34:35], s[30:31], s[34:35]
	s_mov_b64 exec, s[34:35]
	s_cbranch_execz .LBB685_922
; %bb.921:
	v_lshrrev_b32_e32 v0, 8, v4
	s_movk_i32 s34, 0xcd
	v_mul_lo_u16_sdwa v1, v0, s34 dst_sel:DWORD dst_unused:UNUSED_PAD src0_sel:BYTE_0 src1_sel:DWORD
	v_lshrrev_b16_e32 v1, 11, v1
	v_mul_lo_u16_e32 v1, 10, v1
	v_sub_u16_e32 v0, v0, v1
	v_mul_lo_u16_sdwa v1, v37, s34 dst_sel:DWORD dst_unused:UNUSED_PAD src0_sel:BYTE_0 src1_sel:DWORD
	v_lshrrev_b16_e32 v1, 11, v1
	v_mul_lo_u16_e32 v1, 10, v1
	v_sub_u16_e32 v1, v37, v1
	v_add_u16_e32 v0, v1, v0
	v_add_u16_e32 v1, -10, v0
	v_min_u16_sdwa v37, v0, v1 dst_sel:DWORD dst_unused:UNUSED_PAD src0_sel:BYTE_0 src1_sel:BYTE_0
.LBB685_922:
	s_or_b64 exec, exec, s[30:31]
	s_mov_b64 s[30:31], exec
	v_readlane_b32 s34, v43, 36
	v_readlane_b32 s35, v43, 37
	s_and_b64 s[34:35], s[30:31], s[34:35]
	s_mov_b64 exec, s[34:35]
	s_cbranch_execz .LBB685_924
; %bb.923:
	s_movk_i32 s34, 0xff
	v_and_b32_sdwa v0, v4, s34 dst_sel:DWORD dst_unused:UNUSED_PAD src0_sel:WORD_1 src1_sel:DWORD
	s_movk_i32 s34, 0xcd
	v_mul_lo_u16_e32 v0, 0xcd, v0
	v_mul_lo_u16_sdwa v1, v37, s34 dst_sel:DWORD dst_unused:UNUSED_PAD src0_sel:BYTE_0 src1_sel:DWORD
	v_lshrrev_b16_e32 v0, 11, v0
	v_lshrrev_b16_e32 v1, 11, v1
	v_mul_lo_u16_e32 v0, 10, v0
	v_mul_lo_u16_e32 v1, 10, v1
	v_sub_u16_sdwa v0, v4, v0 dst_sel:DWORD dst_unused:UNUSED_PAD src0_sel:WORD_1 src1_sel:DWORD
	v_sub_u16_e32 v1, v37, v1
	v_add_u16_e32 v0, v1, v0
	v_add_u16_e32 v1, -10, v0
	v_min_u16_sdwa v37, v0, v1 dst_sel:DWORD dst_unused:UNUSED_PAD src0_sel:BYTE_0 src1_sel:BYTE_0
.LBB685_924:
	s_or_b64 exec, exec, s[30:31]
	s_mov_b64 s[30:31], exec
	v_readlane_b32 s34, v43, 38
	v_readlane_b32 s35, v43, 39
	s_and_b64 s[34:35], s[30:31], s[34:35]
	s_mov_b64 exec, s[34:35]
	s_cbranch_execz .LBB685_926
; %bb.925:
	v_lshrrev_b64 v[0:1], 24, v[4:5]
	s_movk_i32 s34, 0xcd
	v_mul_lo_u16_sdwa v1, v0, s34 dst_sel:DWORD dst_unused:UNUSED_PAD src0_sel:BYTE_0 src1_sel:DWORD
	v_lshrrev_b16_e32 v1, 11, v1
	v_mul_lo_u16_e32 v1, 10, v1
	v_sub_u16_e32 v0, v0, v1
	v_mul_lo_u16_sdwa v1, v37, s34 dst_sel:DWORD dst_unused:UNUSED_PAD src0_sel:BYTE_0 src1_sel:DWORD
	v_lshrrev_b16_e32 v1, 11, v1
	v_mul_lo_u16_e32 v1, 10, v1
	v_sub_u16_e32 v1, v37, v1
	v_add_u16_e32 v0, v1, v0
	v_add_u16_e32 v1, -10, v0
	v_min_u16_sdwa v37, v0, v1 dst_sel:DWORD dst_unused:UNUSED_PAD src0_sel:BYTE_0 src1_sel:BYTE_0
.LBB685_926:
	s_or_b64 exec, exec, s[30:31]
	s_mov_b64 s[30:31], exec
	v_readlane_b32 s34, v43, 40
	v_readlane_b32 s35, v43, 41
	s_and_b64 s[34:35], s[30:31], s[34:35]
	s_mov_b64 exec, s[34:35]
	s_cbranch_execz .LBB685_928
; %bb.927:
	s_movk_i32 s34, 0xcd
	v_mul_lo_u16_sdwa v0, v5, s34 dst_sel:DWORD dst_unused:UNUSED_PAD src0_sel:BYTE_0 src1_sel:DWORD
	v_mul_lo_u16_sdwa v1, v37, s34 dst_sel:DWORD dst_unused:UNUSED_PAD src0_sel:BYTE_0 src1_sel:DWORD
	v_lshrrev_b16_e32 v0, 11, v0
	v_lshrrev_b16_e32 v1, 11, v1
	v_mul_lo_u16_e32 v0, 10, v0
	v_mul_lo_u16_e32 v1, 10, v1
	v_sub_u16_e32 v0, v5, v0
	v_sub_u16_e32 v1, v37, v1
	v_add_u16_e32 v0, v1, v0
	v_add_u16_e32 v1, -10, v0
	v_min_u16_sdwa v37, v0, v1 dst_sel:DWORD dst_unused:UNUSED_PAD src0_sel:BYTE_0 src1_sel:BYTE_0
.LBB685_928:
	s_or_b64 exec, exec, s[30:31]
	s_mov_b64 s[30:31], exec
	v_readlane_b32 s34, v43, 42
	v_readlane_b32 s35, v43, 43
	s_and_b64 s[34:35], s[30:31], s[34:35]
	s_mov_b64 exec, s[34:35]
	s_cbranch_execz .LBB685_930
; %bb.929:
	v_lshrrev_b32_e32 v0, 8, v5
	s_movk_i32 s34, 0xcd
	v_mul_lo_u16_sdwa v1, v0, s34 dst_sel:DWORD dst_unused:UNUSED_PAD src0_sel:BYTE_0 src1_sel:DWORD
	v_lshrrev_b16_e32 v1, 11, v1
	v_mul_lo_u16_e32 v1, 10, v1
	v_sub_u16_e32 v0, v0, v1
	v_mul_lo_u16_sdwa v1, v37, s34 dst_sel:DWORD dst_unused:UNUSED_PAD src0_sel:BYTE_0 src1_sel:DWORD
	v_lshrrev_b16_e32 v1, 11, v1
	v_mul_lo_u16_e32 v1, 10, v1
	v_sub_u16_e32 v1, v37, v1
	v_add_u16_e32 v0, v1, v0
	v_add_u16_e32 v1, -10, v0
	v_min_u16_sdwa v37, v0, v1 dst_sel:DWORD dst_unused:UNUSED_PAD src0_sel:BYTE_0 src1_sel:BYTE_0
.LBB685_930:
	s_or_b64 exec, exec, s[30:31]
	s_mov_b64 s[30:31], exec
	v_readlane_b32 s34, v43, 44
	v_readlane_b32 s35, v43, 45
	s_and_b64 s[34:35], s[30:31], s[34:35]
	s_mov_b64 exec, s[34:35]
	s_cbranch_execz .LBB685_932
; %bb.931:
	s_movk_i32 s34, 0xff
	v_and_b32_sdwa v0, v5, s34 dst_sel:DWORD dst_unused:UNUSED_PAD src0_sel:WORD_1 src1_sel:DWORD
	s_movk_i32 s34, 0xcd
	v_mul_lo_u16_e32 v0, 0xcd, v0
	v_mul_lo_u16_sdwa v1, v37, s34 dst_sel:DWORD dst_unused:UNUSED_PAD src0_sel:BYTE_0 src1_sel:DWORD
	v_lshrrev_b16_e32 v0, 11, v0
	v_lshrrev_b16_e32 v1, 11, v1
	v_mul_lo_u16_e32 v0, 10, v0
	v_mul_lo_u16_e32 v1, 10, v1
	v_sub_u16_sdwa v0, v5, v0 dst_sel:DWORD dst_unused:UNUSED_PAD src0_sel:WORD_1 src1_sel:DWORD
	v_sub_u16_e32 v1, v37, v1
	v_add_u16_e32 v0, v1, v0
	v_add_u16_e32 v1, -10, v0
	v_min_u16_sdwa v37, v0, v1 dst_sel:DWORD dst_unused:UNUSED_PAD src0_sel:BYTE_0 src1_sel:BYTE_0
.LBB685_932:
	s_or_b64 exec, exec, s[30:31]
	s_mov_b64 s[30:31], exec
	v_readlane_b32 s34, v43, 46
	v_readlane_b32 s35, v43, 47
	s_and_b64 s[34:35], s[30:31], s[34:35]
	s_mov_b64 exec, s[34:35]
	s_cbranch_execz .LBB685_934
; %bb.933:
	s_movk_i32 s34, 0xcd
	v_mul_lo_u16_sdwa v0, v5, s34 dst_sel:DWORD dst_unused:UNUSED_PAD src0_sel:BYTE_3 src1_sel:DWORD
	v_mul_lo_u16_sdwa v1, v37, s34 dst_sel:DWORD dst_unused:UNUSED_PAD src0_sel:BYTE_0 src1_sel:DWORD
	v_lshrrev_b16_e32 v0, 11, v0
	v_lshrrev_b16_e32 v1, 11, v1
	v_mul_lo_u16_e32 v0, 10, v0
	v_mul_lo_u16_e32 v1, 10, v1
	v_sub_u16_sdwa v0, v5, v0 dst_sel:DWORD dst_unused:UNUSED_PAD src0_sel:BYTE_3 src1_sel:DWORD
	v_sub_u16_e32 v1, v37, v1
	v_add_u16_e32 v0, v1, v0
	v_add_u16_e32 v1, -10, v0
	v_min_u16_sdwa v37, v0, v1 dst_sel:DWORD dst_unused:UNUSED_PAD src0_sel:BYTE_0 src1_sel:BYTE_0
.LBB685_934:
	s_or_b64 exec, exec, s[30:31]
	s_mov_b64 s[30:31], exec
	v_readlane_b32 s34, v43, 48
	v_readlane_b32 s35, v43, 49
	s_and_b64 s[34:35], s[30:31], s[34:35]
	s_mov_b64 exec, s[34:35]
	s_cbranch_execz .LBB685_936
; %bb.935:
	s_movk_i32 s34, 0xcd
	v_mul_lo_u16_sdwa v0, v6, s34 dst_sel:DWORD dst_unused:UNUSED_PAD src0_sel:BYTE_0 src1_sel:DWORD
	v_mul_lo_u16_sdwa v1, v37, s34 dst_sel:DWORD dst_unused:UNUSED_PAD src0_sel:BYTE_0 src1_sel:DWORD
	v_lshrrev_b16_e32 v0, 11, v0
	v_lshrrev_b16_e32 v1, 11, v1
	v_mul_lo_u16_e32 v0, 10, v0
	v_mul_lo_u16_e32 v1, 10, v1
	v_sub_u16_e32 v0, v6, v0
	v_sub_u16_e32 v1, v37, v1
	v_add_u16_e32 v0, v1, v0
	v_add_u16_e32 v1, -10, v0
	v_min_u16_sdwa v37, v0, v1 dst_sel:DWORD dst_unused:UNUSED_PAD src0_sel:BYTE_0 src1_sel:BYTE_0
.LBB685_936:
	s_or_b64 exec, exec, s[30:31]
	s_mov_b64 s[30:31], exec
	v_readlane_b32 s34, v43, 50
	v_readlane_b32 s35, v43, 51
	s_and_b64 s[34:35], s[30:31], s[34:35]
	s_mov_b64 exec, s[34:35]
	s_cbranch_execz .LBB685_938
; %bb.937:
	v_lshrrev_b32_e32 v0, 8, v6
	s_movk_i32 s34, 0xcd
	v_mul_lo_u16_sdwa v1, v0, s34 dst_sel:DWORD dst_unused:UNUSED_PAD src0_sel:BYTE_0 src1_sel:DWORD
	v_lshrrev_b16_e32 v1, 11, v1
	v_mul_lo_u16_e32 v1, 10, v1
	v_sub_u16_e32 v0, v0, v1
	v_mul_lo_u16_sdwa v1, v37, s34 dst_sel:DWORD dst_unused:UNUSED_PAD src0_sel:BYTE_0 src1_sel:DWORD
	v_lshrrev_b16_e32 v1, 11, v1
	v_mul_lo_u16_e32 v1, 10, v1
	v_sub_u16_e32 v1, v37, v1
	v_add_u16_e32 v0, v1, v0
	v_add_u16_e32 v1, -10, v0
	v_min_u16_sdwa v37, v0, v1 dst_sel:DWORD dst_unused:UNUSED_PAD src0_sel:BYTE_0 src1_sel:BYTE_0
.LBB685_938:
	s_or_b64 exec, exec, s[30:31]
	s_mov_b64 s[30:31], exec
	v_readlane_b32 s34, v43, 52
	v_readlane_b32 s35, v43, 53
	s_and_b64 s[34:35], s[30:31], s[34:35]
	s_mov_b64 exec, s[34:35]
	s_cbranch_execz .LBB685_940
; %bb.939:
	s_movk_i32 s34, 0xff
	v_and_b32_sdwa v0, v6, s34 dst_sel:DWORD dst_unused:UNUSED_PAD src0_sel:WORD_1 src1_sel:DWORD
	s_movk_i32 s34, 0xcd
	v_mul_lo_u16_e32 v0, 0xcd, v0
	v_mul_lo_u16_sdwa v1, v37, s34 dst_sel:DWORD dst_unused:UNUSED_PAD src0_sel:BYTE_0 src1_sel:DWORD
	v_lshrrev_b16_e32 v0, 11, v0
	v_lshrrev_b16_e32 v1, 11, v1
	v_mul_lo_u16_e32 v0, 10, v0
	v_mul_lo_u16_e32 v1, 10, v1
	v_sub_u16_sdwa v0, v6, v0 dst_sel:DWORD dst_unused:UNUSED_PAD src0_sel:WORD_1 src1_sel:DWORD
	v_sub_u16_e32 v1, v37, v1
	v_add_u16_e32 v0, v1, v0
	v_add_u16_e32 v1, -10, v0
	v_min_u16_sdwa v37, v0, v1 dst_sel:DWORD dst_unused:UNUSED_PAD src0_sel:BYTE_0 src1_sel:BYTE_0
.LBB685_940:
	s_or_b64 exec, exec, s[30:31]
	s_mov_b64 s[30:31], exec
	v_readlane_b32 s34, v43, 54
	v_readlane_b32 s35, v43, 55
	s_and_b64 s[34:35], s[30:31], s[34:35]
	s_mov_b64 exec, s[34:35]
	s_cbranch_execz .LBB685_942
; %bb.941:
	v_lshrrev_b64 v[0:1], 24, v[6:7]
	s_movk_i32 s34, 0xcd
	v_mul_lo_u16_sdwa v1, v0, s34 dst_sel:DWORD dst_unused:UNUSED_PAD src0_sel:BYTE_0 src1_sel:DWORD
	v_lshrrev_b16_e32 v1, 11, v1
	v_mul_lo_u16_e32 v1, 10, v1
	v_sub_u16_e32 v0, v0, v1
	v_mul_lo_u16_sdwa v1, v37, s34 dst_sel:DWORD dst_unused:UNUSED_PAD src0_sel:BYTE_0 src1_sel:DWORD
	v_lshrrev_b16_e32 v1, 11, v1
	v_mul_lo_u16_e32 v1, 10, v1
	v_sub_u16_e32 v1, v37, v1
	v_add_u16_e32 v0, v1, v0
	v_add_u16_e32 v1, -10, v0
	v_min_u16_sdwa v37, v0, v1 dst_sel:DWORD dst_unused:UNUSED_PAD src0_sel:BYTE_0 src1_sel:BYTE_0
.LBB685_942:
	s_or_b64 exec, exec, s[30:31]
	s_mov_b64 s[30:31], exec
	v_readlane_b32 s34, v43, 56
	v_readlane_b32 s35, v43, 57
	s_and_b64 s[34:35], s[30:31], s[34:35]
	s_mov_b64 exec, s[34:35]
	s_cbranch_execz .LBB685_944
; %bb.943:
	s_movk_i32 s34, 0xcd
	v_mul_lo_u16_sdwa v0, v7, s34 dst_sel:DWORD dst_unused:UNUSED_PAD src0_sel:BYTE_0 src1_sel:DWORD
	v_mul_lo_u16_sdwa v1, v37, s34 dst_sel:DWORD dst_unused:UNUSED_PAD src0_sel:BYTE_0 src1_sel:DWORD
	v_lshrrev_b16_e32 v0, 11, v0
	v_lshrrev_b16_e32 v1, 11, v1
	v_mul_lo_u16_e32 v0, 10, v0
	v_mul_lo_u16_e32 v1, 10, v1
	v_sub_u16_e32 v0, v7, v0
	v_sub_u16_e32 v1, v37, v1
	v_add_u16_e32 v0, v1, v0
	v_add_u16_e32 v1, -10, v0
	v_min_u16_sdwa v37, v0, v1 dst_sel:DWORD dst_unused:UNUSED_PAD src0_sel:BYTE_0 src1_sel:BYTE_0
.LBB685_944:
	s_or_b64 exec, exec, s[30:31]
	s_mov_b64 s[30:31], exec
	v_readlane_b32 s34, v43, 58
	v_readlane_b32 s35, v43, 59
	s_and_b64 s[34:35], s[30:31], s[34:35]
	s_mov_b64 exec, s[34:35]
	s_cbranch_execz .LBB685_946
; %bb.945:
	v_lshrrev_b32_e32 v0, 8, v7
	s_movk_i32 s34, 0xcd
	v_mul_lo_u16_sdwa v1, v0, s34 dst_sel:DWORD dst_unused:UNUSED_PAD src0_sel:BYTE_0 src1_sel:DWORD
	v_lshrrev_b16_e32 v1, 11, v1
	v_mul_lo_u16_e32 v1, 10, v1
	v_sub_u16_e32 v0, v0, v1
	v_mul_lo_u16_sdwa v1, v37, s34 dst_sel:DWORD dst_unused:UNUSED_PAD src0_sel:BYTE_0 src1_sel:DWORD
	v_lshrrev_b16_e32 v1, 11, v1
	v_mul_lo_u16_e32 v1, 10, v1
	v_sub_u16_e32 v1, v37, v1
	v_add_u16_e32 v0, v1, v0
	v_add_u16_e32 v1, -10, v0
	v_min_u16_sdwa v37, v0, v1 dst_sel:DWORD dst_unused:UNUSED_PAD src0_sel:BYTE_0 src1_sel:BYTE_0
.LBB685_946:
	s_or_b64 exec, exec, s[30:31]
	s_mov_b64 s[30:31], exec
	v_readlane_b32 s34, v43, 60
	v_readlane_b32 s35, v43, 61
	s_and_b64 s[34:35], s[30:31], s[34:35]
	s_mov_b64 exec, s[34:35]
	s_cbranch_execz .LBB685_948
; %bb.947:
	s_movk_i32 s34, 0xff
	v_and_b32_sdwa v0, v7, s34 dst_sel:DWORD dst_unused:UNUSED_PAD src0_sel:WORD_1 src1_sel:DWORD
	s_movk_i32 s34, 0xcd
	v_mul_lo_u16_e32 v0, 0xcd, v0
	v_mul_lo_u16_sdwa v1, v37, s34 dst_sel:DWORD dst_unused:UNUSED_PAD src0_sel:BYTE_0 src1_sel:DWORD
	v_lshrrev_b16_e32 v0, 11, v0
	v_lshrrev_b16_e32 v1, 11, v1
	v_mul_lo_u16_e32 v0, 10, v0
	v_mul_lo_u16_e32 v1, 10, v1
	v_sub_u16_sdwa v0, v7, v0 dst_sel:DWORD dst_unused:UNUSED_PAD src0_sel:WORD_1 src1_sel:DWORD
	v_sub_u16_e32 v1, v37, v1
	v_add_u16_e32 v0, v1, v0
	v_add_u16_e32 v1, -10, v0
	v_min_u16_sdwa v37, v0, v1 dst_sel:DWORD dst_unused:UNUSED_PAD src0_sel:BYTE_0 src1_sel:BYTE_0
.LBB685_948:
	s_or_b64 exec, exec, s[30:31]
	s_mov_b64 s[30:31], exec
	v_readlane_b32 s34, v43, 62
	v_readlane_b32 s35, v43, 63
	s_and_b64 s[34:35], s[30:31], s[34:35]
	s_mov_b64 exec, s[34:35]
	s_cbranch_execz .LBB685_950
; %bb.949:
	s_movk_i32 s34, 0xcd
	v_mul_lo_u16_sdwa v0, v7, s34 dst_sel:DWORD dst_unused:UNUSED_PAD src0_sel:BYTE_3 src1_sel:DWORD
	v_mul_lo_u16_sdwa v1, v37, s34 dst_sel:DWORD dst_unused:UNUSED_PAD src0_sel:BYTE_0 src1_sel:DWORD
	v_lshrrev_b16_e32 v0, 11, v0
	v_lshrrev_b16_e32 v1, 11, v1
	v_mul_lo_u16_e32 v0, 10, v0
	v_mul_lo_u16_e32 v1, 10, v1
	v_sub_u16_sdwa v0, v7, v0 dst_sel:DWORD dst_unused:UNUSED_PAD src0_sel:BYTE_3 src1_sel:DWORD
	v_sub_u16_e32 v1, v37, v1
	v_add_u16_e32 v0, v1, v0
	v_add_u16_e32 v1, -10, v0
	v_min_u16_sdwa v37, v0, v1 dst_sel:DWORD dst_unused:UNUSED_PAD src0_sel:BYTE_0 src1_sel:BYTE_0
.LBB685_950:
	s_or_b64 exec, exec, s[30:31]
	s_mov_b64 s[30:31], exec
	v_readlane_b32 s34, v42, 0
	v_readlane_b32 s35, v42, 1
	s_and_b64 s[34:35], s[30:31], s[34:35]
	s_mov_b64 exec, s[34:35]
	s_cbranch_execz .LBB685_952
; %bb.951:
	s_movk_i32 s34, 0xcd
	v_mul_lo_u16_sdwa v0, v8, s34 dst_sel:DWORD dst_unused:UNUSED_PAD src0_sel:BYTE_0 src1_sel:DWORD
	v_mul_lo_u16_sdwa v1, v37, s34 dst_sel:DWORD dst_unused:UNUSED_PAD src0_sel:BYTE_0 src1_sel:DWORD
	v_lshrrev_b16_e32 v0, 11, v0
	v_lshrrev_b16_e32 v1, 11, v1
	v_mul_lo_u16_e32 v0, 10, v0
	v_mul_lo_u16_e32 v1, 10, v1
	v_sub_u16_e32 v0, v8, v0
	v_sub_u16_e32 v1, v37, v1
	v_add_u16_e32 v0, v1, v0
	v_add_u16_e32 v1, -10, v0
	v_min_u16_sdwa v37, v0, v1 dst_sel:DWORD dst_unused:UNUSED_PAD src0_sel:BYTE_0 src1_sel:BYTE_0
.LBB685_952:
	s_or_b64 exec, exec, s[30:31]
	s_mov_b64 s[30:31], exec
	v_readlane_b32 s34, v42, 2
	v_readlane_b32 s35, v42, 3
	s_and_b64 s[34:35], s[30:31], s[34:35]
	s_mov_b64 exec, s[34:35]
	s_cbranch_execz .LBB685_954
; %bb.953:
	v_lshrrev_b32_e32 v0, 8, v8
	s_movk_i32 s34, 0xcd
	v_mul_lo_u16_sdwa v1, v0, s34 dst_sel:DWORD dst_unused:UNUSED_PAD src0_sel:BYTE_0 src1_sel:DWORD
	v_lshrrev_b16_e32 v1, 11, v1
	v_mul_lo_u16_e32 v1, 10, v1
	v_sub_u16_e32 v0, v0, v1
	v_mul_lo_u16_sdwa v1, v37, s34 dst_sel:DWORD dst_unused:UNUSED_PAD src0_sel:BYTE_0 src1_sel:DWORD
	v_lshrrev_b16_e32 v1, 11, v1
	v_mul_lo_u16_e32 v1, 10, v1
	v_sub_u16_e32 v1, v37, v1
	v_add_u16_e32 v0, v1, v0
	v_add_u16_e32 v1, -10, v0
	v_min_u16_sdwa v37, v0, v1 dst_sel:DWORD dst_unused:UNUSED_PAD src0_sel:BYTE_0 src1_sel:BYTE_0
.LBB685_954:
	s_or_b64 exec, exec, s[30:31]
	s_mov_b64 s[30:31], exec
	v_readlane_b32 s34, v42, 4
	v_readlane_b32 s35, v42, 5
	s_and_b64 s[34:35], s[30:31], s[34:35]
	s_mov_b64 exec, s[34:35]
	s_cbranch_execz .LBB685_956
; %bb.955:
	s_movk_i32 s34, 0xff
	v_and_b32_sdwa v0, v8, s34 dst_sel:DWORD dst_unused:UNUSED_PAD src0_sel:WORD_1 src1_sel:DWORD
	s_movk_i32 s34, 0xcd
	v_mul_lo_u16_e32 v0, 0xcd, v0
	v_mul_lo_u16_sdwa v1, v37, s34 dst_sel:DWORD dst_unused:UNUSED_PAD src0_sel:BYTE_0 src1_sel:DWORD
	v_lshrrev_b16_e32 v0, 11, v0
	v_lshrrev_b16_e32 v1, 11, v1
	v_mul_lo_u16_e32 v0, 10, v0
	v_mul_lo_u16_e32 v1, 10, v1
	v_sub_u16_sdwa v0, v8, v0 dst_sel:DWORD dst_unused:UNUSED_PAD src0_sel:WORD_1 src1_sel:DWORD
	v_sub_u16_e32 v1, v37, v1
	v_add_u16_e32 v0, v1, v0
	v_add_u16_e32 v1, -10, v0
	v_min_u16_sdwa v37, v0, v1 dst_sel:DWORD dst_unused:UNUSED_PAD src0_sel:BYTE_0 src1_sel:BYTE_0
.LBB685_956:
	s_or_b64 exec, exec, s[30:31]
	s_mov_b64 s[30:31], exec
	v_readlane_b32 s34, v42, 6
	v_readlane_b32 s35, v42, 7
	s_and_b64 s[34:35], s[30:31], s[34:35]
	s_mov_b64 exec, s[34:35]
	s_cbranch_execz .LBB685_958
; %bb.957:
	v_lshrrev_b64 v[0:1], 24, v[8:9]
	s_movk_i32 s34, 0xcd
	v_mul_lo_u16_sdwa v1, v0, s34 dst_sel:DWORD dst_unused:UNUSED_PAD src0_sel:BYTE_0 src1_sel:DWORD
	v_lshrrev_b16_e32 v1, 11, v1
	v_mul_lo_u16_e32 v1, 10, v1
	v_sub_u16_e32 v0, v0, v1
	v_mul_lo_u16_sdwa v1, v37, s34 dst_sel:DWORD dst_unused:UNUSED_PAD src0_sel:BYTE_0 src1_sel:DWORD
	v_lshrrev_b16_e32 v1, 11, v1
	v_mul_lo_u16_e32 v1, 10, v1
	v_sub_u16_e32 v1, v37, v1
	v_add_u16_e32 v0, v1, v0
	v_add_u16_e32 v1, -10, v0
	v_min_u16_sdwa v37, v0, v1 dst_sel:DWORD dst_unused:UNUSED_PAD src0_sel:BYTE_0 src1_sel:BYTE_0
.LBB685_958:
	s_or_b64 exec, exec, s[30:31]
	s_mov_b64 s[30:31], exec
	v_readlane_b32 s34, v42, 8
	v_readlane_b32 s35, v42, 9
	s_and_b64 s[34:35], s[30:31], s[34:35]
	s_mov_b64 exec, s[34:35]
	s_cbranch_execz .LBB685_960
; %bb.959:
	s_movk_i32 s34, 0xcd
	v_mul_lo_u16_sdwa v0, v9, s34 dst_sel:DWORD dst_unused:UNUSED_PAD src0_sel:BYTE_0 src1_sel:DWORD
	v_mul_lo_u16_sdwa v1, v37, s34 dst_sel:DWORD dst_unused:UNUSED_PAD src0_sel:BYTE_0 src1_sel:DWORD
	v_lshrrev_b16_e32 v0, 11, v0
	v_lshrrev_b16_e32 v1, 11, v1
	v_mul_lo_u16_e32 v0, 10, v0
	v_mul_lo_u16_e32 v1, 10, v1
	v_sub_u16_e32 v0, v9, v0
	v_sub_u16_e32 v1, v37, v1
	v_add_u16_e32 v0, v1, v0
	v_add_u16_e32 v1, -10, v0
	v_min_u16_sdwa v37, v0, v1 dst_sel:DWORD dst_unused:UNUSED_PAD src0_sel:BYTE_0 src1_sel:BYTE_0
.LBB685_960:
	s_or_b64 exec, exec, s[30:31]
	s_mov_b64 s[30:31], exec
	v_readlane_b32 s34, v42, 10
	v_readlane_b32 s35, v42, 11
	s_and_b64 s[34:35], s[30:31], s[34:35]
	s_mov_b64 exec, s[34:35]
	s_cbranch_execz .LBB685_962
; %bb.961:
	v_lshrrev_b32_e32 v0, 8, v9
	s_movk_i32 s34, 0xcd
	v_mul_lo_u16_sdwa v1, v0, s34 dst_sel:DWORD dst_unused:UNUSED_PAD src0_sel:BYTE_0 src1_sel:DWORD
	v_lshrrev_b16_e32 v1, 11, v1
	v_mul_lo_u16_e32 v1, 10, v1
	v_sub_u16_e32 v0, v0, v1
	v_mul_lo_u16_sdwa v1, v37, s34 dst_sel:DWORD dst_unused:UNUSED_PAD src0_sel:BYTE_0 src1_sel:DWORD
	v_lshrrev_b16_e32 v1, 11, v1
	v_mul_lo_u16_e32 v1, 10, v1
	v_sub_u16_e32 v1, v37, v1
	v_add_u16_e32 v0, v1, v0
	v_add_u16_e32 v1, -10, v0
	v_min_u16_sdwa v37, v0, v1 dst_sel:DWORD dst_unused:UNUSED_PAD src0_sel:BYTE_0 src1_sel:BYTE_0
.LBB685_962:
	s_or_b64 exec, exec, s[30:31]
	s_mov_b64 s[30:31], exec
	v_readlane_b32 s34, v42, 12
	v_readlane_b32 s35, v42, 13
	s_and_b64 s[34:35], s[30:31], s[34:35]
	s_mov_b64 exec, s[34:35]
	s_cbranch_execz .LBB685_964
; %bb.963:
	s_movk_i32 s34, 0xff
	v_and_b32_sdwa v0, v9, s34 dst_sel:DWORD dst_unused:UNUSED_PAD src0_sel:WORD_1 src1_sel:DWORD
	s_movk_i32 s34, 0xcd
	v_mul_lo_u16_e32 v0, 0xcd, v0
	v_mul_lo_u16_sdwa v1, v37, s34 dst_sel:DWORD dst_unused:UNUSED_PAD src0_sel:BYTE_0 src1_sel:DWORD
	v_lshrrev_b16_e32 v0, 11, v0
	v_lshrrev_b16_e32 v1, 11, v1
	v_mul_lo_u16_e32 v0, 10, v0
	v_mul_lo_u16_e32 v1, 10, v1
	v_sub_u16_sdwa v0, v9, v0 dst_sel:DWORD dst_unused:UNUSED_PAD src0_sel:WORD_1 src1_sel:DWORD
	v_sub_u16_e32 v1, v37, v1
	v_add_u16_e32 v0, v1, v0
	v_add_u16_e32 v1, -10, v0
	v_min_u16_sdwa v37, v0, v1 dst_sel:DWORD dst_unused:UNUSED_PAD src0_sel:BYTE_0 src1_sel:BYTE_0
.LBB685_964:
	s_or_b64 exec, exec, s[30:31]
	s_mov_b64 s[30:31], exec
	v_readlane_b32 s34, v42, 14
	v_readlane_b32 s35, v42, 15
	s_and_b64 s[34:35], s[30:31], s[34:35]
	s_mov_b64 exec, s[34:35]
	s_cbranch_execz .LBB685_966
; %bb.965:
	s_movk_i32 s34, 0xcd
	v_mul_lo_u16_sdwa v0, v9, s34 dst_sel:DWORD dst_unused:UNUSED_PAD src0_sel:BYTE_3 src1_sel:DWORD
	v_mul_lo_u16_sdwa v1, v37, s34 dst_sel:DWORD dst_unused:UNUSED_PAD src0_sel:BYTE_0 src1_sel:DWORD
	v_lshrrev_b16_e32 v0, 11, v0
	v_lshrrev_b16_e32 v1, 11, v1
	v_mul_lo_u16_e32 v0, 10, v0
	v_mul_lo_u16_e32 v1, 10, v1
	v_sub_u16_sdwa v0, v9, v0 dst_sel:DWORD dst_unused:UNUSED_PAD src0_sel:BYTE_3 src1_sel:DWORD
	v_sub_u16_e32 v1, v37, v1
	v_add_u16_e32 v0, v1, v0
	v_add_u16_e32 v1, -10, v0
	v_min_u16_sdwa v37, v0, v1 dst_sel:DWORD dst_unused:UNUSED_PAD src0_sel:BYTE_0 src1_sel:BYTE_0
.LBB685_966:
	s_or_b64 exec, exec, s[30:31]
	s_mov_b64 s[30:31], exec
	v_readlane_b32 s34, v42, 16
	v_readlane_b32 s35, v42, 17
	s_and_b64 s[34:35], s[30:31], s[34:35]
	s_mov_b64 exec, s[34:35]
	s_cbranch_execz .LBB685_968
; %bb.967:
	s_movk_i32 s34, 0xcd
	v_mul_lo_u16_sdwa v0, v10, s34 dst_sel:DWORD dst_unused:UNUSED_PAD src0_sel:BYTE_0 src1_sel:DWORD
	v_mul_lo_u16_sdwa v1, v37, s34 dst_sel:DWORD dst_unused:UNUSED_PAD src0_sel:BYTE_0 src1_sel:DWORD
	v_lshrrev_b16_e32 v0, 11, v0
	v_lshrrev_b16_e32 v1, 11, v1
	v_mul_lo_u16_e32 v0, 10, v0
	v_mul_lo_u16_e32 v1, 10, v1
	v_sub_u16_e32 v0, v10, v0
	v_sub_u16_e32 v1, v37, v1
	v_add_u16_e32 v0, v1, v0
	v_add_u16_e32 v1, -10, v0
	v_min_u16_sdwa v37, v0, v1 dst_sel:DWORD dst_unused:UNUSED_PAD src0_sel:BYTE_0 src1_sel:BYTE_0
.LBB685_968:
	s_or_b64 exec, exec, s[30:31]
	s_mov_b64 s[30:31], exec
	v_readlane_b32 s34, v42, 18
	v_readlane_b32 s35, v42, 19
	s_and_b64 s[34:35], s[30:31], s[34:35]
	s_mov_b64 exec, s[34:35]
	s_cbranch_execz .LBB685_970
; %bb.969:
	v_lshrrev_b32_e32 v0, 8, v10
	s_movk_i32 s34, 0xcd
	v_mul_lo_u16_sdwa v1, v0, s34 dst_sel:DWORD dst_unused:UNUSED_PAD src0_sel:BYTE_0 src1_sel:DWORD
	v_lshrrev_b16_e32 v1, 11, v1
	v_mul_lo_u16_e32 v1, 10, v1
	v_sub_u16_e32 v0, v0, v1
	v_mul_lo_u16_sdwa v1, v37, s34 dst_sel:DWORD dst_unused:UNUSED_PAD src0_sel:BYTE_0 src1_sel:DWORD
	v_lshrrev_b16_e32 v1, 11, v1
	v_mul_lo_u16_e32 v1, 10, v1
	v_sub_u16_e32 v1, v37, v1
	v_add_u16_e32 v0, v1, v0
	v_add_u16_e32 v1, -10, v0
	v_min_u16_sdwa v37, v0, v1 dst_sel:DWORD dst_unused:UNUSED_PAD src0_sel:BYTE_0 src1_sel:BYTE_0
.LBB685_970:
	s_or_b64 exec, exec, s[30:31]
	s_mov_b64 s[30:31], exec
	v_readlane_b32 s34, v42, 20
	v_readlane_b32 s35, v42, 21
	s_and_b64 s[34:35], s[30:31], s[34:35]
	s_mov_b64 exec, s[34:35]
	s_cbranch_execz .LBB685_972
; %bb.971:
	s_movk_i32 s34, 0xff
	v_and_b32_sdwa v0, v10, s34 dst_sel:DWORD dst_unused:UNUSED_PAD src0_sel:WORD_1 src1_sel:DWORD
	s_movk_i32 s34, 0xcd
	v_mul_lo_u16_e32 v0, 0xcd, v0
	v_mul_lo_u16_sdwa v1, v37, s34 dst_sel:DWORD dst_unused:UNUSED_PAD src0_sel:BYTE_0 src1_sel:DWORD
	v_lshrrev_b16_e32 v0, 11, v0
	v_lshrrev_b16_e32 v1, 11, v1
	v_mul_lo_u16_e32 v0, 10, v0
	v_mul_lo_u16_e32 v1, 10, v1
	v_sub_u16_sdwa v0, v10, v0 dst_sel:DWORD dst_unused:UNUSED_PAD src0_sel:WORD_1 src1_sel:DWORD
	v_sub_u16_e32 v1, v37, v1
	v_add_u16_e32 v0, v1, v0
	v_add_u16_e32 v1, -10, v0
	v_min_u16_sdwa v37, v0, v1 dst_sel:DWORD dst_unused:UNUSED_PAD src0_sel:BYTE_0 src1_sel:BYTE_0
.LBB685_972:
	s_or_b64 exec, exec, s[30:31]
	s_mov_b64 s[30:31], exec
	v_readlane_b32 s34, v42, 22
	v_readlane_b32 s35, v42, 23
	s_and_b64 s[34:35], s[30:31], s[34:35]
	s_mov_b64 exec, s[34:35]
	s_cbranch_execz .LBB685_974
; %bb.973:
	v_lshrrev_b64 v[0:1], 24, v[10:11]
	s_movk_i32 s34, 0xcd
	v_mul_lo_u16_sdwa v1, v0, s34 dst_sel:DWORD dst_unused:UNUSED_PAD src0_sel:BYTE_0 src1_sel:DWORD
	v_lshrrev_b16_e32 v1, 11, v1
	v_mul_lo_u16_e32 v1, 10, v1
	v_sub_u16_e32 v0, v0, v1
	v_mul_lo_u16_sdwa v1, v37, s34 dst_sel:DWORD dst_unused:UNUSED_PAD src0_sel:BYTE_0 src1_sel:DWORD
	v_lshrrev_b16_e32 v1, 11, v1
	v_mul_lo_u16_e32 v1, 10, v1
	v_sub_u16_e32 v1, v37, v1
	v_add_u16_e32 v0, v1, v0
	v_add_u16_e32 v1, -10, v0
	v_min_u16_sdwa v37, v0, v1 dst_sel:DWORD dst_unused:UNUSED_PAD src0_sel:BYTE_0 src1_sel:BYTE_0
.LBB685_974:
	s_or_b64 exec, exec, s[30:31]
	s_mov_b64 s[30:31], exec
	v_readlane_b32 s34, v42, 24
	v_readlane_b32 s35, v42, 25
	s_and_b64 s[34:35], s[30:31], s[34:35]
	s_mov_b64 exec, s[34:35]
	s_cbranch_execz .LBB685_976
; %bb.975:
	s_movk_i32 s34, 0xcd
	v_mul_lo_u16_sdwa v0, v11, s34 dst_sel:DWORD dst_unused:UNUSED_PAD src0_sel:BYTE_0 src1_sel:DWORD
	v_mul_lo_u16_sdwa v1, v37, s34 dst_sel:DWORD dst_unused:UNUSED_PAD src0_sel:BYTE_0 src1_sel:DWORD
	v_lshrrev_b16_e32 v0, 11, v0
	v_lshrrev_b16_e32 v1, 11, v1
	v_mul_lo_u16_e32 v0, 10, v0
	v_mul_lo_u16_e32 v1, 10, v1
	v_sub_u16_e32 v0, v11, v0
	v_sub_u16_e32 v1, v37, v1
	v_add_u16_e32 v0, v1, v0
	v_add_u16_e32 v1, -10, v0
	v_min_u16_sdwa v37, v0, v1 dst_sel:DWORD dst_unused:UNUSED_PAD src0_sel:BYTE_0 src1_sel:BYTE_0
.LBB685_976:
	s_or_b64 exec, exec, s[30:31]
	s_mov_b64 s[30:31], exec
	v_readlane_b32 s34, v42, 26
	v_readlane_b32 s35, v42, 27
	s_and_b64 s[34:35], s[30:31], s[34:35]
	s_mov_b64 exec, s[34:35]
	s_cbranch_execz .LBB685_978
; %bb.977:
	v_lshrrev_b32_e32 v0, 8, v11
	s_movk_i32 s34, 0xcd
	v_mul_lo_u16_sdwa v1, v0, s34 dst_sel:DWORD dst_unused:UNUSED_PAD src0_sel:BYTE_0 src1_sel:DWORD
	v_lshrrev_b16_e32 v1, 11, v1
	v_mul_lo_u16_e32 v1, 10, v1
	v_sub_u16_e32 v0, v0, v1
	v_mul_lo_u16_sdwa v1, v37, s34 dst_sel:DWORD dst_unused:UNUSED_PAD src0_sel:BYTE_0 src1_sel:DWORD
	v_lshrrev_b16_e32 v1, 11, v1
	v_mul_lo_u16_e32 v1, 10, v1
	v_sub_u16_e32 v1, v37, v1
	v_add_u16_e32 v0, v1, v0
	v_add_u16_e32 v1, -10, v0
	v_min_u16_sdwa v37, v0, v1 dst_sel:DWORD dst_unused:UNUSED_PAD src0_sel:BYTE_0 src1_sel:BYTE_0
.LBB685_978:
	s_or_b64 exec, exec, s[30:31]
	s_mov_b64 s[30:31], exec
	v_readlane_b32 s34, v42, 28
	v_readlane_b32 s35, v42, 29
	s_and_b64 s[34:35], s[30:31], s[34:35]
	s_mov_b64 exec, s[34:35]
	s_cbranch_execz .LBB685_980
; %bb.979:
	s_movk_i32 s34, 0xff
	v_and_b32_sdwa v0, v11, s34 dst_sel:DWORD dst_unused:UNUSED_PAD src0_sel:WORD_1 src1_sel:DWORD
	s_movk_i32 s34, 0xcd
	v_mul_lo_u16_e32 v0, 0xcd, v0
	v_mul_lo_u16_sdwa v1, v37, s34 dst_sel:DWORD dst_unused:UNUSED_PAD src0_sel:BYTE_0 src1_sel:DWORD
	v_lshrrev_b16_e32 v0, 11, v0
	v_lshrrev_b16_e32 v1, 11, v1
	v_mul_lo_u16_e32 v0, 10, v0
	v_mul_lo_u16_e32 v1, 10, v1
	v_sub_u16_sdwa v0, v11, v0 dst_sel:DWORD dst_unused:UNUSED_PAD src0_sel:WORD_1 src1_sel:DWORD
	v_sub_u16_e32 v1, v37, v1
	v_add_u16_e32 v0, v1, v0
	v_add_u16_e32 v1, -10, v0
	v_min_u16_sdwa v37, v0, v1 dst_sel:DWORD dst_unused:UNUSED_PAD src0_sel:BYTE_0 src1_sel:BYTE_0
.LBB685_980:
	s_or_b64 exec, exec, s[30:31]
	s_mov_b64 s[30:31], exec
	v_readlane_b32 s34, v42, 30
	v_readlane_b32 s35, v42, 31
	s_and_b64 s[34:35], s[30:31], s[34:35]
	s_mov_b64 exec, s[34:35]
	s_cbranch_execz .LBB685_982
; %bb.981:
	s_movk_i32 s34, 0xcd
	v_mul_lo_u16_sdwa v0, v11, s34 dst_sel:DWORD dst_unused:UNUSED_PAD src0_sel:BYTE_3 src1_sel:DWORD
	v_mul_lo_u16_sdwa v1, v37, s34 dst_sel:DWORD dst_unused:UNUSED_PAD src0_sel:BYTE_0 src1_sel:DWORD
	v_lshrrev_b16_e32 v0, 11, v0
	v_lshrrev_b16_e32 v1, 11, v1
	v_mul_lo_u16_e32 v0, 10, v0
	v_mul_lo_u16_e32 v1, 10, v1
	v_sub_u16_sdwa v0, v11, v0 dst_sel:DWORD dst_unused:UNUSED_PAD src0_sel:BYTE_3 src1_sel:DWORD
	v_sub_u16_e32 v1, v37, v1
	v_add_u16_e32 v0, v1, v0
	v_add_u16_e32 v1, -10, v0
	v_min_u16_sdwa v37, v0, v1 dst_sel:DWORD dst_unused:UNUSED_PAD src0_sel:BYTE_0 src1_sel:BYTE_0
.LBB685_982:
	s_or_b64 exec, exec, s[30:31]
	s_mov_b64 s[30:31], exec
	v_readlane_b32 s34, v42, 32
	v_readlane_b32 s35, v42, 33
	s_and_b64 s[34:35], s[30:31], s[34:35]
	s_mov_b64 exec, s[34:35]
	s_cbranch_execz .LBB685_984
; %bb.983:
	s_movk_i32 s34, 0xcd
	v_mul_lo_u16_sdwa v0, v12, s34 dst_sel:DWORD dst_unused:UNUSED_PAD src0_sel:BYTE_0 src1_sel:DWORD
	v_mul_lo_u16_sdwa v1, v37, s34 dst_sel:DWORD dst_unused:UNUSED_PAD src0_sel:BYTE_0 src1_sel:DWORD
	v_lshrrev_b16_e32 v0, 11, v0
	v_lshrrev_b16_e32 v1, 11, v1
	v_mul_lo_u16_e32 v0, 10, v0
	v_mul_lo_u16_e32 v1, 10, v1
	v_sub_u16_e32 v0, v12, v0
	v_sub_u16_e32 v1, v37, v1
	v_add_u16_e32 v0, v1, v0
	v_add_u16_e32 v1, -10, v0
	v_min_u16_sdwa v37, v0, v1 dst_sel:DWORD dst_unused:UNUSED_PAD src0_sel:BYTE_0 src1_sel:BYTE_0
.LBB685_984:
	s_or_b64 exec, exec, s[30:31]
	s_mov_b64 s[30:31], exec
	v_readlane_b32 s34, v42, 34
	v_readlane_b32 s35, v42, 35
	s_and_b64 s[34:35], s[30:31], s[34:35]
	s_mov_b64 exec, s[34:35]
	s_cbranch_execz .LBB685_986
; %bb.985:
	v_lshrrev_b32_e32 v0, 8, v12
	s_movk_i32 s34, 0xcd
	v_mul_lo_u16_sdwa v1, v0, s34 dst_sel:DWORD dst_unused:UNUSED_PAD src0_sel:BYTE_0 src1_sel:DWORD
	v_lshrrev_b16_e32 v1, 11, v1
	v_mul_lo_u16_e32 v1, 10, v1
	v_sub_u16_e32 v0, v0, v1
	v_mul_lo_u16_sdwa v1, v37, s34 dst_sel:DWORD dst_unused:UNUSED_PAD src0_sel:BYTE_0 src1_sel:DWORD
	v_lshrrev_b16_e32 v1, 11, v1
	v_mul_lo_u16_e32 v1, 10, v1
	v_sub_u16_e32 v1, v37, v1
	v_add_u16_e32 v0, v1, v0
	v_add_u16_e32 v1, -10, v0
	v_min_u16_sdwa v37, v0, v1 dst_sel:DWORD dst_unused:UNUSED_PAD src0_sel:BYTE_0 src1_sel:BYTE_0
.LBB685_986:
	s_or_b64 exec, exec, s[30:31]
	s_mov_b64 s[30:31], exec
	v_readlane_b32 s34, v42, 36
	v_readlane_b32 s35, v42, 37
	s_and_b64 s[34:35], s[30:31], s[34:35]
	s_mov_b64 exec, s[34:35]
	s_cbranch_execz .LBB685_988
; %bb.987:
	s_movk_i32 s34, 0xff
	v_and_b32_sdwa v0, v12, s34 dst_sel:DWORD dst_unused:UNUSED_PAD src0_sel:WORD_1 src1_sel:DWORD
	s_movk_i32 s34, 0xcd
	v_mul_lo_u16_e32 v0, 0xcd, v0
	v_mul_lo_u16_sdwa v1, v37, s34 dst_sel:DWORD dst_unused:UNUSED_PAD src0_sel:BYTE_0 src1_sel:DWORD
	v_lshrrev_b16_e32 v0, 11, v0
	v_lshrrev_b16_e32 v1, 11, v1
	v_mul_lo_u16_e32 v0, 10, v0
	v_mul_lo_u16_e32 v1, 10, v1
	v_sub_u16_sdwa v0, v12, v0 dst_sel:DWORD dst_unused:UNUSED_PAD src0_sel:WORD_1 src1_sel:DWORD
	v_sub_u16_e32 v1, v37, v1
	v_add_u16_e32 v0, v1, v0
	v_add_u16_e32 v1, -10, v0
	v_min_u16_sdwa v37, v0, v1 dst_sel:DWORD dst_unused:UNUSED_PAD src0_sel:BYTE_0 src1_sel:BYTE_0
.LBB685_988:
	s_or_b64 exec, exec, s[30:31]
	s_mov_b64 s[30:31], exec
	v_readlane_b32 s34, v42, 38
	v_readlane_b32 s35, v42, 39
	s_and_b64 s[34:35], s[30:31], s[34:35]
	s_mov_b64 exec, s[34:35]
	s_cbranch_execz .LBB685_990
; %bb.989:
	v_lshrrev_b64 v[0:1], 24, v[12:13]
	s_movk_i32 s34, 0xcd
	v_mul_lo_u16_sdwa v1, v0, s34 dst_sel:DWORD dst_unused:UNUSED_PAD src0_sel:BYTE_0 src1_sel:DWORD
	v_lshrrev_b16_e32 v1, 11, v1
	v_mul_lo_u16_e32 v1, 10, v1
	v_sub_u16_e32 v0, v0, v1
	v_mul_lo_u16_sdwa v1, v37, s34 dst_sel:DWORD dst_unused:UNUSED_PAD src0_sel:BYTE_0 src1_sel:DWORD
	v_lshrrev_b16_e32 v1, 11, v1
	v_mul_lo_u16_e32 v1, 10, v1
	v_sub_u16_e32 v1, v37, v1
	v_add_u16_e32 v0, v1, v0
	v_add_u16_e32 v1, -10, v0
	v_min_u16_sdwa v37, v0, v1 dst_sel:DWORD dst_unused:UNUSED_PAD src0_sel:BYTE_0 src1_sel:BYTE_0
.LBB685_990:
	s_or_b64 exec, exec, s[30:31]
	s_mov_b64 s[30:31], exec
	v_readlane_b32 s34, v42, 40
	v_readlane_b32 s35, v42, 41
	s_and_b64 s[34:35], s[30:31], s[34:35]
	s_mov_b64 exec, s[34:35]
	s_cbranch_execz .LBB685_992
; %bb.991:
	s_movk_i32 s34, 0xcd
	v_mul_lo_u16_sdwa v0, v13, s34 dst_sel:DWORD dst_unused:UNUSED_PAD src0_sel:BYTE_0 src1_sel:DWORD
	v_mul_lo_u16_sdwa v1, v37, s34 dst_sel:DWORD dst_unused:UNUSED_PAD src0_sel:BYTE_0 src1_sel:DWORD
	v_lshrrev_b16_e32 v0, 11, v0
	v_lshrrev_b16_e32 v1, 11, v1
	v_mul_lo_u16_e32 v0, 10, v0
	v_mul_lo_u16_e32 v1, 10, v1
	v_sub_u16_e32 v0, v13, v0
	v_sub_u16_e32 v1, v37, v1
	v_add_u16_e32 v0, v1, v0
	v_add_u16_e32 v1, -10, v0
	v_min_u16_sdwa v37, v0, v1 dst_sel:DWORD dst_unused:UNUSED_PAD src0_sel:BYTE_0 src1_sel:BYTE_0
.LBB685_992:
	s_or_b64 exec, exec, s[30:31]
	s_mov_b64 s[30:31], exec
	v_readlane_b32 s34, v42, 42
	v_readlane_b32 s35, v42, 43
	s_and_b64 s[34:35], s[30:31], s[34:35]
	s_mov_b64 exec, s[34:35]
	s_cbranch_execz .LBB685_994
; %bb.993:
	v_lshrrev_b32_e32 v0, 8, v13
	s_movk_i32 s34, 0xcd
	v_mul_lo_u16_sdwa v1, v0, s34 dst_sel:DWORD dst_unused:UNUSED_PAD src0_sel:BYTE_0 src1_sel:DWORD
	v_lshrrev_b16_e32 v1, 11, v1
	v_mul_lo_u16_e32 v1, 10, v1
	v_sub_u16_e32 v0, v0, v1
	v_mul_lo_u16_sdwa v1, v37, s34 dst_sel:DWORD dst_unused:UNUSED_PAD src0_sel:BYTE_0 src1_sel:DWORD
	v_lshrrev_b16_e32 v1, 11, v1
	v_mul_lo_u16_e32 v1, 10, v1
	v_sub_u16_e32 v1, v37, v1
	v_add_u16_e32 v0, v1, v0
	v_add_u16_e32 v1, -10, v0
	v_min_u16_sdwa v37, v0, v1 dst_sel:DWORD dst_unused:UNUSED_PAD src0_sel:BYTE_0 src1_sel:BYTE_0
.LBB685_994:
	s_or_b64 exec, exec, s[30:31]
	s_mov_b64 s[30:31], exec
	v_readlane_b32 s34, v42, 44
	v_readlane_b32 s35, v42, 45
	s_and_b64 s[34:35], s[30:31], s[34:35]
	s_mov_b64 exec, s[34:35]
	s_cbranch_execz .LBB685_996
; %bb.995:
	s_movk_i32 s34, 0xff
	v_and_b32_sdwa v0, v13, s34 dst_sel:DWORD dst_unused:UNUSED_PAD src0_sel:WORD_1 src1_sel:DWORD
	s_movk_i32 s34, 0xcd
	v_mul_lo_u16_e32 v0, 0xcd, v0
	v_mul_lo_u16_sdwa v1, v37, s34 dst_sel:DWORD dst_unused:UNUSED_PAD src0_sel:BYTE_0 src1_sel:DWORD
	v_lshrrev_b16_e32 v0, 11, v0
	v_lshrrev_b16_e32 v1, 11, v1
	v_mul_lo_u16_e32 v0, 10, v0
	v_mul_lo_u16_e32 v1, 10, v1
	v_sub_u16_sdwa v0, v13, v0 dst_sel:DWORD dst_unused:UNUSED_PAD src0_sel:WORD_1 src1_sel:DWORD
	v_sub_u16_e32 v1, v37, v1
	v_add_u16_e32 v0, v1, v0
	v_add_u16_e32 v1, -10, v0
	v_min_u16_sdwa v37, v0, v1 dst_sel:DWORD dst_unused:UNUSED_PAD src0_sel:BYTE_0 src1_sel:BYTE_0
.LBB685_996:
	s_or_b64 exec, exec, s[30:31]
	s_mov_b64 s[30:31], exec
	v_readlane_b32 s34, v42, 46
	v_readlane_b32 s35, v42, 47
	s_and_b64 s[34:35], s[30:31], s[34:35]
	s_mov_b64 exec, s[34:35]
	s_cbranch_execz .LBB685_998
; %bb.997:
	s_movk_i32 s34, 0xcd
	v_mul_lo_u16_sdwa v0, v13, s34 dst_sel:DWORD dst_unused:UNUSED_PAD src0_sel:BYTE_3 src1_sel:DWORD
	v_mul_lo_u16_sdwa v1, v37, s34 dst_sel:DWORD dst_unused:UNUSED_PAD src0_sel:BYTE_0 src1_sel:DWORD
	v_lshrrev_b16_e32 v0, 11, v0
	v_lshrrev_b16_e32 v1, 11, v1
	v_mul_lo_u16_e32 v0, 10, v0
	v_mul_lo_u16_e32 v1, 10, v1
	v_sub_u16_sdwa v0, v13, v0 dst_sel:DWORD dst_unused:UNUSED_PAD src0_sel:BYTE_3 src1_sel:DWORD
	v_sub_u16_e32 v1, v37, v1
	v_add_u16_e32 v0, v1, v0
	v_add_u16_e32 v1, -10, v0
	v_min_u16_sdwa v37, v0, v1 dst_sel:DWORD dst_unused:UNUSED_PAD src0_sel:BYTE_0 src1_sel:BYTE_0
.LBB685_998:
	s_or_b64 exec, exec, s[30:31]
	s_mov_b64 s[30:31], exec
	v_readlane_b32 s34, v42, 48
	v_readlane_b32 s35, v42, 49
	s_and_b64 s[34:35], s[30:31], s[34:35]
	s_mov_b64 exec, s[34:35]
	s_cbranch_execz .LBB685_1000
; %bb.999:
	s_movk_i32 s34, 0xcd
	v_mul_lo_u16_sdwa v0, v14, s34 dst_sel:DWORD dst_unused:UNUSED_PAD src0_sel:BYTE_0 src1_sel:DWORD
	v_mul_lo_u16_sdwa v1, v37, s34 dst_sel:DWORD dst_unused:UNUSED_PAD src0_sel:BYTE_0 src1_sel:DWORD
	v_lshrrev_b16_e32 v0, 11, v0
	v_lshrrev_b16_e32 v1, 11, v1
	v_mul_lo_u16_e32 v0, 10, v0
	v_mul_lo_u16_e32 v1, 10, v1
	v_sub_u16_e32 v0, v14, v0
	v_sub_u16_e32 v1, v37, v1
	v_add_u16_e32 v0, v1, v0
	v_add_u16_e32 v1, -10, v0
	v_min_u16_sdwa v37, v0, v1 dst_sel:DWORD dst_unused:UNUSED_PAD src0_sel:BYTE_0 src1_sel:BYTE_0
.LBB685_1000:
	s_or_b64 exec, exec, s[30:31]
	s_mov_b64 s[30:31], exec
	v_readlane_b32 s34, v42, 50
	v_readlane_b32 s35, v42, 51
	s_and_b64 s[34:35], s[30:31], s[34:35]
	s_mov_b64 exec, s[34:35]
	s_cbranch_execz .LBB685_1002
; %bb.1001:
	v_lshrrev_b32_e32 v0, 8, v14
	s_movk_i32 s34, 0xcd
	v_mul_lo_u16_sdwa v1, v0, s34 dst_sel:DWORD dst_unused:UNUSED_PAD src0_sel:BYTE_0 src1_sel:DWORD
	v_lshrrev_b16_e32 v1, 11, v1
	v_mul_lo_u16_e32 v1, 10, v1
	v_sub_u16_e32 v0, v0, v1
	v_mul_lo_u16_sdwa v1, v37, s34 dst_sel:DWORD dst_unused:UNUSED_PAD src0_sel:BYTE_0 src1_sel:DWORD
	v_lshrrev_b16_e32 v1, 11, v1
	v_mul_lo_u16_e32 v1, 10, v1
	v_sub_u16_e32 v1, v37, v1
	v_add_u16_e32 v0, v1, v0
	v_add_u16_e32 v1, -10, v0
	v_min_u16_sdwa v37, v0, v1 dst_sel:DWORD dst_unused:UNUSED_PAD src0_sel:BYTE_0 src1_sel:BYTE_0
.LBB685_1002:
	s_or_b64 exec, exec, s[30:31]
	s_mov_b64 s[30:31], exec
	v_readlane_b32 s34, v42, 52
	v_readlane_b32 s35, v42, 53
	s_and_b64 s[34:35], s[30:31], s[34:35]
	s_mov_b64 exec, s[34:35]
	s_cbranch_execz .LBB685_1004
; %bb.1003:
	s_movk_i32 s34, 0xff
	v_and_b32_sdwa v0, v14, s34 dst_sel:DWORD dst_unused:UNUSED_PAD src0_sel:WORD_1 src1_sel:DWORD
	s_movk_i32 s34, 0xcd
	v_mul_lo_u16_e32 v0, 0xcd, v0
	v_mul_lo_u16_sdwa v1, v37, s34 dst_sel:DWORD dst_unused:UNUSED_PAD src0_sel:BYTE_0 src1_sel:DWORD
	v_lshrrev_b16_e32 v0, 11, v0
	v_lshrrev_b16_e32 v1, 11, v1
	v_mul_lo_u16_e32 v0, 10, v0
	v_mul_lo_u16_e32 v1, 10, v1
	v_sub_u16_sdwa v0, v14, v0 dst_sel:DWORD dst_unused:UNUSED_PAD src0_sel:WORD_1 src1_sel:DWORD
	v_sub_u16_e32 v1, v37, v1
	v_add_u16_e32 v0, v1, v0
	v_add_u16_e32 v1, -10, v0
	v_min_u16_sdwa v37, v0, v1 dst_sel:DWORD dst_unused:UNUSED_PAD src0_sel:BYTE_0 src1_sel:BYTE_0
.LBB685_1004:
	s_or_b64 exec, exec, s[30:31]
	s_mov_b64 s[30:31], exec
	v_readlane_b32 s34, v42, 54
	v_readlane_b32 s35, v42, 55
	s_and_b64 s[34:35], s[30:31], s[34:35]
	s_mov_b64 exec, s[34:35]
	s_cbranch_execz .LBB685_1006
; %bb.1005:
	v_lshrrev_b64 v[0:1], 24, v[14:15]
	s_movk_i32 s34, 0xcd
	v_mul_lo_u16_sdwa v1, v0, s34 dst_sel:DWORD dst_unused:UNUSED_PAD src0_sel:BYTE_0 src1_sel:DWORD
	v_lshrrev_b16_e32 v1, 11, v1
	v_mul_lo_u16_e32 v1, 10, v1
	v_sub_u16_e32 v0, v0, v1
	v_mul_lo_u16_sdwa v1, v37, s34 dst_sel:DWORD dst_unused:UNUSED_PAD src0_sel:BYTE_0 src1_sel:DWORD
	v_lshrrev_b16_e32 v1, 11, v1
	v_mul_lo_u16_e32 v1, 10, v1
	v_sub_u16_e32 v1, v37, v1
	v_add_u16_e32 v0, v1, v0
	v_add_u16_e32 v1, -10, v0
	v_min_u16_sdwa v37, v0, v1 dst_sel:DWORD dst_unused:UNUSED_PAD src0_sel:BYTE_0 src1_sel:BYTE_0
.LBB685_1006:
	s_or_b64 exec, exec, s[30:31]
	s_mov_b64 s[30:31], exec
	v_readlane_b32 s34, v42, 56
	v_readlane_b32 s35, v42, 57
	s_and_b64 s[34:35], s[30:31], s[34:35]
	s_mov_b64 exec, s[34:35]
	s_cbranch_execz .LBB685_1008
; %bb.1007:
	s_movk_i32 s34, 0xcd
	v_mul_lo_u16_sdwa v0, v15, s34 dst_sel:DWORD dst_unused:UNUSED_PAD src0_sel:BYTE_0 src1_sel:DWORD
	v_mul_lo_u16_sdwa v1, v37, s34 dst_sel:DWORD dst_unused:UNUSED_PAD src0_sel:BYTE_0 src1_sel:DWORD
	v_lshrrev_b16_e32 v0, 11, v0
	v_lshrrev_b16_e32 v1, 11, v1
	v_mul_lo_u16_e32 v0, 10, v0
	v_mul_lo_u16_e32 v1, 10, v1
	v_sub_u16_e32 v0, v15, v0
	v_sub_u16_e32 v1, v37, v1
	v_add_u16_e32 v0, v1, v0
	v_add_u16_e32 v1, -10, v0
	v_min_u16_sdwa v37, v0, v1 dst_sel:DWORD dst_unused:UNUSED_PAD src0_sel:BYTE_0 src1_sel:BYTE_0
.LBB685_1008:
	s_or_b64 exec, exec, s[30:31]
	s_mov_b64 s[30:31], exec
	v_readlane_b32 s34, v42, 58
	v_readlane_b32 s35, v42, 59
	s_and_b64 s[34:35], s[30:31], s[34:35]
	s_mov_b64 exec, s[34:35]
	s_cbranch_execz .LBB685_1010
; %bb.1009:
	v_lshrrev_b32_e32 v0, 8, v15
	s_movk_i32 s34, 0xcd
	v_mul_lo_u16_sdwa v1, v0, s34 dst_sel:DWORD dst_unused:UNUSED_PAD src0_sel:BYTE_0 src1_sel:DWORD
	v_lshrrev_b16_e32 v1, 11, v1
	v_mul_lo_u16_e32 v1, 10, v1
	v_sub_u16_e32 v0, v0, v1
	v_mul_lo_u16_sdwa v1, v37, s34 dst_sel:DWORD dst_unused:UNUSED_PAD src0_sel:BYTE_0 src1_sel:DWORD
	v_lshrrev_b16_e32 v1, 11, v1
	v_mul_lo_u16_e32 v1, 10, v1
	v_sub_u16_e32 v1, v37, v1
	v_add_u16_e32 v0, v1, v0
	v_add_u16_e32 v1, -10, v0
	v_min_u16_sdwa v37, v0, v1 dst_sel:DWORD dst_unused:UNUSED_PAD src0_sel:BYTE_0 src1_sel:BYTE_0
.LBB685_1010:
	s_or_b64 exec, exec, s[30:31]
	s_mov_b64 s[30:31], exec
	v_readlane_b32 s34, v42, 60
	v_readlane_b32 s35, v42, 61
	s_and_b64 s[34:35], s[30:31], s[34:35]
	s_mov_b64 exec, s[34:35]
	s_cbranch_execz .LBB685_1012
; %bb.1011:
	s_movk_i32 s34, 0xff
	v_and_b32_sdwa v0, v15, s34 dst_sel:DWORD dst_unused:UNUSED_PAD src0_sel:WORD_1 src1_sel:DWORD
	s_movk_i32 s34, 0xcd
	v_mul_lo_u16_e32 v0, 0xcd, v0
	v_mul_lo_u16_sdwa v1, v37, s34 dst_sel:DWORD dst_unused:UNUSED_PAD src0_sel:BYTE_0 src1_sel:DWORD
	v_lshrrev_b16_e32 v0, 11, v0
	v_lshrrev_b16_e32 v1, 11, v1
	v_mul_lo_u16_e32 v0, 10, v0
	v_mul_lo_u16_e32 v1, 10, v1
	v_sub_u16_sdwa v0, v15, v0 dst_sel:DWORD dst_unused:UNUSED_PAD src0_sel:WORD_1 src1_sel:DWORD
	v_sub_u16_e32 v1, v37, v1
	v_add_u16_e32 v0, v1, v0
	v_add_u16_e32 v1, -10, v0
	v_min_u16_sdwa v37, v0, v1 dst_sel:DWORD dst_unused:UNUSED_PAD src0_sel:BYTE_0 src1_sel:BYTE_0
.LBB685_1012:
	s_or_b64 exec, exec, s[30:31]
	s_mov_b64 s[30:31], exec
	v_readlane_b32 s34, v42, 62
	v_readlane_b32 s35, v42, 63
	s_and_b64 s[34:35], s[30:31], s[34:35]
	s_mov_b64 exec, s[34:35]
	s_cbranch_execz .LBB685_1014
; %bb.1013:
	s_movk_i32 s34, 0xcd
	v_mul_lo_u16_sdwa v0, v15, s34 dst_sel:DWORD dst_unused:UNUSED_PAD src0_sel:BYTE_3 src1_sel:DWORD
	v_mul_lo_u16_sdwa v1, v37, s34 dst_sel:DWORD dst_unused:UNUSED_PAD src0_sel:BYTE_0 src1_sel:DWORD
	v_lshrrev_b16_e32 v0, 11, v0
	v_lshrrev_b16_e32 v1, 11, v1
	v_mul_lo_u16_e32 v0, 10, v0
	v_mul_lo_u16_e32 v1, 10, v1
	v_sub_u16_sdwa v0, v15, v0 dst_sel:DWORD dst_unused:UNUSED_PAD src0_sel:BYTE_3 src1_sel:DWORD
	v_sub_u16_e32 v1, v37, v1
	v_add_u16_e32 v0, v1, v0
	v_add_u16_e32 v1, -10, v0
	v_min_u16_sdwa v37, v0, v1 dst_sel:DWORD dst_unused:UNUSED_PAD src0_sel:BYTE_0 src1_sel:BYTE_0
.LBB685_1014:
	s_or_b64 exec, exec, s[30:31]
	s_mov_b64 s[30:31], exec
	v_readlane_b32 s34, v41, 0
	v_readlane_b32 s35, v41, 1
	s_and_b64 s[34:35], s[30:31], s[34:35]
	s_mov_b64 exec, s[34:35]
	s_cbranch_execz .LBB685_1016
; %bb.1015:
	s_movk_i32 s34, 0xcd
	v_mul_lo_u16_sdwa v0, v16, s34 dst_sel:DWORD dst_unused:UNUSED_PAD src0_sel:BYTE_0 src1_sel:DWORD
	v_mul_lo_u16_sdwa v1, v37, s34 dst_sel:DWORD dst_unused:UNUSED_PAD src0_sel:BYTE_0 src1_sel:DWORD
	v_lshrrev_b16_e32 v0, 11, v0
	v_lshrrev_b16_e32 v1, 11, v1
	v_mul_lo_u16_e32 v0, 10, v0
	v_mul_lo_u16_e32 v1, 10, v1
	v_sub_u16_e32 v0, v16, v0
	v_sub_u16_e32 v1, v37, v1
	v_add_u16_e32 v0, v1, v0
	v_add_u16_e32 v1, -10, v0
	v_min_u16_sdwa v37, v0, v1 dst_sel:DWORD dst_unused:UNUSED_PAD src0_sel:BYTE_0 src1_sel:BYTE_0
.LBB685_1016:
	s_or_b64 exec, exec, s[30:31]
	s_mov_b64 s[30:31], exec
	v_readlane_b32 s34, v41, 2
	v_readlane_b32 s35, v41, 3
	s_and_b64 s[34:35], s[30:31], s[34:35]
	s_mov_b64 exec, s[34:35]
	s_cbranch_execz .LBB685_1018
; %bb.1017:
	v_lshrrev_b32_e32 v0, 8, v16
	s_movk_i32 s34, 0xcd
	v_mul_lo_u16_sdwa v1, v0, s34 dst_sel:DWORD dst_unused:UNUSED_PAD src0_sel:BYTE_0 src1_sel:DWORD
	v_lshrrev_b16_e32 v1, 11, v1
	v_mul_lo_u16_e32 v1, 10, v1
	v_sub_u16_e32 v0, v0, v1
	v_mul_lo_u16_sdwa v1, v37, s34 dst_sel:DWORD dst_unused:UNUSED_PAD src0_sel:BYTE_0 src1_sel:DWORD
	v_lshrrev_b16_e32 v1, 11, v1
	v_mul_lo_u16_e32 v1, 10, v1
	v_sub_u16_e32 v1, v37, v1
	v_add_u16_e32 v0, v1, v0
	v_add_u16_e32 v1, -10, v0
	v_min_u16_sdwa v37, v0, v1 dst_sel:DWORD dst_unused:UNUSED_PAD src0_sel:BYTE_0 src1_sel:BYTE_0
.LBB685_1018:
	s_or_b64 exec, exec, s[30:31]
	s_mov_b64 s[30:31], exec
	v_readlane_b32 s34, v41, 4
	v_readlane_b32 s35, v41, 5
	s_and_b64 s[34:35], s[30:31], s[34:35]
	s_mov_b64 exec, s[34:35]
	s_cbranch_execz .LBB685_1020
; %bb.1019:
	s_movk_i32 s34, 0xff
	v_and_b32_sdwa v0, v16, s34 dst_sel:DWORD dst_unused:UNUSED_PAD src0_sel:WORD_1 src1_sel:DWORD
	s_movk_i32 s34, 0xcd
	v_mul_lo_u16_e32 v0, 0xcd, v0
	v_mul_lo_u16_sdwa v1, v37, s34 dst_sel:DWORD dst_unused:UNUSED_PAD src0_sel:BYTE_0 src1_sel:DWORD
	v_lshrrev_b16_e32 v0, 11, v0
	v_lshrrev_b16_e32 v1, 11, v1
	v_mul_lo_u16_e32 v0, 10, v0
	v_mul_lo_u16_e32 v1, 10, v1
	v_sub_u16_sdwa v0, v16, v0 dst_sel:DWORD dst_unused:UNUSED_PAD src0_sel:WORD_1 src1_sel:DWORD
	v_sub_u16_e32 v1, v37, v1
	v_add_u16_e32 v0, v1, v0
	v_add_u16_e32 v1, -10, v0
	v_min_u16_sdwa v37, v0, v1 dst_sel:DWORD dst_unused:UNUSED_PAD src0_sel:BYTE_0 src1_sel:BYTE_0
.LBB685_1020:
	s_or_b64 exec, exec, s[30:31]
	s_mov_b64 s[30:31], exec
	v_readlane_b32 s34, v41, 6
	v_readlane_b32 s35, v41, 7
	s_and_b64 s[34:35], s[30:31], s[34:35]
	s_mov_b64 exec, s[34:35]
	s_cbranch_execz .LBB685_1022
; %bb.1021:
	v_lshrrev_b64 v[0:1], 24, v[16:17]
	s_movk_i32 s34, 0xcd
	v_mul_lo_u16_sdwa v1, v0, s34 dst_sel:DWORD dst_unused:UNUSED_PAD src0_sel:BYTE_0 src1_sel:DWORD
	v_lshrrev_b16_e32 v1, 11, v1
	v_mul_lo_u16_e32 v1, 10, v1
	v_sub_u16_e32 v0, v0, v1
	v_mul_lo_u16_sdwa v1, v37, s34 dst_sel:DWORD dst_unused:UNUSED_PAD src0_sel:BYTE_0 src1_sel:DWORD
	v_lshrrev_b16_e32 v1, 11, v1
	v_mul_lo_u16_e32 v1, 10, v1
	v_sub_u16_e32 v1, v37, v1
	v_add_u16_e32 v0, v1, v0
	v_add_u16_e32 v1, -10, v0
	v_min_u16_sdwa v37, v0, v1 dst_sel:DWORD dst_unused:UNUSED_PAD src0_sel:BYTE_0 src1_sel:BYTE_0
.LBB685_1022:
	s_or_b64 exec, exec, s[30:31]
	s_mov_b64 s[30:31], exec
	v_readlane_b32 s34, v41, 8
	v_readlane_b32 s35, v41, 9
	s_and_b64 s[34:35], s[30:31], s[34:35]
	s_mov_b64 exec, s[34:35]
	s_cbranch_execz .LBB685_1024
; %bb.1023:
	s_movk_i32 s34, 0xcd
	v_mul_lo_u16_sdwa v0, v17, s34 dst_sel:DWORD dst_unused:UNUSED_PAD src0_sel:BYTE_0 src1_sel:DWORD
	v_mul_lo_u16_sdwa v1, v37, s34 dst_sel:DWORD dst_unused:UNUSED_PAD src0_sel:BYTE_0 src1_sel:DWORD
	v_lshrrev_b16_e32 v0, 11, v0
	v_lshrrev_b16_e32 v1, 11, v1
	v_mul_lo_u16_e32 v0, 10, v0
	v_mul_lo_u16_e32 v1, 10, v1
	v_sub_u16_e32 v0, v17, v0
	v_sub_u16_e32 v1, v37, v1
	v_add_u16_e32 v0, v1, v0
	v_add_u16_e32 v1, -10, v0
	v_min_u16_sdwa v37, v0, v1 dst_sel:DWORD dst_unused:UNUSED_PAD src0_sel:BYTE_0 src1_sel:BYTE_0
.LBB685_1024:
	s_or_b64 exec, exec, s[30:31]
	s_mov_b64 s[30:31], exec
	v_readlane_b32 s34, v41, 10
	v_readlane_b32 s35, v41, 11
	s_and_b64 s[34:35], s[30:31], s[34:35]
	s_mov_b64 exec, s[34:35]
	s_cbranch_execz .LBB685_1026
; %bb.1025:
	v_lshrrev_b32_e32 v0, 8, v17
	s_movk_i32 s34, 0xcd
	v_mul_lo_u16_sdwa v1, v0, s34 dst_sel:DWORD dst_unused:UNUSED_PAD src0_sel:BYTE_0 src1_sel:DWORD
	v_lshrrev_b16_e32 v1, 11, v1
	v_mul_lo_u16_e32 v1, 10, v1
	v_sub_u16_e32 v0, v0, v1
	v_mul_lo_u16_sdwa v1, v37, s34 dst_sel:DWORD dst_unused:UNUSED_PAD src0_sel:BYTE_0 src1_sel:DWORD
	v_lshrrev_b16_e32 v1, 11, v1
	v_mul_lo_u16_e32 v1, 10, v1
	v_sub_u16_e32 v1, v37, v1
	v_add_u16_e32 v0, v1, v0
	v_add_u16_e32 v1, -10, v0
	v_min_u16_sdwa v37, v0, v1 dst_sel:DWORD dst_unused:UNUSED_PAD src0_sel:BYTE_0 src1_sel:BYTE_0
.LBB685_1026:
	s_or_b64 exec, exec, s[30:31]
	s_mov_b64 s[30:31], exec
	v_readlane_b32 s34, v41, 12
	v_readlane_b32 s35, v41, 13
	s_and_b64 s[34:35], s[30:31], s[34:35]
	s_mov_b64 exec, s[34:35]
	s_cbranch_execz .LBB685_1028
; %bb.1027:
	s_movk_i32 s34, 0xff
	v_and_b32_sdwa v0, v17, s34 dst_sel:DWORD dst_unused:UNUSED_PAD src0_sel:WORD_1 src1_sel:DWORD
	s_movk_i32 s34, 0xcd
	v_mul_lo_u16_e32 v0, 0xcd, v0
	v_mul_lo_u16_sdwa v1, v37, s34 dst_sel:DWORD dst_unused:UNUSED_PAD src0_sel:BYTE_0 src1_sel:DWORD
	v_lshrrev_b16_e32 v0, 11, v0
	v_lshrrev_b16_e32 v1, 11, v1
	v_mul_lo_u16_e32 v0, 10, v0
	v_mul_lo_u16_e32 v1, 10, v1
	v_sub_u16_sdwa v0, v17, v0 dst_sel:DWORD dst_unused:UNUSED_PAD src0_sel:WORD_1 src1_sel:DWORD
	v_sub_u16_e32 v1, v37, v1
	v_add_u16_e32 v0, v1, v0
	v_add_u16_e32 v1, -10, v0
	v_min_u16_sdwa v37, v0, v1 dst_sel:DWORD dst_unused:UNUSED_PAD src0_sel:BYTE_0 src1_sel:BYTE_0
.LBB685_1028:
	s_or_b64 exec, exec, s[30:31]
	s_mov_b64 s[30:31], exec
	v_readlane_b32 s34, v41, 14
	v_readlane_b32 s35, v41, 15
	s_and_b64 s[34:35], s[30:31], s[34:35]
	s_mov_b64 exec, s[34:35]
	s_cbranch_execz .LBB685_1030
; %bb.1029:
	s_movk_i32 s34, 0xcd
	v_mul_lo_u16_sdwa v0, v17, s34 dst_sel:DWORD dst_unused:UNUSED_PAD src0_sel:BYTE_3 src1_sel:DWORD
	v_mul_lo_u16_sdwa v1, v37, s34 dst_sel:DWORD dst_unused:UNUSED_PAD src0_sel:BYTE_0 src1_sel:DWORD
	v_lshrrev_b16_e32 v0, 11, v0
	v_lshrrev_b16_e32 v1, 11, v1
	v_mul_lo_u16_e32 v0, 10, v0
	v_mul_lo_u16_e32 v1, 10, v1
	v_sub_u16_sdwa v0, v17, v0 dst_sel:DWORD dst_unused:UNUSED_PAD src0_sel:BYTE_3 src1_sel:DWORD
	v_sub_u16_e32 v1, v37, v1
	v_add_u16_e32 v0, v1, v0
	v_add_u16_e32 v1, -10, v0
	v_min_u16_sdwa v37, v0, v1 dst_sel:DWORD dst_unused:UNUSED_PAD src0_sel:BYTE_0 src1_sel:BYTE_0
.LBB685_1030:
	s_or_b64 exec, exec, s[30:31]
	s_mov_b64 s[30:31], exec
	v_readlane_b32 s34, v41, 16
	v_readlane_b32 s35, v41, 17
	s_and_b64 s[34:35], s[30:31], s[34:35]
	s_mov_b64 exec, s[34:35]
	s_cbranch_execz .LBB685_1032
; %bb.1031:
	s_movk_i32 s34, 0xcd
	v_mul_lo_u16_sdwa v0, v18, s34 dst_sel:DWORD dst_unused:UNUSED_PAD src0_sel:BYTE_0 src1_sel:DWORD
	v_mul_lo_u16_sdwa v1, v37, s34 dst_sel:DWORD dst_unused:UNUSED_PAD src0_sel:BYTE_0 src1_sel:DWORD
	v_lshrrev_b16_e32 v0, 11, v0
	v_lshrrev_b16_e32 v1, 11, v1
	v_mul_lo_u16_e32 v0, 10, v0
	v_mul_lo_u16_e32 v1, 10, v1
	v_sub_u16_e32 v0, v18, v0
	v_sub_u16_e32 v1, v37, v1
	v_add_u16_e32 v0, v1, v0
	v_add_u16_e32 v1, -10, v0
	v_min_u16_sdwa v37, v0, v1 dst_sel:DWORD dst_unused:UNUSED_PAD src0_sel:BYTE_0 src1_sel:BYTE_0
.LBB685_1032:
	s_or_b64 exec, exec, s[30:31]
	s_mov_b64 s[30:31], exec
	v_readlane_b32 s34, v41, 18
	v_readlane_b32 s35, v41, 19
	s_and_b64 s[34:35], s[30:31], s[34:35]
	s_mov_b64 exec, s[34:35]
	s_cbranch_execz .LBB685_1034
; %bb.1033:
	v_lshrrev_b32_e32 v0, 8, v18
	s_movk_i32 s34, 0xcd
	v_mul_lo_u16_sdwa v1, v0, s34 dst_sel:DWORD dst_unused:UNUSED_PAD src0_sel:BYTE_0 src1_sel:DWORD
	v_lshrrev_b16_e32 v1, 11, v1
	v_mul_lo_u16_e32 v1, 10, v1
	v_sub_u16_e32 v0, v0, v1
	v_mul_lo_u16_sdwa v1, v37, s34 dst_sel:DWORD dst_unused:UNUSED_PAD src0_sel:BYTE_0 src1_sel:DWORD
	v_lshrrev_b16_e32 v1, 11, v1
	v_mul_lo_u16_e32 v1, 10, v1
	v_sub_u16_e32 v1, v37, v1
	v_add_u16_e32 v0, v1, v0
	v_add_u16_e32 v1, -10, v0
	v_min_u16_sdwa v37, v0, v1 dst_sel:DWORD dst_unused:UNUSED_PAD src0_sel:BYTE_0 src1_sel:BYTE_0
.LBB685_1034:
	s_or_b64 exec, exec, s[30:31]
	s_mov_b64 s[30:31], exec
	v_readlane_b32 s34, v41, 20
	v_readlane_b32 s35, v41, 21
	s_and_b64 s[34:35], s[30:31], s[34:35]
	s_mov_b64 exec, s[34:35]
	s_cbranch_execz .LBB685_1036
; %bb.1035:
	s_movk_i32 s34, 0xff
	v_and_b32_sdwa v0, v18, s34 dst_sel:DWORD dst_unused:UNUSED_PAD src0_sel:WORD_1 src1_sel:DWORD
	s_movk_i32 s34, 0xcd
	v_mul_lo_u16_e32 v0, 0xcd, v0
	v_mul_lo_u16_sdwa v1, v37, s34 dst_sel:DWORD dst_unused:UNUSED_PAD src0_sel:BYTE_0 src1_sel:DWORD
	v_lshrrev_b16_e32 v0, 11, v0
	v_lshrrev_b16_e32 v1, 11, v1
	v_mul_lo_u16_e32 v0, 10, v0
	v_mul_lo_u16_e32 v1, 10, v1
	v_sub_u16_sdwa v0, v18, v0 dst_sel:DWORD dst_unused:UNUSED_PAD src0_sel:WORD_1 src1_sel:DWORD
	v_sub_u16_e32 v1, v37, v1
	v_add_u16_e32 v0, v1, v0
	v_add_u16_e32 v1, -10, v0
	v_min_u16_sdwa v37, v0, v1 dst_sel:DWORD dst_unused:UNUSED_PAD src0_sel:BYTE_0 src1_sel:BYTE_0
.LBB685_1036:
	s_or_b64 exec, exec, s[30:31]
	s_mov_b64 s[30:31], exec
	v_readlane_b32 s34, v41, 22
	v_readlane_b32 s35, v41, 23
	s_and_b64 s[34:35], s[30:31], s[34:35]
	s_mov_b64 exec, s[34:35]
	s_cbranch_execz .LBB685_1038
; %bb.1037:
	v_lshrrev_b64 v[0:1], 24, v[18:19]
	s_movk_i32 s34, 0xcd
	v_mul_lo_u16_sdwa v1, v0, s34 dst_sel:DWORD dst_unused:UNUSED_PAD src0_sel:BYTE_0 src1_sel:DWORD
	v_lshrrev_b16_e32 v1, 11, v1
	v_mul_lo_u16_e32 v1, 10, v1
	v_sub_u16_e32 v0, v0, v1
	v_mul_lo_u16_sdwa v1, v37, s34 dst_sel:DWORD dst_unused:UNUSED_PAD src0_sel:BYTE_0 src1_sel:DWORD
	v_lshrrev_b16_e32 v1, 11, v1
	v_mul_lo_u16_e32 v1, 10, v1
	v_sub_u16_e32 v1, v37, v1
	v_add_u16_e32 v0, v1, v0
	v_add_u16_e32 v1, -10, v0
	v_min_u16_sdwa v37, v0, v1 dst_sel:DWORD dst_unused:UNUSED_PAD src0_sel:BYTE_0 src1_sel:BYTE_0
.LBB685_1038:
	s_or_b64 exec, exec, s[30:31]
	s_mov_b64 s[30:31], exec
	v_readlane_b32 s34, v41, 24
	v_readlane_b32 s35, v41, 25
	s_and_b64 s[34:35], s[30:31], s[34:35]
	s_mov_b64 exec, s[34:35]
	s_cbranch_execz .LBB685_1040
; %bb.1039:
	s_movk_i32 s34, 0xcd
	v_mul_lo_u16_sdwa v0, v19, s34 dst_sel:DWORD dst_unused:UNUSED_PAD src0_sel:BYTE_0 src1_sel:DWORD
	v_mul_lo_u16_sdwa v1, v37, s34 dst_sel:DWORD dst_unused:UNUSED_PAD src0_sel:BYTE_0 src1_sel:DWORD
	v_lshrrev_b16_e32 v0, 11, v0
	v_lshrrev_b16_e32 v1, 11, v1
	v_mul_lo_u16_e32 v0, 10, v0
	v_mul_lo_u16_e32 v1, 10, v1
	v_sub_u16_e32 v0, v19, v0
	v_sub_u16_e32 v1, v37, v1
	v_add_u16_e32 v0, v1, v0
	v_add_u16_e32 v1, -10, v0
	v_min_u16_sdwa v37, v0, v1 dst_sel:DWORD dst_unused:UNUSED_PAD src0_sel:BYTE_0 src1_sel:BYTE_0
.LBB685_1040:
	s_or_b64 exec, exec, s[30:31]
	s_mov_b64 s[30:31], exec
	v_readlane_b32 s34, v41, 26
	v_readlane_b32 s35, v41, 27
	s_and_b64 s[34:35], s[30:31], s[34:35]
	s_mov_b64 exec, s[34:35]
	s_cbranch_execz .LBB685_1042
; %bb.1041:
	v_lshrrev_b32_e32 v0, 8, v19
	s_movk_i32 s34, 0xcd
	v_mul_lo_u16_sdwa v1, v0, s34 dst_sel:DWORD dst_unused:UNUSED_PAD src0_sel:BYTE_0 src1_sel:DWORD
	v_lshrrev_b16_e32 v1, 11, v1
	v_mul_lo_u16_e32 v1, 10, v1
	v_sub_u16_e32 v0, v0, v1
	v_mul_lo_u16_sdwa v1, v37, s34 dst_sel:DWORD dst_unused:UNUSED_PAD src0_sel:BYTE_0 src1_sel:DWORD
	v_lshrrev_b16_e32 v1, 11, v1
	v_mul_lo_u16_e32 v1, 10, v1
	v_sub_u16_e32 v1, v37, v1
	v_add_u16_e32 v0, v1, v0
	v_add_u16_e32 v1, -10, v0
	v_min_u16_sdwa v37, v0, v1 dst_sel:DWORD dst_unused:UNUSED_PAD src0_sel:BYTE_0 src1_sel:BYTE_0
.LBB685_1042:
	s_or_b64 exec, exec, s[30:31]
	s_mov_b64 s[30:31], exec
	v_readlane_b32 s34, v41, 28
	v_readlane_b32 s35, v41, 29
	s_and_b64 s[34:35], s[30:31], s[34:35]
	s_mov_b64 exec, s[34:35]
	s_cbranch_execz .LBB685_1044
; %bb.1043:
	s_movk_i32 s34, 0xff
	v_and_b32_sdwa v0, v19, s34 dst_sel:DWORD dst_unused:UNUSED_PAD src0_sel:WORD_1 src1_sel:DWORD
	s_movk_i32 s34, 0xcd
	v_mul_lo_u16_e32 v0, 0xcd, v0
	v_mul_lo_u16_sdwa v1, v37, s34 dst_sel:DWORD dst_unused:UNUSED_PAD src0_sel:BYTE_0 src1_sel:DWORD
	v_lshrrev_b16_e32 v0, 11, v0
	v_lshrrev_b16_e32 v1, 11, v1
	v_mul_lo_u16_e32 v0, 10, v0
	v_mul_lo_u16_e32 v1, 10, v1
	v_sub_u16_sdwa v0, v19, v0 dst_sel:DWORD dst_unused:UNUSED_PAD src0_sel:WORD_1 src1_sel:DWORD
	v_sub_u16_e32 v1, v37, v1
	v_add_u16_e32 v0, v1, v0
	v_add_u16_e32 v1, -10, v0
	v_min_u16_sdwa v37, v0, v1 dst_sel:DWORD dst_unused:UNUSED_PAD src0_sel:BYTE_0 src1_sel:BYTE_0
.LBB685_1044:
	s_or_b64 exec, exec, s[30:31]
	s_mov_b64 s[30:31], exec
	v_readlane_b32 s34, v41, 30
	v_readlane_b32 s35, v41, 31
	s_and_b64 s[34:35], s[30:31], s[34:35]
	s_mov_b64 exec, s[34:35]
	s_cbranch_execz .LBB685_1046
; %bb.1045:
	s_movk_i32 s34, 0xcd
	v_mul_lo_u16_sdwa v0, v19, s34 dst_sel:DWORD dst_unused:UNUSED_PAD src0_sel:BYTE_3 src1_sel:DWORD
	v_mul_lo_u16_sdwa v1, v37, s34 dst_sel:DWORD dst_unused:UNUSED_PAD src0_sel:BYTE_0 src1_sel:DWORD
	v_lshrrev_b16_e32 v0, 11, v0
	v_lshrrev_b16_e32 v1, 11, v1
	v_mul_lo_u16_e32 v0, 10, v0
	v_mul_lo_u16_e32 v1, 10, v1
	v_sub_u16_sdwa v0, v19, v0 dst_sel:DWORD dst_unused:UNUSED_PAD src0_sel:BYTE_3 src1_sel:DWORD
	v_sub_u16_e32 v1, v37, v1
	v_add_u16_e32 v0, v1, v0
	v_add_u16_e32 v1, -10, v0
	v_min_u16_sdwa v37, v0, v1 dst_sel:DWORD dst_unused:UNUSED_PAD src0_sel:BYTE_0 src1_sel:BYTE_0
.LBB685_1046:
	s_or_b64 exec, exec, s[30:31]
	s_mov_b64 s[30:31], exec
	v_readlane_b32 s34, v41, 32
	v_readlane_b32 s35, v41, 33
	s_and_b64 s[34:35], s[30:31], s[34:35]
	s_mov_b64 exec, s[34:35]
	s_cbranch_execz .LBB685_1048
; %bb.1047:
	s_movk_i32 s34, 0xcd
	v_mul_lo_u16_sdwa v0, v20, s34 dst_sel:DWORD dst_unused:UNUSED_PAD src0_sel:BYTE_0 src1_sel:DWORD
	v_mul_lo_u16_sdwa v1, v37, s34 dst_sel:DWORD dst_unused:UNUSED_PAD src0_sel:BYTE_0 src1_sel:DWORD
	v_lshrrev_b16_e32 v0, 11, v0
	v_lshrrev_b16_e32 v1, 11, v1
	v_mul_lo_u16_e32 v0, 10, v0
	v_mul_lo_u16_e32 v1, 10, v1
	v_sub_u16_e32 v0, v20, v0
	v_sub_u16_e32 v1, v37, v1
	v_add_u16_e32 v0, v1, v0
	v_add_u16_e32 v1, -10, v0
	v_min_u16_sdwa v37, v0, v1 dst_sel:DWORD dst_unused:UNUSED_PAD src0_sel:BYTE_0 src1_sel:BYTE_0
.LBB685_1048:
	s_or_b64 exec, exec, s[30:31]
	s_mov_b64 s[30:31], exec
	v_readlane_b32 s34, v41, 34
	v_readlane_b32 s35, v41, 35
	s_and_b64 s[34:35], s[30:31], s[34:35]
	s_mov_b64 exec, s[34:35]
	s_cbranch_execnz .LBB685_1223
; %bb.1049:
	s_or_b64 exec, exec, s[30:31]
	s_and_saveexec_b64 s[30:31], s[36:37]
	s_cbranch_execnz .LBB685_1224
.LBB685_1050:
	s_or_b64 exec, exec, s[30:31]
	s_and_saveexec_b64 s[30:31], s[38:39]
	s_cbranch_execnz .LBB685_1225
.LBB685_1051:
	s_or_b64 exec, exec, s[30:31]
	s_and_saveexec_b64 s[30:31], s[48:49]
	s_cbranch_execnz .LBB685_1226
.LBB685_1052:
	s_or_b64 exec, exec, s[30:31]
	s_and_saveexec_b64 s[30:31], s[50:51]
	s_cbranch_execnz .LBB685_1227
.LBB685_1053:
	s_or_b64 exec, exec, s[30:31]
	s_and_saveexec_b64 s[30:31], s[52:53]
	s_cbranch_execnz .LBB685_1228
.LBB685_1054:
	s_or_b64 exec, exec, s[30:31]
	s_and_saveexec_b64 s[30:31], s[54:55]
	s_cbranch_execnz .LBB685_1229
.LBB685_1055:
	s_or_b64 exec, exec, s[30:31]
	s_and_saveexec_b64 s[30:31], s[64:65]
	s_cbranch_execnz .LBB685_1230
.LBB685_1056:
	s_or_b64 exec, exec, s[30:31]
	s_and_saveexec_b64 s[30:31], s[66:67]
	s_cbranch_execnz .LBB685_1231
.LBB685_1057:
	s_or_b64 exec, exec, s[30:31]
	s_and_saveexec_b64 s[30:31], s[68:69]
	s_cbranch_execnz .LBB685_1232
.LBB685_1058:
	s_or_b64 exec, exec, s[30:31]
	s_and_saveexec_b64 s[30:31], s[70:71]
	s_cbranch_execnz .LBB685_1233
.LBB685_1059:
	s_or_b64 exec, exec, s[30:31]
	s_and_saveexec_b64 s[30:31], s[80:81]
	s_cbranch_execnz .LBB685_1234
.LBB685_1060:
	s_or_b64 exec, exec, s[30:31]
	s_and_saveexec_b64 s[30:31], s[82:83]
	s_cbranch_execnz .LBB685_1235
.LBB685_1061:
	s_or_b64 exec, exec, s[30:31]
	s_and_saveexec_b64 s[30:31], s[84:85]
	s_cbranch_execnz .LBB685_1236
.LBB685_1062:
	s_or_b64 exec, exec, s[30:31]
	s_and_saveexec_b64 s[30:31], s[86:87]
	s_cbranch_execnz .LBB685_1237
.LBB685_1063:
	s_or_b64 exec, exec, s[30:31]
	s_and_saveexec_b64 s[30:31], s[96:97]
	s_cbranch_execnz .LBB685_1238
.LBB685_1064:
	s_or_b64 exec, exec, s[30:31]
	s_and_saveexec_b64 s[30:31], s[98:99]
	s_cbranch_execnz .LBB685_1239
.LBB685_1065:
	s_or_b64 exec, exec, s[30:31]
	s_and_saveexec_b64 s[30:31], s[0:1]
	s_cbranch_execnz .LBB685_1240
.LBB685_1066:
	s_or_b64 exec, exec, s[30:31]
	s_and_saveexec_b64 s[0:1], s[2:3]
	s_cbranch_execnz .LBB685_1241
.LBB685_1067:
	s_or_b64 exec, exec, s[0:1]
	s_and_saveexec_b64 s[0:1], s[4:5]
	s_cbranch_execnz .LBB685_1242
.LBB685_1068:
	s_or_b64 exec, exec, s[0:1]
	s_and_saveexec_b64 s[0:1], s[6:7]
	s_cbranch_execnz .LBB685_1243
.LBB685_1069:
	s_or_b64 exec, exec, s[0:1]
	s_and_saveexec_b64 s[0:1], s[8:9]
	s_cbranch_execnz .LBB685_1244
.LBB685_1070:
	s_or_b64 exec, exec, s[0:1]
	s_and_saveexec_b64 s[0:1], s[10:11]
	s_cbranch_execnz .LBB685_1245
.LBB685_1071:
	s_or_b64 exec, exec, s[0:1]
	s_and_saveexec_b64 s[0:1], s[14:15]
	s_cbranch_execnz .LBB685_1246
.LBB685_1072:
	s_or_b64 exec, exec, s[0:1]
	s_and_saveexec_b64 s[0:1], s[16:17]
	s_cbranch_execnz .LBB685_1247
.LBB685_1073:
	s_or_b64 exec, exec, s[0:1]
	s_and_saveexec_b64 s[0:1], s[18:19]
	s_cbranch_execnz .LBB685_1248
.LBB685_1074:
	s_or_b64 exec, exec, s[0:1]
	s_and_saveexec_b64 s[0:1], s[20:21]
	s_cbranch_execnz .LBB685_1249
.LBB685_1075:
	s_or_b64 exec, exec, s[0:1]
	s_and_saveexec_b64 s[0:1], s[22:23]
	s_cbranch_execnz .LBB685_1250
.LBB685_1076:
	s_or_b64 exec, exec, s[0:1]
	s_and_saveexec_b64 s[0:1], s[24:25]
	s_cbranch_execnz .LBB685_1251
.LBB685_1077:
	s_or_b64 exec, exec, s[0:1]
	s_and_saveexec_b64 s[0:1], s[26:27]
	s_cbranch_execnz .LBB685_1252
.LBB685_1078:
	s_or_b64 exec, exec, s[0:1]
	s_and_saveexec_b64 s[0:1], s[28:29]
	s_cbranch_execnz .LBB685_1253
.LBB685_1079:
	s_or_b64 exec, exec, s[0:1]
	s_and_saveexec_b64 s[0:1], s[40:41]
	s_cbranch_execnz .LBB685_1254
.LBB685_1080:
	s_or_b64 exec, exec, s[0:1]
	s_and_saveexec_b64 s[0:1], s[42:43]
	s_cbranch_execnz .LBB685_1255
.LBB685_1081:
	s_or_b64 exec, exec, s[0:1]
	s_and_saveexec_b64 s[0:1], s[44:45]
	s_cbranch_execnz .LBB685_1256
.LBB685_1082:
	s_or_b64 exec, exec, s[0:1]
	s_and_saveexec_b64 s[0:1], s[46:47]
	s_cbranch_execnz .LBB685_1257
.LBB685_1083:
	s_or_b64 exec, exec, s[0:1]
	s_and_saveexec_b64 s[0:1], s[56:57]
	s_cbranch_execnz .LBB685_1258
.LBB685_1084:
	s_or_b64 exec, exec, s[0:1]
	s_and_saveexec_b64 s[0:1], s[58:59]
	s_cbranch_execnz .LBB685_1259
.LBB685_1085:
	s_or_b64 exec, exec, s[0:1]
	s_and_saveexec_b64 s[0:1], s[60:61]
	s_cbranch_execnz .LBB685_1260
.LBB685_1086:
	s_or_b64 exec, exec, s[0:1]
	s_and_saveexec_b64 s[0:1], s[62:63]
	s_cbranch_execnz .LBB685_1261
.LBB685_1087:
	s_or_b64 exec, exec, s[0:1]
	s_and_saveexec_b64 s[0:1], s[72:73]
	s_cbranch_execnz .LBB685_1262
.LBB685_1088:
	s_or_b64 exec, exec, s[0:1]
	s_and_saveexec_b64 s[0:1], s[74:75]
	s_cbranch_execnz .LBB685_1263
.LBB685_1089:
	s_or_b64 exec, exec, s[0:1]
	s_and_saveexec_b64 s[0:1], s[76:77]
	s_cbranch_execnz .LBB685_1264
.LBB685_1090:
	s_or_b64 exec, exec, s[0:1]
	s_and_saveexec_b64 s[0:1], s[78:79]
	s_cbranch_execnz .LBB685_1265
.LBB685_1091:
	s_or_b64 exec, exec, s[0:1]
	s_and_saveexec_b64 s[0:1], s[88:89]
	s_cbranch_execnz .LBB685_1266
.LBB685_1092:
	s_or_b64 exec, exec, s[0:1]
	s_and_saveexec_b64 s[0:1], s[90:91]
	s_cbranch_execnz .LBB685_1267
.LBB685_1093:
	s_or_b64 exec, exec, s[0:1]
	s_and_saveexec_b64 s[0:1], s[92:93]
	s_cbranch_execnz .LBB685_1268
.LBB685_1094:
	s_or_b64 exec, exec, s[0:1]
	s_and_saveexec_b64 s[0:1], vcc
	s_cbranch_execz .LBB685_1096
.LBB685_1095:
	s_movk_i32 s2, 0xcd
	v_mul_lo_u16_sdwa v0, v31, s2 dst_sel:DWORD dst_unused:UNUSED_PAD src0_sel:BYTE_3 src1_sel:DWORD
	v_mul_lo_u16_sdwa v1, v37, s2 dst_sel:DWORD dst_unused:UNUSED_PAD src0_sel:BYTE_0 src1_sel:DWORD
	v_lshrrev_b16_e32 v0, 11, v0
	v_lshrrev_b16_e32 v1, 11, v1
	v_mul_lo_u16_e32 v0, 10, v0
	v_mul_lo_u16_e32 v1, 10, v1
	v_sub_u16_sdwa v0, v31, v0 dst_sel:DWORD dst_unused:UNUSED_PAD src0_sel:BYTE_3 src1_sel:DWORD
	v_sub_u16_e32 v1, v37, v1
	v_add_u16_e32 v0, v1, v0
	v_add_u16_e32 v1, -10, v0
	v_min_u16_sdwa v37, v0, v1 dst_sel:DWORD dst_unused:UNUSED_PAD src0_sel:BYTE_0 src1_sel:BYTE_0
.LBB685_1096:
	s_or_b64 exec, exec, s[0:1]
	v_mbcnt_lo_u32_b32 v1, -1, 0
	v_mbcnt_hi_u32_b32 v1, -1, v1
	v_and_b32_e32 v2, 63, v1
	v_cmp_ne_u32_e32 vcc, 63, v2
	v_and_b32_e32 v4, 0xff, v37
	v_min_u32_e32 v0, 0x100, v51
	v_addc_co_u32_e32 v3, vcc, 0, v1, vcc
	v_lshlrev_b32_e32 v3, 2, v3
	ds_bpermute_b32 v5, v3, v4
	v_and_b32_e32 v3, 0x3c0, v36
	v_sub_u32_e64 v3, v0, v3 clamp
	v_add_u32_e32 v6, 1, v2
	v_cmp_lt_u32_e32 vcc, v6, v3
	s_and_saveexec_b64 s[0:1], vcc
	s_xor_b64 s[0:1], exec, s[0:1]
	s_cbranch_execz .LBB685_1098
; %bb.1097:
	s_movk_i32 s2, 0xcd
	s_waitcnt lgkmcnt(0)
	v_mul_lo_u16_sdwa v4, v5, s2 dst_sel:DWORD dst_unused:UNUSED_PAD src0_sel:BYTE_0 src1_sel:DWORD
	v_lshrrev_b16_e32 v4, 11, v4
	v_mul_lo_u16_e32 v4, 10, v4
	v_sub_u16_e32 v4, v5, v4
	v_mul_lo_u16_sdwa v5, v37, s2 dst_sel:DWORD dst_unused:UNUSED_PAD src0_sel:BYTE_0 src1_sel:DWORD
	v_lshrrev_b16_e32 v5, 11, v5
	v_mul_lo_u16_e32 v5, 10, v5
	v_sub_u16_e32 v5, v37, v5
	v_add_u16_e32 v4, v4, v5
	v_add_u16_e32 v5, -10, v4
	v_min_u16_sdwa v37, v4, v5 dst_sel:DWORD dst_unused:UNUSED_PAD src0_sel:BYTE_0 src1_sel:BYTE_0
	v_min_u16_sdwa v4, v4, v5 dst_sel:DWORD dst_unused:UNUSED_PAD src0_sel:BYTE_0 src1_sel:BYTE_0
.LBB685_1098:
	s_or_b64 exec, exec, s[0:1]
	v_cmp_gt_u32_e32 vcc, 62, v2
	v_add_u32_e32 v6, 2, v2
	s_waitcnt lgkmcnt(0)
	v_cndmask_b32_e64 v5, 0, 2, vcc
	v_add_lshl_u32 v5, v5, v1, 2
	ds_bpermute_b32 v5, v5, v4
	v_cmp_lt_u32_e32 vcc, v6, v3
	s_and_saveexec_b64 s[0:1], vcc
	s_cbranch_execz .LBB685_1100
; %bb.1099:
	s_movk_i32 s2, 0xcd
	s_waitcnt lgkmcnt(0)
	v_mul_lo_u16_sdwa v4, v5, s2 dst_sel:DWORD dst_unused:UNUSED_PAD src0_sel:BYTE_0 src1_sel:DWORD
	v_lshrrev_b16_e32 v4, 11, v4
	v_mul_lo_u16_e32 v4, 10, v4
	v_sub_u16_e32 v4, v5, v4
	v_mul_lo_u16_sdwa v5, v37, s2 dst_sel:DWORD dst_unused:UNUSED_PAD src0_sel:BYTE_0 src1_sel:DWORD
	v_lshrrev_b16_e32 v5, 11, v5
	v_mul_lo_u16_e32 v5, 10, v5
	v_sub_u16_e32 v5, v37, v5
	v_add_u16_e32 v4, v4, v5
	v_add_u16_e32 v5, -10, v4
	v_min_u16_sdwa v37, v4, v5 dst_sel:DWORD dst_unused:UNUSED_PAD src0_sel:BYTE_0 src1_sel:BYTE_0
	v_min_u16_sdwa v4, v4, v5 dst_sel:DWORD dst_unused:UNUSED_PAD src0_sel:BYTE_0 src1_sel:BYTE_0
.LBB685_1100:
	s_or_b64 exec, exec, s[0:1]
	v_cmp_gt_u32_e32 vcc, 60, v2
	v_add_u32_e32 v6, 4, v2
	s_waitcnt lgkmcnt(0)
	v_cndmask_b32_e64 v5, 0, 4, vcc
	v_add_lshl_u32 v5, v5, v1, 2
	ds_bpermute_b32 v5, v5, v4
	v_cmp_lt_u32_e32 vcc, v6, v3
	s_and_saveexec_b64 s[0:1], vcc
	;; [unrolled: 26-line block ×4, first 2 shown]
	s_cbranch_execz .LBB685_1106
; %bb.1105:
	s_movk_i32 s2, 0xcd
	s_waitcnt lgkmcnt(0)
	v_mul_lo_u16_sdwa v4, v5, s2 dst_sel:DWORD dst_unused:UNUSED_PAD src0_sel:BYTE_0 src1_sel:DWORD
	v_lshrrev_b16_e32 v4, 11, v4
	v_mul_lo_u16_e32 v4, 10, v4
	v_sub_u16_e32 v4, v5, v4
	v_mul_lo_u16_sdwa v5, v37, s2 dst_sel:DWORD dst_unused:UNUSED_PAD src0_sel:BYTE_0 src1_sel:DWORD
	v_lshrrev_b16_e32 v5, 11, v5
	v_mul_lo_u16_e32 v5, 10, v5
	v_sub_u16_e32 v5, v37, v5
	v_add_u16_e32 v4, v4, v5
	v_add_u16_e32 v5, -10, v4
	v_min_u16_sdwa v37, v4, v5 dst_sel:DWORD dst_unused:UNUSED_PAD src0_sel:BYTE_0 src1_sel:BYTE_0
	v_min_u16_sdwa v4, v4, v5 dst_sel:DWORD dst_unused:UNUSED_PAD src0_sel:BYTE_0 src1_sel:BYTE_0
.LBB685_1106:
	s_or_b64 exec, exec, s[0:1]
	s_waitcnt lgkmcnt(0)
	v_lshlrev_b32_e32 v5, 2, v1
	v_or_b32_e32 v6, 0x80, v5
	ds_bpermute_b32 v4, v6, v4
	v_add_u32_e32 v2, 32, v2
	v_cmp_lt_u32_e32 vcc, v2, v3
	s_and_saveexec_b64 s[0:1], vcc
	s_cbranch_execz .LBB685_1108
; %bb.1107:
	s_movk_i32 s2, 0xcd
	s_waitcnt lgkmcnt(0)
	v_mul_lo_u16_sdwa v2, v4, s2 dst_sel:DWORD dst_unused:UNUSED_PAD src0_sel:BYTE_0 src1_sel:DWORD
	v_mul_lo_u16_sdwa v3, v37, s2 dst_sel:DWORD dst_unused:UNUSED_PAD src0_sel:BYTE_0 src1_sel:DWORD
	v_lshrrev_b16_e32 v2, 11, v2
	v_lshrrev_b16_e32 v3, 11, v3
	v_mul_lo_u16_e32 v2, 10, v2
	v_mul_lo_u16_e32 v3, 10, v3
	v_sub_u16_e32 v2, v4, v2
	v_sub_u16_e32 v3, v37, v3
	v_add_u16_e32 v2, v2, v3
	v_add_u16_e32 v3, -10, v2
	v_min_u16_sdwa v37, v2, v3 dst_sel:DWORD dst_unused:UNUSED_PAD src0_sel:BYTE_0 src1_sel:BYTE_0
.LBB685_1108:
	s_or_b64 exec, exec, s[0:1]
	v_cmp_eq_u32_e32 vcc, 0, v1
	s_and_saveexec_b64 s[0:1], vcc
; %bb.1109:
	v_lshrrev_b32_e32 v2, 6, v36
	ds_write_b8 v2, v37
; %bb.1110:
	s_or_b64 exec, exec, s[0:1]
	v_cmp_gt_u32_e32 vcc, 4, v36
	s_waitcnt lgkmcnt(0)
	s_barrier
	s_and_saveexec_b64 s[0:1], vcc
	s_cbranch_execz .LBB685_1116
; %bb.1111:
	ds_read_u8 v37, v1
	v_and_b32_e32 v2, 3, v1
	v_cmp_ne_u32_e32 vcc, 3, v2
	v_add_u32_e32 v0, 63, v0
	v_lshrrev_b32_e32 v0, 6, v0
	v_addc_co_u32_e32 v1, vcc, 0, v1, vcc
	v_lshlrev_b32_e32 v3, 2, v1
	s_waitcnt lgkmcnt(0)
	v_and_b32_e32 v1, 0xff, v37
	ds_bpermute_b32 v3, v3, v1
	v_add_u32_e32 v4, 1, v2
	v_cmp_lt_u32_e32 vcc, v4, v0
	s_and_saveexec_b64 s[2:3], vcc
	s_cbranch_execz .LBB685_1113
; %bb.1112:
	s_movk_i32 s4, 0xcd
	s_waitcnt lgkmcnt(0)
	v_mul_lo_u16_sdwa v1, v3, s4 dst_sel:DWORD dst_unused:UNUSED_PAD src0_sel:BYTE_0 src1_sel:DWORD
	v_lshrrev_b16_e32 v1, 11, v1
	v_mul_lo_u16_e32 v1, 10, v1
	v_sub_u16_e32 v1, v3, v1
	v_mul_lo_u16_sdwa v3, v37, s4 dst_sel:DWORD dst_unused:UNUSED_PAD src0_sel:BYTE_0 src1_sel:DWORD
	v_lshrrev_b16_e32 v3, 11, v3
	v_mul_lo_u16_e32 v3, 10, v3
	v_sub_u16_e32 v3, v37, v3
	v_add_u16_e32 v1, v1, v3
	v_add_u16_e32 v3, -10, v1
	v_min_u16_sdwa v37, v1, v3 dst_sel:DWORD dst_unused:UNUSED_PAD src0_sel:BYTE_0 src1_sel:BYTE_0
	v_min_u16_sdwa v1, v1, v3 dst_sel:DWORD dst_unused:UNUSED_PAD src0_sel:BYTE_0 src1_sel:BYTE_0
.LBB685_1113:
	s_or_b64 exec, exec, s[2:3]
	s_waitcnt lgkmcnt(0)
	v_or_b32_e32 v3, 8, v5
	ds_bpermute_b32 v1, v3, v1
	v_add_u32_e32 v2, 2, v2
	v_cmp_lt_u32_e32 vcc, v2, v0
	s_and_saveexec_b64 s[2:3], vcc
	s_cbranch_execz .LBB685_1115
; %bb.1114:
	s_movk_i32 s4, 0xcd
	s_waitcnt lgkmcnt(0)
	v_mul_lo_u16_sdwa v0, v1, s4 dst_sel:DWORD dst_unused:UNUSED_PAD src0_sel:BYTE_0 src1_sel:DWORD
	v_lshrrev_b16_e32 v0, 11, v0
	v_mul_lo_u16_e32 v0, 10, v0
	v_sub_u16_e32 v0, v1, v0
	v_mul_lo_u16_sdwa v1, v37, s4 dst_sel:DWORD dst_unused:UNUSED_PAD src0_sel:BYTE_0 src1_sel:DWORD
	v_lshrrev_b16_e32 v1, 11, v1
	v_mul_lo_u16_e32 v1, 10, v1
	v_sub_u16_e32 v1, v37, v1
	v_add_u16_e32 v0, v0, v1
	v_add_u16_e32 v1, -10, v0
	v_min_u16_sdwa v37, v0, v1 dst_sel:DWORD dst_unused:UNUSED_PAD src0_sel:BYTE_0 src1_sel:BYTE_0
.LBB685_1115:
	s_or_b64 exec, exec, s[2:3]
.LBB685_1116:
	s_or_b64 exec, exec, s[0:1]
.LBB685_1117:
	v_readlane_b32 s0, v43, 0
	v_readlane_b32 s1, v43, 1
	s_or_b64 exec, exec, s[0:1]
	v_cmp_eq_u32_e32 vcc, 0, v36
	s_and_b64 exec, exec, vcc
	s_cbranch_execz .LBB685_1121
; %bb.1118:
	v_cmp_ne_u64_e32 vcc, 0, v[34:35]
	s_and_saveexec_b64 s[0:1], vcc
	s_cbranch_execz .LBB685_1120
; %bb.1119:
	s_movk_i32 s2, 0xcd
	v_mul_lo_u16_sdwa v0, v37, s2 dst_sel:DWORD dst_unused:UNUSED_PAD src0_sel:BYTE_0 src1_sel:DWORD
	s_waitcnt lgkmcnt(0)
	v_mul_lo_u16_sdwa v1, v50, s2 dst_sel:DWORD dst_unused:UNUSED_PAD src0_sel:BYTE_0 src1_sel:DWORD
	v_lshrrev_b16_e32 v0, 11, v0
	v_lshrrev_b16_e32 v1, 11, v1
	v_mul_lo_u16_e32 v0, 10, v0
	v_mul_lo_u16_e32 v1, 10, v1
	v_sub_u16_e32 v0, v37, v0
	v_sub_u16_e32 v1, v50, v1
	v_add_u16_e32 v0, v0, v1
	v_add_u16_e32 v1, -10, v0
	v_min_u16_sdwa v50, v0, v1 dst_sel:DWORD dst_unused:UNUSED_PAD src0_sel:BYTE_0 src1_sel:BYTE_0
.LBB685_1120:
	s_or_b64 exec, exec, s[0:1]
	s_waitcnt lgkmcnt(0)
	v_lshl_add_u64 v[0:1], v[32:33], 0, s[12:13]
	flat_store_byte v[0:1], v50
.LBB685_1121:
	s_or_b64 exec, exec, s[94:95]
	v_readlane_b32 s30, v40, 0
	v_readlane_b32 s31, v40, 1
	s_or_saveexec_b64 s[0:1], -1
	scratch_load_dword v40, off, s32        ; 4-byte Folded Reload
	scratch_load_dword v41, off, s32 offset:4 ; 4-byte Folded Reload
	scratch_load_dword v42, off, s32 offset:8 ; 4-byte Folded Reload
	;; [unrolled: 1-line block ×3, first 2 shown]
	s_mov_b64 exec, s[0:1]
	s_waitcnt vmcnt(0) lgkmcnt(0)
	s_setpc_b64 s[30:31]
.LBB685_1122:
	v_mov_b32_e32 v7, 0
	v_lshl_add_u64 v[8:9], v[8:9], 0, v[6:7]
	flat_load_ubyte v7, v[8:9] offset:768
	s_mov_b32 s10, 0xffff
	s_waitcnt vmcnt(0) lgkmcnt(0)
	v_lshlrev_b16_e32 v7, 8, v7
	v_or_b32_sdwa v7, v12, v7 dst_sel:WORD_1 dst_unused:UNUSED_PAD src0_sel:WORD_1 src1_sel:DWORD
	s_nop 0
	v_and_or_b32 v12, v12, s10, v7
	s_or_b64 exec, exec, s[8:9]
	v_mov_b32_e32 v7, v12
	s_and_saveexec_b64 s[8:9], s[2:3]
	s_cbranch_execz .LBB685_91
.LBB685_1123:
	v_lshrrev_b32_e32 v7, 8, v12
	s_movk_i32 s2, 0xcd
	v_mul_lo_u16_sdwa v8, v7, s2 dst_sel:DWORD dst_unused:UNUSED_PAD src0_sel:BYTE_0 src1_sel:DWORD
	v_lshrrev_b16_e32 v8, 11, v8
	v_mul_lo_u16_e32 v8, 10, v8
	v_sub_u16_e32 v7, v7, v8
	v_mul_lo_u16_sdwa v8, v12, s2 dst_sel:DWORD dst_unused:UNUSED_PAD src0_sel:BYTE_0 src1_sel:DWORD
	v_lshrrev_b16_e32 v8, 11, v8
	v_mul_lo_u16_e32 v8, 10, v8
	v_sub_u16_e32 v8, v12, v8
	v_add_u16_e32 v7, v7, v8
	v_add_u16_e32 v8, -10, v7
	v_min_u16_sdwa v7, v7, v8 dst_sel:DWORD dst_unused:UNUSED_PAD src0_sel:BYTE_0 src1_sel:BYTE_0
	s_or_b64 exec, exec, s[8:9]
	s_and_saveexec_b64 s[2:3], s[0:1]
	s_cbranch_execz .LBB685_92
.LBB685_1124:
	s_movk_i32 s0, 0xff
	v_and_b32_sdwa v8, v12, s0 dst_sel:DWORD dst_unused:UNUSED_PAD src0_sel:WORD_1 src1_sel:DWORD
	s_movk_i32 s0, 0xcd
	v_mul_lo_u16_e32 v8, 0xcd, v8
	v_mul_lo_u16_sdwa v9, v7, s0 dst_sel:DWORD dst_unused:UNUSED_PAD src0_sel:BYTE_0 src1_sel:DWORD
	v_lshrrev_b16_e32 v8, 11, v8
	v_lshrrev_b16_e32 v9, 11, v9
	v_mul_lo_u16_e32 v8, 10, v8
	v_mul_lo_u16_e32 v9, 10, v9
	v_sub_u16_sdwa v8, v12, v8 dst_sel:DWORD dst_unused:UNUSED_PAD src0_sel:WORD_1 src1_sel:DWORD
	v_sub_u16_e32 v7, v7, v9
	v_add_u16_e32 v7, v7, v8
	v_add_u16_e32 v8, -10, v7
	v_min_u16_sdwa v7, v7, v8 dst_sel:DWORD dst_unused:UNUSED_PAD src0_sel:BYTE_0 src1_sel:BYTE_0
	s_or_b64 exec, exec, s[2:3]
	s_and_saveexec_b64 s[0:1], vcc
	s_cbranch_execnz .LBB685_93
	s_branch .LBB685_94
.LBB685_1125:
	v_mov_b32_e32 v7, 0
	v_lshl_add_u64 v[10:11], v[10:11], 0, v[6:7]
	flat_load_ubyte v7, v[10:11] offset:1792
	s_mov_b32 s20, 0x60504
	s_waitcnt vmcnt(0) lgkmcnt(0)
	v_perm_b32 v9, v9, v7, s20
	s_or_b64 exec, exec, s[18:19]
	v_mov_b32_e32 v7, v8
	s_and_saveexec_b64 s[18:19], s[0:1]
	s_cbranch_execz .LBB685_143
.LBB685_1126:
	v_lshrrev_b32_e32 v7, 8, v8
	s_movk_i32 s0, 0xcd
	v_mul_lo_u16_sdwa v10, v7, s0 dst_sel:DWORD dst_unused:UNUSED_PAD src0_sel:BYTE_0 src1_sel:DWORD
	v_lshrrev_b16_e32 v10, 11, v10
	v_mul_lo_u16_e32 v10, 10, v10
	v_sub_u16_e32 v7, v7, v10
	v_mul_lo_u16_sdwa v10, v8, s0 dst_sel:DWORD dst_unused:UNUSED_PAD src0_sel:BYTE_0 src1_sel:DWORD
	v_lshrrev_b16_e32 v10, 11, v10
	v_mul_lo_u16_e32 v10, 10, v10
	v_sub_u16_e32 v10, v8, v10
	v_add_u16_e32 v7, v7, v10
	v_add_u16_e32 v10, -10, v7
	v_min_u16_sdwa v7, v7, v10 dst_sel:DWORD dst_unused:UNUSED_PAD src0_sel:BYTE_0 src1_sel:BYTE_0
	s_or_b64 exec, exec, s[18:19]
	s_and_saveexec_b64 s[0:1], vcc
	s_cbranch_execz .LBB685_144
.LBB685_1127:
	s_movk_i32 s18, 0xff
	v_and_b32_sdwa v10, v8, s18 dst_sel:DWORD dst_unused:UNUSED_PAD src0_sel:WORD_1 src1_sel:DWORD
	s_movk_i32 s18, 0xcd
	v_mul_lo_u16_e32 v10, 0xcd, v10
	v_mul_lo_u16_sdwa v11, v7, s18 dst_sel:DWORD dst_unused:UNUSED_PAD src0_sel:BYTE_0 src1_sel:DWORD
	v_lshrrev_b16_e32 v10, 11, v10
	v_lshrrev_b16_e32 v11, 11, v11
	v_mul_lo_u16_e32 v10, 10, v10
	v_mul_lo_u16_e32 v11, 10, v11
	v_sub_u16_sdwa v10, v8, v10 dst_sel:DWORD dst_unused:UNUSED_PAD src0_sel:WORD_1 src1_sel:DWORD
	v_sub_u16_e32 v7, v7, v11
	v_add_u16_e32 v7, v7, v10
	v_add_u16_e32 v10, -10, v7
	v_min_u16_sdwa v7, v7, v10 dst_sel:DWORD dst_unused:UNUSED_PAD src0_sel:BYTE_0 src1_sel:BYTE_0
	s_or_b64 exec, exec, s[0:1]
	s_and_saveexec_b64 s[0:1], s[2:3]
	s_cbranch_execz .LBB685_145
.LBB685_1128:
	v_lshrrev_b64 v[10:11], 24, v[8:9]
	s_movk_i32 s2, 0xcd
	v_mul_lo_u16_sdwa v8, v10, s2 dst_sel:DWORD dst_unused:UNUSED_PAD src0_sel:BYTE_0 src1_sel:DWORD
	v_lshrrev_b16_e32 v8, 11, v8
	v_mul_lo_u16_e32 v8, 10, v8
	v_sub_u16_e32 v8, v10, v8
	v_mul_lo_u16_sdwa v10, v7, s2 dst_sel:DWORD dst_unused:UNUSED_PAD src0_sel:BYTE_0 src1_sel:DWORD
	v_lshrrev_b16_e32 v10, 11, v10
	v_mul_lo_u16_e32 v10, 10, v10
	v_sub_u16_e32 v7, v7, v10
	v_add_u16_e32 v7, v7, v8
	v_add_u16_e32 v8, -10, v7
	v_min_u16_sdwa v7, v7, v8 dst_sel:DWORD dst_unused:UNUSED_PAD src0_sel:BYTE_0 src1_sel:BYTE_0
	s_or_b64 exec, exec, s[0:1]
	s_and_saveexec_b64 s[0:1], s[4:5]
	s_cbranch_execz .LBB685_146
.LBB685_1129:
	s_movk_i32 s2, 0xcd
	v_mul_lo_u16_sdwa v8, v9, s2 dst_sel:DWORD dst_unused:UNUSED_PAD src0_sel:BYTE_0 src1_sel:DWORD
	v_mul_lo_u16_sdwa v10, v7, s2 dst_sel:DWORD dst_unused:UNUSED_PAD src0_sel:BYTE_0 src1_sel:DWORD
	v_lshrrev_b16_e32 v8, 11, v8
	v_lshrrev_b16_e32 v10, 11, v10
	v_mul_lo_u16_e32 v8, 10, v8
	v_mul_lo_u16_e32 v10, 10, v10
	v_sub_u16_e32 v8, v9, v8
	v_sub_u16_e32 v7, v7, v10
	v_add_u16_e32 v7, v7, v8
	v_add_u16_e32 v8, -10, v7
	v_min_u16_sdwa v7, v7, v8 dst_sel:DWORD dst_unused:UNUSED_PAD src0_sel:BYTE_0 src1_sel:BYTE_0
	s_or_b64 exec, exec, s[0:1]
	s_and_saveexec_b64 s[0:1], s[8:9]
	s_cbranch_execz .LBB685_147
.LBB685_1130:
	v_lshrrev_b32_e32 v8, 8, v9
	s_movk_i32 s2, 0xcd
	v_mul_lo_u16_sdwa v10, v8, s2 dst_sel:DWORD dst_unused:UNUSED_PAD src0_sel:BYTE_0 src1_sel:DWORD
	v_lshrrev_b16_e32 v10, 11, v10
	v_mul_lo_u16_e32 v10, 10, v10
	v_sub_u16_e32 v8, v8, v10
	v_mul_lo_u16_sdwa v10, v7, s2 dst_sel:DWORD dst_unused:UNUSED_PAD src0_sel:BYTE_0 src1_sel:DWORD
	v_lshrrev_b16_e32 v10, 11, v10
	v_mul_lo_u16_e32 v10, 10, v10
	v_sub_u16_e32 v7, v7, v10
	v_add_u16_e32 v7, v7, v8
	v_add_u16_e32 v8, -10, v7
	v_min_u16_sdwa v7, v7, v8 dst_sel:DWORD dst_unused:UNUSED_PAD src0_sel:BYTE_0 src1_sel:BYTE_0
	s_or_b64 exec, exec, s[0:1]
	s_and_saveexec_b64 s[0:1], s[10:11]
	s_cbranch_execz .LBB685_148
.LBB685_1131:
	s_movk_i32 s2, 0xff
	v_and_b32_sdwa v8, v9, s2 dst_sel:DWORD dst_unused:UNUSED_PAD src0_sel:WORD_1 src1_sel:DWORD
	s_movk_i32 s2, 0xcd
	v_mul_lo_u16_e32 v8, 0xcd, v8
	v_mul_lo_u16_sdwa v10, v7, s2 dst_sel:DWORD dst_unused:UNUSED_PAD src0_sel:BYTE_0 src1_sel:DWORD
	v_lshrrev_b16_e32 v8, 11, v8
	v_lshrrev_b16_e32 v10, 11, v10
	v_mul_lo_u16_e32 v8, 10, v8
	v_mul_lo_u16_e32 v10, 10, v10
	v_sub_u16_sdwa v8, v9, v8 dst_sel:DWORD dst_unused:UNUSED_PAD src0_sel:WORD_1 src1_sel:DWORD
	v_sub_u16_e32 v7, v7, v10
	v_add_u16_e32 v7, v7, v8
	v_add_u16_e32 v8, -10, v7
	v_min_u16_sdwa v7, v7, v8 dst_sel:DWORD dst_unused:UNUSED_PAD src0_sel:BYTE_0 src1_sel:BYTE_0
	s_or_b64 exec, exec, s[0:1]
	s_and_saveexec_b64 s[0:1], s[6:7]
	s_cbranch_execnz .LBB685_149
	s_branch .LBB685_150
.LBB685_1132:
	v_mov_b32_e32 v11, 0
	v_lshl_add_u64 v[12:13], v[12:13], 0, v[10:11]
	flat_load_ubyte v11, v[12:13] offset:3840
	s_mov_b32 s46, 0x60504
	s_waitcnt vmcnt(0) lgkmcnt(0)
	v_perm_b32 v5, v5, v11, s46
	s_or_b64 exec, exec, s[44:45]
	v_mov_b32_e32 v11, v2
	s_and_saveexec_b64 s[44:45], vcc
	s_cbranch_execz .LBB685_215
.LBB685_1133:
	v_lshrrev_b32_e32 v11, 8, v2
	s_movk_i32 s46, 0xcd
	v_mul_lo_u16_sdwa v12, v11, s46 dst_sel:DWORD dst_unused:UNUSED_PAD src0_sel:BYTE_0 src1_sel:DWORD
	v_lshrrev_b16_e32 v12, 11, v12
	v_mul_lo_u16_e32 v12, 10, v12
	v_sub_u16_e32 v11, v11, v12
	v_mul_lo_u16_sdwa v12, v2, s46 dst_sel:DWORD dst_unused:UNUSED_PAD src0_sel:BYTE_0 src1_sel:DWORD
	v_lshrrev_b16_e32 v12, 11, v12
	v_mul_lo_u16_e32 v12, 10, v12
	v_sub_u16_e32 v12, v2, v12
	v_add_u16_e32 v11, v11, v12
	v_add_u16_e32 v12, -10, v11
	v_min_u16_sdwa v11, v11, v12 dst_sel:DWORD dst_unused:UNUSED_PAD src0_sel:BYTE_0 src1_sel:BYTE_0
	s_or_b64 exec, exec, s[44:45]
	s_and_saveexec_b64 s[44:45], s[2:3]
	s_cbranch_execz .LBB685_216
.LBB685_1134:
	s_movk_i32 s2, 0xff
	v_and_b32_sdwa v12, v2, s2 dst_sel:DWORD dst_unused:UNUSED_PAD src0_sel:WORD_1 src1_sel:DWORD
	s_movk_i32 s2, 0xcd
	v_mul_lo_u16_e32 v12, 0xcd, v12
	v_mul_lo_u16_sdwa v13, v11, s2 dst_sel:DWORD dst_unused:UNUSED_PAD src0_sel:BYTE_0 src1_sel:DWORD
	v_lshrrev_b16_e32 v12, 11, v12
	v_lshrrev_b16_e32 v13, 11, v13
	v_mul_lo_u16_e32 v12, 10, v12
	v_mul_lo_u16_e32 v13, 10, v13
	v_sub_u16_sdwa v12, v2, v12 dst_sel:DWORD dst_unused:UNUSED_PAD src0_sel:WORD_1 src1_sel:DWORD
	v_sub_u16_e32 v11, v11, v13
	v_add_u16_e32 v11, v11, v12
	v_add_u16_e32 v12, -10, v11
	v_min_u16_sdwa v11, v11, v12 dst_sel:DWORD dst_unused:UNUSED_PAD src0_sel:BYTE_0 src1_sel:BYTE_0
	s_or_b64 exec, exec, s[44:45]
	s_and_saveexec_b64 s[2:3], s[4:5]
	s_cbranch_execz .LBB685_217
.LBB685_1135:
	v_lshrrev_b64 v[12:13], 24, v[2:3]
	s_movk_i32 s4, 0xcd
	v_mul_lo_u16_sdwa v2, v12, s4 dst_sel:DWORD dst_unused:UNUSED_PAD src0_sel:BYTE_0 src1_sel:DWORD
	v_lshrrev_b16_e32 v2, 11, v2
	v_mul_lo_u16_e32 v2, 10, v2
	v_sub_u16_e32 v2, v12, v2
	v_mul_lo_u16_sdwa v12, v11, s4 dst_sel:DWORD dst_unused:UNUSED_PAD src0_sel:BYTE_0 src1_sel:DWORD
	v_lshrrev_b16_e32 v12, 11, v12
	v_mul_lo_u16_e32 v12, 10, v12
	v_sub_u16_e32 v11, v11, v12
	v_add_u16_e32 v2, v11, v2
	v_add_u16_e32 v11, -10, v2
	v_min_u16_sdwa v11, v2, v11 dst_sel:DWORD dst_unused:UNUSED_PAD src0_sel:BYTE_0 src1_sel:BYTE_0
	s_or_b64 exec, exec, s[2:3]
	s_and_saveexec_b64 s[2:3], s[0:1]
	s_cbranch_execz .LBB685_218
.LBB685_1136:
	s_movk_i32 s0, 0xcd
	v_mul_lo_u16_sdwa v2, v3, s0 dst_sel:DWORD dst_unused:UNUSED_PAD src0_sel:BYTE_0 src1_sel:DWORD
	v_mul_lo_u16_sdwa v12, v11, s0 dst_sel:DWORD dst_unused:UNUSED_PAD src0_sel:BYTE_0 src1_sel:DWORD
	v_lshrrev_b16_e32 v2, 11, v2
	v_lshrrev_b16_e32 v12, 11, v12
	v_mul_lo_u16_e32 v2, 10, v2
	v_mul_lo_u16_e32 v12, 10, v12
	v_sub_u16_e32 v2, v3, v2
	v_sub_u16_e32 v11, v11, v12
	v_add_u16_e32 v2, v11, v2
	v_add_u16_e32 v11, -10, v2
	v_min_u16_sdwa v11, v2, v11 dst_sel:DWORD dst_unused:UNUSED_PAD src0_sel:BYTE_0 src1_sel:BYTE_0
	s_or_b64 exec, exec, s[2:3]
	s_and_saveexec_b64 s[0:1], s[6:7]
	s_cbranch_execz .LBB685_219
.LBB685_1137:
	v_lshrrev_b32_e32 v2, 8, v3
	s_movk_i32 s2, 0xcd
	v_mul_lo_u16_sdwa v12, v2, s2 dst_sel:DWORD dst_unused:UNUSED_PAD src0_sel:BYTE_0 src1_sel:DWORD
	v_lshrrev_b16_e32 v12, 11, v12
	v_mul_lo_u16_e32 v12, 10, v12
	v_sub_u16_e32 v2, v2, v12
	v_mul_lo_u16_sdwa v12, v11, s2 dst_sel:DWORD dst_unused:UNUSED_PAD src0_sel:BYTE_0 src1_sel:DWORD
	v_lshrrev_b16_e32 v12, 11, v12
	v_mul_lo_u16_e32 v12, 10, v12
	v_sub_u16_e32 v11, v11, v12
	v_add_u16_e32 v2, v11, v2
	v_add_u16_e32 v11, -10, v2
	v_min_u16_sdwa v11, v2, v11 dst_sel:DWORD dst_unused:UNUSED_PAD src0_sel:BYTE_0 src1_sel:BYTE_0
	s_or_b64 exec, exec, s[0:1]
	s_and_saveexec_b64 s[0:1], s[8:9]
	s_cbranch_execz .LBB685_220
.LBB685_1138:
	s_movk_i32 s2, 0xff
	v_and_b32_sdwa v2, v3, s2 dst_sel:DWORD dst_unused:UNUSED_PAD src0_sel:WORD_1 src1_sel:DWORD
	s_movk_i32 s2, 0xcd
	v_mul_lo_u16_e32 v2, 0xcd, v2
	v_mul_lo_u16_sdwa v12, v11, s2 dst_sel:DWORD dst_unused:UNUSED_PAD src0_sel:BYTE_0 src1_sel:DWORD
	v_lshrrev_b16_e32 v2, 11, v2
	v_lshrrev_b16_e32 v12, 11, v12
	v_mul_lo_u16_e32 v2, 10, v2
	v_mul_lo_u16_e32 v12, 10, v12
	v_sub_u16_sdwa v2, v3, v2 dst_sel:DWORD dst_unused:UNUSED_PAD src0_sel:WORD_1 src1_sel:DWORD
	v_sub_u16_e32 v11, v11, v12
	v_add_u16_e32 v2, v11, v2
	v_add_u16_e32 v11, -10, v2
	v_min_u16_sdwa v11, v2, v11 dst_sel:DWORD dst_unused:UNUSED_PAD src0_sel:BYTE_0 src1_sel:BYTE_0
	s_or_b64 exec, exec, s[0:1]
	s_and_saveexec_b64 s[0:1], s[10:11]
	s_cbranch_execz .LBB685_221
.LBB685_1139:
	s_movk_i32 s2, 0xcd
	v_mul_lo_u16_sdwa v2, v3, s2 dst_sel:DWORD dst_unused:UNUSED_PAD src0_sel:BYTE_3 src1_sel:DWORD
	v_lshrrev_b16_e32 v2, 11, v2
	v_mul_lo_u16_e32 v2, 10, v2
	v_sub_u16_sdwa v2, v3, v2 dst_sel:DWORD dst_unused:UNUSED_PAD src0_sel:BYTE_3 src1_sel:DWORD
	v_mul_lo_u16_sdwa v3, v11, s2 dst_sel:DWORD dst_unused:UNUSED_PAD src0_sel:BYTE_0 src1_sel:DWORD
	v_lshrrev_b16_e32 v3, 11, v3
	v_mul_lo_u16_e32 v3, 10, v3
	v_sub_u16_e32 v3, v11, v3
	v_add_u16_e32 v2, v3, v2
	v_add_u16_e32 v3, -10, v2
	v_min_u16_sdwa v11, v2, v3 dst_sel:DWORD dst_unused:UNUSED_PAD src0_sel:BYTE_0 src1_sel:BYTE_0
	s_or_b64 exec, exec, s[0:1]
	s_and_saveexec_b64 s[0:1], s[14:15]
	s_cbranch_execz .LBB685_222
.LBB685_1140:
	s_movk_i32 s2, 0xcd
	v_mul_lo_u16_sdwa v2, v4, s2 dst_sel:DWORD dst_unused:UNUSED_PAD src0_sel:BYTE_0 src1_sel:DWORD
	v_mul_lo_u16_sdwa v3, v11, s2 dst_sel:DWORD dst_unused:UNUSED_PAD src0_sel:BYTE_0 src1_sel:DWORD
	v_lshrrev_b16_e32 v2, 11, v2
	v_lshrrev_b16_e32 v3, 11, v3
	v_mul_lo_u16_e32 v2, 10, v2
	v_mul_lo_u16_e32 v3, 10, v3
	v_sub_u16_e32 v2, v4, v2
	v_sub_u16_e32 v3, v11, v3
	v_add_u16_e32 v2, v3, v2
	v_add_u16_e32 v3, -10, v2
	v_min_u16_sdwa v11, v2, v3 dst_sel:DWORD dst_unused:UNUSED_PAD src0_sel:BYTE_0 src1_sel:BYTE_0
	s_or_b64 exec, exec, s[0:1]
	s_and_saveexec_b64 s[0:1], s[16:17]
	s_cbranch_execz .LBB685_223
.LBB685_1141:
	v_lshrrev_b32_e32 v2, 8, v4
	s_movk_i32 s2, 0xcd
	v_mul_lo_u16_sdwa v3, v2, s2 dst_sel:DWORD dst_unused:UNUSED_PAD src0_sel:BYTE_0 src1_sel:DWORD
	v_lshrrev_b16_e32 v3, 11, v3
	v_mul_lo_u16_e32 v3, 10, v3
	v_sub_u16_e32 v2, v2, v3
	v_mul_lo_u16_sdwa v3, v11, s2 dst_sel:DWORD dst_unused:UNUSED_PAD src0_sel:BYTE_0 src1_sel:DWORD
	v_lshrrev_b16_e32 v3, 11, v3
	v_mul_lo_u16_e32 v3, 10, v3
	v_sub_u16_e32 v3, v11, v3
	v_add_u16_e32 v2, v3, v2
	v_add_u16_e32 v3, -10, v2
	v_min_u16_sdwa v11, v2, v3 dst_sel:DWORD dst_unused:UNUSED_PAD src0_sel:BYTE_0 src1_sel:BYTE_0
	s_or_b64 exec, exec, s[0:1]
	s_and_saveexec_b64 s[0:1], s[20:21]
	s_cbranch_execz .LBB685_224
.LBB685_1142:
	s_movk_i32 s2, 0xff
	v_and_b32_sdwa v2, v4, s2 dst_sel:DWORD dst_unused:UNUSED_PAD src0_sel:WORD_1 src1_sel:DWORD
	s_movk_i32 s2, 0xcd
	v_mul_lo_u16_e32 v2, 0xcd, v2
	v_mul_lo_u16_sdwa v3, v11, s2 dst_sel:DWORD dst_unused:UNUSED_PAD src0_sel:BYTE_0 src1_sel:DWORD
	v_lshrrev_b16_e32 v2, 11, v2
	v_lshrrev_b16_e32 v3, 11, v3
	v_mul_lo_u16_e32 v2, 10, v2
	v_mul_lo_u16_e32 v3, 10, v3
	v_sub_u16_sdwa v2, v4, v2 dst_sel:DWORD dst_unused:UNUSED_PAD src0_sel:WORD_1 src1_sel:DWORD
	v_sub_u16_e32 v3, v11, v3
	v_add_u16_e32 v2, v3, v2
	v_add_u16_e32 v3, -10, v2
	v_min_u16_sdwa v11, v2, v3 dst_sel:DWORD dst_unused:UNUSED_PAD src0_sel:BYTE_0 src1_sel:BYTE_0
	s_or_b64 exec, exec, s[0:1]
	s_and_saveexec_b64 s[0:1], s[22:23]
	s_cbranch_execz .LBB685_225
.LBB685_1143:
	v_lshrrev_b64 v[2:3], 24, v[4:5]
	s_movk_i32 s2, 0xcd
	v_mul_lo_u16_sdwa v3, v2, s2 dst_sel:DWORD dst_unused:UNUSED_PAD src0_sel:BYTE_0 src1_sel:DWORD
	v_lshrrev_b16_e32 v3, 11, v3
	v_mul_lo_u16_e32 v3, 10, v3
	v_sub_u16_e32 v2, v2, v3
	v_mul_lo_u16_sdwa v3, v11, s2 dst_sel:DWORD dst_unused:UNUSED_PAD src0_sel:BYTE_0 src1_sel:DWORD
	v_lshrrev_b16_e32 v3, 11, v3
	v_mul_lo_u16_e32 v3, 10, v3
	v_sub_u16_e32 v3, v11, v3
	v_add_u16_e32 v2, v3, v2
	v_add_u16_e32 v3, -10, v2
	v_min_u16_sdwa v11, v2, v3 dst_sel:DWORD dst_unused:UNUSED_PAD src0_sel:BYTE_0 src1_sel:BYTE_0
	s_or_b64 exec, exec, s[0:1]
	s_and_saveexec_b64 s[0:1], s[18:19]
	s_cbranch_execz .LBB685_226
.LBB685_1144:
	s_movk_i32 s2, 0xcd
	v_mul_lo_u16_sdwa v2, v5, s2 dst_sel:DWORD dst_unused:UNUSED_PAD src0_sel:BYTE_0 src1_sel:DWORD
	v_mul_lo_u16_sdwa v3, v11, s2 dst_sel:DWORD dst_unused:UNUSED_PAD src0_sel:BYTE_0 src1_sel:DWORD
	v_lshrrev_b16_e32 v2, 11, v2
	v_lshrrev_b16_e32 v3, 11, v3
	v_mul_lo_u16_e32 v2, 10, v2
	v_mul_lo_u16_e32 v3, 10, v3
	v_sub_u16_e32 v2, v5, v2
	v_sub_u16_e32 v3, v11, v3
	v_add_u16_e32 v2, v3, v2
	v_add_u16_e32 v3, -10, v2
	v_min_u16_sdwa v11, v2, v3 dst_sel:DWORD dst_unused:UNUSED_PAD src0_sel:BYTE_0 src1_sel:BYTE_0
	s_or_b64 exec, exec, s[0:1]
	s_and_saveexec_b64 s[0:1], s[24:25]
	s_cbranch_execz .LBB685_227
.LBB685_1145:
	v_lshrrev_b32_e32 v2, 8, v5
	s_movk_i32 s2, 0xcd
	v_mul_lo_u16_sdwa v3, v2, s2 dst_sel:DWORD dst_unused:UNUSED_PAD src0_sel:BYTE_0 src1_sel:DWORD
	v_lshrrev_b16_e32 v3, 11, v3
	v_mul_lo_u16_e32 v3, 10, v3
	v_sub_u16_e32 v2, v2, v3
	v_mul_lo_u16_sdwa v3, v11, s2 dst_sel:DWORD dst_unused:UNUSED_PAD src0_sel:BYTE_0 src1_sel:DWORD
	v_lshrrev_b16_e32 v3, 11, v3
	v_mul_lo_u16_e32 v3, 10, v3
	v_sub_u16_e32 v3, v11, v3
	v_add_u16_e32 v2, v3, v2
	v_add_u16_e32 v3, -10, v2
	v_min_u16_sdwa v11, v2, v3 dst_sel:DWORD dst_unused:UNUSED_PAD src0_sel:BYTE_0 src1_sel:BYTE_0
	s_or_b64 exec, exec, s[0:1]
	s_and_saveexec_b64 s[0:1], s[26:27]
	s_cbranch_execz .LBB685_228
.LBB685_1146:
	s_movk_i32 s2, 0xff
	v_and_b32_sdwa v2, v5, s2 dst_sel:DWORD dst_unused:UNUSED_PAD src0_sel:WORD_1 src1_sel:DWORD
	s_movk_i32 s2, 0xcd
	v_mul_lo_u16_e32 v2, 0xcd, v2
	v_mul_lo_u16_sdwa v3, v11, s2 dst_sel:DWORD dst_unused:UNUSED_PAD src0_sel:BYTE_0 src1_sel:DWORD
	v_lshrrev_b16_e32 v2, 11, v2
	v_lshrrev_b16_e32 v3, 11, v3
	v_mul_lo_u16_e32 v2, 10, v2
	v_mul_lo_u16_e32 v3, 10, v3
	v_sub_u16_sdwa v2, v5, v2 dst_sel:DWORD dst_unused:UNUSED_PAD src0_sel:WORD_1 src1_sel:DWORD
	v_sub_u16_e32 v3, v11, v3
	v_add_u16_e32 v2, v3, v2
	v_add_u16_e32 v3, -10, v2
	v_min_u16_sdwa v11, v2, v3 dst_sel:DWORD dst_unused:UNUSED_PAD src0_sel:BYTE_0 src1_sel:BYTE_0
	s_or_b64 exec, exec, s[0:1]
	s_and_saveexec_b64 s[0:1], s[28:29]
	s_cbranch_execnz .LBB685_229
	s_branch .LBB685_230
.LBB685_1147:
	v_mov_b32_e32 v19, 0
	v_lshl_add_u64 v[16:17], v[16:17], 0, v[18:19]
	flat_load_ubyte v15, v[16:17]
	s_mov_b32 s38, 0x60504
	s_waitcnt vmcnt(0) lgkmcnt(0)
	v_perm_b32 v9, v9, v15, s38
	s_or_b64 exec, exec, s[36:37]
	v_mov_b32_e32 v15, v2
	s_and_saveexec_b64 s[36:37], vcc
	s_cbranch_execz .LBB685_327
.LBB685_1148:
	v_lshrrev_b32_e32 v15, 8, v2
	s_movk_i32 vcc_lo, 0xcd
	v_mul_lo_u16_sdwa v16, v15, vcc_lo dst_sel:DWORD dst_unused:UNUSED_PAD src0_sel:BYTE_0 src1_sel:DWORD
	v_lshrrev_b16_e32 v16, 11, v16
	v_mul_lo_u16_e32 v16, 10, v16
	v_sub_u16_e32 v15, v15, v16
	v_mul_lo_u16_sdwa v16, v2, vcc_lo dst_sel:DWORD dst_unused:UNUSED_PAD src0_sel:BYTE_0 src1_sel:DWORD
	v_lshrrev_b16_e32 v16, 11, v16
	v_mul_lo_u16_e32 v16, 10, v16
	v_sub_u16_e32 v16, v2, v16
	v_add_u16_e32 v15, v15, v16
	v_add_u16_e32 v16, -10, v15
	v_min_u16_sdwa v15, v15, v16 dst_sel:DWORD dst_unused:UNUSED_PAD src0_sel:BYTE_0 src1_sel:BYTE_0
	s_or_b64 exec, exec, s[36:37]
	s_and_saveexec_b64 vcc, s[0:1]
	s_cbranch_execz .LBB685_328
.LBB685_1149:
	s_movk_i32 s0, 0xff
	v_and_b32_sdwa v16, v2, s0 dst_sel:DWORD dst_unused:UNUSED_PAD src0_sel:WORD_1 src1_sel:DWORD
	s_movk_i32 s0, 0xcd
	v_mul_lo_u16_e32 v16, 0xcd, v16
	v_mul_lo_u16_sdwa v17, v15, s0 dst_sel:DWORD dst_unused:UNUSED_PAD src0_sel:BYTE_0 src1_sel:DWORD
	v_lshrrev_b16_e32 v16, 11, v16
	v_lshrrev_b16_e32 v17, 11, v17
	v_mul_lo_u16_e32 v16, 10, v16
	v_mul_lo_u16_e32 v17, 10, v17
	v_sub_u16_sdwa v16, v2, v16 dst_sel:DWORD dst_unused:UNUSED_PAD src0_sel:WORD_1 src1_sel:DWORD
	v_sub_u16_e32 v15, v15, v17
	v_add_u16_e32 v15, v15, v16
	v_add_u16_e32 v16, -10, v15
	v_min_u16_sdwa v15, v15, v16 dst_sel:DWORD dst_unused:UNUSED_PAD src0_sel:BYTE_0 src1_sel:BYTE_0
	s_or_b64 exec, exec, vcc
	s_and_saveexec_b64 s[0:1], s[2:3]
	s_cbranch_execz .LBB685_329
.LBB685_1150:
	v_lshrrev_b64 v[16:17], 24, v[2:3]
	s_movk_i32 s2, 0xcd
	v_mul_lo_u16_sdwa v2, v16, s2 dst_sel:DWORD dst_unused:UNUSED_PAD src0_sel:BYTE_0 src1_sel:DWORD
	v_lshrrev_b16_e32 v2, 11, v2
	v_mul_lo_u16_e32 v2, 10, v2
	v_sub_u16_e32 v2, v16, v2
	v_mul_lo_u16_sdwa v16, v15, s2 dst_sel:DWORD dst_unused:UNUSED_PAD src0_sel:BYTE_0 src1_sel:DWORD
	v_lshrrev_b16_e32 v16, 11, v16
	v_mul_lo_u16_e32 v16, 10, v16
	v_sub_u16_e32 v15, v15, v16
	v_add_u16_e32 v2, v15, v2
	v_add_u16_e32 v15, -10, v2
	v_min_u16_sdwa v15, v2, v15 dst_sel:DWORD dst_unused:UNUSED_PAD src0_sel:BYTE_0 src1_sel:BYTE_0
	s_or_b64 exec, exec, s[0:1]
	s_and_saveexec_b64 s[0:1], s[4:5]
	s_cbranch_execz .LBB685_330
.LBB685_1151:
	s_movk_i32 s2, 0xcd
	v_mul_lo_u16_sdwa v2, v3, s2 dst_sel:DWORD dst_unused:UNUSED_PAD src0_sel:BYTE_0 src1_sel:DWORD
	v_mul_lo_u16_sdwa v16, v15, s2 dst_sel:DWORD dst_unused:UNUSED_PAD src0_sel:BYTE_0 src1_sel:DWORD
	v_lshrrev_b16_e32 v2, 11, v2
	v_lshrrev_b16_e32 v16, 11, v16
	v_mul_lo_u16_e32 v2, 10, v2
	v_mul_lo_u16_e32 v16, 10, v16
	v_sub_u16_e32 v2, v3, v2
	v_sub_u16_e32 v15, v15, v16
	v_add_u16_e32 v2, v15, v2
	v_add_u16_e32 v15, -10, v2
	v_min_u16_sdwa v15, v2, v15 dst_sel:DWORD dst_unused:UNUSED_PAD src0_sel:BYTE_0 src1_sel:BYTE_0
	s_or_b64 exec, exec, s[0:1]
	s_and_saveexec_b64 s[0:1], s[6:7]
	s_cbranch_execz .LBB685_331
.LBB685_1152:
	v_lshrrev_b32_e32 v2, 8, v3
	s_movk_i32 s2, 0xcd
	v_mul_lo_u16_sdwa v16, v2, s2 dst_sel:DWORD dst_unused:UNUSED_PAD src0_sel:BYTE_0 src1_sel:DWORD
	v_lshrrev_b16_e32 v16, 11, v16
	v_mul_lo_u16_e32 v16, 10, v16
	v_sub_u16_e32 v2, v2, v16
	v_mul_lo_u16_sdwa v16, v15, s2 dst_sel:DWORD dst_unused:UNUSED_PAD src0_sel:BYTE_0 src1_sel:DWORD
	v_lshrrev_b16_e32 v16, 11, v16
	v_mul_lo_u16_e32 v16, 10, v16
	v_sub_u16_e32 v15, v15, v16
	v_add_u16_e32 v2, v15, v2
	v_add_u16_e32 v15, -10, v2
	v_min_u16_sdwa v15, v2, v15 dst_sel:DWORD dst_unused:UNUSED_PAD src0_sel:BYTE_0 src1_sel:BYTE_0
	s_or_b64 exec, exec, s[0:1]
	s_and_saveexec_b64 s[0:1], s[8:9]
	s_cbranch_execz .LBB685_332
.LBB685_1153:
	s_movk_i32 s2, 0xff
	v_and_b32_sdwa v2, v3, s2 dst_sel:DWORD dst_unused:UNUSED_PAD src0_sel:WORD_1 src1_sel:DWORD
	s_movk_i32 s2, 0xcd
	v_mul_lo_u16_e32 v2, 0xcd, v2
	v_mul_lo_u16_sdwa v16, v15, s2 dst_sel:DWORD dst_unused:UNUSED_PAD src0_sel:BYTE_0 src1_sel:DWORD
	v_lshrrev_b16_e32 v2, 11, v2
	v_lshrrev_b16_e32 v16, 11, v16
	v_mul_lo_u16_e32 v2, 10, v2
	v_mul_lo_u16_e32 v16, 10, v16
	v_sub_u16_sdwa v2, v3, v2 dst_sel:DWORD dst_unused:UNUSED_PAD src0_sel:WORD_1 src1_sel:DWORD
	v_sub_u16_e32 v15, v15, v16
	v_add_u16_e32 v2, v15, v2
	v_add_u16_e32 v15, -10, v2
	v_min_u16_sdwa v15, v2, v15 dst_sel:DWORD dst_unused:UNUSED_PAD src0_sel:BYTE_0 src1_sel:BYTE_0
	s_or_b64 exec, exec, s[0:1]
	s_and_saveexec_b64 s[0:1], s[10:11]
	s_cbranch_execz .LBB685_333
.LBB685_1154:
	s_movk_i32 s2, 0xcd
	v_mul_lo_u16_sdwa v2, v3, s2 dst_sel:DWORD dst_unused:UNUSED_PAD src0_sel:BYTE_3 src1_sel:DWORD
	v_lshrrev_b16_e32 v2, 11, v2
	v_mul_lo_u16_e32 v2, 10, v2
	v_sub_u16_sdwa v2, v3, v2 dst_sel:DWORD dst_unused:UNUSED_PAD src0_sel:BYTE_3 src1_sel:DWORD
	v_mul_lo_u16_sdwa v3, v15, s2 dst_sel:DWORD dst_unused:UNUSED_PAD src0_sel:BYTE_0 src1_sel:DWORD
	v_lshrrev_b16_e32 v3, 11, v3
	v_mul_lo_u16_e32 v3, 10, v3
	v_sub_u16_e32 v3, v15, v3
	v_add_u16_e32 v2, v3, v2
	v_add_u16_e32 v3, -10, v2
	v_min_u16_sdwa v15, v2, v3 dst_sel:DWORD dst_unused:UNUSED_PAD src0_sel:BYTE_0 src1_sel:BYTE_0
	s_or_b64 exec, exec, s[0:1]
	s_and_saveexec_b64 s[0:1], s[14:15]
	s_cbranch_execz .LBB685_334
.LBB685_1155:
	s_movk_i32 s2, 0xcd
	v_mul_lo_u16_sdwa v2, v4, s2 dst_sel:DWORD dst_unused:UNUSED_PAD src0_sel:BYTE_0 src1_sel:DWORD
	v_mul_lo_u16_sdwa v3, v15, s2 dst_sel:DWORD dst_unused:UNUSED_PAD src0_sel:BYTE_0 src1_sel:DWORD
	v_lshrrev_b16_e32 v2, 11, v2
	v_lshrrev_b16_e32 v3, 11, v3
	v_mul_lo_u16_e32 v2, 10, v2
	v_mul_lo_u16_e32 v3, 10, v3
	v_sub_u16_e32 v2, v4, v2
	v_sub_u16_e32 v3, v15, v3
	v_add_u16_e32 v2, v3, v2
	v_add_u16_e32 v3, -10, v2
	v_min_u16_sdwa v15, v2, v3 dst_sel:DWORD dst_unused:UNUSED_PAD src0_sel:BYTE_0 src1_sel:BYTE_0
	s_or_b64 exec, exec, s[0:1]
	s_and_saveexec_b64 s[0:1], s[16:17]
	s_cbranch_execz .LBB685_335
.LBB685_1156:
	v_lshrrev_b32_e32 v2, 8, v4
	s_movk_i32 s2, 0xcd
	v_mul_lo_u16_sdwa v3, v2, s2 dst_sel:DWORD dst_unused:UNUSED_PAD src0_sel:BYTE_0 src1_sel:DWORD
	v_lshrrev_b16_e32 v3, 11, v3
	v_mul_lo_u16_e32 v3, 10, v3
	v_sub_u16_e32 v2, v2, v3
	v_mul_lo_u16_sdwa v3, v15, s2 dst_sel:DWORD dst_unused:UNUSED_PAD src0_sel:BYTE_0 src1_sel:DWORD
	v_lshrrev_b16_e32 v3, 11, v3
	v_mul_lo_u16_e32 v3, 10, v3
	v_sub_u16_e32 v3, v15, v3
	v_add_u16_e32 v2, v3, v2
	v_add_u16_e32 v3, -10, v2
	v_min_u16_sdwa v15, v2, v3 dst_sel:DWORD dst_unused:UNUSED_PAD src0_sel:BYTE_0 src1_sel:BYTE_0
	s_or_b64 exec, exec, s[0:1]
	s_and_saveexec_b64 s[0:1], s[18:19]
	s_cbranch_execz .LBB685_336
.LBB685_1157:
	s_movk_i32 s2, 0xff
	v_and_b32_sdwa v2, v4, s2 dst_sel:DWORD dst_unused:UNUSED_PAD src0_sel:WORD_1 src1_sel:DWORD
	s_movk_i32 s2, 0xcd
	v_mul_lo_u16_e32 v2, 0xcd, v2
	v_mul_lo_u16_sdwa v3, v15, s2 dst_sel:DWORD dst_unused:UNUSED_PAD src0_sel:BYTE_0 src1_sel:DWORD
	v_lshrrev_b16_e32 v2, 11, v2
	v_lshrrev_b16_e32 v3, 11, v3
	v_mul_lo_u16_e32 v2, 10, v2
	v_mul_lo_u16_e32 v3, 10, v3
	v_sub_u16_sdwa v2, v4, v2 dst_sel:DWORD dst_unused:UNUSED_PAD src0_sel:WORD_1 src1_sel:DWORD
	v_sub_u16_e32 v3, v15, v3
	v_add_u16_e32 v2, v3, v2
	v_add_u16_e32 v3, -10, v2
	v_min_u16_sdwa v15, v2, v3 dst_sel:DWORD dst_unused:UNUSED_PAD src0_sel:BYTE_0 src1_sel:BYTE_0
	s_or_b64 exec, exec, s[0:1]
	s_and_saveexec_b64 s[0:1], s[20:21]
	s_cbranch_execz .LBB685_337
.LBB685_1158:
	v_lshrrev_b64 v[2:3], 24, v[4:5]
	s_movk_i32 s2, 0xcd
	v_mul_lo_u16_sdwa v3, v2, s2 dst_sel:DWORD dst_unused:UNUSED_PAD src0_sel:BYTE_0 src1_sel:DWORD
	v_lshrrev_b16_e32 v3, 11, v3
	v_mul_lo_u16_e32 v3, 10, v3
	v_sub_u16_e32 v2, v2, v3
	v_mul_lo_u16_sdwa v3, v15, s2 dst_sel:DWORD dst_unused:UNUSED_PAD src0_sel:BYTE_0 src1_sel:DWORD
	v_lshrrev_b16_e32 v3, 11, v3
	v_mul_lo_u16_e32 v3, 10, v3
	v_sub_u16_e32 v3, v15, v3
	v_add_u16_e32 v2, v3, v2
	v_add_u16_e32 v3, -10, v2
	v_min_u16_sdwa v15, v2, v3 dst_sel:DWORD dst_unused:UNUSED_PAD src0_sel:BYTE_0 src1_sel:BYTE_0
	s_or_b64 exec, exec, s[0:1]
	s_and_saveexec_b64 s[0:1], s[22:23]
	s_cbranch_execz .LBB685_338
.LBB685_1159:
	s_movk_i32 s2, 0xcd
	v_mul_lo_u16_sdwa v2, v5, s2 dst_sel:DWORD dst_unused:UNUSED_PAD src0_sel:BYTE_0 src1_sel:DWORD
	v_mul_lo_u16_sdwa v3, v15, s2 dst_sel:DWORD dst_unused:UNUSED_PAD src0_sel:BYTE_0 src1_sel:DWORD
	v_lshrrev_b16_e32 v2, 11, v2
	v_lshrrev_b16_e32 v3, 11, v3
	v_mul_lo_u16_e32 v2, 10, v2
	v_mul_lo_u16_e32 v3, 10, v3
	v_sub_u16_e32 v2, v5, v2
	v_sub_u16_e32 v3, v15, v3
	v_add_u16_e32 v2, v3, v2
	v_add_u16_e32 v3, -10, v2
	v_min_u16_sdwa v15, v2, v3 dst_sel:DWORD dst_unused:UNUSED_PAD src0_sel:BYTE_0 src1_sel:BYTE_0
	s_or_b64 exec, exec, s[0:1]
	s_and_saveexec_b64 s[0:1], s[24:25]
	s_cbranch_execz .LBB685_339
.LBB685_1160:
	v_lshrrev_b32_e32 v2, 8, v5
	s_movk_i32 s2, 0xcd
	v_mul_lo_u16_sdwa v3, v2, s2 dst_sel:DWORD dst_unused:UNUSED_PAD src0_sel:BYTE_0 src1_sel:DWORD
	v_lshrrev_b16_e32 v3, 11, v3
	v_mul_lo_u16_e32 v3, 10, v3
	v_sub_u16_e32 v2, v2, v3
	v_mul_lo_u16_sdwa v3, v15, s2 dst_sel:DWORD dst_unused:UNUSED_PAD src0_sel:BYTE_0 src1_sel:DWORD
	v_lshrrev_b16_e32 v3, 11, v3
	v_mul_lo_u16_e32 v3, 10, v3
	v_sub_u16_e32 v3, v15, v3
	v_add_u16_e32 v2, v3, v2
	v_add_u16_e32 v3, -10, v2
	v_min_u16_sdwa v15, v2, v3 dst_sel:DWORD dst_unused:UNUSED_PAD src0_sel:BYTE_0 src1_sel:BYTE_0
	s_or_b64 exec, exec, s[0:1]
	s_and_saveexec_b64 s[0:1], s[26:27]
	s_cbranch_execz .LBB685_340
.LBB685_1161:
	s_movk_i32 s2, 0xff
	v_and_b32_sdwa v2, v5, s2 dst_sel:DWORD dst_unused:UNUSED_PAD src0_sel:WORD_1 src1_sel:DWORD
	s_movk_i32 s2, 0xcd
	v_mul_lo_u16_e32 v2, 0xcd, v2
	v_mul_lo_u16_sdwa v3, v15, s2 dst_sel:DWORD dst_unused:UNUSED_PAD src0_sel:BYTE_0 src1_sel:DWORD
	v_lshrrev_b16_e32 v2, 11, v2
	v_lshrrev_b16_e32 v3, 11, v3
	v_mul_lo_u16_e32 v2, 10, v2
	v_mul_lo_u16_e32 v3, 10, v3
	v_sub_u16_sdwa v2, v5, v2 dst_sel:DWORD dst_unused:UNUSED_PAD src0_sel:WORD_1 src1_sel:DWORD
	v_sub_u16_e32 v3, v15, v3
	v_add_u16_e32 v2, v3, v2
	v_add_u16_e32 v3, -10, v2
	v_min_u16_sdwa v15, v2, v3 dst_sel:DWORD dst_unused:UNUSED_PAD src0_sel:BYTE_0 src1_sel:BYTE_0
	s_or_b64 exec, exec, s[0:1]
	s_and_saveexec_b64 s[0:1], s[28:29]
	s_cbranch_execz .LBB685_341
.LBB685_1162:
	s_movk_i32 s2, 0xcd
	v_mul_lo_u16_sdwa v2, v5, s2 dst_sel:DWORD dst_unused:UNUSED_PAD src0_sel:BYTE_3 src1_sel:DWORD
	v_mul_lo_u16_sdwa v3, v15, s2 dst_sel:DWORD dst_unused:UNUSED_PAD src0_sel:BYTE_0 src1_sel:DWORD
	v_lshrrev_b16_e32 v2, 11, v2
	v_lshrrev_b16_e32 v3, 11, v3
	v_mul_lo_u16_e32 v2, 10, v2
	v_mul_lo_u16_e32 v3, 10, v3
	v_sub_u16_sdwa v2, v5, v2 dst_sel:DWORD dst_unused:UNUSED_PAD src0_sel:BYTE_3 src1_sel:DWORD
	v_sub_u16_e32 v3, v15, v3
	v_add_u16_e32 v2, v3, v2
	v_add_u16_e32 v3, -10, v2
	v_min_u16_sdwa v15, v2, v3 dst_sel:DWORD dst_unused:UNUSED_PAD src0_sel:BYTE_0 src1_sel:BYTE_0
	s_or_b64 exec, exec, s[0:1]
	s_and_saveexec_b64 s[0:1], s[40:41]
	s_cbranch_execz .LBB685_342
.LBB685_1163:
	s_movk_i32 s2, 0xcd
	v_mul_lo_u16_sdwa v2, v6, s2 dst_sel:DWORD dst_unused:UNUSED_PAD src0_sel:BYTE_0 src1_sel:DWORD
	v_mul_lo_u16_sdwa v3, v15, s2 dst_sel:DWORD dst_unused:UNUSED_PAD src0_sel:BYTE_0 src1_sel:DWORD
	v_lshrrev_b16_e32 v2, 11, v2
	v_lshrrev_b16_e32 v3, 11, v3
	v_mul_lo_u16_e32 v2, 10, v2
	v_mul_lo_u16_e32 v3, 10, v3
	v_sub_u16_e32 v2, v6, v2
	v_sub_u16_e32 v3, v15, v3
	v_add_u16_e32 v2, v3, v2
	v_add_u16_e32 v3, -10, v2
	v_min_u16_sdwa v15, v2, v3 dst_sel:DWORD dst_unused:UNUSED_PAD src0_sel:BYTE_0 src1_sel:BYTE_0
	s_or_b64 exec, exec, s[0:1]
	s_and_saveexec_b64 s[0:1], s[42:43]
	s_cbranch_execz .LBB685_343
.LBB685_1164:
	v_lshrrev_b32_e32 v2, 8, v6
	s_movk_i32 s2, 0xcd
	v_mul_lo_u16_sdwa v3, v2, s2 dst_sel:DWORD dst_unused:UNUSED_PAD src0_sel:BYTE_0 src1_sel:DWORD
	v_lshrrev_b16_e32 v3, 11, v3
	v_mul_lo_u16_e32 v3, 10, v3
	v_sub_u16_e32 v2, v2, v3
	v_mul_lo_u16_sdwa v3, v15, s2 dst_sel:DWORD dst_unused:UNUSED_PAD src0_sel:BYTE_0 src1_sel:DWORD
	v_lshrrev_b16_e32 v3, 11, v3
	v_mul_lo_u16_e32 v3, 10, v3
	v_sub_u16_e32 v3, v15, v3
	v_add_u16_e32 v2, v3, v2
	v_add_u16_e32 v3, -10, v2
	v_min_u16_sdwa v15, v2, v3 dst_sel:DWORD dst_unused:UNUSED_PAD src0_sel:BYTE_0 src1_sel:BYTE_0
	s_or_b64 exec, exec, s[0:1]
	s_and_saveexec_b64 s[0:1], s[44:45]
	s_cbranch_execz .LBB685_344
.LBB685_1165:
	s_movk_i32 s2, 0xff
	v_and_b32_sdwa v2, v6, s2 dst_sel:DWORD dst_unused:UNUSED_PAD src0_sel:WORD_1 src1_sel:DWORD
	s_movk_i32 s2, 0xcd
	v_mul_lo_u16_e32 v2, 0xcd, v2
	v_mul_lo_u16_sdwa v3, v15, s2 dst_sel:DWORD dst_unused:UNUSED_PAD src0_sel:BYTE_0 src1_sel:DWORD
	v_lshrrev_b16_e32 v2, 11, v2
	v_lshrrev_b16_e32 v3, 11, v3
	v_mul_lo_u16_e32 v2, 10, v2
	v_mul_lo_u16_e32 v3, 10, v3
	v_sub_u16_sdwa v2, v6, v2 dst_sel:DWORD dst_unused:UNUSED_PAD src0_sel:WORD_1 src1_sel:DWORD
	v_sub_u16_e32 v3, v15, v3
	v_add_u16_e32 v2, v3, v2
	v_add_u16_e32 v3, -10, v2
	v_min_u16_sdwa v15, v2, v3 dst_sel:DWORD dst_unused:UNUSED_PAD src0_sel:BYTE_0 src1_sel:BYTE_0
	s_or_b64 exec, exec, s[0:1]
	s_and_saveexec_b64 s[0:1], s[46:47]
	s_cbranch_execz .LBB685_345
.LBB685_1166:
	v_lshrrev_b64 v[2:3], 24, v[6:7]
	s_movk_i32 s2, 0xcd
	v_mul_lo_u16_sdwa v3, v2, s2 dst_sel:DWORD dst_unused:UNUSED_PAD src0_sel:BYTE_0 src1_sel:DWORD
	v_lshrrev_b16_e32 v3, 11, v3
	v_mul_lo_u16_e32 v3, 10, v3
	v_sub_u16_e32 v2, v2, v3
	v_mul_lo_u16_sdwa v3, v15, s2 dst_sel:DWORD dst_unused:UNUSED_PAD src0_sel:BYTE_0 src1_sel:DWORD
	v_lshrrev_b16_e32 v3, 11, v3
	v_mul_lo_u16_e32 v3, 10, v3
	v_sub_u16_e32 v3, v15, v3
	v_add_u16_e32 v2, v3, v2
	v_add_u16_e32 v3, -10, v2
	v_min_u16_sdwa v15, v2, v3 dst_sel:DWORD dst_unused:UNUSED_PAD src0_sel:BYTE_0 src1_sel:BYTE_0
	s_or_b64 exec, exec, s[0:1]
	s_and_saveexec_b64 s[0:1], s[56:57]
	s_cbranch_execz .LBB685_346
.LBB685_1167:
	s_movk_i32 s2, 0xcd
	v_mul_lo_u16_sdwa v2, v7, s2 dst_sel:DWORD dst_unused:UNUSED_PAD src0_sel:BYTE_0 src1_sel:DWORD
	v_mul_lo_u16_sdwa v3, v15, s2 dst_sel:DWORD dst_unused:UNUSED_PAD src0_sel:BYTE_0 src1_sel:DWORD
	v_lshrrev_b16_e32 v2, 11, v2
	v_lshrrev_b16_e32 v3, 11, v3
	v_mul_lo_u16_e32 v2, 10, v2
	v_mul_lo_u16_e32 v3, 10, v3
	v_sub_u16_e32 v2, v7, v2
	v_sub_u16_e32 v3, v15, v3
	v_add_u16_e32 v2, v3, v2
	v_add_u16_e32 v3, -10, v2
	v_min_u16_sdwa v15, v2, v3 dst_sel:DWORD dst_unused:UNUSED_PAD src0_sel:BYTE_0 src1_sel:BYTE_0
	s_or_b64 exec, exec, s[0:1]
	s_and_saveexec_b64 s[0:1], s[58:59]
	s_cbranch_execz .LBB685_347
.LBB685_1168:
	v_lshrrev_b32_e32 v2, 8, v7
	s_movk_i32 s2, 0xcd
	v_mul_lo_u16_sdwa v3, v2, s2 dst_sel:DWORD dst_unused:UNUSED_PAD src0_sel:BYTE_0 src1_sel:DWORD
	v_lshrrev_b16_e32 v3, 11, v3
	v_mul_lo_u16_e32 v3, 10, v3
	v_sub_u16_e32 v2, v2, v3
	v_mul_lo_u16_sdwa v3, v15, s2 dst_sel:DWORD dst_unused:UNUSED_PAD src0_sel:BYTE_0 src1_sel:DWORD
	v_lshrrev_b16_e32 v3, 11, v3
	v_mul_lo_u16_e32 v3, 10, v3
	v_sub_u16_e32 v3, v15, v3
	v_add_u16_e32 v2, v3, v2
	v_add_u16_e32 v3, -10, v2
	v_min_u16_sdwa v15, v2, v3 dst_sel:DWORD dst_unused:UNUSED_PAD src0_sel:BYTE_0 src1_sel:BYTE_0
	s_or_b64 exec, exec, s[0:1]
	s_and_saveexec_b64 s[0:1], s[60:61]
	s_cbranch_execz .LBB685_348
.LBB685_1169:
	s_movk_i32 s2, 0xff
	v_and_b32_sdwa v2, v7, s2 dst_sel:DWORD dst_unused:UNUSED_PAD src0_sel:WORD_1 src1_sel:DWORD
	s_movk_i32 s2, 0xcd
	v_mul_lo_u16_e32 v2, 0xcd, v2
	v_mul_lo_u16_sdwa v3, v15, s2 dst_sel:DWORD dst_unused:UNUSED_PAD src0_sel:BYTE_0 src1_sel:DWORD
	v_lshrrev_b16_e32 v2, 11, v2
	v_lshrrev_b16_e32 v3, 11, v3
	v_mul_lo_u16_e32 v2, 10, v2
	v_mul_lo_u16_e32 v3, 10, v3
	v_sub_u16_sdwa v2, v7, v2 dst_sel:DWORD dst_unused:UNUSED_PAD src0_sel:WORD_1 src1_sel:DWORD
	v_sub_u16_e32 v3, v15, v3
	v_add_u16_e32 v2, v3, v2
	v_add_u16_e32 v3, -10, v2
	v_min_u16_sdwa v15, v2, v3 dst_sel:DWORD dst_unused:UNUSED_PAD src0_sel:BYTE_0 src1_sel:BYTE_0
	s_or_b64 exec, exec, s[0:1]
	s_and_saveexec_b64 s[0:1], s[62:63]
	s_cbranch_execz .LBB685_349
.LBB685_1170:
	s_movk_i32 s2, 0xcd
	v_mul_lo_u16_sdwa v2, v7, s2 dst_sel:DWORD dst_unused:UNUSED_PAD src0_sel:BYTE_3 src1_sel:DWORD
	v_mul_lo_u16_sdwa v3, v15, s2 dst_sel:DWORD dst_unused:UNUSED_PAD src0_sel:BYTE_0 src1_sel:DWORD
	v_lshrrev_b16_e32 v2, 11, v2
	v_lshrrev_b16_e32 v3, 11, v3
	v_mul_lo_u16_e32 v2, 10, v2
	v_mul_lo_u16_e32 v3, 10, v3
	v_sub_u16_sdwa v2, v7, v2 dst_sel:DWORD dst_unused:UNUSED_PAD src0_sel:BYTE_3 src1_sel:DWORD
	v_sub_u16_e32 v3, v15, v3
	v_add_u16_e32 v2, v3, v2
	v_add_u16_e32 v3, -10, v2
	v_min_u16_sdwa v15, v2, v3 dst_sel:DWORD dst_unused:UNUSED_PAD src0_sel:BYTE_0 src1_sel:BYTE_0
	s_or_b64 exec, exec, s[0:1]
	s_and_saveexec_b64 s[0:1], s[72:73]
	s_cbranch_execz .LBB685_350
.LBB685_1171:
	s_movk_i32 s2, 0xcd
	v_mul_lo_u16_sdwa v2, v8, s2 dst_sel:DWORD dst_unused:UNUSED_PAD src0_sel:BYTE_0 src1_sel:DWORD
	v_mul_lo_u16_sdwa v3, v15, s2 dst_sel:DWORD dst_unused:UNUSED_PAD src0_sel:BYTE_0 src1_sel:DWORD
	v_lshrrev_b16_e32 v2, 11, v2
	v_lshrrev_b16_e32 v3, 11, v3
	v_mul_lo_u16_e32 v2, 10, v2
	v_mul_lo_u16_e32 v3, 10, v3
	v_sub_u16_e32 v2, v8, v2
	v_sub_u16_e32 v3, v15, v3
	v_add_u16_e32 v2, v3, v2
	v_add_u16_e32 v3, -10, v2
	v_min_u16_sdwa v15, v2, v3 dst_sel:DWORD dst_unused:UNUSED_PAD src0_sel:BYTE_0 src1_sel:BYTE_0
	s_or_b64 exec, exec, s[0:1]
	s_and_saveexec_b64 s[0:1], s[74:75]
	s_cbranch_execz .LBB685_351
.LBB685_1172:
	v_lshrrev_b32_e32 v2, 8, v8
	s_movk_i32 s2, 0xcd
	v_mul_lo_u16_sdwa v3, v2, s2 dst_sel:DWORD dst_unused:UNUSED_PAD src0_sel:BYTE_0 src1_sel:DWORD
	v_lshrrev_b16_e32 v3, 11, v3
	v_mul_lo_u16_e32 v3, 10, v3
	v_sub_u16_e32 v2, v2, v3
	v_mul_lo_u16_sdwa v3, v15, s2 dst_sel:DWORD dst_unused:UNUSED_PAD src0_sel:BYTE_0 src1_sel:DWORD
	v_lshrrev_b16_e32 v3, 11, v3
	v_mul_lo_u16_e32 v3, 10, v3
	v_sub_u16_e32 v3, v15, v3
	v_add_u16_e32 v2, v3, v2
	v_add_u16_e32 v3, -10, v2
	v_min_u16_sdwa v15, v2, v3 dst_sel:DWORD dst_unused:UNUSED_PAD src0_sel:BYTE_0 src1_sel:BYTE_0
	s_or_b64 exec, exec, s[0:1]
	s_and_saveexec_b64 s[0:1], s[76:77]
	s_cbranch_execz .LBB685_352
.LBB685_1173:
	s_movk_i32 s2, 0xff
	v_and_b32_sdwa v2, v8, s2 dst_sel:DWORD dst_unused:UNUSED_PAD src0_sel:WORD_1 src1_sel:DWORD
	s_movk_i32 s2, 0xcd
	v_mul_lo_u16_e32 v2, 0xcd, v2
	v_mul_lo_u16_sdwa v3, v15, s2 dst_sel:DWORD dst_unused:UNUSED_PAD src0_sel:BYTE_0 src1_sel:DWORD
	v_lshrrev_b16_e32 v2, 11, v2
	v_lshrrev_b16_e32 v3, 11, v3
	v_mul_lo_u16_e32 v2, 10, v2
	v_mul_lo_u16_e32 v3, 10, v3
	v_sub_u16_sdwa v2, v8, v2 dst_sel:DWORD dst_unused:UNUSED_PAD src0_sel:WORD_1 src1_sel:DWORD
	v_sub_u16_e32 v3, v15, v3
	v_add_u16_e32 v2, v3, v2
	v_add_u16_e32 v3, -10, v2
	v_min_u16_sdwa v15, v2, v3 dst_sel:DWORD dst_unused:UNUSED_PAD src0_sel:BYTE_0 src1_sel:BYTE_0
	s_or_b64 exec, exec, s[0:1]
	s_and_saveexec_b64 s[0:1], s[78:79]
	s_cbranch_execz .LBB685_353
.LBB685_1174:
	v_lshrrev_b64 v[2:3], 24, v[8:9]
	s_movk_i32 s2, 0xcd
	v_mul_lo_u16_sdwa v3, v2, s2 dst_sel:DWORD dst_unused:UNUSED_PAD src0_sel:BYTE_0 src1_sel:DWORD
	v_lshrrev_b16_e32 v3, 11, v3
	v_mul_lo_u16_e32 v3, 10, v3
	v_sub_u16_e32 v2, v2, v3
	v_mul_lo_u16_sdwa v3, v15, s2 dst_sel:DWORD dst_unused:UNUSED_PAD src0_sel:BYTE_0 src1_sel:DWORD
	v_lshrrev_b16_e32 v3, 11, v3
	v_mul_lo_u16_e32 v3, 10, v3
	v_sub_u16_e32 v3, v15, v3
	v_add_u16_e32 v2, v3, v2
	v_add_u16_e32 v3, -10, v2
	v_min_u16_sdwa v15, v2, v3 dst_sel:DWORD dst_unused:UNUSED_PAD src0_sel:BYTE_0 src1_sel:BYTE_0
	s_or_b64 exec, exec, s[0:1]
	s_and_saveexec_b64 s[0:1], s[88:89]
	s_cbranch_execz .LBB685_354
.LBB685_1175:
	s_movk_i32 s2, 0xcd
	v_mul_lo_u16_sdwa v2, v9, s2 dst_sel:DWORD dst_unused:UNUSED_PAD src0_sel:BYTE_0 src1_sel:DWORD
	v_mul_lo_u16_sdwa v3, v15, s2 dst_sel:DWORD dst_unused:UNUSED_PAD src0_sel:BYTE_0 src1_sel:DWORD
	v_lshrrev_b16_e32 v2, 11, v2
	v_lshrrev_b16_e32 v3, 11, v3
	v_mul_lo_u16_e32 v2, 10, v2
	v_mul_lo_u16_e32 v3, 10, v3
	v_sub_u16_e32 v2, v9, v2
	v_sub_u16_e32 v3, v15, v3
	v_add_u16_e32 v2, v3, v2
	v_add_u16_e32 v3, -10, v2
	v_min_u16_sdwa v15, v2, v3 dst_sel:DWORD dst_unused:UNUSED_PAD src0_sel:BYTE_0 src1_sel:BYTE_0
	s_or_b64 exec, exec, s[0:1]
	s_and_saveexec_b64 s[0:1], s[90:91]
	s_cbranch_execz .LBB685_355
.LBB685_1176:
	v_lshrrev_b32_e32 v2, 8, v9
	s_movk_i32 s2, 0xcd
	v_mul_lo_u16_sdwa v3, v2, s2 dst_sel:DWORD dst_unused:UNUSED_PAD src0_sel:BYTE_0 src1_sel:DWORD
	v_lshrrev_b16_e32 v3, 11, v3
	v_mul_lo_u16_e32 v3, 10, v3
	v_sub_u16_e32 v2, v2, v3
	v_mul_lo_u16_sdwa v3, v15, s2 dst_sel:DWORD dst_unused:UNUSED_PAD src0_sel:BYTE_0 src1_sel:DWORD
	v_lshrrev_b16_e32 v3, 11, v3
	v_mul_lo_u16_e32 v3, 10, v3
	v_sub_u16_e32 v3, v15, v3
	v_add_u16_e32 v2, v3, v2
	v_add_u16_e32 v3, -10, v2
	v_min_u16_sdwa v15, v2, v3 dst_sel:DWORD dst_unused:UNUSED_PAD src0_sel:BYTE_0 src1_sel:BYTE_0
	s_or_b64 exec, exec, s[0:1]
	s_and_saveexec_b64 s[0:1], s[92:93]
	s_cbranch_execz .LBB685_356
.LBB685_1177:
	s_movk_i32 s2, 0xff
	v_and_b32_sdwa v2, v9, s2 dst_sel:DWORD dst_unused:UNUSED_PAD src0_sel:WORD_1 src1_sel:DWORD
	s_movk_i32 s2, 0xcd
	v_mul_lo_u16_e32 v2, 0xcd, v2
	v_mul_lo_u16_sdwa v3, v15, s2 dst_sel:DWORD dst_unused:UNUSED_PAD src0_sel:BYTE_0 src1_sel:DWORD
	v_lshrrev_b16_e32 v2, 11, v2
	v_lshrrev_b16_e32 v3, 11, v3
	v_mul_lo_u16_e32 v2, 10, v2
	v_mul_lo_u16_e32 v3, 10, v3
	v_sub_u16_sdwa v2, v9, v2 dst_sel:DWORD dst_unused:UNUSED_PAD src0_sel:WORD_1 src1_sel:DWORD
	v_sub_u16_e32 v3, v15, v3
	v_add_u16_e32 v2, v3, v2
	v_add_u16_e32 v3, -10, v2
	v_min_u16_sdwa v15, v2, v3 dst_sel:DWORD dst_unused:UNUSED_PAD src0_sel:BYTE_0 src1_sel:BYTE_0
	s_or_b64 exec, exec, s[0:1]
	s_and_saveexec_b64 s[0:1], s[94:95]
	s_cbranch_execnz .LBB685_357
	s_branch .LBB685_358
.LBB685_1178:
	s_movk_i32 s44, 0xff
	v_and_b32_sdwa v2, v6, s44 dst_sel:DWORD dst_unused:UNUSED_PAD src0_sel:WORD_1 src1_sel:DWORD
	s_movk_i32 s44, 0xcd
	v_mul_lo_u16_e32 v2, 0xcd, v2
	v_mul_lo_u16_sdwa v3, v23, s44 dst_sel:DWORD dst_unused:UNUSED_PAD src0_sel:BYTE_0 src1_sel:DWORD
	v_lshrrev_b16_e32 v2, 11, v2
	v_lshrrev_b16_e32 v3, 11, v3
	v_mul_lo_u16_e32 v2, 10, v2
	v_mul_lo_u16_e32 v3, 10, v3
	v_sub_u16_sdwa v2, v6, v2 dst_sel:DWORD dst_unused:UNUSED_PAD src0_sel:WORD_1 src1_sel:DWORD
	v_sub_u16_e32 v3, v23, v3
	v_add_u16_e32 v2, v3, v2
	v_add_u16_e32 v3, -10, v2
	v_min_u16_sdwa v23, v2, v3 dst_sel:DWORD dst_unused:UNUSED_PAD src0_sel:BYTE_0 src1_sel:BYTE_0
	s_or_b64 exec, exec, s[42:43]
	s_and_saveexec_b64 s[42:43], s[46:47]
	s_cbranch_execz .LBB685_555
.LBB685_1179:
	v_lshrrev_b64 v[2:3], 24, v[6:7]
	s_movk_i32 s44, 0xcd
	v_mul_lo_u16_sdwa v3, v2, s44 dst_sel:DWORD dst_unused:UNUSED_PAD src0_sel:BYTE_0 src1_sel:DWORD
	v_lshrrev_b16_e32 v3, 11, v3
	v_mul_lo_u16_e32 v3, 10, v3
	v_sub_u16_e32 v2, v2, v3
	v_mul_lo_u16_sdwa v3, v23, s44 dst_sel:DWORD dst_unused:UNUSED_PAD src0_sel:BYTE_0 src1_sel:DWORD
	v_lshrrev_b16_e32 v3, 11, v3
	v_mul_lo_u16_e32 v3, 10, v3
	v_sub_u16_e32 v3, v23, v3
	v_add_u16_e32 v2, v3, v2
	v_add_u16_e32 v3, -10, v2
	v_min_u16_sdwa v23, v2, v3 dst_sel:DWORD dst_unused:UNUSED_PAD src0_sel:BYTE_0 src1_sel:BYTE_0
	s_or_b64 exec, exec, s[42:43]
	s_and_saveexec_b64 s[42:43], s[56:57]
	s_cbranch_execz .LBB685_556
.LBB685_1180:
	s_movk_i32 s44, 0xcd
	v_mul_lo_u16_sdwa v2, v7, s44 dst_sel:DWORD dst_unused:UNUSED_PAD src0_sel:BYTE_0 src1_sel:DWORD
	v_mul_lo_u16_sdwa v3, v23, s44 dst_sel:DWORD dst_unused:UNUSED_PAD src0_sel:BYTE_0 src1_sel:DWORD
	v_lshrrev_b16_e32 v2, 11, v2
	v_lshrrev_b16_e32 v3, 11, v3
	v_mul_lo_u16_e32 v2, 10, v2
	v_mul_lo_u16_e32 v3, 10, v3
	v_sub_u16_e32 v2, v7, v2
	v_sub_u16_e32 v3, v23, v3
	v_add_u16_e32 v2, v3, v2
	v_add_u16_e32 v3, -10, v2
	v_min_u16_sdwa v23, v2, v3 dst_sel:DWORD dst_unused:UNUSED_PAD src0_sel:BYTE_0 src1_sel:BYTE_0
	s_or_b64 exec, exec, s[42:43]
	s_and_saveexec_b64 s[42:43], s[58:59]
	s_cbranch_execz .LBB685_557
.LBB685_1181:
	v_lshrrev_b32_e32 v2, 8, v7
	s_movk_i32 s44, 0xcd
	v_mul_lo_u16_sdwa v3, v2, s44 dst_sel:DWORD dst_unused:UNUSED_PAD src0_sel:BYTE_0 src1_sel:DWORD
	v_lshrrev_b16_e32 v3, 11, v3
	v_mul_lo_u16_e32 v3, 10, v3
	v_sub_u16_e32 v2, v2, v3
	v_mul_lo_u16_sdwa v3, v23, s44 dst_sel:DWORD dst_unused:UNUSED_PAD src0_sel:BYTE_0 src1_sel:DWORD
	v_lshrrev_b16_e32 v3, 11, v3
	v_mul_lo_u16_e32 v3, 10, v3
	v_sub_u16_e32 v3, v23, v3
	v_add_u16_e32 v2, v3, v2
	v_add_u16_e32 v3, -10, v2
	v_min_u16_sdwa v23, v2, v3 dst_sel:DWORD dst_unused:UNUSED_PAD src0_sel:BYTE_0 src1_sel:BYTE_0
	s_or_b64 exec, exec, s[42:43]
	s_and_saveexec_b64 s[42:43], s[60:61]
	s_cbranch_execz .LBB685_558
.LBB685_1182:
	s_movk_i32 s44, 0xff
	v_and_b32_sdwa v2, v7, s44 dst_sel:DWORD dst_unused:UNUSED_PAD src0_sel:WORD_1 src1_sel:DWORD
	s_movk_i32 s44, 0xcd
	v_mul_lo_u16_e32 v2, 0xcd, v2
	v_mul_lo_u16_sdwa v3, v23, s44 dst_sel:DWORD dst_unused:UNUSED_PAD src0_sel:BYTE_0 src1_sel:DWORD
	v_lshrrev_b16_e32 v2, 11, v2
	v_lshrrev_b16_e32 v3, 11, v3
	v_mul_lo_u16_e32 v2, 10, v2
	v_mul_lo_u16_e32 v3, 10, v3
	v_sub_u16_sdwa v2, v7, v2 dst_sel:DWORD dst_unused:UNUSED_PAD src0_sel:WORD_1 src1_sel:DWORD
	v_sub_u16_e32 v3, v23, v3
	v_add_u16_e32 v2, v3, v2
	v_add_u16_e32 v3, -10, v2
	v_min_u16_sdwa v23, v2, v3 dst_sel:DWORD dst_unused:UNUSED_PAD src0_sel:BYTE_0 src1_sel:BYTE_0
	s_or_b64 exec, exec, s[42:43]
	s_and_saveexec_b64 s[42:43], s[62:63]
	s_cbranch_execz .LBB685_559
.LBB685_1183:
	s_movk_i32 s44, 0xcd
	v_mul_lo_u16_sdwa v2, v7, s44 dst_sel:DWORD dst_unused:UNUSED_PAD src0_sel:BYTE_3 src1_sel:DWORD
	v_mul_lo_u16_sdwa v3, v23, s44 dst_sel:DWORD dst_unused:UNUSED_PAD src0_sel:BYTE_0 src1_sel:DWORD
	v_lshrrev_b16_e32 v2, 11, v2
	v_lshrrev_b16_e32 v3, 11, v3
	v_mul_lo_u16_e32 v2, 10, v2
	v_mul_lo_u16_e32 v3, 10, v3
	v_sub_u16_sdwa v2, v7, v2 dst_sel:DWORD dst_unused:UNUSED_PAD src0_sel:BYTE_3 src1_sel:DWORD
	v_sub_u16_e32 v3, v23, v3
	v_add_u16_e32 v2, v3, v2
	v_add_u16_e32 v3, -10, v2
	v_min_u16_sdwa v23, v2, v3 dst_sel:DWORD dst_unused:UNUSED_PAD src0_sel:BYTE_0 src1_sel:BYTE_0
	s_or_b64 exec, exec, s[42:43]
	s_and_saveexec_b64 s[42:43], s[72:73]
	s_cbranch_execz .LBB685_560
.LBB685_1184:
	s_movk_i32 s44, 0xcd
	v_mul_lo_u16_sdwa v2, v8, s44 dst_sel:DWORD dst_unused:UNUSED_PAD src0_sel:BYTE_0 src1_sel:DWORD
	v_mul_lo_u16_sdwa v3, v23, s44 dst_sel:DWORD dst_unused:UNUSED_PAD src0_sel:BYTE_0 src1_sel:DWORD
	v_lshrrev_b16_e32 v2, 11, v2
	v_lshrrev_b16_e32 v3, 11, v3
	v_mul_lo_u16_e32 v2, 10, v2
	v_mul_lo_u16_e32 v3, 10, v3
	v_sub_u16_e32 v2, v8, v2
	v_sub_u16_e32 v3, v23, v3
	v_add_u16_e32 v2, v3, v2
	v_add_u16_e32 v3, -10, v2
	v_min_u16_sdwa v23, v2, v3 dst_sel:DWORD dst_unused:UNUSED_PAD src0_sel:BYTE_0 src1_sel:BYTE_0
	s_or_b64 exec, exec, s[42:43]
	s_and_saveexec_b64 s[42:43], s[74:75]
	s_cbranch_execz .LBB685_561
.LBB685_1185:
	v_lshrrev_b32_e32 v2, 8, v8
	s_movk_i32 s44, 0xcd
	v_mul_lo_u16_sdwa v3, v2, s44 dst_sel:DWORD dst_unused:UNUSED_PAD src0_sel:BYTE_0 src1_sel:DWORD
	v_lshrrev_b16_e32 v3, 11, v3
	v_mul_lo_u16_e32 v3, 10, v3
	v_sub_u16_e32 v2, v2, v3
	v_mul_lo_u16_sdwa v3, v23, s44 dst_sel:DWORD dst_unused:UNUSED_PAD src0_sel:BYTE_0 src1_sel:DWORD
	v_lshrrev_b16_e32 v3, 11, v3
	v_mul_lo_u16_e32 v3, 10, v3
	v_sub_u16_e32 v3, v23, v3
	v_add_u16_e32 v2, v3, v2
	v_add_u16_e32 v3, -10, v2
	v_min_u16_sdwa v23, v2, v3 dst_sel:DWORD dst_unused:UNUSED_PAD src0_sel:BYTE_0 src1_sel:BYTE_0
	s_or_b64 exec, exec, s[42:43]
	s_and_saveexec_b64 s[42:43], s[76:77]
	s_cbranch_execz .LBB685_562
.LBB685_1186:
	s_movk_i32 s44, 0xff
	v_and_b32_sdwa v2, v8, s44 dst_sel:DWORD dst_unused:UNUSED_PAD src0_sel:WORD_1 src1_sel:DWORD
	s_movk_i32 s44, 0xcd
	v_mul_lo_u16_e32 v2, 0xcd, v2
	v_mul_lo_u16_sdwa v3, v23, s44 dst_sel:DWORD dst_unused:UNUSED_PAD src0_sel:BYTE_0 src1_sel:DWORD
	v_lshrrev_b16_e32 v2, 11, v2
	v_lshrrev_b16_e32 v3, 11, v3
	v_mul_lo_u16_e32 v2, 10, v2
	v_mul_lo_u16_e32 v3, 10, v3
	v_sub_u16_sdwa v2, v8, v2 dst_sel:DWORD dst_unused:UNUSED_PAD src0_sel:WORD_1 src1_sel:DWORD
	v_sub_u16_e32 v3, v23, v3
	v_add_u16_e32 v2, v3, v2
	v_add_u16_e32 v3, -10, v2
	v_min_u16_sdwa v23, v2, v3 dst_sel:DWORD dst_unused:UNUSED_PAD src0_sel:BYTE_0 src1_sel:BYTE_0
	s_or_b64 exec, exec, s[42:43]
	s_and_saveexec_b64 s[42:43], s[78:79]
	s_cbranch_execz .LBB685_563
.LBB685_1187:
	v_lshrrev_b64 v[2:3], 24, v[8:9]
	s_movk_i32 s44, 0xcd
	v_mul_lo_u16_sdwa v3, v2, s44 dst_sel:DWORD dst_unused:UNUSED_PAD src0_sel:BYTE_0 src1_sel:DWORD
	v_lshrrev_b16_e32 v3, 11, v3
	v_mul_lo_u16_e32 v3, 10, v3
	v_sub_u16_e32 v2, v2, v3
	v_mul_lo_u16_sdwa v3, v23, s44 dst_sel:DWORD dst_unused:UNUSED_PAD src0_sel:BYTE_0 src1_sel:DWORD
	v_lshrrev_b16_e32 v3, 11, v3
	v_mul_lo_u16_e32 v3, 10, v3
	v_sub_u16_e32 v3, v23, v3
	v_add_u16_e32 v2, v3, v2
	v_add_u16_e32 v3, -10, v2
	v_min_u16_sdwa v23, v2, v3 dst_sel:DWORD dst_unused:UNUSED_PAD src0_sel:BYTE_0 src1_sel:BYTE_0
	s_or_b64 exec, exec, s[42:43]
	s_and_saveexec_b64 s[42:43], s[88:89]
	s_cbranch_execz .LBB685_564
.LBB685_1188:
	s_movk_i32 s44, 0xcd
	v_mul_lo_u16_sdwa v2, v9, s44 dst_sel:DWORD dst_unused:UNUSED_PAD src0_sel:BYTE_0 src1_sel:DWORD
	v_mul_lo_u16_sdwa v3, v23, s44 dst_sel:DWORD dst_unused:UNUSED_PAD src0_sel:BYTE_0 src1_sel:DWORD
	v_lshrrev_b16_e32 v2, 11, v2
	v_lshrrev_b16_e32 v3, 11, v3
	v_mul_lo_u16_e32 v2, 10, v2
	v_mul_lo_u16_e32 v3, 10, v3
	v_sub_u16_e32 v2, v9, v2
	v_sub_u16_e32 v3, v23, v3
	v_add_u16_e32 v2, v3, v2
	v_add_u16_e32 v3, -10, v2
	v_min_u16_sdwa v23, v2, v3 dst_sel:DWORD dst_unused:UNUSED_PAD src0_sel:BYTE_0 src1_sel:BYTE_0
	s_or_b64 exec, exec, s[42:43]
	s_and_saveexec_b64 s[42:43], s[90:91]
	s_cbranch_execz .LBB685_565
.LBB685_1189:
	v_lshrrev_b32_e32 v2, 8, v9
	s_movk_i32 s44, 0xcd
	v_mul_lo_u16_sdwa v3, v2, s44 dst_sel:DWORD dst_unused:UNUSED_PAD src0_sel:BYTE_0 src1_sel:DWORD
	v_lshrrev_b16_e32 v3, 11, v3
	v_mul_lo_u16_e32 v3, 10, v3
	v_sub_u16_e32 v2, v2, v3
	v_mul_lo_u16_sdwa v3, v23, s44 dst_sel:DWORD dst_unused:UNUSED_PAD src0_sel:BYTE_0 src1_sel:DWORD
	v_lshrrev_b16_e32 v3, 11, v3
	v_mul_lo_u16_e32 v3, 10, v3
	v_sub_u16_e32 v3, v23, v3
	v_add_u16_e32 v2, v3, v2
	v_add_u16_e32 v3, -10, v2
	v_min_u16_sdwa v23, v2, v3 dst_sel:DWORD dst_unused:UNUSED_PAD src0_sel:BYTE_0 src1_sel:BYTE_0
	s_or_b64 exec, exec, s[42:43]
	s_and_saveexec_b64 s[42:43], s[92:93]
	s_cbranch_execz .LBB685_566
.LBB685_1190:
	s_movk_i32 s44, 0xff
	v_and_b32_sdwa v2, v9, s44 dst_sel:DWORD dst_unused:UNUSED_PAD src0_sel:WORD_1 src1_sel:DWORD
	s_movk_i32 s44, 0xcd
	v_mul_lo_u16_e32 v2, 0xcd, v2
	v_mul_lo_u16_sdwa v3, v23, s44 dst_sel:DWORD dst_unused:UNUSED_PAD src0_sel:BYTE_0 src1_sel:DWORD
	v_lshrrev_b16_e32 v2, 11, v2
	v_lshrrev_b16_e32 v3, 11, v3
	v_mul_lo_u16_e32 v2, 10, v2
	v_mul_lo_u16_e32 v3, 10, v3
	v_sub_u16_sdwa v2, v9, v2 dst_sel:DWORD dst_unused:UNUSED_PAD src0_sel:WORD_1 src1_sel:DWORD
	v_sub_u16_e32 v3, v23, v3
	v_add_u16_e32 v2, v3, v2
	v_add_u16_e32 v3, -10, v2
	v_min_u16_sdwa v23, v2, v3 dst_sel:DWORD dst_unused:UNUSED_PAD src0_sel:BYTE_0 src1_sel:BYTE_0
	s_or_b64 exec, exec, s[42:43]
	s_and_saveexec_b64 s[42:43], s[94:95]
	s_cbranch_execz .LBB685_567
.LBB685_1191:
	s_movk_i32 s44, 0xcd
	v_mul_lo_u16_sdwa v2, v9, s44 dst_sel:DWORD dst_unused:UNUSED_PAD src0_sel:BYTE_3 src1_sel:DWORD
	v_mul_lo_u16_sdwa v3, v23, s44 dst_sel:DWORD dst_unused:UNUSED_PAD src0_sel:BYTE_0 src1_sel:DWORD
	v_lshrrev_b16_e32 v2, 11, v2
	v_lshrrev_b16_e32 v3, 11, v3
	v_mul_lo_u16_e32 v2, 10, v2
	v_mul_lo_u16_e32 v3, 10, v3
	v_sub_u16_sdwa v2, v9, v2 dst_sel:DWORD dst_unused:UNUSED_PAD src0_sel:BYTE_3 src1_sel:DWORD
	v_sub_u16_e32 v3, v23, v3
	v_add_u16_e32 v2, v3, v2
	v_add_u16_e32 v3, -10, v2
	v_min_u16_sdwa v23, v2, v3 dst_sel:DWORD dst_unused:UNUSED_PAD src0_sel:BYTE_0 src1_sel:BYTE_0
	s_or_b64 exec, exec, s[42:43]
	s_and_saveexec_b64 s[42:43], s[30:31]
	s_cbranch_execz .LBB685_568
.LBB685_1192:
	s_movk_i32 s44, 0xcd
	v_mul_lo_u16_sdwa v2, v10, s44 dst_sel:DWORD dst_unused:UNUSED_PAD src0_sel:BYTE_0 src1_sel:DWORD
	v_mul_lo_u16_sdwa v3, v23, s44 dst_sel:DWORD dst_unused:UNUSED_PAD src0_sel:BYTE_0 src1_sel:DWORD
	v_lshrrev_b16_e32 v2, 11, v2
	v_lshrrev_b16_e32 v3, 11, v3
	v_mul_lo_u16_e32 v2, 10, v2
	v_mul_lo_u16_e32 v3, 10, v3
	v_sub_u16_e32 v2, v10, v2
	v_sub_u16_e32 v3, v23, v3
	v_add_u16_e32 v2, v3, v2
	v_add_u16_e32 v3, -10, v2
	v_min_u16_sdwa v23, v2, v3 dst_sel:DWORD dst_unused:UNUSED_PAD src0_sel:BYTE_0 src1_sel:BYTE_0
	s_or_b64 exec, exec, s[42:43]
	s_and_saveexec_b64 s[42:43], s[34:35]
	s_cbranch_execz .LBB685_569
.LBB685_1193:
	v_lshrrev_b32_e32 v2, 8, v10
	s_movk_i32 s44, 0xcd
	v_mul_lo_u16_sdwa v3, v2, s44 dst_sel:DWORD dst_unused:UNUSED_PAD src0_sel:BYTE_0 src1_sel:DWORD
	v_lshrrev_b16_e32 v3, 11, v3
	v_mul_lo_u16_e32 v3, 10, v3
	v_sub_u16_e32 v2, v2, v3
	v_mul_lo_u16_sdwa v3, v23, s44 dst_sel:DWORD dst_unused:UNUSED_PAD src0_sel:BYTE_0 src1_sel:DWORD
	v_lshrrev_b16_e32 v3, 11, v3
	v_mul_lo_u16_e32 v3, 10, v3
	v_sub_u16_e32 v3, v23, v3
	v_add_u16_e32 v2, v3, v2
	v_add_u16_e32 v3, -10, v2
	v_min_u16_sdwa v23, v2, v3 dst_sel:DWORD dst_unused:UNUSED_PAD src0_sel:BYTE_0 src1_sel:BYTE_0
	s_or_b64 exec, exec, s[42:43]
	s_and_saveexec_b64 s[42:43], s[36:37]
	s_cbranch_execz .LBB685_570
.LBB685_1194:
	s_movk_i32 s44, 0xff
	v_and_b32_sdwa v2, v10, s44 dst_sel:DWORD dst_unused:UNUSED_PAD src0_sel:WORD_1 src1_sel:DWORD
	s_movk_i32 s44, 0xcd
	v_mul_lo_u16_e32 v2, 0xcd, v2
	v_mul_lo_u16_sdwa v3, v23, s44 dst_sel:DWORD dst_unused:UNUSED_PAD src0_sel:BYTE_0 src1_sel:DWORD
	v_lshrrev_b16_e32 v2, 11, v2
	v_lshrrev_b16_e32 v3, 11, v3
	v_mul_lo_u16_e32 v2, 10, v2
	v_mul_lo_u16_e32 v3, 10, v3
	v_sub_u16_sdwa v2, v10, v2 dst_sel:DWORD dst_unused:UNUSED_PAD src0_sel:WORD_1 src1_sel:DWORD
	v_sub_u16_e32 v3, v23, v3
	v_add_u16_e32 v2, v3, v2
	v_add_u16_e32 v3, -10, v2
	v_min_u16_sdwa v23, v2, v3 dst_sel:DWORD dst_unused:UNUSED_PAD src0_sel:BYTE_0 src1_sel:BYTE_0
	s_or_b64 exec, exec, s[42:43]
	s_and_saveexec_b64 s[42:43], s[38:39]
	s_cbranch_execz .LBB685_571
.LBB685_1195:
	v_lshrrev_b64 v[2:3], 24, v[10:11]
	s_movk_i32 s44, 0xcd
	v_mul_lo_u16_sdwa v3, v2, s44 dst_sel:DWORD dst_unused:UNUSED_PAD src0_sel:BYTE_0 src1_sel:DWORD
	v_lshrrev_b16_e32 v3, 11, v3
	v_mul_lo_u16_e32 v3, 10, v3
	v_sub_u16_e32 v2, v2, v3
	v_mul_lo_u16_sdwa v3, v23, s44 dst_sel:DWORD dst_unused:UNUSED_PAD src0_sel:BYTE_0 src1_sel:DWORD
	v_lshrrev_b16_e32 v3, 11, v3
	v_mul_lo_u16_e32 v3, 10, v3
	v_sub_u16_e32 v3, v23, v3
	v_add_u16_e32 v2, v3, v2
	v_add_u16_e32 v3, -10, v2
	v_min_u16_sdwa v23, v2, v3 dst_sel:DWORD dst_unused:UNUSED_PAD src0_sel:BYTE_0 src1_sel:BYTE_0
	s_or_b64 exec, exec, s[42:43]
	s_and_saveexec_b64 s[42:43], s[48:49]
	s_cbranch_execz .LBB685_572
.LBB685_1196:
	s_movk_i32 s44, 0xcd
	v_mul_lo_u16_sdwa v2, v11, s44 dst_sel:DWORD dst_unused:UNUSED_PAD src0_sel:BYTE_0 src1_sel:DWORD
	v_mul_lo_u16_sdwa v3, v23, s44 dst_sel:DWORD dst_unused:UNUSED_PAD src0_sel:BYTE_0 src1_sel:DWORD
	v_lshrrev_b16_e32 v2, 11, v2
	v_lshrrev_b16_e32 v3, 11, v3
	v_mul_lo_u16_e32 v2, 10, v2
	v_mul_lo_u16_e32 v3, 10, v3
	v_sub_u16_e32 v2, v11, v2
	v_sub_u16_e32 v3, v23, v3
	v_add_u16_e32 v2, v3, v2
	v_add_u16_e32 v3, -10, v2
	v_min_u16_sdwa v23, v2, v3 dst_sel:DWORD dst_unused:UNUSED_PAD src0_sel:BYTE_0 src1_sel:BYTE_0
	s_or_b64 exec, exec, s[42:43]
	s_and_saveexec_b64 s[42:43], s[50:51]
	s_cbranch_execz .LBB685_573
.LBB685_1197:
	v_lshrrev_b32_e32 v2, 8, v11
	s_movk_i32 s44, 0xcd
	v_mul_lo_u16_sdwa v3, v2, s44 dst_sel:DWORD dst_unused:UNUSED_PAD src0_sel:BYTE_0 src1_sel:DWORD
	v_lshrrev_b16_e32 v3, 11, v3
	v_mul_lo_u16_e32 v3, 10, v3
	v_sub_u16_e32 v2, v2, v3
	v_mul_lo_u16_sdwa v3, v23, s44 dst_sel:DWORD dst_unused:UNUSED_PAD src0_sel:BYTE_0 src1_sel:DWORD
	v_lshrrev_b16_e32 v3, 11, v3
	v_mul_lo_u16_e32 v3, 10, v3
	v_sub_u16_e32 v3, v23, v3
	v_add_u16_e32 v2, v3, v2
	v_add_u16_e32 v3, -10, v2
	v_min_u16_sdwa v23, v2, v3 dst_sel:DWORD dst_unused:UNUSED_PAD src0_sel:BYTE_0 src1_sel:BYTE_0
	s_or_b64 exec, exec, s[42:43]
	s_and_saveexec_b64 s[42:43], s[52:53]
	s_cbranch_execz .LBB685_574
.LBB685_1198:
	s_movk_i32 s44, 0xff
	v_and_b32_sdwa v2, v11, s44 dst_sel:DWORD dst_unused:UNUSED_PAD src0_sel:WORD_1 src1_sel:DWORD
	s_movk_i32 s44, 0xcd
	v_mul_lo_u16_e32 v2, 0xcd, v2
	v_mul_lo_u16_sdwa v3, v23, s44 dst_sel:DWORD dst_unused:UNUSED_PAD src0_sel:BYTE_0 src1_sel:DWORD
	v_lshrrev_b16_e32 v2, 11, v2
	v_lshrrev_b16_e32 v3, 11, v3
	v_mul_lo_u16_e32 v2, 10, v2
	v_mul_lo_u16_e32 v3, 10, v3
	v_sub_u16_sdwa v2, v11, v2 dst_sel:DWORD dst_unused:UNUSED_PAD src0_sel:WORD_1 src1_sel:DWORD
	v_sub_u16_e32 v3, v23, v3
	v_add_u16_e32 v2, v3, v2
	v_add_u16_e32 v3, -10, v2
	v_min_u16_sdwa v23, v2, v3 dst_sel:DWORD dst_unused:UNUSED_PAD src0_sel:BYTE_0 src1_sel:BYTE_0
	s_or_b64 exec, exec, s[42:43]
	s_and_saveexec_b64 s[42:43], s[54:55]
	s_cbranch_execz .LBB685_575
.LBB685_1199:
	s_movk_i32 s44, 0xcd
	v_mul_lo_u16_sdwa v2, v11, s44 dst_sel:DWORD dst_unused:UNUSED_PAD src0_sel:BYTE_3 src1_sel:DWORD
	v_mul_lo_u16_sdwa v3, v23, s44 dst_sel:DWORD dst_unused:UNUSED_PAD src0_sel:BYTE_0 src1_sel:DWORD
	v_lshrrev_b16_e32 v2, 11, v2
	v_lshrrev_b16_e32 v3, 11, v3
	v_mul_lo_u16_e32 v2, 10, v2
	v_mul_lo_u16_e32 v3, 10, v3
	v_sub_u16_sdwa v2, v11, v2 dst_sel:DWORD dst_unused:UNUSED_PAD src0_sel:BYTE_3 src1_sel:DWORD
	v_sub_u16_e32 v3, v23, v3
	v_add_u16_e32 v2, v3, v2
	v_add_u16_e32 v3, -10, v2
	v_min_u16_sdwa v23, v2, v3 dst_sel:DWORD dst_unused:UNUSED_PAD src0_sel:BYTE_0 src1_sel:BYTE_0
	s_or_b64 exec, exec, s[42:43]
	s_and_saveexec_b64 s[42:43], s[64:65]
	s_cbranch_execz .LBB685_576
.LBB685_1200:
	s_movk_i32 s44, 0xcd
	v_mul_lo_u16_sdwa v2, v12, s44 dst_sel:DWORD dst_unused:UNUSED_PAD src0_sel:BYTE_0 src1_sel:DWORD
	v_mul_lo_u16_sdwa v3, v23, s44 dst_sel:DWORD dst_unused:UNUSED_PAD src0_sel:BYTE_0 src1_sel:DWORD
	v_lshrrev_b16_e32 v2, 11, v2
	v_lshrrev_b16_e32 v3, 11, v3
	v_mul_lo_u16_e32 v2, 10, v2
	v_mul_lo_u16_e32 v3, 10, v3
	v_sub_u16_e32 v2, v12, v2
	v_sub_u16_e32 v3, v23, v3
	v_add_u16_e32 v2, v3, v2
	v_add_u16_e32 v3, -10, v2
	v_min_u16_sdwa v23, v2, v3 dst_sel:DWORD dst_unused:UNUSED_PAD src0_sel:BYTE_0 src1_sel:BYTE_0
	s_or_b64 exec, exec, s[42:43]
	s_and_saveexec_b64 s[42:43], s[66:67]
	s_cbranch_execz .LBB685_577
.LBB685_1201:
	v_lshrrev_b32_e32 v2, 8, v12
	s_movk_i32 s44, 0xcd
	v_mul_lo_u16_sdwa v3, v2, s44 dst_sel:DWORD dst_unused:UNUSED_PAD src0_sel:BYTE_0 src1_sel:DWORD
	v_lshrrev_b16_e32 v3, 11, v3
	v_mul_lo_u16_e32 v3, 10, v3
	v_sub_u16_e32 v2, v2, v3
	v_mul_lo_u16_sdwa v3, v23, s44 dst_sel:DWORD dst_unused:UNUSED_PAD src0_sel:BYTE_0 src1_sel:DWORD
	v_lshrrev_b16_e32 v3, 11, v3
	v_mul_lo_u16_e32 v3, 10, v3
	v_sub_u16_e32 v3, v23, v3
	v_add_u16_e32 v2, v3, v2
	v_add_u16_e32 v3, -10, v2
	v_min_u16_sdwa v23, v2, v3 dst_sel:DWORD dst_unused:UNUSED_PAD src0_sel:BYTE_0 src1_sel:BYTE_0
	s_or_b64 exec, exec, s[42:43]
	s_and_saveexec_b64 s[42:43], s[68:69]
	s_cbranch_execz .LBB685_578
.LBB685_1202:
	s_movk_i32 s44, 0xff
	v_and_b32_sdwa v2, v12, s44 dst_sel:DWORD dst_unused:UNUSED_PAD src0_sel:WORD_1 src1_sel:DWORD
	s_movk_i32 s44, 0xcd
	v_mul_lo_u16_e32 v2, 0xcd, v2
	v_mul_lo_u16_sdwa v3, v23, s44 dst_sel:DWORD dst_unused:UNUSED_PAD src0_sel:BYTE_0 src1_sel:DWORD
	v_lshrrev_b16_e32 v2, 11, v2
	v_lshrrev_b16_e32 v3, 11, v3
	v_mul_lo_u16_e32 v2, 10, v2
	v_mul_lo_u16_e32 v3, 10, v3
	v_sub_u16_sdwa v2, v12, v2 dst_sel:DWORD dst_unused:UNUSED_PAD src0_sel:WORD_1 src1_sel:DWORD
	v_sub_u16_e32 v3, v23, v3
	v_add_u16_e32 v2, v3, v2
	v_add_u16_e32 v3, -10, v2
	v_min_u16_sdwa v23, v2, v3 dst_sel:DWORD dst_unused:UNUSED_PAD src0_sel:BYTE_0 src1_sel:BYTE_0
	s_or_b64 exec, exec, s[42:43]
	s_and_saveexec_b64 s[42:43], s[70:71]
	s_cbranch_execz .LBB685_579
.LBB685_1203:
	v_lshrrev_b64 v[2:3], 24, v[12:13]
	s_movk_i32 s44, 0xcd
	v_mul_lo_u16_sdwa v3, v2, s44 dst_sel:DWORD dst_unused:UNUSED_PAD src0_sel:BYTE_0 src1_sel:DWORD
	v_lshrrev_b16_e32 v3, 11, v3
	v_mul_lo_u16_e32 v3, 10, v3
	v_sub_u16_e32 v2, v2, v3
	v_mul_lo_u16_sdwa v3, v23, s44 dst_sel:DWORD dst_unused:UNUSED_PAD src0_sel:BYTE_0 src1_sel:DWORD
	v_lshrrev_b16_e32 v3, 11, v3
	v_mul_lo_u16_e32 v3, 10, v3
	v_sub_u16_e32 v3, v23, v3
	v_add_u16_e32 v2, v3, v2
	v_add_u16_e32 v3, -10, v2
	v_min_u16_sdwa v23, v2, v3 dst_sel:DWORD dst_unused:UNUSED_PAD src0_sel:BYTE_0 src1_sel:BYTE_0
	s_or_b64 exec, exec, s[42:43]
	s_and_saveexec_b64 s[42:43], s[80:81]
	s_cbranch_execz .LBB685_580
.LBB685_1204:
	s_movk_i32 s44, 0xcd
	v_mul_lo_u16_sdwa v2, v13, s44 dst_sel:DWORD dst_unused:UNUSED_PAD src0_sel:BYTE_0 src1_sel:DWORD
	v_mul_lo_u16_sdwa v3, v23, s44 dst_sel:DWORD dst_unused:UNUSED_PAD src0_sel:BYTE_0 src1_sel:DWORD
	v_lshrrev_b16_e32 v2, 11, v2
	v_lshrrev_b16_e32 v3, 11, v3
	v_mul_lo_u16_e32 v2, 10, v2
	v_mul_lo_u16_e32 v3, 10, v3
	v_sub_u16_e32 v2, v13, v2
	v_sub_u16_e32 v3, v23, v3
	v_add_u16_e32 v2, v3, v2
	v_add_u16_e32 v3, -10, v2
	v_min_u16_sdwa v23, v2, v3 dst_sel:DWORD dst_unused:UNUSED_PAD src0_sel:BYTE_0 src1_sel:BYTE_0
	s_or_b64 exec, exec, s[42:43]
	s_and_saveexec_b64 s[42:43], s[82:83]
	s_cbranch_execz .LBB685_581
.LBB685_1205:
	v_lshrrev_b32_e32 v2, 8, v13
	s_movk_i32 s44, 0xcd
	v_mul_lo_u16_sdwa v3, v2, s44 dst_sel:DWORD dst_unused:UNUSED_PAD src0_sel:BYTE_0 src1_sel:DWORD
	v_lshrrev_b16_e32 v3, 11, v3
	v_mul_lo_u16_e32 v3, 10, v3
	v_sub_u16_e32 v2, v2, v3
	v_mul_lo_u16_sdwa v3, v23, s44 dst_sel:DWORD dst_unused:UNUSED_PAD src0_sel:BYTE_0 src1_sel:DWORD
	v_lshrrev_b16_e32 v3, 11, v3
	v_mul_lo_u16_e32 v3, 10, v3
	v_sub_u16_e32 v3, v23, v3
	v_add_u16_e32 v2, v3, v2
	v_add_u16_e32 v3, -10, v2
	v_min_u16_sdwa v23, v2, v3 dst_sel:DWORD dst_unused:UNUSED_PAD src0_sel:BYTE_0 src1_sel:BYTE_0
	s_or_b64 exec, exec, s[42:43]
	s_and_saveexec_b64 s[42:43], s[84:85]
	s_cbranch_execz .LBB685_582
.LBB685_1206:
	s_movk_i32 s44, 0xff
	v_and_b32_sdwa v2, v13, s44 dst_sel:DWORD dst_unused:UNUSED_PAD src0_sel:WORD_1 src1_sel:DWORD
	s_movk_i32 s44, 0xcd
	v_mul_lo_u16_e32 v2, 0xcd, v2
	v_mul_lo_u16_sdwa v3, v23, s44 dst_sel:DWORD dst_unused:UNUSED_PAD src0_sel:BYTE_0 src1_sel:DWORD
	v_lshrrev_b16_e32 v2, 11, v2
	v_lshrrev_b16_e32 v3, 11, v3
	v_mul_lo_u16_e32 v2, 10, v2
	v_mul_lo_u16_e32 v3, 10, v3
	v_sub_u16_sdwa v2, v13, v2 dst_sel:DWORD dst_unused:UNUSED_PAD src0_sel:WORD_1 src1_sel:DWORD
	v_sub_u16_e32 v3, v23, v3
	v_add_u16_e32 v2, v3, v2
	v_add_u16_e32 v3, -10, v2
	v_min_u16_sdwa v23, v2, v3 dst_sel:DWORD dst_unused:UNUSED_PAD src0_sel:BYTE_0 src1_sel:BYTE_0
	s_or_b64 exec, exec, s[42:43]
	s_and_saveexec_b64 s[42:43], s[86:87]
	s_cbranch_execz .LBB685_583
.LBB685_1207:
	s_movk_i32 s44, 0xcd
	v_mul_lo_u16_sdwa v2, v13, s44 dst_sel:DWORD dst_unused:UNUSED_PAD src0_sel:BYTE_3 src1_sel:DWORD
	v_mul_lo_u16_sdwa v3, v23, s44 dst_sel:DWORD dst_unused:UNUSED_PAD src0_sel:BYTE_0 src1_sel:DWORD
	v_lshrrev_b16_e32 v2, 11, v2
	v_lshrrev_b16_e32 v3, 11, v3
	v_mul_lo_u16_e32 v2, 10, v2
	v_mul_lo_u16_e32 v3, 10, v3
	v_sub_u16_sdwa v2, v13, v2 dst_sel:DWORD dst_unused:UNUSED_PAD src0_sel:BYTE_3 src1_sel:DWORD
	v_sub_u16_e32 v3, v23, v3
	v_add_u16_e32 v2, v3, v2
	v_add_u16_e32 v3, -10, v2
	v_min_u16_sdwa v23, v2, v3 dst_sel:DWORD dst_unused:UNUSED_PAD src0_sel:BYTE_0 src1_sel:BYTE_0
	s_or_b64 exec, exec, s[42:43]
	s_and_saveexec_b64 s[42:43], s[96:97]
	s_cbranch_execz .LBB685_584
.LBB685_1208:
	s_movk_i32 s44, 0xcd
	v_mul_lo_u16_sdwa v2, v14, s44 dst_sel:DWORD dst_unused:UNUSED_PAD src0_sel:BYTE_0 src1_sel:DWORD
	v_mul_lo_u16_sdwa v3, v23, s44 dst_sel:DWORD dst_unused:UNUSED_PAD src0_sel:BYTE_0 src1_sel:DWORD
	v_lshrrev_b16_e32 v2, 11, v2
	v_lshrrev_b16_e32 v3, 11, v3
	v_mul_lo_u16_e32 v2, 10, v2
	v_mul_lo_u16_e32 v3, 10, v3
	v_sub_u16_e32 v2, v14, v2
	v_sub_u16_e32 v3, v23, v3
	v_add_u16_e32 v2, v3, v2
	v_add_u16_e32 v3, -10, v2
	v_min_u16_sdwa v23, v2, v3 dst_sel:DWORD dst_unused:UNUSED_PAD src0_sel:BYTE_0 src1_sel:BYTE_0
	s_or_b64 exec, exec, s[42:43]
	s_and_saveexec_b64 s[42:43], s[98:99]
	s_cbranch_execz .LBB685_585
.LBB685_1209:
	v_lshrrev_b32_e32 v2, 8, v14
	s_movk_i32 s44, 0xcd
	v_mul_lo_u16_sdwa v3, v2, s44 dst_sel:DWORD dst_unused:UNUSED_PAD src0_sel:BYTE_0 src1_sel:DWORD
	v_lshrrev_b16_e32 v3, 11, v3
	v_mul_lo_u16_e32 v3, 10, v3
	v_sub_u16_e32 v2, v2, v3
	v_mul_lo_u16_sdwa v3, v23, s44 dst_sel:DWORD dst_unused:UNUSED_PAD src0_sel:BYTE_0 src1_sel:DWORD
	v_lshrrev_b16_e32 v3, 11, v3
	v_mul_lo_u16_e32 v3, 10, v3
	v_sub_u16_e32 v3, v23, v3
	v_add_u16_e32 v2, v3, v2
	v_add_u16_e32 v3, -10, v2
	v_min_u16_sdwa v23, v2, v3 dst_sel:DWORD dst_unused:UNUSED_PAD src0_sel:BYTE_0 src1_sel:BYTE_0
	s_or_b64 exec, exec, s[42:43]
	s_and_saveexec_b64 s[42:43], s[0:1]
	s_cbranch_execz .LBB685_586
.LBB685_1210:
	s_movk_i32 s0, 0xff
	v_and_b32_sdwa v2, v14, s0 dst_sel:DWORD dst_unused:UNUSED_PAD src0_sel:WORD_1 src1_sel:DWORD
	s_movk_i32 s0, 0xcd
	v_mul_lo_u16_e32 v2, 0xcd, v2
	v_mul_lo_u16_sdwa v3, v23, s0 dst_sel:DWORD dst_unused:UNUSED_PAD src0_sel:BYTE_0 src1_sel:DWORD
	v_lshrrev_b16_e32 v2, 11, v2
	v_lshrrev_b16_e32 v3, 11, v3
	v_mul_lo_u16_e32 v2, 10, v2
	v_mul_lo_u16_e32 v3, 10, v3
	v_sub_u16_sdwa v2, v14, v2 dst_sel:DWORD dst_unused:UNUSED_PAD src0_sel:WORD_1 src1_sel:DWORD
	v_sub_u16_e32 v3, v23, v3
	v_add_u16_e32 v2, v3, v2
	v_add_u16_e32 v3, -10, v2
	v_min_u16_sdwa v23, v2, v3 dst_sel:DWORD dst_unused:UNUSED_PAD src0_sel:BYTE_0 src1_sel:BYTE_0
	s_or_b64 exec, exec, s[42:43]
	s_and_saveexec_b64 s[0:1], s[2:3]
	s_cbranch_execz .LBB685_587
.LBB685_1211:
	v_lshrrev_b64 v[2:3], 24, v[14:15]
	s_movk_i32 s2, 0xcd
	v_mul_lo_u16_sdwa v3, v2, s2 dst_sel:DWORD dst_unused:UNUSED_PAD src0_sel:BYTE_0 src1_sel:DWORD
	v_lshrrev_b16_e32 v3, 11, v3
	v_mul_lo_u16_e32 v3, 10, v3
	v_sub_u16_e32 v2, v2, v3
	v_mul_lo_u16_sdwa v3, v23, s2 dst_sel:DWORD dst_unused:UNUSED_PAD src0_sel:BYTE_0 src1_sel:DWORD
	v_lshrrev_b16_e32 v3, 11, v3
	v_mul_lo_u16_e32 v3, 10, v3
	v_sub_u16_e32 v3, v23, v3
	v_add_u16_e32 v2, v3, v2
	v_add_u16_e32 v3, -10, v2
	v_min_u16_sdwa v23, v2, v3 dst_sel:DWORD dst_unused:UNUSED_PAD src0_sel:BYTE_0 src1_sel:BYTE_0
	s_or_b64 exec, exec, s[0:1]
	s_and_saveexec_b64 s[0:1], s[4:5]
	s_cbranch_execz .LBB685_588
.LBB685_1212:
	s_movk_i32 s2, 0xcd
	v_mul_lo_u16_sdwa v2, v15, s2 dst_sel:DWORD dst_unused:UNUSED_PAD src0_sel:BYTE_0 src1_sel:DWORD
	v_mul_lo_u16_sdwa v3, v23, s2 dst_sel:DWORD dst_unused:UNUSED_PAD src0_sel:BYTE_0 src1_sel:DWORD
	v_lshrrev_b16_e32 v2, 11, v2
	v_lshrrev_b16_e32 v3, 11, v3
	v_mul_lo_u16_e32 v2, 10, v2
	v_mul_lo_u16_e32 v3, 10, v3
	v_sub_u16_e32 v2, v15, v2
	v_sub_u16_e32 v3, v23, v3
	v_add_u16_e32 v2, v3, v2
	v_add_u16_e32 v3, -10, v2
	v_min_u16_sdwa v23, v2, v3 dst_sel:DWORD dst_unused:UNUSED_PAD src0_sel:BYTE_0 src1_sel:BYTE_0
	s_or_b64 exec, exec, s[0:1]
	s_and_saveexec_b64 s[0:1], s[6:7]
	s_cbranch_execz .LBB685_589
.LBB685_1213:
	v_lshrrev_b32_e32 v2, 8, v15
	s_movk_i32 s2, 0xcd
	v_mul_lo_u16_sdwa v3, v2, s2 dst_sel:DWORD dst_unused:UNUSED_PAD src0_sel:BYTE_0 src1_sel:DWORD
	v_lshrrev_b16_e32 v3, 11, v3
	v_mul_lo_u16_e32 v3, 10, v3
	v_sub_u16_e32 v2, v2, v3
	v_mul_lo_u16_sdwa v3, v23, s2 dst_sel:DWORD dst_unused:UNUSED_PAD src0_sel:BYTE_0 src1_sel:DWORD
	v_lshrrev_b16_e32 v3, 11, v3
	v_mul_lo_u16_e32 v3, 10, v3
	v_sub_u16_e32 v3, v23, v3
	v_add_u16_e32 v2, v3, v2
	v_add_u16_e32 v3, -10, v2
	v_min_u16_sdwa v23, v2, v3 dst_sel:DWORD dst_unused:UNUSED_PAD src0_sel:BYTE_0 src1_sel:BYTE_0
	s_or_b64 exec, exec, s[0:1]
	s_and_saveexec_b64 s[0:1], s[8:9]
	s_cbranch_execz .LBB685_590
.LBB685_1214:
	s_movk_i32 s2, 0xff
	v_and_b32_sdwa v2, v15, s2 dst_sel:DWORD dst_unused:UNUSED_PAD src0_sel:WORD_1 src1_sel:DWORD
	s_movk_i32 s2, 0xcd
	v_mul_lo_u16_e32 v2, 0xcd, v2
	v_mul_lo_u16_sdwa v3, v23, s2 dst_sel:DWORD dst_unused:UNUSED_PAD src0_sel:BYTE_0 src1_sel:DWORD
	v_lshrrev_b16_e32 v2, 11, v2
	v_lshrrev_b16_e32 v3, 11, v3
	v_mul_lo_u16_e32 v2, 10, v2
	v_mul_lo_u16_e32 v3, 10, v3
	v_sub_u16_sdwa v2, v15, v2 dst_sel:DWORD dst_unused:UNUSED_PAD src0_sel:WORD_1 src1_sel:DWORD
	v_sub_u16_e32 v3, v23, v3
	v_add_u16_e32 v2, v3, v2
	v_add_u16_e32 v3, -10, v2
	v_min_u16_sdwa v23, v2, v3 dst_sel:DWORD dst_unused:UNUSED_PAD src0_sel:BYTE_0 src1_sel:BYTE_0
	s_or_b64 exec, exec, s[0:1]
	s_and_saveexec_b64 s[0:1], s[10:11]
	s_cbranch_execz .LBB685_591
.LBB685_1215:
	s_movk_i32 s2, 0xcd
	v_mul_lo_u16_sdwa v2, v15, s2 dst_sel:DWORD dst_unused:UNUSED_PAD src0_sel:BYTE_3 src1_sel:DWORD
	v_mul_lo_u16_sdwa v3, v23, s2 dst_sel:DWORD dst_unused:UNUSED_PAD src0_sel:BYTE_0 src1_sel:DWORD
	v_lshrrev_b16_e32 v2, 11, v2
	v_lshrrev_b16_e32 v3, 11, v3
	v_mul_lo_u16_e32 v2, 10, v2
	v_mul_lo_u16_e32 v3, 10, v3
	v_sub_u16_sdwa v2, v15, v2 dst_sel:DWORD dst_unused:UNUSED_PAD src0_sel:BYTE_3 src1_sel:DWORD
	v_sub_u16_e32 v3, v23, v3
	v_add_u16_e32 v2, v3, v2
	v_add_u16_e32 v3, -10, v2
	v_min_u16_sdwa v23, v2, v3 dst_sel:DWORD dst_unused:UNUSED_PAD src0_sel:BYTE_0 src1_sel:BYTE_0
	s_or_b64 exec, exec, s[0:1]
	s_and_saveexec_b64 s[0:1], s[14:15]
	s_cbranch_execz .LBB685_592
.LBB685_1216:
	s_movk_i32 s2, 0xcd
	v_mul_lo_u16_sdwa v2, v16, s2 dst_sel:DWORD dst_unused:UNUSED_PAD src0_sel:BYTE_0 src1_sel:DWORD
	v_mul_lo_u16_sdwa v3, v23, s2 dst_sel:DWORD dst_unused:UNUSED_PAD src0_sel:BYTE_0 src1_sel:DWORD
	v_lshrrev_b16_e32 v2, 11, v2
	v_lshrrev_b16_e32 v3, 11, v3
	v_mul_lo_u16_e32 v2, 10, v2
	v_mul_lo_u16_e32 v3, 10, v3
	v_sub_u16_e32 v2, v16, v2
	v_sub_u16_e32 v3, v23, v3
	v_add_u16_e32 v2, v3, v2
	v_add_u16_e32 v3, -10, v2
	v_min_u16_sdwa v23, v2, v3 dst_sel:DWORD dst_unused:UNUSED_PAD src0_sel:BYTE_0 src1_sel:BYTE_0
	s_or_b64 exec, exec, s[0:1]
	s_and_saveexec_b64 s[0:1], s[16:17]
	s_cbranch_execz .LBB685_593
.LBB685_1217:
	v_lshrrev_b32_e32 v2, 8, v16
	s_movk_i32 s2, 0xcd
	v_mul_lo_u16_sdwa v3, v2, s2 dst_sel:DWORD dst_unused:UNUSED_PAD src0_sel:BYTE_0 src1_sel:DWORD
	v_lshrrev_b16_e32 v3, 11, v3
	v_mul_lo_u16_e32 v3, 10, v3
	v_sub_u16_e32 v2, v2, v3
	v_mul_lo_u16_sdwa v3, v23, s2 dst_sel:DWORD dst_unused:UNUSED_PAD src0_sel:BYTE_0 src1_sel:DWORD
	v_lshrrev_b16_e32 v3, 11, v3
	v_mul_lo_u16_e32 v3, 10, v3
	v_sub_u16_e32 v3, v23, v3
	v_add_u16_e32 v2, v3, v2
	v_add_u16_e32 v3, -10, v2
	v_min_u16_sdwa v23, v2, v3 dst_sel:DWORD dst_unused:UNUSED_PAD src0_sel:BYTE_0 src1_sel:BYTE_0
	s_or_b64 exec, exec, s[0:1]
	s_and_saveexec_b64 s[0:1], s[18:19]
	s_cbranch_execz .LBB685_594
.LBB685_1218:
	s_movk_i32 s2, 0xff
	v_and_b32_sdwa v2, v16, s2 dst_sel:DWORD dst_unused:UNUSED_PAD src0_sel:WORD_1 src1_sel:DWORD
	s_movk_i32 s2, 0xcd
	v_mul_lo_u16_e32 v2, 0xcd, v2
	v_mul_lo_u16_sdwa v3, v23, s2 dst_sel:DWORD dst_unused:UNUSED_PAD src0_sel:BYTE_0 src1_sel:DWORD
	v_lshrrev_b16_e32 v2, 11, v2
	v_lshrrev_b16_e32 v3, 11, v3
	v_mul_lo_u16_e32 v2, 10, v2
	v_mul_lo_u16_e32 v3, 10, v3
	v_sub_u16_sdwa v2, v16, v2 dst_sel:DWORD dst_unused:UNUSED_PAD src0_sel:WORD_1 src1_sel:DWORD
	v_sub_u16_e32 v3, v23, v3
	v_add_u16_e32 v2, v3, v2
	v_add_u16_e32 v3, -10, v2
	v_min_u16_sdwa v23, v2, v3 dst_sel:DWORD dst_unused:UNUSED_PAD src0_sel:BYTE_0 src1_sel:BYTE_0
	s_or_b64 exec, exec, s[0:1]
	s_and_saveexec_b64 s[0:1], s[20:21]
	s_cbranch_execz .LBB685_595
.LBB685_1219:
	v_lshrrev_b64 v[2:3], 24, v[16:17]
	s_movk_i32 s2, 0xcd
	v_mul_lo_u16_sdwa v3, v2, s2 dst_sel:DWORD dst_unused:UNUSED_PAD src0_sel:BYTE_0 src1_sel:DWORD
	v_lshrrev_b16_e32 v3, 11, v3
	v_mul_lo_u16_e32 v3, 10, v3
	v_sub_u16_e32 v2, v2, v3
	v_mul_lo_u16_sdwa v3, v23, s2 dst_sel:DWORD dst_unused:UNUSED_PAD src0_sel:BYTE_0 src1_sel:DWORD
	v_lshrrev_b16_e32 v3, 11, v3
	v_mul_lo_u16_e32 v3, 10, v3
	v_sub_u16_e32 v3, v23, v3
	v_add_u16_e32 v2, v3, v2
	v_add_u16_e32 v3, -10, v2
	v_min_u16_sdwa v23, v2, v3 dst_sel:DWORD dst_unused:UNUSED_PAD src0_sel:BYTE_0 src1_sel:BYTE_0
	s_or_b64 exec, exec, s[0:1]
	s_and_saveexec_b64 s[0:1], s[22:23]
	s_cbranch_execz .LBB685_596
.LBB685_1220:
	s_movk_i32 s2, 0xcd
	v_mul_lo_u16_sdwa v2, v17, s2 dst_sel:DWORD dst_unused:UNUSED_PAD src0_sel:BYTE_0 src1_sel:DWORD
	v_mul_lo_u16_sdwa v3, v23, s2 dst_sel:DWORD dst_unused:UNUSED_PAD src0_sel:BYTE_0 src1_sel:DWORD
	v_lshrrev_b16_e32 v2, 11, v2
	v_lshrrev_b16_e32 v3, 11, v3
	v_mul_lo_u16_e32 v2, 10, v2
	v_mul_lo_u16_e32 v3, 10, v3
	v_sub_u16_e32 v2, v17, v2
	v_sub_u16_e32 v3, v23, v3
	v_add_u16_e32 v2, v3, v2
	v_add_u16_e32 v3, -10, v2
	v_min_u16_sdwa v23, v2, v3 dst_sel:DWORD dst_unused:UNUSED_PAD src0_sel:BYTE_0 src1_sel:BYTE_0
	s_or_b64 exec, exec, s[0:1]
	s_and_saveexec_b64 s[0:1], s[24:25]
	s_cbranch_execz .LBB685_597
.LBB685_1221:
	v_lshrrev_b32_e32 v2, 8, v17
	s_movk_i32 s2, 0xcd
	v_mul_lo_u16_sdwa v3, v2, s2 dst_sel:DWORD dst_unused:UNUSED_PAD src0_sel:BYTE_0 src1_sel:DWORD
	v_lshrrev_b16_e32 v3, 11, v3
	v_mul_lo_u16_e32 v3, 10, v3
	v_sub_u16_e32 v2, v2, v3
	v_mul_lo_u16_sdwa v3, v23, s2 dst_sel:DWORD dst_unused:UNUSED_PAD src0_sel:BYTE_0 src1_sel:DWORD
	v_lshrrev_b16_e32 v3, 11, v3
	v_mul_lo_u16_e32 v3, 10, v3
	v_sub_u16_e32 v3, v23, v3
	v_add_u16_e32 v2, v3, v2
	v_add_u16_e32 v3, -10, v2
	v_min_u16_sdwa v23, v2, v3 dst_sel:DWORD dst_unused:UNUSED_PAD src0_sel:BYTE_0 src1_sel:BYTE_0
	s_or_b64 exec, exec, s[0:1]
	s_and_saveexec_b64 s[0:1], s[26:27]
	s_cbranch_execz .LBB685_598
.LBB685_1222:
	s_movk_i32 s2, 0xff
	v_and_b32_sdwa v2, v17, s2 dst_sel:DWORD dst_unused:UNUSED_PAD src0_sel:WORD_1 src1_sel:DWORD
	s_movk_i32 s2, 0xcd
	v_mul_lo_u16_e32 v2, 0xcd, v2
	v_mul_lo_u16_sdwa v3, v23, s2 dst_sel:DWORD dst_unused:UNUSED_PAD src0_sel:BYTE_0 src1_sel:DWORD
	v_lshrrev_b16_e32 v2, 11, v2
	v_lshrrev_b16_e32 v3, 11, v3
	v_mul_lo_u16_e32 v2, 10, v2
	v_mul_lo_u16_e32 v3, 10, v3
	v_sub_u16_sdwa v2, v17, v2 dst_sel:DWORD dst_unused:UNUSED_PAD src0_sel:WORD_1 src1_sel:DWORD
	v_sub_u16_e32 v3, v23, v3
	v_add_u16_e32 v2, v3, v2
	v_add_u16_e32 v3, -10, v2
	v_min_u16_sdwa v23, v2, v3 dst_sel:DWORD dst_unused:UNUSED_PAD src0_sel:BYTE_0 src1_sel:BYTE_0
	s_or_b64 exec, exec, s[0:1]
	s_and_saveexec_b64 s[0:1], vcc
	s_cbranch_execnz .LBB685_599
	s_branch .LBB685_600
.LBB685_1223:
	v_lshrrev_b32_e32 v0, 8, v20
	s_movk_i32 s34, 0xcd
	v_mul_lo_u16_sdwa v1, v0, s34 dst_sel:DWORD dst_unused:UNUSED_PAD src0_sel:BYTE_0 src1_sel:DWORD
	v_lshrrev_b16_e32 v1, 11, v1
	v_mul_lo_u16_e32 v1, 10, v1
	v_sub_u16_e32 v0, v0, v1
	v_mul_lo_u16_sdwa v1, v37, s34 dst_sel:DWORD dst_unused:UNUSED_PAD src0_sel:BYTE_0 src1_sel:DWORD
	v_lshrrev_b16_e32 v1, 11, v1
	v_mul_lo_u16_e32 v1, 10, v1
	v_sub_u16_e32 v1, v37, v1
	v_add_u16_e32 v0, v1, v0
	v_add_u16_e32 v1, -10, v0
	v_min_u16_sdwa v37, v0, v1 dst_sel:DWORD dst_unused:UNUSED_PAD src0_sel:BYTE_0 src1_sel:BYTE_0
	s_or_b64 exec, exec, s[30:31]
	s_and_saveexec_b64 s[30:31], s[36:37]
	s_cbranch_execz .LBB685_1050
.LBB685_1224:
	s_movk_i32 s34, 0xff
	v_and_b32_sdwa v0, v20, s34 dst_sel:DWORD dst_unused:UNUSED_PAD src0_sel:WORD_1 src1_sel:DWORD
	s_movk_i32 s34, 0xcd
	v_mul_lo_u16_e32 v0, 0xcd, v0
	v_mul_lo_u16_sdwa v1, v37, s34 dst_sel:DWORD dst_unused:UNUSED_PAD src0_sel:BYTE_0 src1_sel:DWORD
	v_lshrrev_b16_e32 v0, 11, v0
	v_lshrrev_b16_e32 v1, 11, v1
	v_mul_lo_u16_e32 v0, 10, v0
	v_mul_lo_u16_e32 v1, 10, v1
	v_sub_u16_sdwa v0, v20, v0 dst_sel:DWORD dst_unused:UNUSED_PAD src0_sel:WORD_1 src1_sel:DWORD
	v_sub_u16_e32 v1, v37, v1
	v_add_u16_e32 v0, v1, v0
	v_add_u16_e32 v1, -10, v0
	v_min_u16_sdwa v37, v0, v1 dst_sel:DWORD dst_unused:UNUSED_PAD src0_sel:BYTE_0 src1_sel:BYTE_0
	s_or_b64 exec, exec, s[30:31]
	s_and_saveexec_b64 s[30:31], s[38:39]
	s_cbranch_execz .LBB685_1051
.LBB685_1225:
	v_lshrrev_b64 v[0:1], 24, v[20:21]
	s_movk_i32 s34, 0xcd
	v_mul_lo_u16_sdwa v1, v0, s34 dst_sel:DWORD dst_unused:UNUSED_PAD src0_sel:BYTE_0 src1_sel:DWORD
	v_lshrrev_b16_e32 v1, 11, v1
	v_mul_lo_u16_e32 v1, 10, v1
	v_sub_u16_e32 v0, v0, v1
	v_mul_lo_u16_sdwa v1, v37, s34 dst_sel:DWORD dst_unused:UNUSED_PAD src0_sel:BYTE_0 src1_sel:DWORD
	v_lshrrev_b16_e32 v1, 11, v1
	v_mul_lo_u16_e32 v1, 10, v1
	v_sub_u16_e32 v1, v37, v1
	v_add_u16_e32 v0, v1, v0
	v_add_u16_e32 v1, -10, v0
	v_min_u16_sdwa v37, v0, v1 dst_sel:DWORD dst_unused:UNUSED_PAD src0_sel:BYTE_0 src1_sel:BYTE_0
	s_or_b64 exec, exec, s[30:31]
	s_and_saveexec_b64 s[30:31], s[48:49]
	s_cbranch_execz .LBB685_1052
.LBB685_1226:
	s_movk_i32 s34, 0xcd
	v_mul_lo_u16_sdwa v0, v21, s34 dst_sel:DWORD dst_unused:UNUSED_PAD src0_sel:BYTE_0 src1_sel:DWORD
	v_mul_lo_u16_sdwa v1, v37, s34 dst_sel:DWORD dst_unused:UNUSED_PAD src0_sel:BYTE_0 src1_sel:DWORD
	v_lshrrev_b16_e32 v0, 11, v0
	v_lshrrev_b16_e32 v1, 11, v1
	v_mul_lo_u16_e32 v0, 10, v0
	v_mul_lo_u16_e32 v1, 10, v1
	v_sub_u16_e32 v0, v21, v0
	v_sub_u16_e32 v1, v37, v1
	v_add_u16_e32 v0, v1, v0
	v_add_u16_e32 v1, -10, v0
	v_min_u16_sdwa v37, v0, v1 dst_sel:DWORD dst_unused:UNUSED_PAD src0_sel:BYTE_0 src1_sel:BYTE_0
	s_or_b64 exec, exec, s[30:31]
	s_and_saveexec_b64 s[30:31], s[50:51]
	s_cbranch_execz .LBB685_1053
.LBB685_1227:
	v_lshrrev_b32_e32 v0, 8, v21
	s_movk_i32 s34, 0xcd
	v_mul_lo_u16_sdwa v1, v0, s34 dst_sel:DWORD dst_unused:UNUSED_PAD src0_sel:BYTE_0 src1_sel:DWORD
	v_lshrrev_b16_e32 v1, 11, v1
	v_mul_lo_u16_e32 v1, 10, v1
	v_sub_u16_e32 v0, v0, v1
	v_mul_lo_u16_sdwa v1, v37, s34 dst_sel:DWORD dst_unused:UNUSED_PAD src0_sel:BYTE_0 src1_sel:DWORD
	v_lshrrev_b16_e32 v1, 11, v1
	v_mul_lo_u16_e32 v1, 10, v1
	v_sub_u16_e32 v1, v37, v1
	v_add_u16_e32 v0, v1, v0
	v_add_u16_e32 v1, -10, v0
	v_min_u16_sdwa v37, v0, v1 dst_sel:DWORD dst_unused:UNUSED_PAD src0_sel:BYTE_0 src1_sel:BYTE_0
	s_or_b64 exec, exec, s[30:31]
	s_and_saveexec_b64 s[30:31], s[52:53]
	s_cbranch_execz .LBB685_1054
.LBB685_1228:
	s_movk_i32 s34, 0xff
	v_and_b32_sdwa v0, v21, s34 dst_sel:DWORD dst_unused:UNUSED_PAD src0_sel:WORD_1 src1_sel:DWORD
	s_movk_i32 s34, 0xcd
	v_mul_lo_u16_e32 v0, 0xcd, v0
	v_mul_lo_u16_sdwa v1, v37, s34 dst_sel:DWORD dst_unused:UNUSED_PAD src0_sel:BYTE_0 src1_sel:DWORD
	v_lshrrev_b16_e32 v0, 11, v0
	v_lshrrev_b16_e32 v1, 11, v1
	v_mul_lo_u16_e32 v0, 10, v0
	v_mul_lo_u16_e32 v1, 10, v1
	v_sub_u16_sdwa v0, v21, v0 dst_sel:DWORD dst_unused:UNUSED_PAD src0_sel:WORD_1 src1_sel:DWORD
	v_sub_u16_e32 v1, v37, v1
	v_add_u16_e32 v0, v1, v0
	v_add_u16_e32 v1, -10, v0
	v_min_u16_sdwa v37, v0, v1 dst_sel:DWORD dst_unused:UNUSED_PAD src0_sel:BYTE_0 src1_sel:BYTE_0
	s_or_b64 exec, exec, s[30:31]
	s_and_saveexec_b64 s[30:31], s[54:55]
	s_cbranch_execz .LBB685_1055
.LBB685_1229:
	s_movk_i32 s34, 0xcd
	v_mul_lo_u16_sdwa v0, v21, s34 dst_sel:DWORD dst_unused:UNUSED_PAD src0_sel:BYTE_3 src1_sel:DWORD
	v_mul_lo_u16_sdwa v1, v37, s34 dst_sel:DWORD dst_unused:UNUSED_PAD src0_sel:BYTE_0 src1_sel:DWORD
	v_lshrrev_b16_e32 v0, 11, v0
	v_lshrrev_b16_e32 v1, 11, v1
	v_mul_lo_u16_e32 v0, 10, v0
	v_mul_lo_u16_e32 v1, 10, v1
	v_sub_u16_sdwa v0, v21, v0 dst_sel:DWORD dst_unused:UNUSED_PAD src0_sel:BYTE_3 src1_sel:DWORD
	v_sub_u16_e32 v1, v37, v1
	v_add_u16_e32 v0, v1, v0
	v_add_u16_e32 v1, -10, v0
	v_min_u16_sdwa v37, v0, v1 dst_sel:DWORD dst_unused:UNUSED_PAD src0_sel:BYTE_0 src1_sel:BYTE_0
	s_or_b64 exec, exec, s[30:31]
	s_and_saveexec_b64 s[30:31], s[64:65]
	s_cbranch_execz .LBB685_1056
.LBB685_1230:
	s_movk_i32 s34, 0xcd
	v_mul_lo_u16_sdwa v0, v22, s34 dst_sel:DWORD dst_unused:UNUSED_PAD src0_sel:BYTE_0 src1_sel:DWORD
	v_mul_lo_u16_sdwa v1, v37, s34 dst_sel:DWORD dst_unused:UNUSED_PAD src0_sel:BYTE_0 src1_sel:DWORD
	v_lshrrev_b16_e32 v0, 11, v0
	v_lshrrev_b16_e32 v1, 11, v1
	v_mul_lo_u16_e32 v0, 10, v0
	v_mul_lo_u16_e32 v1, 10, v1
	v_sub_u16_e32 v0, v22, v0
	v_sub_u16_e32 v1, v37, v1
	v_add_u16_e32 v0, v1, v0
	v_add_u16_e32 v1, -10, v0
	v_min_u16_sdwa v37, v0, v1 dst_sel:DWORD dst_unused:UNUSED_PAD src0_sel:BYTE_0 src1_sel:BYTE_0
	s_or_b64 exec, exec, s[30:31]
	s_and_saveexec_b64 s[30:31], s[66:67]
	s_cbranch_execz .LBB685_1057
.LBB685_1231:
	v_lshrrev_b32_e32 v0, 8, v22
	s_movk_i32 s34, 0xcd
	v_mul_lo_u16_sdwa v1, v0, s34 dst_sel:DWORD dst_unused:UNUSED_PAD src0_sel:BYTE_0 src1_sel:DWORD
	v_lshrrev_b16_e32 v1, 11, v1
	v_mul_lo_u16_e32 v1, 10, v1
	v_sub_u16_e32 v0, v0, v1
	v_mul_lo_u16_sdwa v1, v37, s34 dst_sel:DWORD dst_unused:UNUSED_PAD src0_sel:BYTE_0 src1_sel:DWORD
	v_lshrrev_b16_e32 v1, 11, v1
	v_mul_lo_u16_e32 v1, 10, v1
	v_sub_u16_e32 v1, v37, v1
	v_add_u16_e32 v0, v1, v0
	v_add_u16_e32 v1, -10, v0
	v_min_u16_sdwa v37, v0, v1 dst_sel:DWORD dst_unused:UNUSED_PAD src0_sel:BYTE_0 src1_sel:BYTE_0
	s_or_b64 exec, exec, s[30:31]
	s_and_saveexec_b64 s[30:31], s[68:69]
	s_cbranch_execz .LBB685_1058
.LBB685_1232:
	s_movk_i32 s34, 0xff
	v_and_b32_sdwa v0, v22, s34 dst_sel:DWORD dst_unused:UNUSED_PAD src0_sel:WORD_1 src1_sel:DWORD
	s_movk_i32 s34, 0xcd
	v_mul_lo_u16_e32 v0, 0xcd, v0
	v_mul_lo_u16_sdwa v1, v37, s34 dst_sel:DWORD dst_unused:UNUSED_PAD src0_sel:BYTE_0 src1_sel:DWORD
	v_lshrrev_b16_e32 v0, 11, v0
	v_lshrrev_b16_e32 v1, 11, v1
	v_mul_lo_u16_e32 v0, 10, v0
	v_mul_lo_u16_e32 v1, 10, v1
	v_sub_u16_sdwa v0, v22, v0 dst_sel:DWORD dst_unused:UNUSED_PAD src0_sel:WORD_1 src1_sel:DWORD
	v_sub_u16_e32 v1, v37, v1
	v_add_u16_e32 v0, v1, v0
	v_add_u16_e32 v1, -10, v0
	v_min_u16_sdwa v37, v0, v1 dst_sel:DWORD dst_unused:UNUSED_PAD src0_sel:BYTE_0 src1_sel:BYTE_0
	s_or_b64 exec, exec, s[30:31]
	s_and_saveexec_b64 s[30:31], s[70:71]
	s_cbranch_execz .LBB685_1059
.LBB685_1233:
	v_lshrrev_b64 v[0:1], 24, v[22:23]
	s_movk_i32 s34, 0xcd
	v_mul_lo_u16_sdwa v1, v0, s34 dst_sel:DWORD dst_unused:UNUSED_PAD src0_sel:BYTE_0 src1_sel:DWORD
	v_lshrrev_b16_e32 v1, 11, v1
	v_mul_lo_u16_e32 v1, 10, v1
	v_sub_u16_e32 v0, v0, v1
	v_mul_lo_u16_sdwa v1, v37, s34 dst_sel:DWORD dst_unused:UNUSED_PAD src0_sel:BYTE_0 src1_sel:DWORD
	v_lshrrev_b16_e32 v1, 11, v1
	v_mul_lo_u16_e32 v1, 10, v1
	v_sub_u16_e32 v1, v37, v1
	v_add_u16_e32 v0, v1, v0
	v_add_u16_e32 v1, -10, v0
	v_min_u16_sdwa v37, v0, v1 dst_sel:DWORD dst_unused:UNUSED_PAD src0_sel:BYTE_0 src1_sel:BYTE_0
	s_or_b64 exec, exec, s[30:31]
	s_and_saveexec_b64 s[30:31], s[80:81]
	s_cbranch_execz .LBB685_1060
.LBB685_1234:
	s_movk_i32 s34, 0xcd
	v_mul_lo_u16_sdwa v0, v23, s34 dst_sel:DWORD dst_unused:UNUSED_PAD src0_sel:BYTE_0 src1_sel:DWORD
	v_mul_lo_u16_sdwa v1, v37, s34 dst_sel:DWORD dst_unused:UNUSED_PAD src0_sel:BYTE_0 src1_sel:DWORD
	v_lshrrev_b16_e32 v0, 11, v0
	v_lshrrev_b16_e32 v1, 11, v1
	v_mul_lo_u16_e32 v0, 10, v0
	v_mul_lo_u16_e32 v1, 10, v1
	v_sub_u16_e32 v0, v23, v0
	v_sub_u16_e32 v1, v37, v1
	v_add_u16_e32 v0, v1, v0
	v_add_u16_e32 v1, -10, v0
	v_min_u16_sdwa v37, v0, v1 dst_sel:DWORD dst_unused:UNUSED_PAD src0_sel:BYTE_0 src1_sel:BYTE_0
	s_or_b64 exec, exec, s[30:31]
	s_and_saveexec_b64 s[30:31], s[82:83]
	s_cbranch_execz .LBB685_1061
.LBB685_1235:
	v_lshrrev_b32_e32 v0, 8, v23
	s_movk_i32 s34, 0xcd
	v_mul_lo_u16_sdwa v1, v0, s34 dst_sel:DWORD dst_unused:UNUSED_PAD src0_sel:BYTE_0 src1_sel:DWORD
	v_lshrrev_b16_e32 v1, 11, v1
	v_mul_lo_u16_e32 v1, 10, v1
	v_sub_u16_e32 v0, v0, v1
	v_mul_lo_u16_sdwa v1, v37, s34 dst_sel:DWORD dst_unused:UNUSED_PAD src0_sel:BYTE_0 src1_sel:DWORD
	v_lshrrev_b16_e32 v1, 11, v1
	v_mul_lo_u16_e32 v1, 10, v1
	v_sub_u16_e32 v1, v37, v1
	v_add_u16_e32 v0, v1, v0
	v_add_u16_e32 v1, -10, v0
	v_min_u16_sdwa v37, v0, v1 dst_sel:DWORD dst_unused:UNUSED_PAD src0_sel:BYTE_0 src1_sel:BYTE_0
	s_or_b64 exec, exec, s[30:31]
	s_and_saveexec_b64 s[30:31], s[84:85]
	s_cbranch_execz .LBB685_1062
.LBB685_1236:
	s_movk_i32 s34, 0xff
	v_and_b32_sdwa v0, v23, s34 dst_sel:DWORD dst_unused:UNUSED_PAD src0_sel:WORD_1 src1_sel:DWORD
	s_movk_i32 s34, 0xcd
	v_mul_lo_u16_e32 v0, 0xcd, v0
	v_mul_lo_u16_sdwa v1, v37, s34 dst_sel:DWORD dst_unused:UNUSED_PAD src0_sel:BYTE_0 src1_sel:DWORD
	v_lshrrev_b16_e32 v0, 11, v0
	v_lshrrev_b16_e32 v1, 11, v1
	v_mul_lo_u16_e32 v0, 10, v0
	v_mul_lo_u16_e32 v1, 10, v1
	v_sub_u16_sdwa v0, v23, v0 dst_sel:DWORD dst_unused:UNUSED_PAD src0_sel:WORD_1 src1_sel:DWORD
	v_sub_u16_e32 v1, v37, v1
	v_add_u16_e32 v0, v1, v0
	v_add_u16_e32 v1, -10, v0
	v_min_u16_sdwa v37, v0, v1 dst_sel:DWORD dst_unused:UNUSED_PAD src0_sel:BYTE_0 src1_sel:BYTE_0
	s_or_b64 exec, exec, s[30:31]
	s_and_saveexec_b64 s[30:31], s[86:87]
	s_cbranch_execz .LBB685_1063
.LBB685_1237:
	s_movk_i32 s34, 0xcd
	v_mul_lo_u16_sdwa v0, v23, s34 dst_sel:DWORD dst_unused:UNUSED_PAD src0_sel:BYTE_3 src1_sel:DWORD
	v_mul_lo_u16_sdwa v1, v37, s34 dst_sel:DWORD dst_unused:UNUSED_PAD src0_sel:BYTE_0 src1_sel:DWORD
	v_lshrrev_b16_e32 v0, 11, v0
	v_lshrrev_b16_e32 v1, 11, v1
	v_mul_lo_u16_e32 v0, 10, v0
	v_mul_lo_u16_e32 v1, 10, v1
	v_sub_u16_sdwa v0, v23, v0 dst_sel:DWORD dst_unused:UNUSED_PAD src0_sel:BYTE_3 src1_sel:DWORD
	v_sub_u16_e32 v1, v37, v1
	v_add_u16_e32 v0, v1, v0
	v_add_u16_e32 v1, -10, v0
	v_min_u16_sdwa v37, v0, v1 dst_sel:DWORD dst_unused:UNUSED_PAD src0_sel:BYTE_0 src1_sel:BYTE_0
	s_or_b64 exec, exec, s[30:31]
	s_and_saveexec_b64 s[30:31], s[96:97]
	s_cbranch_execz .LBB685_1064
.LBB685_1238:
	s_movk_i32 s34, 0xcd
	v_mul_lo_u16_sdwa v0, v24, s34 dst_sel:DWORD dst_unused:UNUSED_PAD src0_sel:BYTE_0 src1_sel:DWORD
	v_mul_lo_u16_sdwa v1, v37, s34 dst_sel:DWORD dst_unused:UNUSED_PAD src0_sel:BYTE_0 src1_sel:DWORD
	v_lshrrev_b16_e32 v0, 11, v0
	v_lshrrev_b16_e32 v1, 11, v1
	v_mul_lo_u16_e32 v0, 10, v0
	v_mul_lo_u16_e32 v1, 10, v1
	v_sub_u16_e32 v0, v24, v0
	v_sub_u16_e32 v1, v37, v1
	v_add_u16_e32 v0, v1, v0
	v_add_u16_e32 v1, -10, v0
	v_min_u16_sdwa v37, v0, v1 dst_sel:DWORD dst_unused:UNUSED_PAD src0_sel:BYTE_0 src1_sel:BYTE_0
	s_or_b64 exec, exec, s[30:31]
	s_and_saveexec_b64 s[30:31], s[98:99]
	s_cbranch_execz .LBB685_1065
.LBB685_1239:
	v_lshrrev_b32_e32 v0, 8, v24
	s_movk_i32 s34, 0xcd
	v_mul_lo_u16_sdwa v1, v0, s34 dst_sel:DWORD dst_unused:UNUSED_PAD src0_sel:BYTE_0 src1_sel:DWORD
	v_lshrrev_b16_e32 v1, 11, v1
	v_mul_lo_u16_e32 v1, 10, v1
	v_sub_u16_e32 v0, v0, v1
	v_mul_lo_u16_sdwa v1, v37, s34 dst_sel:DWORD dst_unused:UNUSED_PAD src0_sel:BYTE_0 src1_sel:DWORD
	v_lshrrev_b16_e32 v1, 11, v1
	v_mul_lo_u16_e32 v1, 10, v1
	v_sub_u16_e32 v1, v37, v1
	v_add_u16_e32 v0, v1, v0
	v_add_u16_e32 v1, -10, v0
	v_min_u16_sdwa v37, v0, v1 dst_sel:DWORD dst_unused:UNUSED_PAD src0_sel:BYTE_0 src1_sel:BYTE_0
	s_or_b64 exec, exec, s[30:31]
	s_and_saveexec_b64 s[30:31], s[0:1]
	s_cbranch_execz .LBB685_1066
.LBB685_1240:
	s_movk_i32 s0, 0xff
	v_and_b32_sdwa v0, v24, s0 dst_sel:DWORD dst_unused:UNUSED_PAD src0_sel:WORD_1 src1_sel:DWORD
	s_movk_i32 s0, 0xcd
	v_mul_lo_u16_e32 v0, 0xcd, v0
	v_mul_lo_u16_sdwa v1, v37, s0 dst_sel:DWORD dst_unused:UNUSED_PAD src0_sel:BYTE_0 src1_sel:DWORD
	v_lshrrev_b16_e32 v0, 11, v0
	v_lshrrev_b16_e32 v1, 11, v1
	v_mul_lo_u16_e32 v0, 10, v0
	v_mul_lo_u16_e32 v1, 10, v1
	v_sub_u16_sdwa v0, v24, v0 dst_sel:DWORD dst_unused:UNUSED_PAD src0_sel:WORD_1 src1_sel:DWORD
	v_sub_u16_e32 v1, v37, v1
	v_add_u16_e32 v0, v1, v0
	v_add_u16_e32 v1, -10, v0
	v_min_u16_sdwa v37, v0, v1 dst_sel:DWORD dst_unused:UNUSED_PAD src0_sel:BYTE_0 src1_sel:BYTE_0
	s_or_b64 exec, exec, s[30:31]
	s_and_saveexec_b64 s[0:1], s[2:3]
	s_cbranch_execz .LBB685_1067
.LBB685_1241:
	v_lshrrev_b64 v[0:1], 24, v[24:25]
	s_movk_i32 s2, 0xcd
	v_mul_lo_u16_sdwa v1, v0, s2 dst_sel:DWORD dst_unused:UNUSED_PAD src0_sel:BYTE_0 src1_sel:DWORD
	v_lshrrev_b16_e32 v1, 11, v1
	v_mul_lo_u16_e32 v1, 10, v1
	v_sub_u16_e32 v0, v0, v1
	v_mul_lo_u16_sdwa v1, v37, s2 dst_sel:DWORD dst_unused:UNUSED_PAD src0_sel:BYTE_0 src1_sel:DWORD
	v_lshrrev_b16_e32 v1, 11, v1
	v_mul_lo_u16_e32 v1, 10, v1
	v_sub_u16_e32 v1, v37, v1
	v_add_u16_e32 v0, v1, v0
	v_add_u16_e32 v1, -10, v0
	v_min_u16_sdwa v37, v0, v1 dst_sel:DWORD dst_unused:UNUSED_PAD src0_sel:BYTE_0 src1_sel:BYTE_0
	s_or_b64 exec, exec, s[0:1]
	s_and_saveexec_b64 s[0:1], s[4:5]
	s_cbranch_execz .LBB685_1068
.LBB685_1242:
	s_movk_i32 s2, 0xcd
	v_mul_lo_u16_sdwa v0, v25, s2 dst_sel:DWORD dst_unused:UNUSED_PAD src0_sel:BYTE_0 src1_sel:DWORD
	v_mul_lo_u16_sdwa v1, v37, s2 dst_sel:DWORD dst_unused:UNUSED_PAD src0_sel:BYTE_0 src1_sel:DWORD
	v_lshrrev_b16_e32 v0, 11, v0
	v_lshrrev_b16_e32 v1, 11, v1
	v_mul_lo_u16_e32 v0, 10, v0
	v_mul_lo_u16_e32 v1, 10, v1
	v_sub_u16_e32 v0, v25, v0
	v_sub_u16_e32 v1, v37, v1
	v_add_u16_e32 v0, v1, v0
	v_add_u16_e32 v1, -10, v0
	v_min_u16_sdwa v37, v0, v1 dst_sel:DWORD dst_unused:UNUSED_PAD src0_sel:BYTE_0 src1_sel:BYTE_0
	s_or_b64 exec, exec, s[0:1]
	s_and_saveexec_b64 s[0:1], s[6:7]
	s_cbranch_execz .LBB685_1069
.LBB685_1243:
	v_lshrrev_b32_e32 v0, 8, v25
	s_movk_i32 s2, 0xcd
	v_mul_lo_u16_sdwa v1, v0, s2 dst_sel:DWORD dst_unused:UNUSED_PAD src0_sel:BYTE_0 src1_sel:DWORD
	v_lshrrev_b16_e32 v1, 11, v1
	v_mul_lo_u16_e32 v1, 10, v1
	v_sub_u16_e32 v0, v0, v1
	v_mul_lo_u16_sdwa v1, v37, s2 dst_sel:DWORD dst_unused:UNUSED_PAD src0_sel:BYTE_0 src1_sel:DWORD
	v_lshrrev_b16_e32 v1, 11, v1
	v_mul_lo_u16_e32 v1, 10, v1
	v_sub_u16_e32 v1, v37, v1
	v_add_u16_e32 v0, v1, v0
	v_add_u16_e32 v1, -10, v0
	v_min_u16_sdwa v37, v0, v1 dst_sel:DWORD dst_unused:UNUSED_PAD src0_sel:BYTE_0 src1_sel:BYTE_0
	s_or_b64 exec, exec, s[0:1]
	s_and_saveexec_b64 s[0:1], s[8:9]
	s_cbranch_execz .LBB685_1070
.LBB685_1244:
	s_movk_i32 s2, 0xff
	v_and_b32_sdwa v0, v25, s2 dst_sel:DWORD dst_unused:UNUSED_PAD src0_sel:WORD_1 src1_sel:DWORD
	s_movk_i32 s2, 0xcd
	v_mul_lo_u16_e32 v0, 0xcd, v0
	v_mul_lo_u16_sdwa v1, v37, s2 dst_sel:DWORD dst_unused:UNUSED_PAD src0_sel:BYTE_0 src1_sel:DWORD
	v_lshrrev_b16_e32 v0, 11, v0
	v_lshrrev_b16_e32 v1, 11, v1
	v_mul_lo_u16_e32 v0, 10, v0
	v_mul_lo_u16_e32 v1, 10, v1
	v_sub_u16_sdwa v0, v25, v0 dst_sel:DWORD dst_unused:UNUSED_PAD src0_sel:WORD_1 src1_sel:DWORD
	v_sub_u16_e32 v1, v37, v1
	v_add_u16_e32 v0, v1, v0
	v_add_u16_e32 v1, -10, v0
	v_min_u16_sdwa v37, v0, v1 dst_sel:DWORD dst_unused:UNUSED_PAD src0_sel:BYTE_0 src1_sel:BYTE_0
	s_or_b64 exec, exec, s[0:1]
	s_and_saveexec_b64 s[0:1], s[10:11]
	s_cbranch_execz .LBB685_1071
.LBB685_1245:
	s_movk_i32 s2, 0xcd
	v_mul_lo_u16_sdwa v0, v25, s2 dst_sel:DWORD dst_unused:UNUSED_PAD src0_sel:BYTE_3 src1_sel:DWORD
	v_mul_lo_u16_sdwa v1, v37, s2 dst_sel:DWORD dst_unused:UNUSED_PAD src0_sel:BYTE_0 src1_sel:DWORD
	v_lshrrev_b16_e32 v0, 11, v0
	v_lshrrev_b16_e32 v1, 11, v1
	v_mul_lo_u16_e32 v0, 10, v0
	v_mul_lo_u16_e32 v1, 10, v1
	v_sub_u16_sdwa v0, v25, v0 dst_sel:DWORD dst_unused:UNUSED_PAD src0_sel:BYTE_3 src1_sel:DWORD
	v_sub_u16_e32 v1, v37, v1
	v_add_u16_e32 v0, v1, v0
	v_add_u16_e32 v1, -10, v0
	v_min_u16_sdwa v37, v0, v1 dst_sel:DWORD dst_unused:UNUSED_PAD src0_sel:BYTE_0 src1_sel:BYTE_0
	s_or_b64 exec, exec, s[0:1]
	s_and_saveexec_b64 s[0:1], s[14:15]
	s_cbranch_execz .LBB685_1072
.LBB685_1246:
	s_movk_i32 s2, 0xcd
	v_mul_lo_u16_sdwa v0, v26, s2 dst_sel:DWORD dst_unused:UNUSED_PAD src0_sel:BYTE_0 src1_sel:DWORD
	v_mul_lo_u16_sdwa v1, v37, s2 dst_sel:DWORD dst_unused:UNUSED_PAD src0_sel:BYTE_0 src1_sel:DWORD
	v_lshrrev_b16_e32 v0, 11, v0
	v_lshrrev_b16_e32 v1, 11, v1
	v_mul_lo_u16_e32 v0, 10, v0
	v_mul_lo_u16_e32 v1, 10, v1
	v_sub_u16_e32 v0, v26, v0
	v_sub_u16_e32 v1, v37, v1
	v_add_u16_e32 v0, v1, v0
	v_add_u16_e32 v1, -10, v0
	v_min_u16_sdwa v37, v0, v1 dst_sel:DWORD dst_unused:UNUSED_PAD src0_sel:BYTE_0 src1_sel:BYTE_0
	s_or_b64 exec, exec, s[0:1]
	s_and_saveexec_b64 s[0:1], s[16:17]
	s_cbranch_execz .LBB685_1073
.LBB685_1247:
	v_lshrrev_b32_e32 v0, 8, v26
	s_movk_i32 s2, 0xcd
	v_mul_lo_u16_sdwa v1, v0, s2 dst_sel:DWORD dst_unused:UNUSED_PAD src0_sel:BYTE_0 src1_sel:DWORD
	v_lshrrev_b16_e32 v1, 11, v1
	v_mul_lo_u16_e32 v1, 10, v1
	v_sub_u16_e32 v0, v0, v1
	v_mul_lo_u16_sdwa v1, v37, s2 dst_sel:DWORD dst_unused:UNUSED_PAD src0_sel:BYTE_0 src1_sel:DWORD
	v_lshrrev_b16_e32 v1, 11, v1
	v_mul_lo_u16_e32 v1, 10, v1
	v_sub_u16_e32 v1, v37, v1
	v_add_u16_e32 v0, v1, v0
	v_add_u16_e32 v1, -10, v0
	v_min_u16_sdwa v37, v0, v1 dst_sel:DWORD dst_unused:UNUSED_PAD src0_sel:BYTE_0 src1_sel:BYTE_0
	s_or_b64 exec, exec, s[0:1]
	s_and_saveexec_b64 s[0:1], s[18:19]
	s_cbranch_execz .LBB685_1074
.LBB685_1248:
	s_movk_i32 s2, 0xff
	v_and_b32_sdwa v0, v26, s2 dst_sel:DWORD dst_unused:UNUSED_PAD src0_sel:WORD_1 src1_sel:DWORD
	s_movk_i32 s2, 0xcd
	v_mul_lo_u16_e32 v0, 0xcd, v0
	v_mul_lo_u16_sdwa v1, v37, s2 dst_sel:DWORD dst_unused:UNUSED_PAD src0_sel:BYTE_0 src1_sel:DWORD
	v_lshrrev_b16_e32 v0, 11, v0
	v_lshrrev_b16_e32 v1, 11, v1
	v_mul_lo_u16_e32 v0, 10, v0
	v_mul_lo_u16_e32 v1, 10, v1
	v_sub_u16_sdwa v0, v26, v0 dst_sel:DWORD dst_unused:UNUSED_PAD src0_sel:WORD_1 src1_sel:DWORD
	v_sub_u16_e32 v1, v37, v1
	v_add_u16_e32 v0, v1, v0
	v_add_u16_e32 v1, -10, v0
	v_min_u16_sdwa v37, v0, v1 dst_sel:DWORD dst_unused:UNUSED_PAD src0_sel:BYTE_0 src1_sel:BYTE_0
	s_or_b64 exec, exec, s[0:1]
	s_and_saveexec_b64 s[0:1], s[20:21]
	s_cbranch_execz .LBB685_1075
.LBB685_1249:
	v_lshrrev_b64 v[0:1], 24, v[26:27]
	s_movk_i32 s2, 0xcd
	v_mul_lo_u16_sdwa v1, v0, s2 dst_sel:DWORD dst_unused:UNUSED_PAD src0_sel:BYTE_0 src1_sel:DWORD
	v_lshrrev_b16_e32 v1, 11, v1
	v_mul_lo_u16_e32 v1, 10, v1
	v_sub_u16_e32 v0, v0, v1
	v_mul_lo_u16_sdwa v1, v37, s2 dst_sel:DWORD dst_unused:UNUSED_PAD src0_sel:BYTE_0 src1_sel:DWORD
	v_lshrrev_b16_e32 v1, 11, v1
	v_mul_lo_u16_e32 v1, 10, v1
	v_sub_u16_e32 v1, v37, v1
	v_add_u16_e32 v0, v1, v0
	v_add_u16_e32 v1, -10, v0
	v_min_u16_sdwa v37, v0, v1 dst_sel:DWORD dst_unused:UNUSED_PAD src0_sel:BYTE_0 src1_sel:BYTE_0
	s_or_b64 exec, exec, s[0:1]
	s_and_saveexec_b64 s[0:1], s[22:23]
	s_cbranch_execz .LBB685_1076
.LBB685_1250:
	s_movk_i32 s2, 0xcd
	v_mul_lo_u16_sdwa v0, v27, s2 dst_sel:DWORD dst_unused:UNUSED_PAD src0_sel:BYTE_0 src1_sel:DWORD
	v_mul_lo_u16_sdwa v1, v37, s2 dst_sel:DWORD dst_unused:UNUSED_PAD src0_sel:BYTE_0 src1_sel:DWORD
	v_lshrrev_b16_e32 v0, 11, v0
	v_lshrrev_b16_e32 v1, 11, v1
	v_mul_lo_u16_e32 v0, 10, v0
	v_mul_lo_u16_e32 v1, 10, v1
	v_sub_u16_e32 v0, v27, v0
	v_sub_u16_e32 v1, v37, v1
	v_add_u16_e32 v0, v1, v0
	v_add_u16_e32 v1, -10, v0
	v_min_u16_sdwa v37, v0, v1 dst_sel:DWORD dst_unused:UNUSED_PAD src0_sel:BYTE_0 src1_sel:BYTE_0
	s_or_b64 exec, exec, s[0:1]
	s_and_saveexec_b64 s[0:1], s[24:25]
	s_cbranch_execz .LBB685_1077
.LBB685_1251:
	v_lshrrev_b32_e32 v0, 8, v27
	s_movk_i32 s2, 0xcd
	v_mul_lo_u16_sdwa v1, v0, s2 dst_sel:DWORD dst_unused:UNUSED_PAD src0_sel:BYTE_0 src1_sel:DWORD
	v_lshrrev_b16_e32 v1, 11, v1
	v_mul_lo_u16_e32 v1, 10, v1
	v_sub_u16_e32 v0, v0, v1
	v_mul_lo_u16_sdwa v1, v37, s2 dst_sel:DWORD dst_unused:UNUSED_PAD src0_sel:BYTE_0 src1_sel:DWORD
	v_lshrrev_b16_e32 v1, 11, v1
	v_mul_lo_u16_e32 v1, 10, v1
	v_sub_u16_e32 v1, v37, v1
	v_add_u16_e32 v0, v1, v0
	v_add_u16_e32 v1, -10, v0
	v_min_u16_sdwa v37, v0, v1 dst_sel:DWORD dst_unused:UNUSED_PAD src0_sel:BYTE_0 src1_sel:BYTE_0
	s_or_b64 exec, exec, s[0:1]
	s_and_saveexec_b64 s[0:1], s[26:27]
	s_cbranch_execz .LBB685_1078
.LBB685_1252:
	s_movk_i32 s2, 0xff
	v_and_b32_sdwa v0, v27, s2 dst_sel:DWORD dst_unused:UNUSED_PAD src0_sel:WORD_1 src1_sel:DWORD
	s_movk_i32 s2, 0xcd
	v_mul_lo_u16_e32 v0, 0xcd, v0
	v_mul_lo_u16_sdwa v1, v37, s2 dst_sel:DWORD dst_unused:UNUSED_PAD src0_sel:BYTE_0 src1_sel:DWORD
	v_lshrrev_b16_e32 v0, 11, v0
	v_lshrrev_b16_e32 v1, 11, v1
	v_mul_lo_u16_e32 v0, 10, v0
	v_mul_lo_u16_e32 v1, 10, v1
	v_sub_u16_sdwa v0, v27, v0 dst_sel:DWORD dst_unused:UNUSED_PAD src0_sel:WORD_1 src1_sel:DWORD
	v_sub_u16_e32 v1, v37, v1
	v_add_u16_e32 v0, v1, v0
	v_add_u16_e32 v1, -10, v0
	v_min_u16_sdwa v37, v0, v1 dst_sel:DWORD dst_unused:UNUSED_PAD src0_sel:BYTE_0 src1_sel:BYTE_0
	s_or_b64 exec, exec, s[0:1]
	s_and_saveexec_b64 s[0:1], s[28:29]
	s_cbranch_execz .LBB685_1079
.LBB685_1253:
	s_movk_i32 s2, 0xcd
	v_mul_lo_u16_sdwa v0, v27, s2 dst_sel:DWORD dst_unused:UNUSED_PAD src0_sel:BYTE_3 src1_sel:DWORD
	v_mul_lo_u16_sdwa v1, v37, s2 dst_sel:DWORD dst_unused:UNUSED_PAD src0_sel:BYTE_0 src1_sel:DWORD
	v_lshrrev_b16_e32 v0, 11, v0
	v_lshrrev_b16_e32 v1, 11, v1
	v_mul_lo_u16_e32 v0, 10, v0
	v_mul_lo_u16_e32 v1, 10, v1
	v_sub_u16_sdwa v0, v27, v0 dst_sel:DWORD dst_unused:UNUSED_PAD src0_sel:BYTE_3 src1_sel:DWORD
	v_sub_u16_e32 v1, v37, v1
	v_add_u16_e32 v0, v1, v0
	v_add_u16_e32 v1, -10, v0
	v_min_u16_sdwa v37, v0, v1 dst_sel:DWORD dst_unused:UNUSED_PAD src0_sel:BYTE_0 src1_sel:BYTE_0
	s_or_b64 exec, exec, s[0:1]
	s_and_saveexec_b64 s[0:1], s[40:41]
	s_cbranch_execz .LBB685_1080
.LBB685_1254:
	s_movk_i32 s2, 0xcd
	v_mul_lo_u16_sdwa v0, v28, s2 dst_sel:DWORD dst_unused:UNUSED_PAD src0_sel:BYTE_0 src1_sel:DWORD
	v_mul_lo_u16_sdwa v1, v37, s2 dst_sel:DWORD dst_unused:UNUSED_PAD src0_sel:BYTE_0 src1_sel:DWORD
	v_lshrrev_b16_e32 v0, 11, v0
	v_lshrrev_b16_e32 v1, 11, v1
	v_mul_lo_u16_e32 v0, 10, v0
	v_mul_lo_u16_e32 v1, 10, v1
	v_sub_u16_e32 v0, v28, v0
	v_sub_u16_e32 v1, v37, v1
	v_add_u16_e32 v0, v1, v0
	v_add_u16_e32 v1, -10, v0
	v_min_u16_sdwa v37, v0, v1 dst_sel:DWORD dst_unused:UNUSED_PAD src0_sel:BYTE_0 src1_sel:BYTE_0
	s_or_b64 exec, exec, s[0:1]
	s_and_saveexec_b64 s[0:1], s[42:43]
	s_cbranch_execz .LBB685_1081
.LBB685_1255:
	v_lshrrev_b32_e32 v0, 8, v28
	s_movk_i32 s2, 0xcd
	v_mul_lo_u16_sdwa v1, v0, s2 dst_sel:DWORD dst_unused:UNUSED_PAD src0_sel:BYTE_0 src1_sel:DWORD
	v_lshrrev_b16_e32 v1, 11, v1
	v_mul_lo_u16_e32 v1, 10, v1
	v_sub_u16_e32 v0, v0, v1
	v_mul_lo_u16_sdwa v1, v37, s2 dst_sel:DWORD dst_unused:UNUSED_PAD src0_sel:BYTE_0 src1_sel:DWORD
	v_lshrrev_b16_e32 v1, 11, v1
	v_mul_lo_u16_e32 v1, 10, v1
	v_sub_u16_e32 v1, v37, v1
	v_add_u16_e32 v0, v1, v0
	v_add_u16_e32 v1, -10, v0
	v_min_u16_sdwa v37, v0, v1 dst_sel:DWORD dst_unused:UNUSED_PAD src0_sel:BYTE_0 src1_sel:BYTE_0
	s_or_b64 exec, exec, s[0:1]
	s_and_saveexec_b64 s[0:1], s[44:45]
	s_cbranch_execz .LBB685_1082
.LBB685_1256:
	s_movk_i32 s2, 0xff
	v_and_b32_sdwa v0, v28, s2 dst_sel:DWORD dst_unused:UNUSED_PAD src0_sel:WORD_1 src1_sel:DWORD
	s_movk_i32 s2, 0xcd
	v_mul_lo_u16_e32 v0, 0xcd, v0
	v_mul_lo_u16_sdwa v1, v37, s2 dst_sel:DWORD dst_unused:UNUSED_PAD src0_sel:BYTE_0 src1_sel:DWORD
	v_lshrrev_b16_e32 v0, 11, v0
	v_lshrrev_b16_e32 v1, 11, v1
	v_mul_lo_u16_e32 v0, 10, v0
	v_mul_lo_u16_e32 v1, 10, v1
	v_sub_u16_sdwa v0, v28, v0 dst_sel:DWORD dst_unused:UNUSED_PAD src0_sel:WORD_1 src1_sel:DWORD
	v_sub_u16_e32 v1, v37, v1
	v_add_u16_e32 v0, v1, v0
	v_add_u16_e32 v1, -10, v0
	v_min_u16_sdwa v37, v0, v1 dst_sel:DWORD dst_unused:UNUSED_PAD src0_sel:BYTE_0 src1_sel:BYTE_0
	s_or_b64 exec, exec, s[0:1]
	s_and_saveexec_b64 s[0:1], s[46:47]
	s_cbranch_execz .LBB685_1083
.LBB685_1257:
	v_lshrrev_b64 v[0:1], 24, v[28:29]
	s_movk_i32 s2, 0xcd
	v_mul_lo_u16_sdwa v1, v0, s2 dst_sel:DWORD dst_unused:UNUSED_PAD src0_sel:BYTE_0 src1_sel:DWORD
	v_lshrrev_b16_e32 v1, 11, v1
	v_mul_lo_u16_e32 v1, 10, v1
	v_sub_u16_e32 v0, v0, v1
	v_mul_lo_u16_sdwa v1, v37, s2 dst_sel:DWORD dst_unused:UNUSED_PAD src0_sel:BYTE_0 src1_sel:DWORD
	v_lshrrev_b16_e32 v1, 11, v1
	v_mul_lo_u16_e32 v1, 10, v1
	v_sub_u16_e32 v1, v37, v1
	v_add_u16_e32 v0, v1, v0
	v_add_u16_e32 v1, -10, v0
	v_min_u16_sdwa v37, v0, v1 dst_sel:DWORD dst_unused:UNUSED_PAD src0_sel:BYTE_0 src1_sel:BYTE_0
	s_or_b64 exec, exec, s[0:1]
	s_and_saveexec_b64 s[0:1], s[56:57]
	s_cbranch_execz .LBB685_1084
.LBB685_1258:
	s_movk_i32 s2, 0xcd
	v_mul_lo_u16_sdwa v0, v29, s2 dst_sel:DWORD dst_unused:UNUSED_PAD src0_sel:BYTE_0 src1_sel:DWORD
	v_mul_lo_u16_sdwa v1, v37, s2 dst_sel:DWORD dst_unused:UNUSED_PAD src0_sel:BYTE_0 src1_sel:DWORD
	v_lshrrev_b16_e32 v0, 11, v0
	v_lshrrev_b16_e32 v1, 11, v1
	v_mul_lo_u16_e32 v0, 10, v0
	v_mul_lo_u16_e32 v1, 10, v1
	v_sub_u16_e32 v0, v29, v0
	v_sub_u16_e32 v1, v37, v1
	v_add_u16_e32 v0, v1, v0
	v_add_u16_e32 v1, -10, v0
	v_min_u16_sdwa v37, v0, v1 dst_sel:DWORD dst_unused:UNUSED_PAD src0_sel:BYTE_0 src1_sel:BYTE_0
	s_or_b64 exec, exec, s[0:1]
	s_and_saveexec_b64 s[0:1], s[58:59]
	s_cbranch_execz .LBB685_1085
.LBB685_1259:
	v_lshrrev_b32_e32 v0, 8, v29
	s_movk_i32 s2, 0xcd
	v_mul_lo_u16_sdwa v1, v0, s2 dst_sel:DWORD dst_unused:UNUSED_PAD src0_sel:BYTE_0 src1_sel:DWORD
	v_lshrrev_b16_e32 v1, 11, v1
	v_mul_lo_u16_e32 v1, 10, v1
	v_sub_u16_e32 v0, v0, v1
	v_mul_lo_u16_sdwa v1, v37, s2 dst_sel:DWORD dst_unused:UNUSED_PAD src0_sel:BYTE_0 src1_sel:DWORD
	v_lshrrev_b16_e32 v1, 11, v1
	v_mul_lo_u16_e32 v1, 10, v1
	v_sub_u16_e32 v1, v37, v1
	v_add_u16_e32 v0, v1, v0
	v_add_u16_e32 v1, -10, v0
	v_min_u16_sdwa v37, v0, v1 dst_sel:DWORD dst_unused:UNUSED_PAD src0_sel:BYTE_0 src1_sel:BYTE_0
	s_or_b64 exec, exec, s[0:1]
	s_and_saveexec_b64 s[0:1], s[60:61]
	s_cbranch_execz .LBB685_1086
.LBB685_1260:
	s_movk_i32 s2, 0xff
	v_and_b32_sdwa v0, v29, s2 dst_sel:DWORD dst_unused:UNUSED_PAD src0_sel:WORD_1 src1_sel:DWORD
	s_movk_i32 s2, 0xcd
	v_mul_lo_u16_e32 v0, 0xcd, v0
	v_mul_lo_u16_sdwa v1, v37, s2 dst_sel:DWORD dst_unused:UNUSED_PAD src0_sel:BYTE_0 src1_sel:DWORD
	v_lshrrev_b16_e32 v0, 11, v0
	v_lshrrev_b16_e32 v1, 11, v1
	v_mul_lo_u16_e32 v0, 10, v0
	v_mul_lo_u16_e32 v1, 10, v1
	v_sub_u16_sdwa v0, v29, v0 dst_sel:DWORD dst_unused:UNUSED_PAD src0_sel:WORD_1 src1_sel:DWORD
	v_sub_u16_e32 v1, v37, v1
	v_add_u16_e32 v0, v1, v0
	v_add_u16_e32 v1, -10, v0
	v_min_u16_sdwa v37, v0, v1 dst_sel:DWORD dst_unused:UNUSED_PAD src0_sel:BYTE_0 src1_sel:BYTE_0
	s_or_b64 exec, exec, s[0:1]
	s_and_saveexec_b64 s[0:1], s[62:63]
	s_cbranch_execz .LBB685_1087
.LBB685_1261:
	s_movk_i32 s2, 0xcd
	v_mul_lo_u16_sdwa v0, v29, s2 dst_sel:DWORD dst_unused:UNUSED_PAD src0_sel:BYTE_3 src1_sel:DWORD
	v_mul_lo_u16_sdwa v1, v37, s2 dst_sel:DWORD dst_unused:UNUSED_PAD src0_sel:BYTE_0 src1_sel:DWORD
	v_lshrrev_b16_e32 v0, 11, v0
	v_lshrrev_b16_e32 v1, 11, v1
	v_mul_lo_u16_e32 v0, 10, v0
	v_mul_lo_u16_e32 v1, 10, v1
	v_sub_u16_sdwa v0, v29, v0 dst_sel:DWORD dst_unused:UNUSED_PAD src0_sel:BYTE_3 src1_sel:DWORD
	v_sub_u16_e32 v1, v37, v1
	v_add_u16_e32 v0, v1, v0
	v_add_u16_e32 v1, -10, v0
	v_min_u16_sdwa v37, v0, v1 dst_sel:DWORD dst_unused:UNUSED_PAD src0_sel:BYTE_0 src1_sel:BYTE_0
	s_or_b64 exec, exec, s[0:1]
	s_and_saveexec_b64 s[0:1], s[72:73]
	s_cbranch_execz .LBB685_1088
.LBB685_1262:
	s_movk_i32 s2, 0xcd
	v_mul_lo_u16_sdwa v0, v30, s2 dst_sel:DWORD dst_unused:UNUSED_PAD src0_sel:BYTE_0 src1_sel:DWORD
	v_mul_lo_u16_sdwa v1, v37, s2 dst_sel:DWORD dst_unused:UNUSED_PAD src0_sel:BYTE_0 src1_sel:DWORD
	v_lshrrev_b16_e32 v0, 11, v0
	v_lshrrev_b16_e32 v1, 11, v1
	v_mul_lo_u16_e32 v0, 10, v0
	v_mul_lo_u16_e32 v1, 10, v1
	v_sub_u16_e32 v0, v30, v0
	v_sub_u16_e32 v1, v37, v1
	v_add_u16_e32 v0, v1, v0
	v_add_u16_e32 v1, -10, v0
	v_min_u16_sdwa v37, v0, v1 dst_sel:DWORD dst_unused:UNUSED_PAD src0_sel:BYTE_0 src1_sel:BYTE_0
	s_or_b64 exec, exec, s[0:1]
	s_and_saveexec_b64 s[0:1], s[74:75]
	s_cbranch_execz .LBB685_1089
.LBB685_1263:
	v_lshrrev_b32_e32 v0, 8, v30
	s_movk_i32 s2, 0xcd
	v_mul_lo_u16_sdwa v1, v0, s2 dst_sel:DWORD dst_unused:UNUSED_PAD src0_sel:BYTE_0 src1_sel:DWORD
	v_lshrrev_b16_e32 v1, 11, v1
	v_mul_lo_u16_e32 v1, 10, v1
	v_sub_u16_e32 v0, v0, v1
	v_mul_lo_u16_sdwa v1, v37, s2 dst_sel:DWORD dst_unused:UNUSED_PAD src0_sel:BYTE_0 src1_sel:DWORD
	v_lshrrev_b16_e32 v1, 11, v1
	v_mul_lo_u16_e32 v1, 10, v1
	v_sub_u16_e32 v1, v37, v1
	v_add_u16_e32 v0, v1, v0
	v_add_u16_e32 v1, -10, v0
	v_min_u16_sdwa v37, v0, v1 dst_sel:DWORD dst_unused:UNUSED_PAD src0_sel:BYTE_0 src1_sel:BYTE_0
	s_or_b64 exec, exec, s[0:1]
	s_and_saveexec_b64 s[0:1], s[76:77]
	s_cbranch_execz .LBB685_1090
.LBB685_1264:
	s_movk_i32 s2, 0xff
	v_and_b32_sdwa v0, v30, s2 dst_sel:DWORD dst_unused:UNUSED_PAD src0_sel:WORD_1 src1_sel:DWORD
	s_movk_i32 s2, 0xcd
	v_mul_lo_u16_e32 v0, 0xcd, v0
	v_mul_lo_u16_sdwa v1, v37, s2 dst_sel:DWORD dst_unused:UNUSED_PAD src0_sel:BYTE_0 src1_sel:DWORD
	v_lshrrev_b16_e32 v0, 11, v0
	v_lshrrev_b16_e32 v1, 11, v1
	v_mul_lo_u16_e32 v0, 10, v0
	v_mul_lo_u16_e32 v1, 10, v1
	v_sub_u16_sdwa v0, v30, v0 dst_sel:DWORD dst_unused:UNUSED_PAD src0_sel:WORD_1 src1_sel:DWORD
	v_sub_u16_e32 v1, v37, v1
	v_add_u16_e32 v0, v1, v0
	v_add_u16_e32 v1, -10, v0
	v_min_u16_sdwa v37, v0, v1 dst_sel:DWORD dst_unused:UNUSED_PAD src0_sel:BYTE_0 src1_sel:BYTE_0
	s_or_b64 exec, exec, s[0:1]
	s_and_saveexec_b64 s[0:1], s[78:79]
	s_cbranch_execz .LBB685_1091
.LBB685_1265:
	v_lshrrev_b64 v[0:1], 24, v[30:31]
	s_movk_i32 s2, 0xcd
	v_mul_lo_u16_sdwa v1, v0, s2 dst_sel:DWORD dst_unused:UNUSED_PAD src0_sel:BYTE_0 src1_sel:DWORD
	v_lshrrev_b16_e32 v1, 11, v1
	v_mul_lo_u16_e32 v1, 10, v1
	v_sub_u16_e32 v0, v0, v1
	v_mul_lo_u16_sdwa v1, v37, s2 dst_sel:DWORD dst_unused:UNUSED_PAD src0_sel:BYTE_0 src1_sel:DWORD
	v_lshrrev_b16_e32 v1, 11, v1
	v_mul_lo_u16_e32 v1, 10, v1
	v_sub_u16_e32 v1, v37, v1
	v_add_u16_e32 v0, v1, v0
	v_add_u16_e32 v1, -10, v0
	v_min_u16_sdwa v37, v0, v1 dst_sel:DWORD dst_unused:UNUSED_PAD src0_sel:BYTE_0 src1_sel:BYTE_0
	s_or_b64 exec, exec, s[0:1]
	s_and_saveexec_b64 s[0:1], s[88:89]
	s_cbranch_execz .LBB685_1092
.LBB685_1266:
	s_movk_i32 s2, 0xcd
	v_mul_lo_u16_sdwa v0, v31, s2 dst_sel:DWORD dst_unused:UNUSED_PAD src0_sel:BYTE_0 src1_sel:DWORD
	v_mul_lo_u16_sdwa v1, v37, s2 dst_sel:DWORD dst_unused:UNUSED_PAD src0_sel:BYTE_0 src1_sel:DWORD
	v_lshrrev_b16_e32 v0, 11, v0
	v_lshrrev_b16_e32 v1, 11, v1
	v_mul_lo_u16_e32 v0, 10, v0
	v_mul_lo_u16_e32 v1, 10, v1
	v_sub_u16_e32 v0, v31, v0
	v_sub_u16_e32 v1, v37, v1
	v_add_u16_e32 v0, v1, v0
	v_add_u16_e32 v1, -10, v0
	v_min_u16_sdwa v37, v0, v1 dst_sel:DWORD dst_unused:UNUSED_PAD src0_sel:BYTE_0 src1_sel:BYTE_0
	s_or_b64 exec, exec, s[0:1]
	s_and_saveexec_b64 s[0:1], s[90:91]
	s_cbranch_execz .LBB685_1093
.LBB685_1267:
	v_lshrrev_b32_e32 v0, 8, v31
	s_movk_i32 s2, 0xcd
	v_mul_lo_u16_sdwa v1, v0, s2 dst_sel:DWORD dst_unused:UNUSED_PAD src0_sel:BYTE_0 src1_sel:DWORD
	v_lshrrev_b16_e32 v1, 11, v1
	v_mul_lo_u16_e32 v1, 10, v1
	v_sub_u16_e32 v0, v0, v1
	v_mul_lo_u16_sdwa v1, v37, s2 dst_sel:DWORD dst_unused:UNUSED_PAD src0_sel:BYTE_0 src1_sel:DWORD
	v_lshrrev_b16_e32 v1, 11, v1
	v_mul_lo_u16_e32 v1, 10, v1
	v_sub_u16_e32 v1, v37, v1
	v_add_u16_e32 v0, v1, v0
	v_add_u16_e32 v1, -10, v0
	v_min_u16_sdwa v37, v0, v1 dst_sel:DWORD dst_unused:UNUSED_PAD src0_sel:BYTE_0 src1_sel:BYTE_0
	s_or_b64 exec, exec, s[0:1]
	s_and_saveexec_b64 s[0:1], s[92:93]
	s_cbranch_execz .LBB685_1094
.LBB685_1268:
	s_movk_i32 s2, 0xff
	v_and_b32_sdwa v0, v31, s2 dst_sel:DWORD dst_unused:UNUSED_PAD src0_sel:WORD_1 src1_sel:DWORD
	s_movk_i32 s2, 0xcd
	v_mul_lo_u16_e32 v0, 0xcd, v0
	v_mul_lo_u16_sdwa v1, v37, s2 dst_sel:DWORD dst_unused:UNUSED_PAD src0_sel:BYTE_0 src1_sel:DWORD
	v_lshrrev_b16_e32 v0, 11, v0
	v_lshrrev_b16_e32 v1, 11, v1
	v_mul_lo_u16_e32 v0, 10, v0
	v_mul_lo_u16_e32 v1, 10, v1
	v_sub_u16_sdwa v0, v31, v0 dst_sel:DWORD dst_unused:UNUSED_PAD src0_sel:WORD_1 src1_sel:DWORD
	v_sub_u16_e32 v1, v37, v1
	v_add_u16_e32 v0, v1, v0
	v_add_u16_e32 v1, -10, v0
	v_min_u16_sdwa v37, v0, v1 dst_sel:DWORD dst_unused:UNUSED_PAD src0_sel:BYTE_0 src1_sel:BYTE_0
	s_or_b64 exec, exec, s[0:1]
	s_and_saveexec_b64 s[0:1], vcc
	s_cbranch_execnz .LBB685_1095
	s_branch .LBB685_1096
.Lfunc_end685:
	.size	_ZN7rocprim17ROCPRIM_400000_NS6detail18constexpr_for_implIZZNS1_11reduce_implILb1ENS0_14default_configEN6thrust23THRUST_200600_302600_NS6detail15normal_iteratorINS6_10device_ptrIhEEEEPhh11plus_mod_10IhEEE10hipError_tPvRmT1_T2_T3_mT4_P12ihipStream_tbENUlT_E1_clINS1_13target_configIS4_NS1_22reduce_config_selectorIhEENS1_11comp_targetILNS1_3genE0ELNS1_11target_archE4294967295ELNS1_3gpuE0ELNS1_3repE0EEELNS0_4arch9wavefront6targetE1EEEEEDaSO_EUlSO_E_TnDaLi0ETnDaLi1EJLm0ELm1ELm2ELm3ELm4ELm5ELm6ELm7EEEEvOSO_St16integer_sequenceImJXspT2_EEE, .Lfunc_end685-_ZN7rocprim17ROCPRIM_400000_NS6detail18constexpr_for_implIZZNS1_11reduce_implILb1ENS0_14default_configEN6thrust23THRUST_200600_302600_NS6detail15normal_iteratorINS6_10device_ptrIhEEEEPhh11plus_mod_10IhEEE10hipError_tPvRmT1_T2_T3_mT4_P12ihipStream_tbENUlT_E1_clINS1_13target_configIS4_NS1_22reduce_config_selectorIhEENS1_11comp_targetILNS1_3genE0ELNS1_11target_archE4294967295ELNS1_3gpuE0ELNS1_3repE0EEELNS0_4arch9wavefront6targetE1EEEEEDaSO_EUlSO_E_TnDaLi0ETnDaLi1EJLm0ELm1ELm2ELm3ELm4ELm5ELm6ELm7EEEEvOSO_St16integer_sequenceImJXspT2_EEE
                                        ; -- End function
	.set .L_ZN7rocprim17ROCPRIM_400000_NS6detail18constexpr_for_implIZZNS1_11reduce_implILb1ENS0_14default_configEN6thrust23THRUST_200600_302600_NS6detail15normal_iteratorINS6_10device_ptrIhEEEEPhh11plus_mod_10IhEEE10hipError_tPvRmT1_T2_T3_mT4_P12ihipStream_tbENUlT_E1_clINS1_13target_configIS4_NS1_22reduce_config_selectorIhEENS1_11comp_targetILNS1_3genE0ELNS1_11target_archE4294967295ELNS1_3gpuE0ELNS1_3repE0EEELNS0_4arch9wavefront6targetE1EEEEEDaSO_EUlSO_E_TnDaLi0ETnDaLi1EJLm0ELm1ELm2ELm3ELm4ELm5ELm6ELm7EEEEvOSO_St16integer_sequenceImJXspT2_EEE.num_vgpr, 232
	.set .L_ZN7rocprim17ROCPRIM_400000_NS6detail18constexpr_for_implIZZNS1_11reduce_implILb1ENS0_14default_configEN6thrust23THRUST_200600_302600_NS6detail15normal_iteratorINS6_10device_ptrIhEEEEPhh11plus_mod_10IhEEE10hipError_tPvRmT1_T2_T3_mT4_P12ihipStream_tbENUlT_E1_clINS1_13target_configIS4_NS1_22reduce_config_selectorIhEENS1_11comp_targetILNS1_3genE0ELNS1_11target_archE4294967295ELNS1_3gpuE0ELNS1_3repE0EEELNS0_4arch9wavefront6targetE1EEEEEDaSO_EUlSO_E_TnDaLi0ETnDaLi1EJLm0ELm1ELm2ELm3ELm4ELm5ELm6ELm7EEEEvOSO_St16integer_sequenceImJXspT2_EEE.num_agpr, 32
	.set .L_ZN7rocprim17ROCPRIM_400000_NS6detail18constexpr_for_implIZZNS1_11reduce_implILb1ENS0_14default_configEN6thrust23THRUST_200600_302600_NS6detail15normal_iteratorINS6_10device_ptrIhEEEEPhh11plus_mod_10IhEEE10hipError_tPvRmT1_T2_T3_mT4_P12ihipStream_tbENUlT_E1_clINS1_13target_configIS4_NS1_22reduce_config_selectorIhEENS1_11comp_targetILNS1_3genE0ELNS1_11target_archE4294967295ELNS1_3gpuE0ELNS1_3repE0EEELNS0_4arch9wavefront6targetE1EEEEEDaSO_EUlSO_E_TnDaLi0ETnDaLi1EJLm0ELm1ELm2ELm3ELm4ELm5ELm6ELm7EEEEvOSO_St16integer_sequenceImJXspT2_EEE.numbered_sgpr, 100
	.set .L_ZN7rocprim17ROCPRIM_400000_NS6detail18constexpr_for_implIZZNS1_11reduce_implILb1ENS0_14default_configEN6thrust23THRUST_200600_302600_NS6detail15normal_iteratorINS6_10device_ptrIhEEEEPhh11plus_mod_10IhEEE10hipError_tPvRmT1_T2_T3_mT4_P12ihipStream_tbENUlT_E1_clINS1_13target_configIS4_NS1_22reduce_config_selectorIhEENS1_11comp_targetILNS1_3genE0ELNS1_11target_archE4294967295ELNS1_3gpuE0ELNS1_3repE0EEELNS0_4arch9wavefront6targetE1EEEEEDaSO_EUlSO_E_TnDaLi0ETnDaLi1EJLm0ELm1ELm2ELm3ELm4ELm5ELm6ELm7EEEEvOSO_St16integer_sequenceImJXspT2_EEE.num_named_barrier, 0
	.set .L_ZN7rocprim17ROCPRIM_400000_NS6detail18constexpr_for_implIZZNS1_11reduce_implILb1ENS0_14default_configEN6thrust23THRUST_200600_302600_NS6detail15normal_iteratorINS6_10device_ptrIhEEEEPhh11plus_mod_10IhEEE10hipError_tPvRmT1_T2_T3_mT4_P12ihipStream_tbENUlT_E1_clINS1_13target_configIS4_NS1_22reduce_config_selectorIhEENS1_11comp_targetILNS1_3genE0ELNS1_11target_archE4294967295ELNS1_3gpuE0ELNS1_3repE0EEELNS0_4arch9wavefront6targetE1EEEEEDaSO_EUlSO_E_TnDaLi0ETnDaLi1EJLm0ELm1ELm2ELm3ELm4ELm5ELm6ELm7EEEEvOSO_St16integer_sequenceImJXspT2_EEE.private_seg_size, 20
	.set .L_ZN7rocprim17ROCPRIM_400000_NS6detail18constexpr_for_implIZZNS1_11reduce_implILb1ENS0_14default_configEN6thrust23THRUST_200600_302600_NS6detail15normal_iteratorINS6_10device_ptrIhEEEEPhh11plus_mod_10IhEEE10hipError_tPvRmT1_T2_T3_mT4_P12ihipStream_tbENUlT_E1_clINS1_13target_configIS4_NS1_22reduce_config_selectorIhEENS1_11comp_targetILNS1_3genE0ELNS1_11target_archE4294967295ELNS1_3gpuE0ELNS1_3repE0EEELNS0_4arch9wavefront6targetE1EEEEEDaSO_EUlSO_E_TnDaLi0ETnDaLi1EJLm0ELm1ELm2ELm3ELm4ELm5ELm6ELm7EEEEvOSO_St16integer_sequenceImJXspT2_EEE.uses_vcc, 1
	.set .L_ZN7rocprim17ROCPRIM_400000_NS6detail18constexpr_for_implIZZNS1_11reduce_implILb1ENS0_14default_configEN6thrust23THRUST_200600_302600_NS6detail15normal_iteratorINS6_10device_ptrIhEEEEPhh11plus_mod_10IhEEE10hipError_tPvRmT1_T2_T3_mT4_P12ihipStream_tbENUlT_E1_clINS1_13target_configIS4_NS1_22reduce_config_selectorIhEENS1_11comp_targetILNS1_3genE0ELNS1_11target_archE4294967295ELNS1_3gpuE0ELNS1_3repE0EEELNS0_4arch9wavefront6targetE1EEEEEDaSO_EUlSO_E_TnDaLi0ETnDaLi1EJLm0ELm1ELm2ELm3ELm4ELm5ELm6ELm7EEEEvOSO_St16integer_sequenceImJXspT2_EEE.uses_flat_scratch, 0
	.set .L_ZN7rocprim17ROCPRIM_400000_NS6detail18constexpr_for_implIZZNS1_11reduce_implILb1ENS0_14default_configEN6thrust23THRUST_200600_302600_NS6detail15normal_iteratorINS6_10device_ptrIhEEEEPhh11plus_mod_10IhEEE10hipError_tPvRmT1_T2_T3_mT4_P12ihipStream_tbENUlT_E1_clINS1_13target_configIS4_NS1_22reduce_config_selectorIhEENS1_11comp_targetILNS1_3genE0ELNS1_11target_archE4294967295ELNS1_3gpuE0ELNS1_3repE0EEELNS0_4arch9wavefront6targetE1EEEEEDaSO_EUlSO_E_TnDaLi0ETnDaLi1EJLm0ELm1ELm2ELm3ELm4ELm5ELm6ELm7EEEEvOSO_St16integer_sequenceImJXspT2_EEE.has_dyn_sized_stack, 0
	.set .L_ZN7rocprim17ROCPRIM_400000_NS6detail18constexpr_for_implIZZNS1_11reduce_implILb1ENS0_14default_configEN6thrust23THRUST_200600_302600_NS6detail15normal_iteratorINS6_10device_ptrIhEEEEPhh11plus_mod_10IhEEE10hipError_tPvRmT1_T2_T3_mT4_P12ihipStream_tbENUlT_E1_clINS1_13target_configIS4_NS1_22reduce_config_selectorIhEENS1_11comp_targetILNS1_3genE0ELNS1_11target_archE4294967295ELNS1_3gpuE0ELNS1_3repE0EEELNS0_4arch9wavefront6targetE1EEEEEDaSO_EUlSO_E_TnDaLi0ETnDaLi1EJLm0ELm1ELm2ELm3ELm4ELm5ELm6ELm7EEEEvOSO_St16integer_sequenceImJXspT2_EEE.has_recursion, 0
	.set .L_ZN7rocprim17ROCPRIM_400000_NS6detail18constexpr_for_implIZZNS1_11reduce_implILb1ENS0_14default_configEN6thrust23THRUST_200600_302600_NS6detail15normal_iteratorINS6_10device_ptrIhEEEEPhh11plus_mod_10IhEEE10hipError_tPvRmT1_T2_T3_mT4_P12ihipStream_tbENUlT_E1_clINS1_13target_configIS4_NS1_22reduce_config_selectorIhEENS1_11comp_targetILNS1_3genE0ELNS1_11target_archE4294967295ELNS1_3gpuE0ELNS1_3repE0EEELNS0_4arch9wavefront6targetE1EEEEEDaSO_EUlSO_E_TnDaLi0ETnDaLi1EJLm0ELm1ELm2ELm3ELm4ELm5ELm6ELm7EEEEvOSO_St16integer_sequenceImJXspT2_EEE.has_indirect_call, 0
	.section	.AMDGPU.csdata,"",@progbits
; Function info:
; codeLenInByte = 77272
; TotalNumSgprs: 106
; NumVgprs: 232
; NumAgprs: 32
; TotalNumVgprs: 264
; ScratchSize: 20
; MemoryBound: 0
	.section	.text._ZN7rocprim17ROCPRIM_400000_NS6detail17trampoline_kernelINS0_14default_configENS1_22reduce_config_selectorIhEEZNS1_11reduce_implILb1ES3_N6thrust23THRUST_200600_302600_NS6detail15normal_iteratorINS8_10device_ptrIhEEEEPhh11plus_mod_10IhEEE10hipError_tPvRmT1_T2_T3_mT4_P12ihipStream_tbEUlT_E1_NS1_11comp_targetILNS1_3genE0ELNS1_11target_archE4294967295ELNS1_3gpuE0ELNS1_3repE0EEENS1_30default_config_static_selectorELNS0_4arch9wavefront6targetE1EEEvSK_,"axG",@progbits,_ZN7rocprim17ROCPRIM_400000_NS6detail17trampoline_kernelINS0_14default_configENS1_22reduce_config_selectorIhEEZNS1_11reduce_implILb1ES3_N6thrust23THRUST_200600_302600_NS6detail15normal_iteratorINS8_10device_ptrIhEEEEPhh11plus_mod_10IhEEE10hipError_tPvRmT1_T2_T3_mT4_P12ihipStream_tbEUlT_E1_NS1_11comp_targetILNS1_3genE0ELNS1_11target_archE4294967295ELNS1_3gpuE0ELNS1_3repE0EEENS1_30default_config_static_selectorELNS0_4arch9wavefront6targetE1EEEvSK_,comdat
	.protected	_ZN7rocprim17ROCPRIM_400000_NS6detail17trampoline_kernelINS0_14default_configENS1_22reduce_config_selectorIhEEZNS1_11reduce_implILb1ES3_N6thrust23THRUST_200600_302600_NS6detail15normal_iteratorINS8_10device_ptrIhEEEEPhh11plus_mod_10IhEEE10hipError_tPvRmT1_T2_T3_mT4_P12ihipStream_tbEUlT_E1_NS1_11comp_targetILNS1_3genE0ELNS1_11target_archE4294967295ELNS1_3gpuE0ELNS1_3repE0EEENS1_30default_config_static_selectorELNS0_4arch9wavefront6targetE1EEEvSK_ ; -- Begin function _ZN7rocprim17ROCPRIM_400000_NS6detail17trampoline_kernelINS0_14default_configENS1_22reduce_config_selectorIhEEZNS1_11reduce_implILb1ES3_N6thrust23THRUST_200600_302600_NS6detail15normal_iteratorINS8_10device_ptrIhEEEEPhh11plus_mod_10IhEEE10hipError_tPvRmT1_T2_T3_mT4_P12ihipStream_tbEUlT_E1_NS1_11comp_targetILNS1_3genE0ELNS1_11target_archE4294967295ELNS1_3gpuE0ELNS1_3repE0EEENS1_30default_config_static_selectorELNS0_4arch9wavefront6targetE1EEEvSK_
	.globl	_ZN7rocprim17ROCPRIM_400000_NS6detail17trampoline_kernelINS0_14default_configENS1_22reduce_config_selectorIhEEZNS1_11reduce_implILb1ES3_N6thrust23THRUST_200600_302600_NS6detail15normal_iteratorINS8_10device_ptrIhEEEEPhh11plus_mod_10IhEEE10hipError_tPvRmT1_T2_T3_mT4_P12ihipStream_tbEUlT_E1_NS1_11comp_targetILNS1_3genE0ELNS1_11target_archE4294967295ELNS1_3gpuE0ELNS1_3repE0EEENS1_30default_config_static_selectorELNS0_4arch9wavefront6targetE1EEEvSK_
	.p2align	8
	.type	_ZN7rocprim17ROCPRIM_400000_NS6detail17trampoline_kernelINS0_14default_configENS1_22reduce_config_selectorIhEEZNS1_11reduce_implILb1ES3_N6thrust23THRUST_200600_302600_NS6detail15normal_iteratorINS8_10device_ptrIhEEEEPhh11plus_mod_10IhEEE10hipError_tPvRmT1_T2_T3_mT4_P12ihipStream_tbEUlT_E1_NS1_11comp_targetILNS1_3genE0ELNS1_11target_archE4294967295ELNS1_3gpuE0ELNS1_3repE0EEENS1_30default_config_static_selectorELNS0_4arch9wavefront6targetE1EEEvSK_,@function
_ZN7rocprim17ROCPRIM_400000_NS6detail17trampoline_kernelINS0_14default_configENS1_22reduce_config_selectorIhEEZNS1_11reduce_implILb1ES3_N6thrust23THRUST_200600_302600_NS6detail15normal_iteratorINS8_10device_ptrIhEEEEPhh11plus_mod_10IhEEE10hipError_tPvRmT1_T2_T3_mT4_P12ihipStream_tbEUlT_E1_NS1_11comp_targetILNS1_3genE0ELNS1_11target_archE4294967295ELNS1_3gpuE0ELNS1_3repE0EEENS1_30default_config_static_selectorELNS0_4arch9wavefront6targetE1EEEvSK_: ; @_ZN7rocprim17ROCPRIM_400000_NS6detail17trampoline_kernelINS0_14default_configENS1_22reduce_config_selectorIhEEZNS1_11reduce_implILb1ES3_N6thrust23THRUST_200600_302600_NS6detail15normal_iteratorINS8_10device_ptrIhEEEEPhh11plus_mod_10IhEEE10hipError_tPvRmT1_T2_T3_mT4_P12ihipStream_tbEUlT_E1_NS1_11comp_targetILNS1_3genE0ELNS1_11target_archE4294967295ELNS1_3gpuE0ELNS1_3repE0EEENS1_30default_config_static_selectorELNS0_4arch9wavefront6targetE1EEEvSK_
; %bb.0:
	s_load_dwordx8 s[4:11], s[0:1], 0x0
	s_load_dwordx4 s[12:15], s[0:1], 0x18
	s_mov_b64 s[16:17], src_private_base
	s_add_u32 s3, 0, 56
	v_mov_b32_e32 v31, v0
	s_waitcnt lgkmcnt(0)
	v_mov_b64_e32 v[2:3], s[4:5]
	v_mov_b64_e32 v[4:5], s[6:7]
	scratch_store_dwordx4 off, v[2:5], off offset:48
	s_addc_u32 s4, s17, 0
	v_mov_b32_e32 v0, 0
	v_mov_b64_e32 v[2:3], s[8:9]
	v_mov_b64_e32 v[4:5], s[10:11]
	scratch_store_dwordx4 off, v[2:5], off offset:64
	v_mov_b32_e32 v1, s17
	s_movk_i32 s32, 0x60
	v_mov_b64_e32 v[2:3], s[12:13]
	v_mov_b64_e32 v[4:5], s[14:15]
	scratch_store_dwordx4 off, v[2:5], off offset:72
	s_mov_b32 s12, s2
	s_nop 0
	v_mov_b32_e32 v4, s3
	s_add_u32 s3, 0, 64
	v_mov_b32_e32 v5, s4
	s_addc_u32 s4, s17, 0
	s_add_u32 s5, 0, 0x48
	v_or_b32_e64 v2, 48, 4
	v_mov_b32_e32 v3, s17
	s_addc_u32 s6, s17, 0
	scratch_store_dwordx4 off, v[2:5], off
	s_nop 1
	v_mov_b32_e32 v2, s3
	s_add_u32 s3, 0, 0x50
	v_mov_b32_e32 v3, s4
	s_addc_u32 s4, s17, 0
	v_mov_b32_e32 v4, s5
	s_add_u32 s5, 0, 0x51
	v_mov_b32_e32 v5, s6
	s_addc_u32 s6, s17, 0
	s_add_u32 s8, s0, 40
	s_addc_u32 s9, s1, 0
	scratch_store_dwordx4 off, v[2:5], off offset:16
	s_getpc_b64 s[0:1]
	s_add_u32 s0, s0, _ZN7rocprim17ROCPRIM_400000_NS6detail18constexpr_for_implIZZNS1_11reduce_implILb1ENS0_14default_configEN6thrust23THRUST_200600_302600_NS6detail15normal_iteratorINS6_10device_ptrIhEEEEPhh11plus_mod_10IhEEE10hipError_tPvRmT1_T2_T3_mT4_P12ihipStream_tbENUlT_E1_clINS1_13target_configIS4_NS1_22reduce_config_selectorIhEENS1_11comp_targetILNS1_3genE0ELNS1_11target_archE4294967295ELNS1_3gpuE0ELNS1_3repE0EEELNS0_4arch9wavefront6targetE1EEEEEDaSO_EUlSO_E_TnDaLi0ETnDaLi1EJLm0ELm1ELm2ELm3ELm4ELm5ELm6ELm7EEEEvOSO_St16integer_sequenceImJXspT2_EEE@rel32@lo+4
	s_addc_u32 s1, s1, _ZN7rocprim17ROCPRIM_400000_NS6detail18constexpr_for_implIZZNS1_11reduce_implILb1ENS0_14default_configEN6thrust23THRUST_200600_302600_NS6detail15normal_iteratorINS6_10device_ptrIhEEEEPhh11plus_mod_10IhEEE10hipError_tPvRmT1_T2_T3_mT4_P12ihipStream_tbENUlT_E1_clINS1_13target_configIS4_NS1_22reduce_config_selectorIhEENS1_11comp_targetILNS1_3genE0ELNS1_11target_archE4294967295ELNS1_3gpuE0ELNS1_3repE0EEELNS0_4arch9wavefront6targetE1EEEEEDaSO_EUlSO_E_TnDaLi0ETnDaLi1EJLm0ELm1ELm2ELm3ELm4ELm5ELm6ELm7EEEEvOSO_St16integer_sequenceImJXspT2_EEE@rel32@hi+12
	v_mov_b32_e32 v2, s3
	v_mov_b32_e32 v3, s4
	;; [unrolled: 1-line block ×4, first 2 shown]
	scratch_store_dwordx4 off, v[2:5], off offset:32
	s_swappc_b64 s[30:31], s[0:1]
	s_endpgm
	.section	.rodata,"a",@progbits
	.p2align	6, 0x0
	.amdhsa_kernel _ZN7rocprim17ROCPRIM_400000_NS6detail17trampoline_kernelINS0_14default_configENS1_22reduce_config_selectorIhEEZNS1_11reduce_implILb1ES3_N6thrust23THRUST_200600_302600_NS6detail15normal_iteratorINS8_10device_ptrIhEEEEPhh11plus_mod_10IhEEE10hipError_tPvRmT1_T2_T3_mT4_P12ihipStream_tbEUlT_E1_NS1_11comp_targetILNS1_3genE0ELNS1_11target_archE4294967295ELNS1_3gpuE0ELNS1_3repE0EEENS1_30default_config_static_selectorELNS0_4arch9wavefront6targetE1EEEvSK_
		.amdhsa_group_segment_fixed_size 36
		.amdhsa_private_segment_fixed_size 116
		.amdhsa_kernarg_size 296
		.amdhsa_user_sgpr_count 2
		.amdhsa_user_sgpr_dispatch_ptr 0
		.amdhsa_user_sgpr_queue_ptr 0
		.amdhsa_user_sgpr_kernarg_segment_ptr 1
		.amdhsa_user_sgpr_dispatch_id 0
		.amdhsa_user_sgpr_kernarg_preload_length 0
		.amdhsa_user_sgpr_kernarg_preload_offset 0
		.amdhsa_user_sgpr_private_segment_size 0
		.amdhsa_uses_dynamic_stack 0
		.amdhsa_enable_private_segment 1
		.amdhsa_system_sgpr_workgroup_id_x 1
		.amdhsa_system_sgpr_workgroup_id_y 0
		.amdhsa_system_sgpr_workgroup_id_z 0
		.amdhsa_system_sgpr_workgroup_info 0
		.amdhsa_system_vgpr_workitem_id 0
		.amdhsa_next_free_vgpr 264
		.amdhsa_next_free_sgpr 100
		.amdhsa_accum_offset 232
		.amdhsa_reserve_vcc 1
		.amdhsa_float_round_mode_32 0
		.amdhsa_float_round_mode_16_64 0
		.amdhsa_float_denorm_mode_32 3
		.amdhsa_float_denorm_mode_16_64 3
		.amdhsa_dx10_clamp 1
		.amdhsa_ieee_mode 1
		.amdhsa_fp16_overflow 0
		.amdhsa_tg_split 0
		.amdhsa_exception_fp_ieee_invalid_op 0
		.amdhsa_exception_fp_denorm_src 0
		.amdhsa_exception_fp_ieee_div_zero 0
		.amdhsa_exception_fp_ieee_overflow 0
		.amdhsa_exception_fp_ieee_underflow 0
		.amdhsa_exception_fp_ieee_inexact 0
		.amdhsa_exception_int_div_zero 0
	.end_amdhsa_kernel
	.section	.text._ZN7rocprim17ROCPRIM_400000_NS6detail17trampoline_kernelINS0_14default_configENS1_22reduce_config_selectorIhEEZNS1_11reduce_implILb1ES3_N6thrust23THRUST_200600_302600_NS6detail15normal_iteratorINS8_10device_ptrIhEEEEPhh11plus_mod_10IhEEE10hipError_tPvRmT1_T2_T3_mT4_P12ihipStream_tbEUlT_E1_NS1_11comp_targetILNS1_3genE0ELNS1_11target_archE4294967295ELNS1_3gpuE0ELNS1_3repE0EEENS1_30default_config_static_selectorELNS0_4arch9wavefront6targetE1EEEvSK_,"axG",@progbits,_ZN7rocprim17ROCPRIM_400000_NS6detail17trampoline_kernelINS0_14default_configENS1_22reduce_config_selectorIhEEZNS1_11reduce_implILb1ES3_N6thrust23THRUST_200600_302600_NS6detail15normal_iteratorINS8_10device_ptrIhEEEEPhh11plus_mod_10IhEEE10hipError_tPvRmT1_T2_T3_mT4_P12ihipStream_tbEUlT_E1_NS1_11comp_targetILNS1_3genE0ELNS1_11target_archE4294967295ELNS1_3gpuE0ELNS1_3repE0EEENS1_30default_config_static_selectorELNS0_4arch9wavefront6targetE1EEEvSK_,comdat
.Lfunc_end686:
	.size	_ZN7rocprim17ROCPRIM_400000_NS6detail17trampoline_kernelINS0_14default_configENS1_22reduce_config_selectorIhEEZNS1_11reduce_implILb1ES3_N6thrust23THRUST_200600_302600_NS6detail15normal_iteratorINS8_10device_ptrIhEEEEPhh11plus_mod_10IhEEE10hipError_tPvRmT1_T2_T3_mT4_P12ihipStream_tbEUlT_E1_NS1_11comp_targetILNS1_3genE0ELNS1_11target_archE4294967295ELNS1_3gpuE0ELNS1_3repE0EEENS1_30default_config_static_selectorELNS0_4arch9wavefront6targetE1EEEvSK_, .Lfunc_end686-_ZN7rocprim17ROCPRIM_400000_NS6detail17trampoline_kernelINS0_14default_configENS1_22reduce_config_selectorIhEEZNS1_11reduce_implILb1ES3_N6thrust23THRUST_200600_302600_NS6detail15normal_iteratorINS8_10device_ptrIhEEEEPhh11plus_mod_10IhEEE10hipError_tPvRmT1_T2_T3_mT4_P12ihipStream_tbEUlT_E1_NS1_11comp_targetILNS1_3genE0ELNS1_11target_archE4294967295ELNS1_3gpuE0ELNS1_3repE0EEENS1_30default_config_static_selectorELNS0_4arch9wavefront6targetE1EEEvSK_
                                        ; -- End function
	.set _ZN7rocprim17ROCPRIM_400000_NS6detail17trampoline_kernelINS0_14default_configENS1_22reduce_config_selectorIhEEZNS1_11reduce_implILb1ES3_N6thrust23THRUST_200600_302600_NS6detail15normal_iteratorINS8_10device_ptrIhEEEEPhh11plus_mod_10IhEEE10hipError_tPvRmT1_T2_T3_mT4_P12ihipStream_tbEUlT_E1_NS1_11comp_targetILNS1_3genE0ELNS1_11target_archE4294967295ELNS1_3gpuE0ELNS1_3repE0EEENS1_30default_config_static_selectorELNS0_4arch9wavefront6targetE1EEEvSK_.num_vgpr, max(32, .L_ZN7rocprim17ROCPRIM_400000_NS6detail18constexpr_for_implIZZNS1_11reduce_implILb1ENS0_14default_configEN6thrust23THRUST_200600_302600_NS6detail15normal_iteratorINS6_10device_ptrIhEEEEPhh11plus_mod_10IhEEE10hipError_tPvRmT1_T2_T3_mT4_P12ihipStream_tbENUlT_E1_clINS1_13target_configIS4_NS1_22reduce_config_selectorIhEENS1_11comp_targetILNS1_3genE0ELNS1_11target_archE4294967295ELNS1_3gpuE0ELNS1_3repE0EEELNS0_4arch9wavefront6targetE1EEEEEDaSO_EUlSO_E_TnDaLi0ETnDaLi1EJLm0ELm1ELm2ELm3ELm4ELm5ELm6ELm7EEEEvOSO_St16integer_sequenceImJXspT2_EEE.num_vgpr)
	.set _ZN7rocprim17ROCPRIM_400000_NS6detail17trampoline_kernelINS0_14default_configENS1_22reduce_config_selectorIhEEZNS1_11reduce_implILb1ES3_N6thrust23THRUST_200600_302600_NS6detail15normal_iteratorINS8_10device_ptrIhEEEEPhh11plus_mod_10IhEEE10hipError_tPvRmT1_T2_T3_mT4_P12ihipStream_tbEUlT_E1_NS1_11comp_targetILNS1_3genE0ELNS1_11target_archE4294967295ELNS1_3gpuE0ELNS1_3repE0EEENS1_30default_config_static_selectorELNS0_4arch9wavefront6targetE1EEEvSK_.num_agpr, max(0, .L_ZN7rocprim17ROCPRIM_400000_NS6detail18constexpr_for_implIZZNS1_11reduce_implILb1ENS0_14default_configEN6thrust23THRUST_200600_302600_NS6detail15normal_iteratorINS6_10device_ptrIhEEEEPhh11plus_mod_10IhEEE10hipError_tPvRmT1_T2_T3_mT4_P12ihipStream_tbENUlT_E1_clINS1_13target_configIS4_NS1_22reduce_config_selectorIhEENS1_11comp_targetILNS1_3genE0ELNS1_11target_archE4294967295ELNS1_3gpuE0ELNS1_3repE0EEELNS0_4arch9wavefront6targetE1EEEEEDaSO_EUlSO_E_TnDaLi0ETnDaLi1EJLm0ELm1ELm2ELm3ELm4ELm5ELm6ELm7EEEEvOSO_St16integer_sequenceImJXspT2_EEE.num_agpr)
	.set _ZN7rocprim17ROCPRIM_400000_NS6detail17trampoline_kernelINS0_14default_configENS1_22reduce_config_selectorIhEEZNS1_11reduce_implILb1ES3_N6thrust23THRUST_200600_302600_NS6detail15normal_iteratorINS8_10device_ptrIhEEEEPhh11plus_mod_10IhEEE10hipError_tPvRmT1_T2_T3_mT4_P12ihipStream_tbEUlT_E1_NS1_11comp_targetILNS1_3genE0ELNS1_11target_archE4294967295ELNS1_3gpuE0ELNS1_3repE0EEENS1_30default_config_static_selectorELNS0_4arch9wavefront6targetE1EEEvSK_.numbered_sgpr, max(33, .L_ZN7rocprim17ROCPRIM_400000_NS6detail18constexpr_for_implIZZNS1_11reduce_implILb1ENS0_14default_configEN6thrust23THRUST_200600_302600_NS6detail15normal_iteratorINS6_10device_ptrIhEEEEPhh11plus_mod_10IhEEE10hipError_tPvRmT1_T2_T3_mT4_P12ihipStream_tbENUlT_E1_clINS1_13target_configIS4_NS1_22reduce_config_selectorIhEENS1_11comp_targetILNS1_3genE0ELNS1_11target_archE4294967295ELNS1_3gpuE0ELNS1_3repE0EEELNS0_4arch9wavefront6targetE1EEEEEDaSO_EUlSO_E_TnDaLi0ETnDaLi1EJLm0ELm1ELm2ELm3ELm4ELm5ELm6ELm7EEEEvOSO_St16integer_sequenceImJXspT2_EEE.numbered_sgpr)
	.set _ZN7rocprim17ROCPRIM_400000_NS6detail17trampoline_kernelINS0_14default_configENS1_22reduce_config_selectorIhEEZNS1_11reduce_implILb1ES3_N6thrust23THRUST_200600_302600_NS6detail15normal_iteratorINS8_10device_ptrIhEEEEPhh11plus_mod_10IhEEE10hipError_tPvRmT1_T2_T3_mT4_P12ihipStream_tbEUlT_E1_NS1_11comp_targetILNS1_3genE0ELNS1_11target_archE4294967295ELNS1_3gpuE0ELNS1_3repE0EEENS1_30default_config_static_selectorELNS0_4arch9wavefront6targetE1EEEvSK_.num_named_barrier, max(0, .L_ZN7rocprim17ROCPRIM_400000_NS6detail18constexpr_for_implIZZNS1_11reduce_implILb1ENS0_14default_configEN6thrust23THRUST_200600_302600_NS6detail15normal_iteratorINS6_10device_ptrIhEEEEPhh11plus_mod_10IhEEE10hipError_tPvRmT1_T2_T3_mT4_P12ihipStream_tbENUlT_E1_clINS1_13target_configIS4_NS1_22reduce_config_selectorIhEENS1_11comp_targetILNS1_3genE0ELNS1_11target_archE4294967295ELNS1_3gpuE0ELNS1_3repE0EEELNS0_4arch9wavefront6targetE1EEEEEDaSO_EUlSO_E_TnDaLi0ETnDaLi1EJLm0ELm1ELm2ELm3ELm4ELm5ELm6ELm7EEEEvOSO_St16integer_sequenceImJXspT2_EEE.num_named_barrier)
	.set _ZN7rocprim17ROCPRIM_400000_NS6detail17trampoline_kernelINS0_14default_configENS1_22reduce_config_selectorIhEEZNS1_11reduce_implILb1ES3_N6thrust23THRUST_200600_302600_NS6detail15normal_iteratorINS8_10device_ptrIhEEEEPhh11plus_mod_10IhEEE10hipError_tPvRmT1_T2_T3_mT4_P12ihipStream_tbEUlT_E1_NS1_11comp_targetILNS1_3genE0ELNS1_11target_archE4294967295ELNS1_3gpuE0ELNS1_3repE0EEENS1_30default_config_static_selectorELNS0_4arch9wavefront6targetE1EEEvSK_.private_seg_size, 96+max(.L_ZN7rocprim17ROCPRIM_400000_NS6detail18constexpr_for_implIZZNS1_11reduce_implILb1ENS0_14default_configEN6thrust23THRUST_200600_302600_NS6detail15normal_iteratorINS6_10device_ptrIhEEEEPhh11plus_mod_10IhEEE10hipError_tPvRmT1_T2_T3_mT4_P12ihipStream_tbENUlT_E1_clINS1_13target_configIS4_NS1_22reduce_config_selectorIhEENS1_11comp_targetILNS1_3genE0ELNS1_11target_archE4294967295ELNS1_3gpuE0ELNS1_3repE0EEELNS0_4arch9wavefront6targetE1EEEEEDaSO_EUlSO_E_TnDaLi0ETnDaLi1EJLm0ELm1ELm2ELm3ELm4ELm5ELm6ELm7EEEEvOSO_St16integer_sequenceImJXspT2_EEE.private_seg_size)
	.set _ZN7rocprim17ROCPRIM_400000_NS6detail17trampoline_kernelINS0_14default_configENS1_22reduce_config_selectorIhEEZNS1_11reduce_implILb1ES3_N6thrust23THRUST_200600_302600_NS6detail15normal_iteratorINS8_10device_ptrIhEEEEPhh11plus_mod_10IhEEE10hipError_tPvRmT1_T2_T3_mT4_P12ihipStream_tbEUlT_E1_NS1_11comp_targetILNS1_3genE0ELNS1_11target_archE4294967295ELNS1_3gpuE0ELNS1_3repE0EEENS1_30default_config_static_selectorELNS0_4arch9wavefront6targetE1EEEvSK_.uses_vcc, or(1, .L_ZN7rocprim17ROCPRIM_400000_NS6detail18constexpr_for_implIZZNS1_11reduce_implILb1ENS0_14default_configEN6thrust23THRUST_200600_302600_NS6detail15normal_iteratorINS6_10device_ptrIhEEEEPhh11plus_mod_10IhEEE10hipError_tPvRmT1_T2_T3_mT4_P12ihipStream_tbENUlT_E1_clINS1_13target_configIS4_NS1_22reduce_config_selectorIhEENS1_11comp_targetILNS1_3genE0ELNS1_11target_archE4294967295ELNS1_3gpuE0ELNS1_3repE0EEELNS0_4arch9wavefront6targetE1EEEEEDaSO_EUlSO_E_TnDaLi0ETnDaLi1EJLm0ELm1ELm2ELm3ELm4ELm5ELm6ELm7EEEEvOSO_St16integer_sequenceImJXspT2_EEE.uses_vcc)
	.set _ZN7rocprim17ROCPRIM_400000_NS6detail17trampoline_kernelINS0_14default_configENS1_22reduce_config_selectorIhEEZNS1_11reduce_implILb1ES3_N6thrust23THRUST_200600_302600_NS6detail15normal_iteratorINS8_10device_ptrIhEEEEPhh11plus_mod_10IhEEE10hipError_tPvRmT1_T2_T3_mT4_P12ihipStream_tbEUlT_E1_NS1_11comp_targetILNS1_3genE0ELNS1_11target_archE4294967295ELNS1_3gpuE0ELNS1_3repE0EEENS1_30default_config_static_selectorELNS0_4arch9wavefront6targetE1EEEvSK_.uses_flat_scratch, or(0, .L_ZN7rocprim17ROCPRIM_400000_NS6detail18constexpr_for_implIZZNS1_11reduce_implILb1ENS0_14default_configEN6thrust23THRUST_200600_302600_NS6detail15normal_iteratorINS6_10device_ptrIhEEEEPhh11plus_mod_10IhEEE10hipError_tPvRmT1_T2_T3_mT4_P12ihipStream_tbENUlT_E1_clINS1_13target_configIS4_NS1_22reduce_config_selectorIhEENS1_11comp_targetILNS1_3genE0ELNS1_11target_archE4294967295ELNS1_3gpuE0ELNS1_3repE0EEELNS0_4arch9wavefront6targetE1EEEEEDaSO_EUlSO_E_TnDaLi0ETnDaLi1EJLm0ELm1ELm2ELm3ELm4ELm5ELm6ELm7EEEEvOSO_St16integer_sequenceImJXspT2_EEE.uses_flat_scratch)
	.set _ZN7rocprim17ROCPRIM_400000_NS6detail17trampoline_kernelINS0_14default_configENS1_22reduce_config_selectorIhEEZNS1_11reduce_implILb1ES3_N6thrust23THRUST_200600_302600_NS6detail15normal_iteratorINS8_10device_ptrIhEEEEPhh11plus_mod_10IhEEE10hipError_tPvRmT1_T2_T3_mT4_P12ihipStream_tbEUlT_E1_NS1_11comp_targetILNS1_3genE0ELNS1_11target_archE4294967295ELNS1_3gpuE0ELNS1_3repE0EEENS1_30default_config_static_selectorELNS0_4arch9wavefront6targetE1EEEvSK_.has_dyn_sized_stack, or(0, .L_ZN7rocprim17ROCPRIM_400000_NS6detail18constexpr_for_implIZZNS1_11reduce_implILb1ENS0_14default_configEN6thrust23THRUST_200600_302600_NS6detail15normal_iteratorINS6_10device_ptrIhEEEEPhh11plus_mod_10IhEEE10hipError_tPvRmT1_T2_T3_mT4_P12ihipStream_tbENUlT_E1_clINS1_13target_configIS4_NS1_22reduce_config_selectorIhEENS1_11comp_targetILNS1_3genE0ELNS1_11target_archE4294967295ELNS1_3gpuE0ELNS1_3repE0EEELNS0_4arch9wavefront6targetE1EEEEEDaSO_EUlSO_E_TnDaLi0ETnDaLi1EJLm0ELm1ELm2ELm3ELm4ELm5ELm6ELm7EEEEvOSO_St16integer_sequenceImJXspT2_EEE.has_dyn_sized_stack)
	.set _ZN7rocprim17ROCPRIM_400000_NS6detail17trampoline_kernelINS0_14default_configENS1_22reduce_config_selectorIhEEZNS1_11reduce_implILb1ES3_N6thrust23THRUST_200600_302600_NS6detail15normal_iteratorINS8_10device_ptrIhEEEEPhh11plus_mod_10IhEEE10hipError_tPvRmT1_T2_T3_mT4_P12ihipStream_tbEUlT_E1_NS1_11comp_targetILNS1_3genE0ELNS1_11target_archE4294967295ELNS1_3gpuE0ELNS1_3repE0EEENS1_30default_config_static_selectorELNS0_4arch9wavefront6targetE1EEEvSK_.has_recursion, or(0, .L_ZN7rocprim17ROCPRIM_400000_NS6detail18constexpr_for_implIZZNS1_11reduce_implILb1ENS0_14default_configEN6thrust23THRUST_200600_302600_NS6detail15normal_iteratorINS6_10device_ptrIhEEEEPhh11plus_mod_10IhEEE10hipError_tPvRmT1_T2_T3_mT4_P12ihipStream_tbENUlT_E1_clINS1_13target_configIS4_NS1_22reduce_config_selectorIhEENS1_11comp_targetILNS1_3genE0ELNS1_11target_archE4294967295ELNS1_3gpuE0ELNS1_3repE0EEELNS0_4arch9wavefront6targetE1EEEEEDaSO_EUlSO_E_TnDaLi0ETnDaLi1EJLm0ELm1ELm2ELm3ELm4ELm5ELm6ELm7EEEEvOSO_St16integer_sequenceImJXspT2_EEE.has_recursion)
	.set _ZN7rocprim17ROCPRIM_400000_NS6detail17trampoline_kernelINS0_14default_configENS1_22reduce_config_selectorIhEEZNS1_11reduce_implILb1ES3_N6thrust23THRUST_200600_302600_NS6detail15normal_iteratorINS8_10device_ptrIhEEEEPhh11plus_mod_10IhEEE10hipError_tPvRmT1_T2_T3_mT4_P12ihipStream_tbEUlT_E1_NS1_11comp_targetILNS1_3genE0ELNS1_11target_archE4294967295ELNS1_3gpuE0ELNS1_3repE0EEENS1_30default_config_static_selectorELNS0_4arch9wavefront6targetE1EEEvSK_.has_indirect_call, or(0, .L_ZN7rocprim17ROCPRIM_400000_NS6detail18constexpr_for_implIZZNS1_11reduce_implILb1ENS0_14default_configEN6thrust23THRUST_200600_302600_NS6detail15normal_iteratorINS6_10device_ptrIhEEEEPhh11plus_mod_10IhEEE10hipError_tPvRmT1_T2_T3_mT4_P12ihipStream_tbENUlT_E1_clINS1_13target_configIS4_NS1_22reduce_config_selectorIhEENS1_11comp_targetILNS1_3genE0ELNS1_11target_archE4294967295ELNS1_3gpuE0ELNS1_3repE0EEELNS0_4arch9wavefront6targetE1EEEEEDaSO_EUlSO_E_TnDaLi0ETnDaLi1EJLm0ELm1ELm2ELm3ELm4ELm5ELm6ELm7EEEEvOSO_St16integer_sequenceImJXspT2_EEE.has_indirect_call)
	.section	.AMDGPU.csdata,"",@progbits
; Kernel info:
; codeLenInByte = 264
; TotalNumSgprs: 106
; NumVgprs: 232
; NumAgprs: 32
; TotalNumVgprs: 264
; ScratchSize: 116
; MemoryBound: 0
; FloatMode: 240
; IeeeMode: 1
; LDSByteSize: 36 bytes/workgroup (compile time only)
; SGPRBlocks: 13
; VGPRBlocks: 32
; NumSGPRsForWavesPerEU: 106
; NumVGPRsForWavesPerEU: 264
; AccumOffset: 232
; Occupancy: 1
; WaveLimiterHint : 1
; COMPUTE_PGM_RSRC2:SCRATCH_EN: 1
; COMPUTE_PGM_RSRC2:USER_SGPR: 2
; COMPUTE_PGM_RSRC2:TRAP_HANDLER: 0
; COMPUTE_PGM_RSRC2:TGID_X_EN: 1
; COMPUTE_PGM_RSRC2:TGID_Y_EN: 0
; COMPUTE_PGM_RSRC2:TGID_Z_EN: 0
; COMPUTE_PGM_RSRC2:TIDIG_COMP_CNT: 0
; COMPUTE_PGM_RSRC3_GFX90A:ACCUM_OFFSET: 57
; COMPUTE_PGM_RSRC3_GFX90A:TG_SPLIT: 0
	.section	.text._ZN7rocprim17ROCPRIM_400000_NS6detail17trampoline_kernelINS0_14default_configENS1_22reduce_config_selectorIhEEZNS1_11reduce_implILb1ES3_N6thrust23THRUST_200600_302600_NS6detail15normal_iteratorINS8_10device_ptrIhEEEEPhh11plus_mod_10IhEEE10hipError_tPvRmT1_T2_T3_mT4_P12ihipStream_tbEUlT_E1_NS1_11comp_targetILNS1_3genE5ELNS1_11target_archE942ELNS1_3gpuE9ELNS1_3repE0EEENS1_30default_config_static_selectorELNS0_4arch9wavefront6targetE1EEEvSK_,"axG",@progbits,_ZN7rocprim17ROCPRIM_400000_NS6detail17trampoline_kernelINS0_14default_configENS1_22reduce_config_selectorIhEEZNS1_11reduce_implILb1ES3_N6thrust23THRUST_200600_302600_NS6detail15normal_iteratorINS8_10device_ptrIhEEEEPhh11plus_mod_10IhEEE10hipError_tPvRmT1_T2_T3_mT4_P12ihipStream_tbEUlT_E1_NS1_11comp_targetILNS1_3genE5ELNS1_11target_archE942ELNS1_3gpuE9ELNS1_3repE0EEENS1_30default_config_static_selectorELNS0_4arch9wavefront6targetE1EEEvSK_,comdat
	.protected	_ZN7rocprim17ROCPRIM_400000_NS6detail17trampoline_kernelINS0_14default_configENS1_22reduce_config_selectorIhEEZNS1_11reduce_implILb1ES3_N6thrust23THRUST_200600_302600_NS6detail15normal_iteratorINS8_10device_ptrIhEEEEPhh11plus_mod_10IhEEE10hipError_tPvRmT1_T2_T3_mT4_P12ihipStream_tbEUlT_E1_NS1_11comp_targetILNS1_3genE5ELNS1_11target_archE942ELNS1_3gpuE9ELNS1_3repE0EEENS1_30default_config_static_selectorELNS0_4arch9wavefront6targetE1EEEvSK_ ; -- Begin function _ZN7rocprim17ROCPRIM_400000_NS6detail17trampoline_kernelINS0_14default_configENS1_22reduce_config_selectorIhEEZNS1_11reduce_implILb1ES3_N6thrust23THRUST_200600_302600_NS6detail15normal_iteratorINS8_10device_ptrIhEEEEPhh11plus_mod_10IhEEE10hipError_tPvRmT1_T2_T3_mT4_P12ihipStream_tbEUlT_E1_NS1_11comp_targetILNS1_3genE5ELNS1_11target_archE942ELNS1_3gpuE9ELNS1_3repE0EEENS1_30default_config_static_selectorELNS0_4arch9wavefront6targetE1EEEvSK_
	.globl	_ZN7rocprim17ROCPRIM_400000_NS6detail17trampoline_kernelINS0_14default_configENS1_22reduce_config_selectorIhEEZNS1_11reduce_implILb1ES3_N6thrust23THRUST_200600_302600_NS6detail15normal_iteratorINS8_10device_ptrIhEEEEPhh11plus_mod_10IhEEE10hipError_tPvRmT1_T2_T3_mT4_P12ihipStream_tbEUlT_E1_NS1_11comp_targetILNS1_3genE5ELNS1_11target_archE942ELNS1_3gpuE9ELNS1_3repE0EEENS1_30default_config_static_selectorELNS0_4arch9wavefront6targetE1EEEvSK_
	.p2align	8
	.type	_ZN7rocprim17ROCPRIM_400000_NS6detail17trampoline_kernelINS0_14default_configENS1_22reduce_config_selectorIhEEZNS1_11reduce_implILb1ES3_N6thrust23THRUST_200600_302600_NS6detail15normal_iteratorINS8_10device_ptrIhEEEEPhh11plus_mod_10IhEEE10hipError_tPvRmT1_T2_T3_mT4_P12ihipStream_tbEUlT_E1_NS1_11comp_targetILNS1_3genE5ELNS1_11target_archE942ELNS1_3gpuE9ELNS1_3repE0EEENS1_30default_config_static_selectorELNS0_4arch9wavefront6targetE1EEEvSK_,@function
_ZN7rocprim17ROCPRIM_400000_NS6detail17trampoline_kernelINS0_14default_configENS1_22reduce_config_selectorIhEEZNS1_11reduce_implILb1ES3_N6thrust23THRUST_200600_302600_NS6detail15normal_iteratorINS8_10device_ptrIhEEEEPhh11plus_mod_10IhEEE10hipError_tPvRmT1_T2_T3_mT4_P12ihipStream_tbEUlT_E1_NS1_11comp_targetILNS1_3genE5ELNS1_11target_archE942ELNS1_3gpuE9ELNS1_3repE0EEENS1_30default_config_static_selectorELNS0_4arch9wavefront6targetE1EEEvSK_: ; @_ZN7rocprim17ROCPRIM_400000_NS6detail17trampoline_kernelINS0_14default_configENS1_22reduce_config_selectorIhEEZNS1_11reduce_implILb1ES3_N6thrust23THRUST_200600_302600_NS6detail15normal_iteratorINS8_10device_ptrIhEEEEPhh11plus_mod_10IhEEE10hipError_tPvRmT1_T2_T3_mT4_P12ihipStream_tbEUlT_E1_NS1_11comp_targetILNS1_3genE5ELNS1_11target_archE942ELNS1_3gpuE9ELNS1_3repE0EEENS1_30default_config_static_selectorELNS0_4arch9wavefront6targetE1EEEvSK_
; %bb.0:
	.section	.rodata,"a",@progbits
	.p2align	6, 0x0
	.amdhsa_kernel _ZN7rocprim17ROCPRIM_400000_NS6detail17trampoline_kernelINS0_14default_configENS1_22reduce_config_selectorIhEEZNS1_11reduce_implILb1ES3_N6thrust23THRUST_200600_302600_NS6detail15normal_iteratorINS8_10device_ptrIhEEEEPhh11plus_mod_10IhEEE10hipError_tPvRmT1_T2_T3_mT4_P12ihipStream_tbEUlT_E1_NS1_11comp_targetILNS1_3genE5ELNS1_11target_archE942ELNS1_3gpuE9ELNS1_3repE0EEENS1_30default_config_static_selectorELNS0_4arch9wavefront6targetE1EEEvSK_
		.amdhsa_group_segment_fixed_size 0
		.amdhsa_private_segment_fixed_size 0
		.amdhsa_kernarg_size 40
		.amdhsa_user_sgpr_count 2
		.amdhsa_user_sgpr_dispatch_ptr 0
		.amdhsa_user_sgpr_queue_ptr 0
		.amdhsa_user_sgpr_kernarg_segment_ptr 1
		.amdhsa_user_sgpr_dispatch_id 0
		.amdhsa_user_sgpr_kernarg_preload_length 0
		.amdhsa_user_sgpr_kernarg_preload_offset 0
		.amdhsa_user_sgpr_private_segment_size 0
		.amdhsa_uses_dynamic_stack 0
		.amdhsa_enable_private_segment 0
		.amdhsa_system_sgpr_workgroup_id_x 1
		.amdhsa_system_sgpr_workgroup_id_y 0
		.amdhsa_system_sgpr_workgroup_id_z 0
		.amdhsa_system_sgpr_workgroup_info 0
		.amdhsa_system_vgpr_workitem_id 0
		.amdhsa_next_free_vgpr 1
		.amdhsa_next_free_sgpr 0
		.amdhsa_accum_offset 4
		.amdhsa_reserve_vcc 0
		.amdhsa_float_round_mode_32 0
		.amdhsa_float_round_mode_16_64 0
		.amdhsa_float_denorm_mode_32 3
		.amdhsa_float_denorm_mode_16_64 3
		.amdhsa_dx10_clamp 1
		.amdhsa_ieee_mode 1
		.amdhsa_fp16_overflow 0
		.amdhsa_tg_split 0
		.amdhsa_exception_fp_ieee_invalid_op 0
		.amdhsa_exception_fp_denorm_src 0
		.amdhsa_exception_fp_ieee_div_zero 0
		.amdhsa_exception_fp_ieee_overflow 0
		.amdhsa_exception_fp_ieee_underflow 0
		.amdhsa_exception_fp_ieee_inexact 0
		.amdhsa_exception_int_div_zero 0
	.end_amdhsa_kernel
	.section	.text._ZN7rocprim17ROCPRIM_400000_NS6detail17trampoline_kernelINS0_14default_configENS1_22reduce_config_selectorIhEEZNS1_11reduce_implILb1ES3_N6thrust23THRUST_200600_302600_NS6detail15normal_iteratorINS8_10device_ptrIhEEEEPhh11plus_mod_10IhEEE10hipError_tPvRmT1_T2_T3_mT4_P12ihipStream_tbEUlT_E1_NS1_11comp_targetILNS1_3genE5ELNS1_11target_archE942ELNS1_3gpuE9ELNS1_3repE0EEENS1_30default_config_static_selectorELNS0_4arch9wavefront6targetE1EEEvSK_,"axG",@progbits,_ZN7rocprim17ROCPRIM_400000_NS6detail17trampoline_kernelINS0_14default_configENS1_22reduce_config_selectorIhEEZNS1_11reduce_implILb1ES3_N6thrust23THRUST_200600_302600_NS6detail15normal_iteratorINS8_10device_ptrIhEEEEPhh11plus_mod_10IhEEE10hipError_tPvRmT1_T2_T3_mT4_P12ihipStream_tbEUlT_E1_NS1_11comp_targetILNS1_3genE5ELNS1_11target_archE942ELNS1_3gpuE9ELNS1_3repE0EEENS1_30default_config_static_selectorELNS0_4arch9wavefront6targetE1EEEvSK_,comdat
.Lfunc_end687:
	.size	_ZN7rocprim17ROCPRIM_400000_NS6detail17trampoline_kernelINS0_14default_configENS1_22reduce_config_selectorIhEEZNS1_11reduce_implILb1ES3_N6thrust23THRUST_200600_302600_NS6detail15normal_iteratorINS8_10device_ptrIhEEEEPhh11plus_mod_10IhEEE10hipError_tPvRmT1_T2_T3_mT4_P12ihipStream_tbEUlT_E1_NS1_11comp_targetILNS1_3genE5ELNS1_11target_archE942ELNS1_3gpuE9ELNS1_3repE0EEENS1_30default_config_static_selectorELNS0_4arch9wavefront6targetE1EEEvSK_, .Lfunc_end687-_ZN7rocprim17ROCPRIM_400000_NS6detail17trampoline_kernelINS0_14default_configENS1_22reduce_config_selectorIhEEZNS1_11reduce_implILb1ES3_N6thrust23THRUST_200600_302600_NS6detail15normal_iteratorINS8_10device_ptrIhEEEEPhh11plus_mod_10IhEEE10hipError_tPvRmT1_T2_T3_mT4_P12ihipStream_tbEUlT_E1_NS1_11comp_targetILNS1_3genE5ELNS1_11target_archE942ELNS1_3gpuE9ELNS1_3repE0EEENS1_30default_config_static_selectorELNS0_4arch9wavefront6targetE1EEEvSK_
                                        ; -- End function
	.set _ZN7rocprim17ROCPRIM_400000_NS6detail17trampoline_kernelINS0_14default_configENS1_22reduce_config_selectorIhEEZNS1_11reduce_implILb1ES3_N6thrust23THRUST_200600_302600_NS6detail15normal_iteratorINS8_10device_ptrIhEEEEPhh11plus_mod_10IhEEE10hipError_tPvRmT1_T2_T3_mT4_P12ihipStream_tbEUlT_E1_NS1_11comp_targetILNS1_3genE5ELNS1_11target_archE942ELNS1_3gpuE9ELNS1_3repE0EEENS1_30default_config_static_selectorELNS0_4arch9wavefront6targetE1EEEvSK_.num_vgpr, 0
	.set _ZN7rocprim17ROCPRIM_400000_NS6detail17trampoline_kernelINS0_14default_configENS1_22reduce_config_selectorIhEEZNS1_11reduce_implILb1ES3_N6thrust23THRUST_200600_302600_NS6detail15normal_iteratorINS8_10device_ptrIhEEEEPhh11plus_mod_10IhEEE10hipError_tPvRmT1_T2_T3_mT4_P12ihipStream_tbEUlT_E1_NS1_11comp_targetILNS1_3genE5ELNS1_11target_archE942ELNS1_3gpuE9ELNS1_3repE0EEENS1_30default_config_static_selectorELNS0_4arch9wavefront6targetE1EEEvSK_.num_agpr, 0
	.set _ZN7rocprim17ROCPRIM_400000_NS6detail17trampoline_kernelINS0_14default_configENS1_22reduce_config_selectorIhEEZNS1_11reduce_implILb1ES3_N6thrust23THRUST_200600_302600_NS6detail15normal_iteratorINS8_10device_ptrIhEEEEPhh11plus_mod_10IhEEE10hipError_tPvRmT1_T2_T3_mT4_P12ihipStream_tbEUlT_E1_NS1_11comp_targetILNS1_3genE5ELNS1_11target_archE942ELNS1_3gpuE9ELNS1_3repE0EEENS1_30default_config_static_selectorELNS0_4arch9wavefront6targetE1EEEvSK_.numbered_sgpr, 0
	.set _ZN7rocprim17ROCPRIM_400000_NS6detail17trampoline_kernelINS0_14default_configENS1_22reduce_config_selectorIhEEZNS1_11reduce_implILb1ES3_N6thrust23THRUST_200600_302600_NS6detail15normal_iteratorINS8_10device_ptrIhEEEEPhh11plus_mod_10IhEEE10hipError_tPvRmT1_T2_T3_mT4_P12ihipStream_tbEUlT_E1_NS1_11comp_targetILNS1_3genE5ELNS1_11target_archE942ELNS1_3gpuE9ELNS1_3repE0EEENS1_30default_config_static_selectorELNS0_4arch9wavefront6targetE1EEEvSK_.num_named_barrier, 0
	.set _ZN7rocprim17ROCPRIM_400000_NS6detail17trampoline_kernelINS0_14default_configENS1_22reduce_config_selectorIhEEZNS1_11reduce_implILb1ES3_N6thrust23THRUST_200600_302600_NS6detail15normal_iteratorINS8_10device_ptrIhEEEEPhh11plus_mod_10IhEEE10hipError_tPvRmT1_T2_T3_mT4_P12ihipStream_tbEUlT_E1_NS1_11comp_targetILNS1_3genE5ELNS1_11target_archE942ELNS1_3gpuE9ELNS1_3repE0EEENS1_30default_config_static_selectorELNS0_4arch9wavefront6targetE1EEEvSK_.private_seg_size, 0
	.set _ZN7rocprim17ROCPRIM_400000_NS6detail17trampoline_kernelINS0_14default_configENS1_22reduce_config_selectorIhEEZNS1_11reduce_implILb1ES3_N6thrust23THRUST_200600_302600_NS6detail15normal_iteratorINS8_10device_ptrIhEEEEPhh11plus_mod_10IhEEE10hipError_tPvRmT1_T2_T3_mT4_P12ihipStream_tbEUlT_E1_NS1_11comp_targetILNS1_3genE5ELNS1_11target_archE942ELNS1_3gpuE9ELNS1_3repE0EEENS1_30default_config_static_selectorELNS0_4arch9wavefront6targetE1EEEvSK_.uses_vcc, 0
	.set _ZN7rocprim17ROCPRIM_400000_NS6detail17trampoline_kernelINS0_14default_configENS1_22reduce_config_selectorIhEEZNS1_11reduce_implILb1ES3_N6thrust23THRUST_200600_302600_NS6detail15normal_iteratorINS8_10device_ptrIhEEEEPhh11plus_mod_10IhEEE10hipError_tPvRmT1_T2_T3_mT4_P12ihipStream_tbEUlT_E1_NS1_11comp_targetILNS1_3genE5ELNS1_11target_archE942ELNS1_3gpuE9ELNS1_3repE0EEENS1_30default_config_static_selectorELNS0_4arch9wavefront6targetE1EEEvSK_.uses_flat_scratch, 0
	.set _ZN7rocprim17ROCPRIM_400000_NS6detail17trampoline_kernelINS0_14default_configENS1_22reduce_config_selectorIhEEZNS1_11reduce_implILb1ES3_N6thrust23THRUST_200600_302600_NS6detail15normal_iteratorINS8_10device_ptrIhEEEEPhh11plus_mod_10IhEEE10hipError_tPvRmT1_T2_T3_mT4_P12ihipStream_tbEUlT_E1_NS1_11comp_targetILNS1_3genE5ELNS1_11target_archE942ELNS1_3gpuE9ELNS1_3repE0EEENS1_30default_config_static_selectorELNS0_4arch9wavefront6targetE1EEEvSK_.has_dyn_sized_stack, 0
	.set _ZN7rocprim17ROCPRIM_400000_NS6detail17trampoline_kernelINS0_14default_configENS1_22reduce_config_selectorIhEEZNS1_11reduce_implILb1ES3_N6thrust23THRUST_200600_302600_NS6detail15normal_iteratorINS8_10device_ptrIhEEEEPhh11plus_mod_10IhEEE10hipError_tPvRmT1_T2_T3_mT4_P12ihipStream_tbEUlT_E1_NS1_11comp_targetILNS1_3genE5ELNS1_11target_archE942ELNS1_3gpuE9ELNS1_3repE0EEENS1_30default_config_static_selectorELNS0_4arch9wavefront6targetE1EEEvSK_.has_recursion, 0
	.set _ZN7rocprim17ROCPRIM_400000_NS6detail17trampoline_kernelINS0_14default_configENS1_22reduce_config_selectorIhEEZNS1_11reduce_implILb1ES3_N6thrust23THRUST_200600_302600_NS6detail15normal_iteratorINS8_10device_ptrIhEEEEPhh11plus_mod_10IhEEE10hipError_tPvRmT1_T2_T3_mT4_P12ihipStream_tbEUlT_E1_NS1_11comp_targetILNS1_3genE5ELNS1_11target_archE942ELNS1_3gpuE9ELNS1_3repE0EEENS1_30default_config_static_selectorELNS0_4arch9wavefront6targetE1EEEvSK_.has_indirect_call, 0
	.section	.AMDGPU.csdata,"",@progbits
; Kernel info:
; codeLenInByte = 0
; TotalNumSgprs: 6
; NumVgprs: 0
; NumAgprs: 0
; TotalNumVgprs: 0
; ScratchSize: 0
; MemoryBound: 0
; FloatMode: 240
; IeeeMode: 1
; LDSByteSize: 0 bytes/workgroup (compile time only)
; SGPRBlocks: 0
; VGPRBlocks: 0
; NumSGPRsForWavesPerEU: 6
; NumVGPRsForWavesPerEU: 1
; AccumOffset: 4
; Occupancy: 8
; WaveLimiterHint : 0
; COMPUTE_PGM_RSRC2:SCRATCH_EN: 0
; COMPUTE_PGM_RSRC2:USER_SGPR: 2
; COMPUTE_PGM_RSRC2:TRAP_HANDLER: 0
; COMPUTE_PGM_RSRC2:TGID_X_EN: 1
; COMPUTE_PGM_RSRC2:TGID_Y_EN: 0
; COMPUTE_PGM_RSRC2:TGID_Z_EN: 0
; COMPUTE_PGM_RSRC2:TIDIG_COMP_CNT: 0
; COMPUTE_PGM_RSRC3_GFX90A:ACCUM_OFFSET: 0
; COMPUTE_PGM_RSRC3_GFX90A:TG_SPLIT: 0
	.section	.text._ZN7rocprim17ROCPRIM_400000_NS6detail17trampoline_kernelINS0_14default_configENS1_22reduce_config_selectorIhEEZNS1_11reduce_implILb1ES3_N6thrust23THRUST_200600_302600_NS6detail15normal_iteratorINS8_10device_ptrIhEEEEPhh11plus_mod_10IhEEE10hipError_tPvRmT1_T2_T3_mT4_P12ihipStream_tbEUlT_E1_NS1_11comp_targetILNS1_3genE4ELNS1_11target_archE910ELNS1_3gpuE8ELNS1_3repE0EEENS1_30default_config_static_selectorELNS0_4arch9wavefront6targetE1EEEvSK_,"axG",@progbits,_ZN7rocprim17ROCPRIM_400000_NS6detail17trampoline_kernelINS0_14default_configENS1_22reduce_config_selectorIhEEZNS1_11reduce_implILb1ES3_N6thrust23THRUST_200600_302600_NS6detail15normal_iteratorINS8_10device_ptrIhEEEEPhh11plus_mod_10IhEEE10hipError_tPvRmT1_T2_T3_mT4_P12ihipStream_tbEUlT_E1_NS1_11comp_targetILNS1_3genE4ELNS1_11target_archE910ELNS1_3gpuE8ELNS1_3repE0EEENS1_30default_config_static_selectorELNS0_4arch9wavefront6targetE1EEEvSK_,comdat
	.protected	_ZN7rocprim17ROCPRIM_400000_NS6detail17trampoline_kernelINS0_14default_configENS1_22reduce_config_selectorIhEEZNS1_11reduce_implILb1ES3_N6thrust23THRUST_200600_302600_NS6detail15normal_iteratorINS8_10device_ptrIhEEEEPhh11plus_mod_10IhEEE10hipError_tPvRmT1_T2_T3_mT4_P12ihipStream_tbEUlT_E1_NS1_11comp_targetILNS1_3genE4ELNS1_11target_archE910ELNS1_3gpuE8ELNS1_3repE0EEENS1_30default_config_static_selectorELNS0_4arch9wavefront6targetE1EEEvSK_ ; -- Begin function _ZN7rocprim17ROCPRIM_400000_NS6detail17trampoline_kernelINS0_14default_configENS1_22reduce_config_selectorIhEEZNS1_11reduce_implILb1ES3_N6thrust23THRUST_200600_302600_NS6detail15normal_iteratorINS8_10device_ptrIhEEEEPhh11plus_mod_10IhEEE10hipError_tPvRmT1_T2_T3_mT4_P12ihipStream_tbEUlT_E1_NS1_11comp_targetILNS1_3genE4ELNS1_11target_archE910ELNS1_3gpuE8ELNS1_3repE0EEENS1_30default_config_static_selectorELNS0_4arch9wavefront6targetE1EEEvSK_
	.globl	_ZN7rocprim17ROCPRIM_400000_NS6detail17trampoline_kernelINS0_14default_configENS1_22reduce_config_selectorIhEEZNS1_11reduce_implILb1ES3_N6thrust23THRUST_200600_302600_NS6detail15normal_iteratorINS8_10device_ptrIhEEEEPhh11plus_mod_10IhEEE10hipError_tPvRmT1_T2_T3_mT4_P12ihipStream_tbEUlT_E1_NS1_11comp_targetILNS1_3genE4ELNS1_11target_archE910ELNS1_3gpuE8ELNS1_3repE0EEENS1_30default_config_static_selectorELNS0_4arch9wavefront6targetE1EEEvSK_
	.p2align	8
	.type	_ZN7rocprim17ROCPRIM_400000_NS6detail17trampoline_kernelINS0_14default_configENS1_22reduce_config_selectorIhEEZNS1_11reduce_implILb1ES3_N6thrust23THRUST_200600_302600_NS6detail15normal_iteratorINS8_10device_ptrIhEEEEPhh11plus_mod_10IhEEE10hipError_tPvRmT1_T2_T3_mT4_P12ihipStream_tbEUlT_E1_NS1_11comp_targetILNS1_3genE4ELNS1_11target_archE910ELNS1_3gpuE8ELNS1_3repE0EEENS1_30default_config_static_selectorELNS0_4arch9wavefront6targetE1EEEvSK_,@function
_ZN7rocprim17ROCPRIM_400000_NS6detail17trampoline_kernelINS0_14default_configENS1_22reduce_config_selectorIhEEZNS1_11reduce_implILb1ES3_N6thrust23THRUST_200600_302600_NS6detail15normal_iteratorINS8_10device_ptrIhEEEEPhh11plus_mod_10IhEEE10hipError_tPvRmT1_T2_T3_mT4_P12ihipStream_tbEUlT_E1_NS1_11comp_targetILNS1_3genE4ELNS1_11target_archE910ELNS1_3gpuE8ELNS1_3repE0EEENS1_30default_config_static_selectorELNS0_4arch9wavefront6targetE1EEEvSK_: ; @_ZN7rocprim17ROCPRIM_400000_NS6detail17trampoline_kernelINS0_14default_configENS1_22reduce_config_selectorIhEEZNS1_11reduce_implILb1ES3_N6thrust23THRUST_200600_302600_NS6detail15normal_iteratorINS8_10device_ptrIhEEEEPhh11plus_mod_10IhEEE10hipError_tPvRmT1_T2_T3_mT4_P12ihipStream_tbEUlT_E1_NS1_11comp_targetILNS1_3genE4ELNS1_11target_archE910ELNS1_3gpuE8ELNS1_3repE0EEENS1_30default_config_static_selectorELNS0_4arch9wavefront6targetE1EEEvSK_
; %bb.0:
	.section	.rodata,"a",@progbits
	.p2align	6, 0x0
	.amdhsa_kernel _ZN7rocprim17ROCPRIM_400000_NS6detail17trampoline_kernelINS0_14default_configENS1_22reduce_config_selectorIhEEZNS1_11reduce_implILb1ES3_N6thrust23THRUST_200600_302600_NS6detail15normal_iteratorINS8_10device_ptrIhEEEEPhh11plus_mod_10IhEEE10hipError_tPvRmT1_T2_T3_mT4_P12ihipStream_tbEUlT_E1_NS1_11comp_targetILNS1_3genE4ELNS1_11target_archE910ELNS1_3gpuE8ELNS1_3repE0EEENS1_30default_config_static_selectorELNS0_4arch9wavefront6targetE1EEEvSK_
		.amdhsa_group_segment_fixed_size 0
		.amdhsa_private_segment_fixed_size 0
		.amdhsa_kernarg_size 40
		.amdhsa_user_sgpr_count 2
		.amdhsa_user_sgpr_dispatch_ptr 0
		.amdhsa_user_sgpr_queue_ptr 0
		.amdhsa_user_sgpr_kernarg_segment_ptr 1
		.amdhsa_user_sgpr_dispatch_id 0
		.amdhsa_user_sgpr_kernarg_preload_length 0
		.amdhsa_user_sgpr_kernarg_preload_offset 0
		.amdhsa_user_sgpr_private_segment_size 0
		.amdhsa_uses_dynamic_stack 0
		.amdhsa_enable_private_segment 0
		.amdhsa_system_sgpr_workgroup_id_x 1
		.amdhsa_system_sgpr_workgroup_id_y 0
		.amdhsa_system_sgpr_workgroup_id_z 0
		.amdhsa_system_sgpr_workgroup_info 0
		.amdhsa_system_vgpr_workitem_id 0
		.amdhsa_next_free_vgpr 1
		.amdhsa_next_free_sgpr 0
		.amdhsa_accum_offset 4
		.amdhsa_reserve_vcc 0
		.amdhsa_float_round_mode_32 0
		.amdhsa_float_round_mode_16_64 0
		.amdhsa_float_denorm_mode_32 3
		.amdhsa_float_denorm_mode_16_64 3
		.amdhsa_dx10_clamp 1
		.amdhsa_ieee_mode 1
		.amdhsa_fp16_overflow 0
		.amdhsa_tg_split 0
		.amdhsa_exception_fp_ieee_invalid_op 0
		.amdhsa_exception_fp_denorm_src 0
		.amdhsa_exception_fp_ieee_div_zero 0
		.amdhsa_exception_fp_ieee_overflow 0
		.amdhsa_exception_fp_ieee_underflow 0
		.amdhsa_exception_fp_ieee_inexact 0
		.amdhsa_exception_int_div_zero 0
	.end_amdhsa_kernel
	.section	.text._ZN7rocprim17ROCPRIM_400000_NS6detail17trampoline_kernelINS0_14default_configENS1_22reduce_config_selectorIhEEZNS1_11reduce_implILb1ES3_N6thrust23THRUST_200600_302600_NS6detail15normal_iteratorINS8_10device_ptrIhEEEEPhh11plus_mod_10IhEEE10hipError_tPvRmT1_T2_T3_mT4_P12ihipStream_tbEUlT_E1_NS1_11comp_targetILNS1_3genE4ELNS1_11target_archE910ELNS1_3gpuE8ELNS1_3repE0EEENS1_30default_config_static_selectorELNS0_4arch9wavefront6targetE1EEEvSK_,"axG",@progbits,_ZN7rocprim17ROCPRIM_400000_NS6detail17trampoline_kernelINS0_14default_configENS1_22reduce_config_selectorIhEEZNS1_11reduce_implILb1ES3_N6thrust23THRUST_200600_302600_NS6detail15normal_iteratorINS8_10device_ptrIhEEEEPhh11plus_mod_10IhEEE10hipError_tPvRmT1_T2_T3_mT4_P12ihipStream_tbEUlT_E1_NS1_11comp_targetILNS1_3genE4ELNS1_11target_archE910ELNS1_3gpuE8ELNS1_3repE0EEENS1_30default_config_static_selectorELNS0_4arch9wavefront6targetE1EEEvSK_,comdat
.Lfunc_end688:
	.size	_ZN7rocprim17ROCPRIM_400000_NS6detail17trampoline_kernelINS0_14default_configENS1_22reduce_config_selectorIhEEZNS1_11reduce_implILb1ES3_N6thrust23THRUST_200600_302600_NS6detail15normal_iteratorINS8_10device_ptrIhEEEEPhh11plus_mod_10IhEEE10hipError_tPvRmT1_T2_T3_mT4_P12ihipStream_tbEUlT_E1_NS1_11comp_targetILNS1_3genE4ELNS1_11target_archE910ELNS1_3gpuE8ELNS1_3repE0EEENS1_30default_config_static_selectorELNS0_4arch9wavefront6targetE1EEEvSK_, .Lfunc_end688-_ZN7rocprim17ROCPRIM_400000_NS6detail17trampoline_kernelINS0_14default_configENS1_22reduce_config_selectorIhEEZNS1_11reduce_implILb1ES3_N6thrust23THRUST_200600_302600_NS6detail15normal_iteratorINS8_10device_ptrIhEEEEPhh11plus_mod_10IhEEE10hipError_tPvRmT1_T2_T3_mT4_P12ihipStream_tbEUlT_E1_NS1_11comp_targetILNS1_3genE4ELNS1_11target_archE910ELNS1_3gpuE8ELNS1_3repE0EEENS1_30default_config_static_selectorELNS0_4arch9wavefront6targetE1EEEvSK_
                                        ; -- End function
	.set _ZN7rocprim17ROCPRIM_400000_NS6detail17trampoline_kernelINS0_14default_configENS1_22reduce_config_selectorIhEEZNS1_11reduce_implILb1ES3_N6thrust23THRUST_200600_302600_NS6detail15normal_iteratorINS8_10device_ptrIhEEEEPhh11plus_mod_10IhEEE10hipError_tPvRmT1_T2_T3_mT4_P12ihipStream_tbEUlT_E1_NS1_11comp_targetILNS1_3genE4ELNS1_11target_archE910ELNS1_3gpuE8ELNS1_3repE0EEENS1_30default_config_static_selectorELNS0_4arch9wavefront6targetE1EEEvSK_.num_vgpr, 0
	.set _ZN7rocprim17ROCPRIM_400000_NS6detail17trampoline_kernelINS0_14default_configENS1_22reduce_config_selectorIhEEZNS1_11reduce_implILb1ES3_N6thrust23THRUST_200600_302600_NS6detail15normal_iteratorINS8_10device_ptrIhEEEEPhh11plus_mod_10IhEEE10hipError_tPvRmT1_T2_T3_mT4_P12ihipStream_tbEUlT_E1_NS1_11comp_targetILNS1_3genE4ELNS1_11target_archE910ELNS1_3gpuE8ELNS1_3repE0EEENS1_30default_config_static_selectorELNS0_4arch9wavefront6targetE1EEEvSK_.num_agpr, 0
	.set _ZN7rocprim17ROCPRIM_400000_NS6detail17trampoline_kernelINS0_14default_configENS1_22reduce_config_selectorIhEEZNS1_11reduce_implILb1ES3_N6thrust23THRUST_200600_302600_NS6detail15normal_iteratorINS8_10device_ptrIhEEEEPhh11plus_mod_10IhEEE10hipError_tPvRmT1_T2_T3_mT4_P12ihipStream_tbEUlT_E1_NS1_11comp_targetILNS1_3genE4ELNS1_11target_archE910ELNS1_3gpuE8ELNS1_3repE0EEENS1_30default_config_static_selectorELNS0_4arch9wavefront6targetE1EEEvSK_.numbered_sgpr, 0
	.set _ZN7rocprim17ROCPRIM_400000_NS6detail17trampoline_kernelINS0_14default_configENS1_22reduce_config_selectorIhEEZNS1_11reduce_implILb1ES3_N6thrust23THRUST_200600_302600_NS6detail15normal_iteratorINS8_10device_ptrIhEEEEPhh11plus_mod_10IhEEE10hipError_tPvRmT1_T2_T3_mT4_P12ihipStream_tbEUlT_E1_NS1_11comp_targetILNS1_3genE4ELNS1_11target_archE910ELNS1_3gpuE8ELNS1_3repE0EEENS1_30default_config_static_selectorELNS0_4arch9wavefront6targetE1EEEvSK_.num_named_barrier, 0
	.set _ZN7rocprim17ROCPRIM_400000_NS6detail17trampoline_kernelINS0_14default_configENS1_22reduce_config_selectorIhEEZNS1_11reduce_implILb1ES3_N6thrust23THRUST_200600_302600_NS6detail15normal_iteratorINS8_10device_ptrIhEEEEPhh11plus_mod_10IhEEE10hipError_tPvRmT1_T2_T3_mT4_P12ihipStream_tbEUlT_E1_NS1_11comp_targetILNS1_3genE4ELNS1_11target_archE910ELNS1_3gpuE8ELNS1_3repE0EEENS1_30default_config_static_selectorELNS0_4arch9wavefront6targetE1EEEvSK_.private_seg_size, 0
	.set _ZN7rocprim17ROCPRIM_400000_NS6detail17trampoline_kernelINS0_14default_configENS1_22reduce_config_selectorIhEEZNS1_11reduce_implILb1ES3_N6thrust23THRUST_200600_302600_NS6detail15normal_iteratorINS8_10device_ptrIhEEEEPhh11plus_mod_10IhEEE10hipError_tPvRmT1_T2_T3_mT4_P12ihipStream_tbEUlT_E1_NS1_11comp_targetILNS1_3genE4ELNS1_11target_archE910ELNS1_3gpuE8ELNS1_3repE0EEENS1_30default_config_static_selectorELNS0_4arch9wavefront6targetE1EEEvSK_.uses_vcc, 0
	.set _ZN7rocprim17ROCPRIM_400000_NS6detail17trampoline_kernelINS0_14default_configENS1_22reduce_config_selectorIhEEZNS1_11reduce_implILb1ES3_N6thrust23THRUST_200600_302600_NS6detail15normal_iteratorINS8_10device_ptrIhEEEEPhh11plus_mod_10IhEEE10hipError_tPvRmT1_T2_T3_mT4_P12ihipStream_tbEUlT_E1_NS1_11comp_targetILNS1_3genE4ELNS1_11target_archE910ELNS1_3gpuE8ELNS1_3repE0EEENS1_30default_config_static_selectorELNS0_4arch9wavefront6targetE1EEEvSK_.uses_flat_scratch, 0
	.set _ZN7rocprim17ROCPRIM_400000_NS6detail17trampoline_kernelINS0_14default_configENS1_22reduce_config_selectorIhEEZNS1_11reduce_implILb1ES3_N6thrust23THRUST_200600_302600_NS6detail15normal_iteratorINS8_10device_ptrIhEEEEPhh11plus_mod_10IhEEE10hipError_tPvRmT1_T2_T3_mT4_P12ihipStream_tbEUlT_E1_NS1_11comp_targetILNS1_3genE4ELNS1_11target_archE910ELNS1_3gpuE8ELNS1_3repE0EEENS1_30default_config_static_selectorELNS0_4arch9wavefront6targetE1EEEvSK_.has_dyn_sized_stack, 0
	.set _ZN7rocprim17ROCPRIM_400000_NS6detail17trampoline_kernelINS0_14default_configENS1_22reduce_config_selectorIhEEZNS1_11reduce_implILb1ES3_N6thrust23THRUST_200600_302600_NS6detail15normal_iteratorINS8_10device_ptrIhEEEEPhh11plus_mod_10IhEEE10hipError_tPvRmT1_T2_T3_mT4_P12ihipStream_tbEUlT_E1_NS1_11comp_targetILNS1_3genE4ELNS1_11target_archE910ELNS1_3gpuE8ELNS1_3repE0EEENS1_30default_config_static_selectorELNS0_4arch9wavefront6targetE1EEEvSK_.has_recursion, 0
	.set _ZN7rocprim17ROCPRIM_400000_NS6detail17trampoline_kernelINS0_14default_configENS1_22reduce_config_selectorIhEEZNS1_11reduce_implILb1ES3_N6thrust23THRUST_200600_302600_NS6detail15normal_iteratorINS8_10device_ptrIhEEEEPhh11plus_mod_10IhEEE10hipError_tPvRmT1_T2_T3_mT4_P12ihipStream_tbEUlT_E1_NS1_11comp_targetILNS1_3genE4ELNS1_11target_archE910ELNS1_3gpuE8ELNS1_3repE0EEENS1_30default_config_static_selectorELNS0_4arch9wavefront6targetE1EEEvSK_.has_indirect_call, 0
	.section	.AMDGPU.csdata,"",@progbits
; Kernel info:
; codeLenInByte = 0
; TotalNumSgprs: 6
; NumVgprs: 0
; NumAgprs: 0
; TotalNumVgprs: 0
; ScratchSize: 0
; MemoryBound: 0
; FloatMode: 240
; IeeeMode: 1
; LDSByteSize: 0 bytes/workgroup (compile time only)
; SGPRBlocks: 0
; VGPRBlocks: 0
; NumSGPRsForWavesPerEU: 6
; NumVGPRsForWavesPerEU: 1
; AccumOffset: 4
; Occupancy: 8
; WaveLimiterHint : 0
; COMPUTE_PGM_RSRC2:SCRATCH_EN: 0
; COMPUTE_PGM_RSRC2:USER_SGPR: 2
; COMPUTE_PGM_RSRC2:TRAP_HANDLER: 0
; COMPUTE_PGM_RSRC2:TGID_X_EN: 1
; COMPUTE_PGM_RSRC2:TGID_Y_EN: 0
; COMPUTE_PGM_RSRC2:TGID_Z_EN: 0
; COMPUTE_PGM_RSRC2:TIDIG_COMP_CNT: 0
; COMPUTE_PGM_RSRC3_GFX90A:ACCUM_OFFSET: 0
; COMPUTE_PGM_RSRC3_GFX90A:TG_SPLIT: 0
	.section	.text._ZN7rocprim17ROCPRIM_400000_NS6detail17trampoline_kernelINS0_14default_configENS1_22reduce_config_selectorIhEEZNS1_11reduce_implILb1ES3_N6thrust23THRUST_200600_302600_NS6detail15normal_iteratorINS8_10device_ptrIhEEEEPhh11plus_mod_10IhEEE10hipError_tPvRmT1_T2_T3_mT4_P12ihipStream_tbEUlT_E1_NS1_11comp_targetILNS1_3genE3ELNS1_11target_archE908ELNS1_3gpuE7ELNS1_3repE0EEENS1_30default_config_static_selectorELNS0_4arch9wavefront6targetE1EEEvSK_,"axG",@progbits,_ZN7rocprim17ROCPRIM_400000_NS6detail17trampoline_kernelINS0_14default_configENS1_22reduce_config_selectorIhEEZNS1_11reduce_implILb1ES3_N6thrust23THRUST_200600_302600_NS6detail15normal_iteratorINS8_10device_ptrIhEEEEPhh11plus_mod_10IhEEE10hipError_tPvRmT1_T2_T3_mT4_P12ihipStream_tbEUlT_E1_NS1_11comp_targetILNS1_3genE3ELNS1_11target_archE908ELNS1_3gpuE7ELNS1_3repE0EEENS1_30default_config_static_selectorELNS0_4arch9wavefront6targetE1EEEvSK_,comdat
	.protected	_ZN7rocprim17ROCPRIM_400000_NS6detail17trampoline_kernelINS0_14default_configENS1_22reduce_config_selectorIhEEZNS1_11reduce_implILb1ES3_N6thrust23THRUST_200600_302600_NS6detail15normal_iteratorINS8_10device_ptrIhEEEEPhh11plus_mod_10IhEEE10hipError_tPvRmT1_T2_T3_mT4_P12ihipStream_tbEUlT_E1_NS1_11comp_targetILNS1_3genE3ELNS1_11target_archE908ELNS1_3gpuE7ELNS1_3repE0EEENS1_30default_config_static_selectorELNS0_4arch9wavefront6targetE1EEEvSK_ ; -- Begin function _ZN7rocprim17ROCPRIM_400000_NS6detail17trampoline_kernelINS0_14default_configENS1_22reduce_config_selectorIhEEZNS1_11reduce_implILb1ES3_N6thrust23THRUST_200600_302600_NS6detail15normal_iteratorINS8_10device_ptrIhEEEEPhh11plus_mod_10IhEEE10hipError_tPvRmT1_T2_T3_mT4_P12ihipStream_tbEUlT_E1_NS1_11comp_targetILNS1_3genE3ELNS1_11target_archE908ELNS1_3gpuE7ELNS1_3repE0EEENS1_30default_config_static_selectorELNS0_4arch9wavefront6targetE1EEEvSK_
	.globl	_ZN7rocprim17ROCPRIM_400000_NS6detail17trampoline_kernelINS0_14default_configENS1_22reduce_config_selectorIhEEZNS1_11reduce_implILb1ES3_N6thrust23THRUST_200600_302600_NS6detail15normal_iteratorINS8_10device_ptrIhEEEEPhh11plus_mod_10IhEEE10hipError_tPvRmT1_T2_T3_mT4_P12ihipStream_tbEUlT_E1_NS1_11comp_targetILNS1_3genE3ELNS1_11target_archE908ELNS1_3gpuE7ELNS1_3repE0EEENS1_30default_config_static_selectorELNS0_4arch9wavefront6targetE1EEEvSK_
	.p2align	8
	.type	_ZN7rocprim17ROCPRIM_400000_NS6detail17trampoline_kernelINS0_14default_configENS1_22reduce_config_selectorIhEEZNS1_11reduce_implILb1ES3_N6thrust23THRUST_200600_302600_NS6detail15normal_iteratorINS8_10device_ptrIhEEEEPhh11plus_mod_10IhEEE10hipError_tPvRmT1_T2_T3_mT4_P12ihipStream_tbEUlT_E1_NS1_11comp_targetILNS1_3genE3ELNS1_11target_archE908ELNS1_3gpuE7ELNS1_3repE0EEENS1_30default_config_static_selectorELNS0_4arch9wavefront6targetE1EEEvSK_,@function
_ZN7rocprim17ROCPRIM_400000_NS6detail17trampoline_kernelINS0_14default_configENS1_22reduce_config_selectorIhEEZNS1_11reduce_implILb1ES3_N6thrust23THRUST_200600_302600_NS6detail15normal_iteratorINS8_10device_ptrIhEEEEPhh11plus_mod_10IhEEE10hipError_tPvRmT1_T2_T3_mT4_P12ihipStream_tbEUlT_E1_NS1_11comp_targetILNS1_3genE3ELNS1_11target_archE908ELNS1_3gpuE7ELNS1_3repE0EEENS1_30default_config_static_selectorELNS0_4arch9wavefront6targetE1EEEvSK_: ; @_ZN7rocprim17ROCPRIM_400000_NS6detail17trampoline_kernelINS0_14default_configENS1_22reduce_config_selectorIhEEZNS1_11reduce_implILb1ES3_N6thrust23THRUST_200600_302600_NS6detail15normal_iteratorINS8_10device_ptrIhEEEEPhh11plus_mod_10IhEEE10hipError_tPvRmT1_T2_T3_mT4_P12ihipStream_tbEUlT_E1_NS1_11comp_targetILNS1_3genE3ELNS1_11target_archE908ELNS1_3gpuE7ELNS1_3repE0EEENS1_30default_config_static_selectorELNS0_4arch9wavefront6targetE1EEEvSK_
; %bb.0:
	.section	.rodata,"a",@progbits
	.p2align	6, 0x0
	.amdhsa_kernel _ZN7rocprim17ROCPRIM_400000_NS6detail17trampoline_kernelINS0_14default_configENS1_22reduce_config_selectorIhEEZNS1_11reduce_implILb1ES3_N6thrust23THRUST_200600_302600_NS6detail15normal_iteratorINS8_10device_ptrIhEEEEPhh11plus_mod_10IhEEE10hipError_tPvRmT1_T2_T3_mT4_P12ihipStream_tbEUlT_E1_NS1_11comp_targetILNS1_3genE3ELNS1_11target_archE908ELNS1_3gpuE7ELNS1_3repE0EEENS1_30default_config_static_selectorELNS0_4arch9wavefront6targetE1EEEvSK_
		.amdhsa_group_segment_fixed_size 0
		.amdhsa_private_segment_fixed_size 0
		.amdhsa_kernarg_size 40
		.amdhsa_user_sgpr_count 2
		.amdhsa_user_sgpr_dispatch_ptr 0
		.amdhsa_user_sgpr_queue_ptr 0
		.amdhsa_user_sgpr_kernarg_segment_ptr 1
		.amdhsa_user_sgpr_dispatch_id 0
		.amdhsa_user_sgpr_kernarg_preload_length 0
		.amdhsa_user_sgpr_kernarg_preload_offset 0
		.amdhsa_user_sgpr_private_segment_size 0
		.amdhsa_uses_dynamic_stack 0
		.amdhsa_enable_private_segment 0
		.amdhsa_system_sgpr_workgroup_id_x 1
		.amdhsa_system_sgpr_workgroup_id_y 0
		.amdhsa_system_sgpr_workgroup_id_z 0
		.amdhsa_system_sgpr_workgroup_info 0
		.amdhsa_system_vgpr_workitem_id 0
		.amdhsa_next_free_vgpr 1
		.amdhsa_next_free_sgpr 0
		.amdhsa_accum_offset 4
		.amdhsa_reserve_vcc 0
		.amdhsa_float_round_mode_32 0
		.amdhsa_float_round_mode_16_64 0
		.amdhsa_float_denorm_mode_32 3
		.amdhsa_float_denorm_mode_16_64 3
		.amdhsa_dx10_clamp 1
		.amdhsa_ieee_mode 1
		.amdhsa_fp16_overflow 0
		.amdhsa_tg_split 0
		.amdhsa_exception_fp_ieee_invalid_op 0
		.amdhsa_exception_fp_denorm_src 0
		.amdhsa_exception_fp_ieee_div_zero 0
		.amdhsa_exception_fp_ieee_overflow 0
		.amdhsa_exception_fp_ieee_underflow 0
		.amdhsa_exception_fp_ieee_inexact 0
		.amdhsa_exception_int_div_zero 0
	.end_amdhsa_kernel
	.section	.text._ZN7rocprim17ROCPRIM_400000_NS6detail17trampoline_kernelINS0_14default_configENS1_22reduce_config_selectorIhEEZNS1_11reduce_implILb1ES3_N6thrust23THRUST_200600_302600_NS6detail15normal_iteratorINS8_10device_ptrIhEEEEPhh11plus_mod_10IhEEE10hipError_tPvRmT1_T2_T3_mT4_P12ihipStream_tbEUlT_E1_NS1_11comp_targetILNS1_3genE3ELNS1_11target_archE908ELNS1_3gpuE7ELNS1_3repE0EEENS1_30default_config_static_selectorELNS0_4arch9wavefront6targetE1EEEvSK_,"axG",@progbits,_ZN7rocprim17ROCPRIM_400000_NS6detail17trampoline_kernelINS0_14default_configENS1_22reduce_config_selectorIhEEZNS1_11reduce_implILb1ES3_N6thrust23THRUST_200600_302600_NS6detail15normal_iteratorINS8_10device_ptrIhEEEEPhh11plus_mod_10IhEEE10hipError_tPvRmT1_T2_T3_mT4_P12ihipStream_tbEUlT_E1_NS1_11comp_targetILNS1_3genE3ELNS1_11target_archE908ELNS1_3gpuE7ELNS1_3repE0EEENS1_30default_config_static_selectorELNS0_4arch9wavefront6targetE1EEEvSK_,comdat
.Lfunc_end689:
	.size	_ZN7rocprim17ROCPRIM_400000_NS6detail17trampoline_kernelINS0_14default_configENS1_22reduce_config_selectorIhEEZNS1_11reduce_implILb1ES3_N6thrust23THRUST_200600_302600_NS6detail15normal_iteratorINS8_10device_ptrIhEEEEPhh11plus_mod_10IhEEE10hipError_tPvRmT1_T2_T3_mT4_P12ihipStream_tbEUlT_E1_NS1_11comp_targetILNS1_3genE3ELNS1_11target_archE908ELNS1_3gpuE7ELNS1_3repE0EEENS1_30default_config_static_selectorELNS0_4arch9wavefront6targetE1EEEvSK_, .Lfunc_end689-_ZN7rocprim17ROCPRIM_400000_NS6detail17trampoline_kernelINS0_14default_configENS1_22reduce_config_selectorIhEEZNS1_11reduce_implILb1ES3_N6thrust23THRUST_200600_302600_NS6detail15normal_iteratorINS8_10device_ptrIhEEEEPhh11plus_mod_10IhEEE10hipError_tPvRmT1_T2_T3_mT4_P12ihipStream_tbEUlT_E1_NS1_11comp_targetILNS1_3genE3ELNS1_11target_archE908ELNS1_3gpuE7ELNS1_3repE0EEENS1_30default_config_static_selectorELNS0_4arch9wavefront6targetE1EEEvSK_
                                        ; -- End function
	.set _ZN7rocprim17ROCPRIM_400000_NS6detail17trampoline_kernelINS0_14default_configENS1_22reduce_config_selectorIhEEZNS1_11reduce_implILb1ES3_N6thrust23THRUST_200600_302600_NS6detail15normal_iteratorINS8_10device_ptrIhEEEEPhh11plus_mod_10IhEEE10hipError_tPvRmT1_T2_T3_mT4_P12ihipStream_tbEUlT_E1_NS1_11comp_targetILNS1_3genE3ELNS1_11target_archE908ELNS1_3gpuE7ELNS1_3repE0EEENS1_30default_config_static_selectorELNS0_4arch9wavefront6targetE1EEEvSK_.num_vgpr, 0
	.set _ZN7rocprim17ROCPRIM_400000_NS6detail17trampoline_kernelINS0_14default_configENS1_22reduce_config_selectorIhEEZNS1_11reduce_implILb1ES3_N6thrust23THRUST_200600_302600_NS6detail15normal_iteratorINS8_10device_ptrIhEEEEPhh11plus_mod_10IhEEE10hipError_tPvRmT1_T2_T3_mT4_P12ihipStream_tbEUlT_E1_NS1_11comp_targetILNS1_3genE3ELNS1_11target_archE908ELNS1_3gpuE7ELNS1_3repE0EEENS1_30default_config_static_selectorELNS0_4arch9wavefront6targetE1EEEvSK_.num_agpr, 0
	.set _ZN7rocprim17ROCPRIM_400000_NS6detail17trampoline_kernelINS0_14default_configENS1_22reduce_config_selectorIhEEZNS1_11reduce_implILb1ES3_N6thrust23THRUST_200600_302600_NS6detail15normal_iteratorINS8_10device_ptrIhEEEEPhh11plus_mod_10IhEEE10hipError_tPvRmT1_T2_T3_mT4_P12ihipStream_tbEUlT_E1_NS1_11comp_targetILNS1_3genE3ELNS1_11target_archE908ELNS1_3gpuE7ELNS1_3repE0EEENS1_30default_config_static_selectorELNS0_4arch9wavefront6targetE1EEEvSK_.numbered_sgpr, 0
	.set _ZN7rocprim17ROCPRIM_400000_NS6detail17trampoline_kernelINS0_14default_configENS1_22reduce_config_selectorIhEEZNS1_11reduce_implILb1ES3_N6thrust23THRUST_200600_302600_NS6detail15normal_iteratorINS8_10device_ptrIhEEEEPhh11plus_mod_10IhEEE10hipError_tPvRmT1_T2_T3_mT4_P12ihipStream_tbEUlT_E1_NS1_11comp_targetILNS1_3genE3ELNS1_11target_archE908ELNS1_3gpuE7ELNS1_3repE0EEENS1_30default_config_static_selectorELNS0_4arch9wavefront6targetE1EEEvSK_.num_named_barrier, 0
	.set _ZN7rocprim17ROCPRIM_400000_NS6detail17trampoline_kernelINS0_14default_configENS1_22reduce_config_selectorIhEEZNS1_11reduce_implILb1ES3_N6thrust23THRUST_200600_302600_NS6detail15normal_iteratorINS8_10device_ptrIhEEEEPhh11plus_mod_10IhEEE10hipError_tPvRmT1_T2_T3_mT4_P12ihipStream_tbEUlT_E1_NS1_11comp_targetILNS1_3genE3ELNS1_11target_archE908ELNS1_3gpuE7ELNS1_3repE0EEENS1_30default_config_static_selectorELNS0_4arch9wavefront6targetE1EEEvSK_.private_seg_size, 0
	.set _ZN7rocprim17ROCPRIM_400000_NS6detail17trampoline_kernelINS0_14default_configENS1_22reduce_config_selectorIhEEZNS1_11reduce_implILb1ES3_N6thrust23THRUST_200600_302600_NS6detail15normal_iteratorINS8_10device_ptrIhEEEEPhh11plus_mod_10IhEEE10hipError_tPvRmT1_T2_T3_mT4_P12ihipStream_tbEUlT_E1_NS1_11comp_targetILNS1_3genE3ELNS1_11target_archE908ELNS1_3gpuE7ELNS1_3repE0EEENS1_30default_config_static_selectorELNS0_4arch9wavefront6targetE1EEEvSK_.uses_vcc, 0
	.set _ZN7rocprim17ROCPRIM_400000_NS6detail17trampoline_kernelINS0_14default_configENS1_22reduce_config_selectorIhEEZNS1_11reduce_implILb1ES3_N6thrust23THRUST_200600_302600_NS6detail15normal_iteratorINS8_10device_ptrIhEEEEPhh11plus_mod_10IhEEE10hipError_tPvRmT1_T2_T3_mT4_P12ihipStream_tbEUlT_E1_NS1_11comp_targetILNS1_3genE3ELNS1_11target_archE908ELNS1_3gpuE7ELNS1_3repE0EEENS1_30default_config_static_selectorELNS0_4arch9wavefront6targetE1EEEvSK_.uses_flat_scratch, 0
	.set _ZN7rocprim17ROCPRIM_400000_NS6detail17trampoline_kernelINS0_14default_configENS1_22reduce_config_selectorIhEEZNS1_11reduce_implILb1ES3_N6thrust23THRUST_200600_302600_NS6detail15normal_iteratorINS8_10device_ptrIhEEEEPhh11plus_mod_10IhEEE10hipError_tPvRmT1_T2_T3_mT4_P12ihipStream_tbEUlT_E1_NS1_11comp_targetILNS1_3genE3ELNS1_11target_archE908ELNS1_3gpuE7ELNS1_3repE0EEENS1_30default_config_static_selectorELNS0_4arch9wavefront6targetE1EEEvSK_.has_dyn_sized_stack, 0
	.set _ZN7rocprim17ROCPRIM_400000_NS6detail17trampoline_kernelINS0_14default_configENS1_22reduce_config_selectorIhEEZNS1_11reduce_implILb1ES3_N6thrust23THRUST_200600_302600_NS6detail15normal_iteratorINS8_10device_ptrIhEEEEPhh11plus_mod_10IhEEE10hipError_tPvRmT1_T2_T3_mT4_P12ihipStream_tbEUlT_E1_NS1_11comp_targetILNS1_3genE3ELNS1_11target_archE908ELNS1_3gpuE7ELNS1_3repE0EEENS1_30default_config_static_selectorELNS0_4arch9wavefront6targetE1EEEvSK_.has_recursion, 0
	.set _ZN7rocprim17ROCPRIM_400000_NS6detail17trampoline_kernelINS0_14default_configENS1_22reduce_config_selectorIhEEZNS1_11reduce_implILb1ES3_N6thrust23THRUST_200600_302600_NS6detail15normal_iteratorINS8_10device_ptrIhEEEEPhh11plus_mod_10IhEEE10hipError_tPvRmT1_T2_T3_mT4_P12ihipStream_tbEUlT_E1_NS1_11comp_targetILNS1_3genE3ELNS1_11target_archE908ELNS1_3gpuE7ELNS1_3repE0EEENS1_30default_config_static_selectorELNS0_4arch9wavefront6targetE1EEEvSK_.has_indirect_call, 0
	.section	.AMDGPU.csdata,"",@progbits
; Kernel info:
; codeLenInByte = 0
; TotalNumSgprs: 6
; NumVgprs: 0
; NumAgprs: 0
; TotalNumVgprs: 0
; ScratchSize: 0
; MemoryBound: 0
; FloatMode: 240
; IeeeMode: 1
; LDSByteSize: 0 bytes/workgroup (compile time only)
; SGPRBlocks: 0
; VGPRBlocks: 0
; NumSGPRsForWavesPerEU: 6
; NumVGPRsForWavesPerEU: 1
; AccumOffset: 4
; Occupancy: 8
; WaveLimiterHint : 0
; COMPUTE_PGM_RSRC2:SCRATCH_EN: 0
; COMPUTE_PGM_RSRC2:USER_SGPR: 2
; COMPUTE_PGM_RSRC2:TRAP_HANDLER: 0
; COMPUTE_PGM_RSRC2:TGID_X_EN: 1
; COMPUTE_PGM_RSRC2:TGID_Y_EN: 0
; COMPUTE_PGM_RSRC2:TGID_Z_EN: 0
; COMPUTE_PGM_RSRC2:TIDIG_COMP_CNT: 0
; COMPUTE_PGM_RSRC3_GFX90A:ACCUM_OFFSET: 0
; COMPUTE_PGM_RSRC3_GFX90A:TG_SPLIT: 0
	.section	.text._ZN7rocprim17ROCPRIM_400000_NS6detail17trampoline_kernelINS0_14default_configENS1_22reduce_config_selectorIhEEZNS1_11reduce_implILb1ES3_N6thrust23THRUST_200600_302600_NS6detail15normal_iteratorINS8_10device_ptrIhEEEEPhh11plus_mod_10IhEEE10hipError_tPvRmT1_T2_T3_mT4_P12ihipStream_tbEUlT_E1_NS1_11comp_targetILNS1_3genE2ELNS1_11target_archE906ELNS1_3gpuE6ELNS1_3repE0EEENS1_30default_config_static_selectorELNS0_4arch9wavefront6targetE1EEEvSK_,"axG",@progbits,_ZN7rocprim17ROCPRIM_400000_NS6detail17trampoline_kernelINS0_14default_configENS1_22reduce_config_selectorIhEEZNS1_11reduce_implILb1ES3_N6thrust23THRUST_200600_302600_NS6detail15normal_iteratorINS8_10device_ptrIhEEEEPhh11plus_mod_10IhEEE10hipError_tPvRmT1_T2_T3_mT4_P12ihipStream_tbEUlT_E1_NS1_11comp_targetILNS1_3genE2ELNS1_11target_archE906ELNS1_3gpuE6ELNS1_3repE0EEENS1_30default_config_static_selectorELNS0_4arch9wavefront6targetE1EEEvSK_,comdat
	.protected	_ZN7rocprim17ROCPRIM_400000_NS6detail17trampoline_kernelINS0_14default_configENS1_22reduce_config_selectorIhEEZNS1_11reduce_implILb1ES3_N6thrust23THRUST_200600_302600_NS6detail15normal_iteratorINS8_10device_ptrIhEEEEPhh11plus_mod_10IhEEE10hipError_tPvRmT1_T2_T3_mT4_P12ihipStream_tbEUlT_E1_NS1_11comp_targetILNS1_3genE2ELNS1_11target_archE906ELNS1_3gpuE6ELNS1_3repE0EEENS1_30default_config_static_selectorELNS0_4arch9wavefront6targetE1EEEvSK_ ; -- Begin function _ZN7rocprim17ROCPRIM_400000_NS6detail17trampoline_kernelINS0_14default_configENS1_22reduce_config_selectorIhEEZNS1_11reduce_implILb1ES3_N6thrust23THRUST_200600_302600_NS6detail15normal_iteratorINS8_10device_ptrIhEEEEPhh11plus_mod_10IhEEE10hipError_tPvRmT1_T2_T3_mT4_P12ihipStream_tbEUlT_E1_NS1_11comp_targetILNS1_3genE2ELNS1_11target_archE906ELNS1_3gpuE6ELNS1_3repE0EEENS1_30default_config_static_selectorELNS0_4arch9wavefront6targetE1EEEvSK_
	.globl	_ZN7rocprim17ROCPRIM_400000_NS6detail17trampoline_kernelINS0_14default_configENS1_22reduce_config_selectorIhEEZNS1_11reduce_implILb1ES3_N6thrust23THRUST_200600_302600_NS6detail15normal_iteratorINS8_10device_ptrIhEEEEPhh11plus_mod_10IhEEE10hipError_tPvRmT1_T2_T3_mT4_P12ihipStream_tbEUlT_E1_NS1_11comp_targetILNS1_3genE2ELNS1_11target_archE906ELNS1_3gpuE6ELNS1_3repE0EEENS1_30default_config_static_selectorELNS0_4arch9wavefront6targetE1EEEvSK_
	.p2align	8
	.type	_ZN7rocprim17ROCPRIM_400000_NS6detail17trampoline_kernelINS0_14default_configENS1_22reduce_config_selectorIhEEZNS1_11reduce_implILb1ES3_N6thrust23THRUST_200600_302600_NS6detail15normal_iteratorINS8_10device_ptrIhEEEEPhh11plus_mod_10IhEEE10hipError_tPvRmT1_T2_T3_mT4_P12ihipStream_tbEUlT_E1_NS1_11comp_targetILNS1_3genE2ELNS1_11target_archE906ELNS1_3gpuE6ELNS1_3repE0EEENS1_30default_config_static_selectorELNS0_4arch9wavefront6targetE1EEEvSK_,@function
_ZN7rocprim17ROCPRIM_400000_NS6detail17trampoline_kernelINS0_14default_configENS1_22reduce_config_selectorIhEEZNS1_11reduce_implILb1ES3_N6thrust23THRUST_200600_302600_NS6detail15normal_iteratorINS8_10device_ptrIhEEEEPhh11plus_mod_10IhEEE10hipError_tPvRmT1_T2_T3_mT4_P12ihipStream_tbEUlT_E1_NS1_11comp_targetILNS1_3genE2ELNS1_11target_archE906ELNS1_3gpuE6ELNS1_3repE0EEENS1_30default_config_static_selectorELNS0_4arch9wavefront6targetE1EEEvSK_: ; @_ZN7rocprim17ROCPRIM_400000_NS6detail17trampoline_kernelINS0_14default_configENS1_22reduce_config_selectorIhEEZNS1_11reduce_implILb1ES3_N6thrust23THRUST_200600_302600_NS6detail15normal_iteratorINS8_10device_ptrIhEEEEPhh11plus_mod_10IhEEE10hipError_tPvRmT1_T2_T3_mT4_P12ihipStream_tbEUlT_E1_NS1_11comp_targetILNS1_3genE2ELNS1_11target_archE906ELNS1_3gpuE6ELNS1_3repE0EEENS1_30default_config_static_selectorELNS0_4arch9wavefront6targetE1EEEvSK_
; %bb.0:
	.section	.rodata,"a",@progbits
	.p2align	6, 0x0
	.amdhsa_kernel _ZN7rocprim17ROCPRIM_400000_NS6detail17trampoline_kernelINS0_14default_configENS1_22reduce_config_selectorIhEEZNS1_11reduce_implILb1ES3_N6thrust23THRUST_200600_302600_NS6detail15normal_iteratorINS8_10device_ptrIhEEEEPhh11plus_mod_10IhEEE10hipError_tPvRmT1_T2_T3_mT4_P12ihipStream_tbEUlT_E1_NS1_11comp_targetILNS1_3genE2ELNS1_11target_archE906ELNS1_3gpuE6ELNS1_3repE0EEENS1_30default_config_static_selectorELNS0_4arch9wavefront6targetE1EEEvSK_
		.amdhsa_group_segment_fixed_size 0
		.amdhsa_private_segment_fixed_size 0
		.amdhsa_kernarg_size 40
		.amdhsa_user_sgpr_count 2
		.amdhsa_user_sgpr_dispatch_ptr 0
		.amdhsa_user_sgpr_queue_ptr 0
		.amdhsa_user_sgpr_kernarg_segment_ptr 1
		.amdhsa_user_sgpr_dispatch_id 0
		.amdhsa_user_sgpr_kernarg_preload_length 0
		.amdhsa_user_sgpr_kernarg_preload_offset 0
		.amdhsa_user_sgpr_private_segment_size 0
		.amdhsa_uses_dynamic_stack 0
		.amdhsa_enable_private_segment 0
		.amdhsa_system_sgpr_workgroup_id_x 1
		.amdhsa_system_sgpr_workgroup_id_y 0
		.amdhsa_system_sgpr_workgroup_id_z 0
		.amdhsa_system_sgpr_workgroup_info 0
		.amdhsa_system_vgpr_workitem_id 0
		.amdhsa_next_free_vgpr 1
		.amdhsa_next_free_sgpr 0
		.amdhsa_accum_offset 4
		.amdhsa_reserve_vcc 0
		.amdhsa_float_round_mode_32 0
		.amdhsa_float_round_mode_16_64 0
		.amdhsa_float_denorm_mode_32 3
		.amdhsa_float_denorm_mode_16_64 3
		.amdhsa_dx10_clamp 1
		.amdhsa_ieee_mode 1
		.amdhsa_fp16_overflow 0
		.amdhsa_tg_split 0
		.amdhsa_exception_fp_ieee_invalid_op 0
		.amdhsa_exception_fp_denorm_src 0
		.amdhsa_exception_fp_ieee_div_zero 0
		.amdhsa_exception_fp_ieee_overflow 0
		.amdhsa_exception_fp_ieee_underflow 0
		.amdhsa_exception_fp_ieee_inexact 0
		.amdhsa_exception_int_div_zero 0
	.end_amdhsa_kernel
	.section	.text._ZN7rocprim17ROCPRIM_400000_NS6detail17trampoline_kernelINS0_14default_configENS1_22reduce_config_selectorIhEEZNS1_11reduce_implILb1ES3_N6thrust23THRUST_200600_302600_NS6detail15normal_iteratorINS8_10device_ptrIhEEEEPhh11plus_mod_10IhEEE10hipError_tPvRmT1_T2_T3_mT4_P12ihipStream_tbEUlT_E1_NS1_11comp_targetILNS1_3genE2ELNS1_11target_archE906ELNS1_3gpuE6ELNS1_3repE0EEENS1_30default_config_static_selectorELNS0_4arch9wavefront6targetE1EEEvSK_,"axG",@progbits,_ZN7rocprim17ROCPRIM_400000_NS6detail17trampoline_kernelINS0_14default_configENS1_22reduce_config_selectorIhEEZNS1_11reduce_implILb1ES3_N6thrust23THRUST_200600_302600_NS6detail15normal_iteratorINS8_10device_ptrIhEEEEPhh11plus_mod_10IhEEE10hipError_tPvRmT1_T2_T3_mT4_P12ihipStream_tbEUlT_E1_NS1_11comp_targetILNS1_3genE2ELNS1_11target_archE906ELNS1_3gpuE6ELNS1_3repE0EEENS1_30default_config_static_selectorELNS0_4arch9wavefront6targetE1EEEvSK_,comdat
.Lfunc_end690:
	.size	_ZN7rocprim17ROCPRIM_400000_NS6detail17trampoline_kernelINS0_14default_configENS1_22reduce_config_selectorIhEEZNS1_11reduce_implILb1ES3_N6thrust23THRUST_200600_302600_NS6detail15normal_iteratorINS8_10device_ptrIhEEEEPhh11plus_mod_10IhEEE10hipError_tPvRmT1_T2_T3_mT4_P12ihipStream_tbEUlT_E1_NS1_11comp_targetILNS1_3genE2ELNS1_11target_archE906ELNS1_3gpuE6ELNS1_3repE0EEENS1_30default_config_static_selectorELNS0_4arch9wavefront6targetE1EEEvSK_, .Lfunc_end690-_ZN7rocprim17ROCPRIM_400000_NS6detail17trampoline_kernelINS0_14default_configENS1_22reduce_config_selectorIhEEZNS1_11reduce_implILb1ES3_N6thrust23THRUST_200600_302600_NS6detail15normal_iteratorINS8_10device_ptrIhEEEEPhh11plus_mod_10IhEEE10hipError_tPvRmT1_T2_T3_mT4_P12ihipStream_tbEUlT_E1_NS1_11comp_targetILNS1_3genE2ELNS1_11target_archE906ELNS1_3gpuE6ELNS1_3repE0EEENS1_30default_config_static_selectorELNS0_4arch9wavefront6targetE1EEEvSK_
                                        ; -- End function
	.set _ZN7rocprim17ROCPRIM_400000_NS6detail17trampoline_kernelINS0_14default_configENS1_22reduce_config_selectorIhEEZNS1_11reduce_implILb1ES3_N6thrust23THRUST_200600_302600_NS6detail15normal_iteratorINS8_10device_ptrIhEEEEPhh11plus_mod_10IhEEE10hipError_tPvRmT1_T2_T3_mT4_P12ihipStream_tbEUlT_E1_NS1_11comp_targetILNS1_3genE2ELNS1_11target_archE906ELNS1_3gpuE6ELNS1_3repE0EEENS1_30default_config_static_selectorELNS0_4arch9wavefront6targetE1EEEvSK_.num_vgpr, 0
	.set _ZN7rocprim17ROCPRIM_400000_NS6detail17trampoline_kernelINS0_14default_configENS1_22reduce_config_selectorIhEEZNS1_11reduce_implILb1ES3_N6thrust23THRUST_200600_302600_NS6detail15normal_iteratorINS8_10device_ptrIhEEEEPhh11plus_mod_10IhEEE10hipError_tPvRmT1_T2_T3_mT4_P12ihipStream_tbEUlT_E1_NS1_11comp_targetILNS1_3genE2ELNS1_11target_archE906ELNS1_3gpuE6ELNS1_3repE0EEENS1_30default_config_static_selectorELNS0_4arch9wavefront6targetE1EEEvSK_.num_agpr, 0
	.set _ZN7rocprim17ROCPRIM_400000_NS6detail17trampoline_kernelINS0_14default_configENS1_22reduce_config_selectorIhEEZNS1_11reduce_implILb1ES3_N6thrust23THRUST_200600_302600_NS6detail15normal_iteratorINS8_10device_ptrIhEEEEPhh11plus_mod_10IhEEE10hipError_tPvRmT1_T2_T3_mT4_P12ihipStream_tbEUlT_E1_NS1_11comp_targetILNS1_3genE2ELNS1_11target_archE906ELNS1_3gpuE6ELNS1_3repE0EEENS1_30default_config_static_selectorELNS0_4arch9wavefront6targetE1EEEvSK_.numbered_sgpr, 0
	.set _ZN7rocprim17ROCPRIM_400000_NS6detail17trampoline_kernelINS0_14default_configENS1_22reduce_config_selectorIhEEZNS1_11reduce_implILb1ES3_N6thrust23THRUST_200600_302600_NS6detail15normal_iteratorINS8_10device_ptrIhEEEEPhh11plus_mod_10IhEEE10hipError_tPvRmT1_T2_T3_mT4_P12ihipStream_tbEUlT_E1_NS1_11comp_targetILNS1_3genE2ELNS1_11target_archE906ELNS1_3gpuE6ELNS1_3repE0EEENS1_30default_config_static_selectorELNS0_4arch9wavefront6targetE1EEEvSK_.num_named_barrier, 0
	.set _ZN7rocprim17ROCPRIM_400000_NS6detail17trampoline_kernelINS0_14default_configENS1_22reduce_config_selectorIhEEZNS1_11reduce_implILb1ES3_N6thrust23THRUST_200600_302600_NS6detail15normal_iteratorINS8_10device_ptrIhEEEEPhh11plus_mod_10IhEEE10hipError_tPvRmT1_T2_T3_mT4_P12ihipStream_tbEUlT_E1_NS1_11comp_targetILNS1_3genE2ELNS1_11target_archE906ELNS1_3gpuE6ELNS1_3repE0EEENS1_30default_config_static_selectorELNS0_4arch9wavefront6targetE1EEEvSK_.private_seg_size, 0
	.set _ZN7rocprim17ROCPRIM_400000_NS6detail17trampoline_kernelINS0_14default_configENS1_22reduce_config_selectorIhEEZNS1_11reduce_implILb1ES3_N6thrust23THRUST_200600_302600_NS6detail15normal_iteratorINS8_10device_ptrIhEEEEPhh11plus_mod_10IhEEE10hipError_tPvRmT1_T2_T3_mT4_P12ihipStream_tbEUlT_E1_NS1_11comp_targetILNS1_3genE2ELNS1_11target_archE906ELNS1_3gpuE6ELNS1_3repE0EEENS1_30default_config_static_selectorELNS0_4arch9wavefront6targetE1EEEvSK_.uses_vcc, 0
	.set _ZN7rocprim17ROCPRIM_400000_NS6detail17trampoline_kernelINS0_14default_configENS1_22reduce_config_selectorIhEEZNS1_11reduce_implILb1ES3_N6thrust23THRUST_200600_302600_NS6detail15normal_iteratorINS8_10device_ptrIhEEEEPhh11plus_mod_10IhEEE10hipError_tPvRmT1_T2_T3_mT4_P12ihipStream_tbEUlT_E1_NS1_11comp_targetILNS1_3genE2ELNS1_11target_archE906ELNS1_3gpuE6ELNS1_3repE0EEENS1_30default_config_static_selectorELNS0_4arch9wavefront6targetE1EEEvSK_.uses_flat_scratch, 0
	.set _ZN7rocprim17ROCPRIM_400000_NS6detail17trampoline_kernelINS0_14default_configENS1_22reduce_config_selectorIhEEZNS1_11reduce_implILb1ES3_N6thrust23THRUST_200600_302600_NS6detail15normal_iteratorINS8_10device_ptrIhEEEEPhh11plus_mod_10IhEEE10hipError_tPvRmT1_T2_T3_mT4_P12ihipStream_tbEUlT_E1_NS1_11comp_targetILNS1_3genE2ELNS1_11target_archE906ELNS1_3gpuE6ELNS1_3repE0EEENS1_30default_config_static_selectorELNS0_4arch9wavefront6targetE1EEEvSK_.has_dyn_sized_stack, 0
	.set _ZN7rocprim17ROCPRIM_400000_NS6detail17trampoline_kernelINS0_14default_configENS1_22reduce_config_selectorIhEEZNS1_11reduce_implILb1ES3_N6thrust23THRUST_200600_302600_NS6detail15normal_iteratorINS8_10device_ptrIhEEEEPhh11plus_mod_10IhEEE10hipError_tPvRmT1_T2_T3_mT4_P12ihipStream_tbEUlT_E1_NS1_11comp_targetILNS1_3genE2ELNS1_11target_archE906ELNS1_3gpuE6ELNS1_3repE0EEENS1_30default_config_static_selectorELNS0_4arch9wavefront6targetE1EEEvSK_.has_recursion, 0
	.set _ZN7rocprim17ROCPRIM_400000_NS6detail17trampoline_kernelINS0_14default_configENS1_22reduce_config_selectorIhEEZNS1_11reduce_implILb1ES3_N6thrust23THRUST_200600_302600_NS6detail15normal_iteratorINS8_10device_ptrIhEEEEPhh11plus_mod_10IhEEE10hipError_tPvRmT1_T2_T3_mT4_P12ihipStream_tbEUlT_E1_NS1_11comp_targetILNS1_3genE2ELNS1_11target_archE906ELNS1_3gpuE6ELNS1_3repE0EEENS1_30default_config_static_selectorELNS0_4arch9wavefront6targetE1EEEvSK_.has_indirect_call, 0
	.section	.AMDGPU.csdata,"",@progbits
; Kernel info:
; codeLenInByte = 0
; TotalNumSgprs: 6
; NumVgprs: 0
; NumAgprs: 0
; TotalNumVgprs: 0
; ScratchSize: 0
; MemoryBound: 0
; FloatMode: 240
; IeeeMode: 1
; LDSByteSize: 0 bytes/workgroup (compile time only)
; SGPRBlocks: 0
; VGPRBlocks: 0
; NumSGPRsForWavesPerEU: 6
; NumVGPRsForWavesPerEU: 1
; AccumOffset: 4
; Occupancy: 8
; WaveLimiterHint : 0
; COMPUTE_PGM_RSRC2:SCRATCH_EN: 0
; COMPUTE_PGM_RSRC2:USER_SGPR: 2
; COMPUTE_PGM_RSRC2:TRAP_HANDLER: 0
; COMPUTE_PGM_RSRC2:TGID_X_EN: 1
; COMPUTE_PGM_RSRC2:TGID_Y_EN: 0
; COMPUTE_PGM_RSRC2:TGID_Z_EN: 0
; COMPUTE_PGM_RSRC2:TIDIG_COMP_CNT: 0
; COMPUTE_PGM_RSRC3_GFX90A:ACCUM_OFFSET: 0
; COMPUTE_PGM_RSRC3_GFX90A:TG_SPLIT: 0
	.section	.text._ZN7rocprim17ROCPRIM_400000_NS6detail17trampoline_kernelINS0_14default_configENS1_22reduce_config_selectorIhEEZNS1_11reduce_implILb1ES3_N6thrust23THRUST_200600_302600_NS6detail15normal_iteratorINS8_10device_ptrIhEEEEPhh11plus_mod_10IhEEE10hipError_tPvRmT1_T2_T3_mT4_P12ihipStream_tbEUlT_E1_NS1_11comp_targetILNS1_3genE10ELNS1_11target_archE1201ELNS1_3gpuE5ELNS1_3repE0EEENS1_30default_config_static_selectorELNS0_4arch9wavefront6targetE1EEEvSK_,"axG",@progbits,_ZN7rocprim17ROCPRIM_400000_NS6detail17trampoline_kernelINS0_14default_configENS1_22reduce_config_selectorIhEEZNS1_11reduce_implILb1ES3_N6thrust23THRUST_200600_302600_NS6detail15normal_iteratorINS8_10device_ptrIhEEEEPhh11plus_mod_10IhEEE10hipError_tPvRmT1_T2_T3_mT4_P12ihipStream_tbEUlT_E1_NS1_11comp_targetILNS1_3genE10ELNS1_11target_archE1201ELNS1_3gpuE5ELNS1_3repE0EEENS1_30default_config_static_selectorELNS0_4arch9wavefront6targetE1EEEvSK_,comdat
	.protected	_ZN7rocprim17ROCPRIM_400000_NS6detail17trampoline_kernelINS0_14default_configENS1_22reduce_config_selectorIhEEZNS1_11reduce_implILb1ES3_N6thrust23THRUST_200600_302600_NS6detail15normal_iteratorINS8_10device_ptrIhEEEEPhh11plus_mod_10IhEEE10hipError_tPvRmT1_T2_T3_mT4_P12ihipStream_tbEUlT_E1_NS1_11comp_targetILNS1_3genE10ELNS1_11target_archE1201ELNS1_3gpuE5ELNS1_3repE0EEENS1_30default_config_static_selectorELNS0_4arch9wavefront6targetE1EEEvSK_ ; -- Begin function _ZN7rocprim17ROCPRIM_400000_NS6detail17trampoline_kernelINS0_14default_configENS1_22reduce_config_selectorIhEEZNS1_11reduce_implILb1ES3_N6thrust23THRUST_200600_302600_NS6detail15normal_iteratorINS8_10device_ptrIhEEEEPhh11plus_mod_10IhEEE10hipError_tPvRmT1_T2_T3_mT4_P12ihipStream_tbEUlT_E1_NS1_11comp_targetILNS1_3genE10ELNS1_11target_archE1201ELNS1_3gpuE5ELNS1_3repE0EEENS1_30default_config_static_selectorELNS0_4arch9wavefront6targetE1EEEvSK_
	.globl	_ZN7rocprim17ROCPRIM_400000_NS6detail17trampoline_kernelINS0_14default_configENS1_22reduce_config_selectorIhEEZNS1_11reduce_implILb1ES3_N6thrust23THRUST_200600_302600_NS6detail15normal_iteratorINS8_10device_ptrIhEEEEPhh11plus_mod_10IhEEE10hipError_tPvRmT1_T2_T3_mT4_P12ihipStream_tbEUlT_E1_NS1_11comp_targetILNS1_3genE10ELNS1_11target_archE1201ELNS1_3gpuE5ELNS1_3repE0EEENS1_30default_config_static_selectorELNS0_4arch9wavefront6targetE1EEEvSK_
	.p2align	8
	.type	_ZN7rocprim17ROCPRIM_400000_NS6detail17trampoline_kernelINS0_14default_configENS1_22reduce_config_selectorIhEEZNS1_11reduce_implILb1ES3_N6thrust23THRUST_200600_302600_NS6detail15normal_iteratorINS8_10device_ptrIhEEEEPhh11plus_mod_10IhEEE10hipError_tPvRmT1_T2_T3_mT4_P12ihipStream_tbEUlT_E1_NS1_11comp_targetILNS1_3genE10ELNS1_11target_archE1201ELNS1_3gpuE5ELNS1_3repE0EEENS1_30default_config_static_selectorELNS0_4arch9wavefront6targetE1EEEvSK_,@function
_ZN7rocprim17ROCPRIM_400000_NS6detail17trampoline_kernelINS0_14default_configENS1_22reduce_config_selectorIhEEZNS1_11reduce_implILb1ES3_N6thrust23THRUST_200600_302600_NS6detail15normal_iteratorINS8_10device_ptrIhEEEEPhh11plus_mod_10IhEEE10hipError_tPvRmT1_T2_T3_mT4_P12ihipStream_tbEUlT_E1_NS1_11comp_targetILNS1_3genE10ELNS1_11target_archE1201ELNS1_3gpuE5ELNS1_3repE0EEENS1_30default_config_static_selectorELNS0_4arch9wavefront6targetE1EEEvSK_: ; @_ZN7rocprim17ROCPRIM_400000_NS6detail17trampoline_kernelINS0_14default_configENS1_22reduce_config_selectorIhEEZNS1_11reduce_implILb1ES3_N6thrust23THRUST_200600_302600_NS6detail15normal_iteratorINS8_10device_ptrIhEEEEPhh11plus_mod_10IhEEE10hipError_tPvRmT1_T2_T3_mT4_P12ihipStream_tbEUlT_E1_NS1_11comp_targetILNS1_3genE10ELNS1_11target_archE1201ELNS1_3gpuE5ELNS1_3repE0EEENS1_30default_config_static_selectorELNS0_4arch9wavefront6targetE1EEEvSK_
; %bb.0:
	.section	.rodata,"a",@progbits
	.p2align	6, 0x0
	.amdhsa_kernel _ZN7rocprim17ROCPRIM_400000_NS6detail17trampoline_kernelINS0_14default_configENS1_22reduce_config_selectorIhEEZNS1_11reduce_implILb1ES3_N6thrust23THRUST_200600_302600_NS6detail15normal_iteratorINS8_10device_ptrIhEEEEPhh11plus_mod_10IhEEE10hipError_tPvRmT1_T2_T3_mT4_P12ihipStream_tbEUlT_E1_NS1_11comp_targetILNS1_3genE10ELNS1_11target_archE1201ELNS1_3gpuE5ELNS1_3repE0EEENS1_30default_config_static_selectorELNS0_4arch9wavefront6targetE1EEEvSK_
		.amdhsa_group_segment_fixed_size 0
		.amdhsa_private_segment_fixed_size 0
		.amdhsa_kernarg_size 40
		.amdhsa_user_sgpr_count 2
		.amdhsa_user_sgpr_dispatch_ptr 0
		.amdhsa_user_sgpr_queue_ptr 0
		.amdhsa_user_sgpr_kernarg_segment_ptr 1
		.amdhsa_user_sgpr_dispatch_id 0
		.amdhsa_user_sgpr_kernarg_preload_length 0
		.amdhsa_user_sgpr_kernarg_preload_offset 0
		.amdhsa_user_sgpr_private_segment_size 0
		.amdhsa_uses_dynamic_stack 0
		.amdhsa_enable_private_segment 0
		.amdhsa_system_sgpr_workgroup_id_x 1
		.amdhsa_system_sgpr_workgroup_id_y 0
		.amdhsa_system_sgpr_workgroup_id_z 0
		.amdhsa_system_sgpr_workgroup_info 0
		.amdhsa_system_vgpr_workitem_id 0
		.amdhsa_next_free_vgpr 1
		.amdhsa_next_free_sgpr 0
		.amdhsa_accum_offset 4
		.amdhsa_reserve_vcc 0
		.amdhsa_float_round_mode_32 0
		.amdhsa_float_round_mode_16_64 0
		.amdhsa_float_denorm_mode_32 3
		.amdhsa_float_denorm_mode_16_64 3
		.amdhsa_dx10_clamp 1
		.amdhsa_ieee_mode 1
		.amdhsa_fp16_overflow 0
		.amdhsa_tg_split 0
		.amdhsa_exception_fp_ieee_invalid_op 0
		.amdhsa_exception_fp_denorm_src 0
		.amdhsa_exception_fp_ieee_div_zero 0
		.amdhsa_exception_fp_ieee_overflow 0
		.amdhsa_exception_fp_ieee_underflow 0
		.amdhsa_exception_fp_ieee_inexact 0
		.amdhsa_exception_int_div_zero 0
	.end_amdhsa_kernel
	.section	.text._ZN7rocprim17ROCPRIM_400000_NS6detail17trampoline_kernelINS0_14default_configENS1_22reduce_config_selectorIhEEZNS1_11reduce_implILb1ES3_N6thrust23THRUST_200600_302600_NS6detail15normal_iteratorINS8_10device_ptrIhEEEEPhh11plus_mod_10IhEEE10hipError_tPvRmT1_T2_T3_mT4_P12ihipStream_tbEUlT_E1_NS1_11comp_targetILNS1_3genE10ELNS1_11target_archE1201ELNS1_3gpuE5ELNS1_3repE0EEENS1_30default_config_static_selectorELNS0_4arch9wavefront6targetE1EEEvSK_,"axG",@progbits,_ZN7rocprim17ROCPRIM_400000_NS6detail17trampoline_kernelINS0_14default_configENS1_22reduce_config_selectorIhEEZNS1_11reduce_implILb1ES3_N6thrust23THRUST_200600_302600_NS6detail15normal_iteratorINS8_10device_ptrIhEEEEPhh11plus_mod_10IhEEE10hipError_tPvRmT1_T2_T3_mT4_P12ihipStream_tbEUlT_E1_NS1_11comp_targetILNS1_3genE10ELNS1_11target_archE1201ELNS1_3gpuE5ELNS1_3repE0EEENS1_30default_config_static_selectorELNS0_4arch9wavefront6targetE1EEEvSK_,comdat
.Lfunc_end691:
	.size	_ZN7rocprim17ROCPRIM_400000_NS6detail17trampoline_kernelINS0_14default_configENS1_22reduce_config_selectorIhEEZNS1_11reduce_implILb1ES3_N6thrust23THRUST_200600_302600_NS6detail15normal_iteratorINS8_10device_ptrIhEEEEPhh11plus_mod_10IhEEE10hipError_tPvRmT1_T2_T3_mT4_P12ihipStream_tbEUlT_E1_NS1_11comp_targetILNS1_3genE10ELNS1_11target_archE1201ELNS1_3gpuE5ELNS1_3repE0EEENS1_30default_config_static_selectorELNS0_4arch9wavefront6targetE1EEEvSK_, .Lfunc_end691-_ZN7rocprim17ROCPRIM_400000_NS6detail17trampoline_kernelINS0_14default_configENS1_22reduce_config_selectorIhEEZNS1_11reduce_implILb1ES3_N6thrust23THRUST_200600_302600_NS6detail15normal_iteratorINS8_10device_ptrIhEEEEPhh11plus_mod_10IhEEE10hipError_tPvRmT1_T2_T3_mT4_P12ihipStream_tbEUlT_E1_NS1_11comp_targetILNS1_3genE10ELNS1_11target_archE1201ELNS1_3gpuE5ELNS1_3repE0EEENS1_30default_config_static_selectorELNS0_4arch9wavefront6targetE1EEEvSK_
                                        ; -- End function
	.set _ZN7rocprim17ROCPRIM_400000_NS6detail17trampoline_kernelINS0_14default_configENS1_22reduce_config_selectorIhEEZNS1_11reduce_implILb1ES3_N6thrust23THRUST_200600_302600_NS6detail15normal_iteratorINS8_10device_ptrIhEEEEPhh11plus_mod_10IhEEE10hipError_tPvRmT1_T2_T3_mT4_P12ihipStream_tbEUlT_E1_NS1_11comp_targetILNS1_3genE10ELNS1_11target_archE1201ELNS1_3gpuE5ELNS1_3repE0EEENS1_30default_config_static_selectorELNS0_4arch9wavefront6targetE1EEEvSK_.num_vgpr, 0
	.set _ZN7rocprim17ROCPRIM_400000_NS6detail17trampoline_kernelINS0_14default_configENS1_22reduce_config_selectorIhEEZNS1_11reduce_implILb1ES3_N6thrust23THRUST_200600_302600_NS6detail15normal_iteratorINS8_10device_ptrIhEEEEPhh11plus_mod_10IhEEE10hipError_tPvRmT1_T2_T3_mT4_P12ihipStream_tbEUlT_E1_NS1_11comp_targetILNS1_3genE10ELNS1_11target_archE1201ELNS1_3gpuE5ELNS1_3repE0EEENS1_30default_config_static_selectorELNS0_4arch9wavefront6targetE1EEEvSK_.num_agpr, 0
	.set _ZN7rocprim17ROCPRIM_400000_NS6detail17trampoline_kernelINS0_14default_configENS1_22reduce_config_selectorIhEEZNS1_11reduce_implILb1ES3_N6thrust23THRUST_200600_302600_NS6detail15normal_iteratorINS8_10device_ptrIhEEEEPhh11plus_mod_10IhEEE10hipError_tPvRmT1_T2_T3_mT4_P12ihipStream_tbEUlT_E1_NS1_11comp_targetILNS1_3genE10ELNS1_11target_archE1201ELNS1_3gpuE5ELNS1_3repE0EEENS1_30default_config_static_selectorELNS0_4arch9wavefront6targetE1EEEvSK_.numbered_sgpr, 0
	.set _ZN7rocprim17ROCPRIM_400000_NS6detail17trampoline_kernelINS0_14default_configENS1_22reduce_config_selectorIhEEZNS1_11reduce_implILb1ES3_N6thrust23THRUST_200600_302600_NS6detail15normal_iteratorINS8_10device_ptrIhEEEEPhh11plus_mod_10IhEEE10hipError_tPvRmT1_T2_T3_mT4_P12ihipStream_tbEUlT_E1_NS1_11comp_targetILNS1_3genE10ELNS1_11target_archE1201ELNS1_3gpuE5ELNS1_3repE0EEENS1_30default_config_static_selectorELNS0_4arch9wavefront6targetE1EEEvSK_.num_named_barrier, 0
	.set _ZN7rocprim17ROCPRIM_400000_NS6detail17trampoline_kernelINS0_14default_configENS1_22reduce_config_selectorIhEEZNS1_11reduce_implILb1ES3_N6thrust23THRUST_200600_302600_NS6detail15normal_iteratorINS8_10device_ptrIhEEEEPhh11plus_mod_10IhEEE10hipError_tPvRmT1_T2_T3_mT4_P12ihipStream_tbEUlT_E1_NS1_11comp_targetILNS1_3genE10ELNS1_11target_archE1201ELNS1_3gpuE5ELNS1_3repE0EEENS1_30default_config_static_selectorELNS0_4arch9wavefront6targetE1EEEvSK_.private_seg_size, 0
	.set _ZN7rocprim17ROCPRIM_400000_NS6detail17trampoline_kernelINS0_14default_configENS1_22reduce_config_selectorIhEEZNS1_11reduce_implILb1ES3_N6thrust23THRUST_200600_302600_NS6detail15normal_iteratorINS8_10device_ptrIhEEEEPhh11plus_mod_10IhEEE10hipError_tPvRmT1_T2_T3_mT4_P12ihipStream_tbEUlT_E1_NS1_11comp_targetILNS1_3genE10ELNS1_11target_archE1201ELNS1_3gpuE5ELNS1_3repE0EEENS1_30default_config_static_selectorELNS0_4arch9wavefront6targetE1EEEvSK_.uses_vcc, 0
	.set _ZN7rocprim17ROCPRIM_400000_NS6detail17trampoline_kernelINS0_14default_configENS1_22reduce_config_selectorIhEEZNS1_11reduce_implILb1ES3_N6thrust23THRUST_200600_302600_NS6detail15normal_iteratorINS8_10device_ptrIhEEEEPhh11plus_mod_10IhEEE10hipError_tPvRmT1_T2_T3_mT4_P12ihipStream_tbEUlT_E1_NS1_11comp_targetILNS1_3genE10ELNS1_11target_archE1201ELNS1_3gpuE5ELNS1_3repE0EEENS1_30default_config_static_selectorELNS0_4arch9wavefront6targetE1EEEvSK_.uses_flat_scratch, 0
	.set _ZN7rocprim17ROCPRIM_400000_NS6detail17trampoline_kernelINS0_14default_configENS1_22reduce_config_selectorIhEEZNS1_11reduce_implILb1ES3_N6thrust23THRUST_200600_302600_NS6detail15normal_iteratorINS8_10device_ptrIhEEEEPhh11plus_mod_10IhEEE10hipError_tPvRmT1_T2_T3_mT4_P12ihipStream_tbEUlT_E1_NS1_11comp_targetILNS1_3genE10ELNS1_11target_archE1201ELNS1_3gpuE5ELNS1_3repE0EEENS1_30default_config_static_selectorELNS0_4arch9wavefront6targetE1EEEvSK_.has_dyn_sized_stack, 0
	.set _ZN7rocprim17ROCPRIM_400000_NS6detail17trampoline_kernelINS0_14default_configENS1_22reduce_config_selectorIhEEZNS1_11reduce_implILb1ES3_N6thrust23THRUST_200600_302600_NS6detail15normal_iteratorINS8_10device_ptrIhEEEEPhh11plus_mod_10IhEEE10hipError_tPvRmT1_T2_T3_mT4_P12ihipStream_tbEUlT_E1_NS1_11comp_targetILNS1_3genE10ELNS1_11target_archE1201ELNS1_3gpuE5ELNS1_3repE0EEENS1_30default_config_static_selectorELNS0_4arch9wavefront6targetE1EEEvSK_.has_recursion, 0
	.set _ZN7rocprim17ROCPRIM_400000_NS6detail17trampoline_kernelINS0_14default_configENS1_22reduce_config_selectorIhEEZNS1_11reduce_implILb1ES3_N6thrust23THRUST_200600_302600_NS6detail15normal_iteratorINS8_10device_ptrIhEEEEPhh11plus_mod_10IhEEE10hipError_tPvRmT1_T2_T3_mT4_P12ihipStream_tbEUlT_E1_NS1_11comp_targetILNS1_3genE10ELNS1_11target_archE1201ELNS1_3gpuE5ELNS1_3repE0EEENS1_30default_config_static_selectorELNS0_4arch9wavefront6targetE1EEEvSK_.has_indirect_call, 0
	.section	.AMDGPU.csdata,"",@progbits
; Kernel info:
; codeLenInByte = 0
; TotalNumSgprs: 6
; NumVgprs: 0
; NumAgprs: 0
; TotalNumVgprs: 0
; ScratchSize: 0
; MemoryBound: 0
; FloatMode: 240
; IeeeMode: 1
; LDSByteSize: 0 bytes/workgroup (compile time only)
; SGPRBlocks: 0
; VGPRBlocks: 0
; NumSGPRsForWavesPerEU: 6
; NumVGPRsForWavesPerEU: 1
; AccumOffset: 4
; Occupancy: 8
; WaveLimiterHint : 0
; COMPUTE_PGM_RSRC2:SCRATCH_EN: 0
; COMPUTE_PGM_RSRC2:USER_SGPR: 2
; COMPUTE_PGM_RSRC2:TRAP_HANDLER: 0
; COMPUTE_PGM_RSRC2:TGID_X_EN: 1
; COMPUTE_PGM_RSRC2:TGID_Y_EN: 0
; COMPUTE_PGM_RSRC2:TGID_Z_EN: 0
; COMPUTE_PGM_RSRC2:TIDIG_COMP_CNT: 0
; COMPUTE_PGM_RSRC3_GFX90A:ACCUM_OFFSET: 0
; COMPUTE_PGM_RSRC3_GFX90A:TG_SPLIT: 0
	.section	.text._ZN7rocprim17ROCPRIM_400000_NS6detail17trampoline_kernelINS0_14default_configENS1_22reduce_config_selectorIhEEZNS1_11reduce_implILb1ES3_N6thrust23THRUST_200600_302600_NS6detail15normal_iteratorINS8_10device_ptrIhEEEEPhh11plus_mod_10IhEEE10hipError_tPvRmT1_T2_T3_mT4_P12ihipStream_tbEUlT_E1_NS1_11comp_targetILNS1_3genE10ELNS1_11target_archE1200ELNS1_3gpuE4ELNS1_3repE0EEENS1_30default_config_static_selectorELNS0_4arch9wavefront6targetE1EEEvSK_,"axG",@progbits,_ZN7rocprim17ROCPRIM_400000_NS6detail17trampoline_kernelINS0_14default_configENS1_22reduce_config_selectorIhEEZNS1_11reduce_implILb1ES3_N6thrust23THRUST_200600_302600_NS6detail15normal_iteratorINS8_10device_ptrIhEEEEPhh11plus_mod_10IhEEE10hipError_tPvRmT1_T2_T3_mT4_P12ihipStream_tbEUlT_E1_NS1_11comp_targetILNS1_3genE10ELNS1_11target_archE1200ELNS1_3gpuE4ELNS1_3repE0EEENS1_30default_config_static_selectorELNS0_4arch9wavefront6targetE1EEEvSK_,comdat
	.protected	_ZN7rocprim17ROCPRIM_400000_NS6detail17trampoline_kernelINS0_14default_configENS1_22reduce_config_selectorIhEEZNS1_11reduce_implILb1ES3_N6thrust23THRUST_200600_302600_NS6detail15normal_iteratorINS8_10device_ptrIhEEEEPhh11plus_mod_10IhEEE10hipError_tPvRmT1_T2_T3_mT4_P12ihipStream_tbEUlT_E1_NS1_11comp_targetILNS1_3genE10ELNS1_11target_archE1200ELNS1_3gpuE4ELNS1_3repE0EEENS1_30default_config_static_selectorELNS0_4arch9wavefront6targetE1EEEvSK_ ; -- Begin function _ZN7rocprim17ROCPRIM_400000_NS6detail17trampoline_kernelINS0_14default_configENS1_22reduce_config_selectorIhEEZNS1_11reduce_implILb1ES3_N6thrust23THRUST_200600_302600_NS6detail15normal_iteratorINS8_10device_ptrIhEEEEPhh11plus_mod_10IhEEE10hipError_tPvRmT1_T2_T3_mT4_P12ihipStream_tbEUlT_E1_NS1_11comp_targetILNS1_3genE10ELNS1_11target_archE1200ELNS1_3gpuE4ELNS1_3repE0EEENS1_30default_config_static_selectorELNS0_4arch9wavefront6targetE1EEEvSK_
	.globl	_ZN7rocprim17ROCPRIM_400000_NS6detail17trampoline_kernelINS0_14default_configENS1_22reduce_config_selectorIhEEZNS1_11reduce_implILb1ES3_N6thrust23THRUST_200600_302600_NS6detail15normal_iteratorINS8_10device_ptrIhEEEEPhh11plus_mod_10IhEEE10hipError_tPvRmT1_T2_T3_mT4_P12ihipStream_tbEUlT_E1_NS1_11comp_targetILNS1_3genE10ELNS1_11target_archE1200ELNS1_3gpuE4ELNS1_3repE0EEENS1_30default_config_static_selectorELNS0_4arch9wavefront6targetE1EEEvSK_
	.p2align	8
	.type	_ZN7rocprim17ROCPRIM_400000_NS6detail17trampoline_kernelINS0_14default_configENS1_22reduce_config_selectorIhEEZNS1_11reduce_implILb1ES3_N6thrust23THRUST_200600_302600_NS6detail15normal_iteratorINS8_10device_ptrIhEEEEPhh11plus_mod_10IhEEE10hipError_tPvRmT1_T2_T3_mT4_P12ihipStream_tbEUlT_E1_NS1_11comp_targetILNS1_3genE10ELNS1_11target_archE1200ELNS1_3gpuE4ELNS1_3repE0EEENS1_30default_config_static_selectorELNS0_4arch9wavefront6targetE1EEEvSK_,@function
_ZN7rocprim17ROCPRIM_400000_NS6detail17trampoline_kernelINS0_14default_configENS1_22reduce_config_selectorIhEEZNS1_11reduce_implILb1ES3_N6thrust23THRUST_200600_302600_NS6detail15normal_iteratorINS8_10device_ptrIhEEEEPhh11plus_mod_10IhEEE10hipError_tPvRmT1_T2_T3_mT4_P12ihipStream_tbEUlT_E1_NS1_11comp_targetILNS1_3genE10ELNS1_11target_archE1200ELNS1_3gpuE4ELNS1_3repE0EEENS1_30default_config_static_selectorELNS0_4arch9wavefront6targetE1EEEvSK_: ; @_ZN7rocprim17ROCPRIM_400000_NS6detail17trampoline_kernelINS0_14default_configENS1_22reduce_config_selectorIhEEZNS1_11reduce_implILb1ES3_N6thrust23THRUST_200600_302600_NS6detail15normal_iteratorINS8_10device_ptrIhEEEEPhh11plus_mod_10IhEEE10hipError_tPvRmT1_T2_T3_mT4_P12ihipStream_tbEUlT_E1_NS1_11comp_targetILNS1_3genE10ELNS1_11target_archE1200ELNS1_3gpuE4ELNS1_3repE0EEENS1_30default_config_static_selectorELNS0_4arch9wavefront6targetE1EEEvSK_
; %bb.0:
	.section	.rodata,"a",@progbits
	.p2align	6, 0x0
	.amdhsa_kernel _ZN7rocprim17ROCPRIM_400000_NS6detail17trampoline_kernelINS0_14default_configENS1_22reduce_config_selectorIhEEZNS1_11reduce_implILb1ES3_N6thrust23THRUST_200600_302600_NS6detail15normal_iteratorINS8_10device_ptrIhEEEEPhh11plus_mod_10IhEEE10hipError_tPvRmT1_T2_T3_mT4_P12ihipStream_tbEUlT_E1_NS1_11comp_targetILNS1_3genE10ELNS1_11target_archE1200ELNS1_3gpuE4ELNS1_3repE0EEENS1_30default_config_static_selectorELNS0_4arch9wavefront6targetE1EEEvSK_
		.amdhsa_group_segment_fixed_size 0
		.amdhsa_private_segment_fixed_size 0
		.amdhsa_kernarg_size 40
		.amdhsa_user_sgpr_count 2
		.amdhsa_user_sgpr_dispatch_ptr 0
		.amdhsa_user_sgpr_queue_ptr 0
		.amdhsa_user_sgpr_kernarg_segment_ptr 1
		.amdhsa_user_sgpr_dispatch_id 0
		.amdhsa_user_sgpr_kernarg_preload_length 0
		.amdhsa_user_sgpr_kernarg_preload_offset 0
		.amdhsa_user_sgpr_private_segment_size 0
		.amdhsa_uses_dynamic_stack 0
		.amdhsa_enable_private_segment 0
		.amdhsa_system_sgpr_workgroup_id_x 1
		.amdhsa_system_sgpr_workgroup_id_y 0
		.amdhsa_system_sgpr_workgroup_id_z 0
		.amdhsa_system_sgpr_workgroup_info 0
		.amdhsa_system_vgpr_workitem_id 0
		.amdhsa_next_free_vgpr 1
		.amdhsa_next_free_sgpr 0
		.amdhsa_accum_offset 4
		.amdhsa_reserve_vcc 0
		.amdhsa_float_round_mode_32 0
		.amdhsa_float_round_mode_16_64 0
		.amdhsa_float_denorm_mode_32 3
		.amdhsa_float_denorm_mode_16_64 3
		.amdhsa_dx10_clamp 1
		.amdhsa_ieee_mode 1
		.amdhsa_fp16_overflow 0
		.amdhsa_tg_split 0
		.amdhsa_exception_fp_ieee_invalid_op 0
		.amdhsa_exception_fp_denorm_src 0
		.amdhsa_exception_fp_ieee_div_zero 0
		.amdhsa_exception_fp_ieee_overflow 0
		.amdhsa_exception_fp_ieee_underflow 0
		.amdhsa_exception_fp_ieee_inexact 0
		.amdhsa_exception_int_div_zero 0
	.end_amdhsa_kernel
	.section	.text._ZN7rocprim17ROCPRIM_400000_NS6detail17trampoline_kernelINS0_14default_configENS1_22reduce_config_selectorIhEEZNS1_11reduce_implILb1ES3_N6thrust23THRUST_200600_302600_NS6detail15normal_iteratorINS8_10device_ptrIhEEEEPhh11plus_mod_10IhEEE10hipError_tPvRmT1_T2_T3_mT4_P12ihipStream_tbEUlT_E1_NS1_11comp_targetILNS1_3genE10ELNS1_11target_archE1200ELNS1_3gpuE4ELNS1_3repE0EEENS1_30default_config_static_selectorELNS0_4arch9wavefront6targetE1EEEvSK_,"axG",@progbits,_ZN7rocprim17ROCPRIM_400000_NS6detail17trampoline_kernelINS0_14default_configENS1_22reduce_config_selectorIhEEZNS1_11reduce_implILb1ES3_N6thrust23THRUST_200600_302600_NS6detail15normal_iteratorINS8_10device_ptrIhEEEEPhh11plus_mod_10IhEEE10hipError_tPvRmT1_T2_T3_mT4_P12ihipStream_tbEUlT_E1_NS1_11comp_targetILNS1_3genE10ELNS1_11target_archE1200ELNS1_3gpuE4ELNS1_3repE0EEENS1_30default_config_static_selectorELNS0_4arch9wavefront6targetE1EEEvSK_,comdat
.Lfunc_end692:
	.size	_ZN7rocprim17ROCPRIM_400000_NS6detail17trampoline_kernelINS0_14default_configENS1_22reduce_config_selectorIhEEZNS1_11reduce_implILb1ES3_N6thrust23THRUST_200600_302600_NS6detail15normal_iteratorINS8_10device_ptrIhEEEEPhh11plus_mod_10IhEEE10hipError_tPvRmT1_T2_T3_mT4_P12ihipStream_tbEUlT_E1_NS1_11comp_targetILNS1_3genE10ELNS1_11target_archE1200ELNS1_3gpuE4ELNS1_3repE0EEENS1_30default_config_static_selectorELNS0_4arch9wavefront6targetE1EEEvSK_, .Lfunc_end692-_ZN7rocprim17ROCPRIM_400000_NS6detail17trampoline_kernelINS0_14default_configENS1_22reduce_config_selectorIhEEZNS1_11reduce_implILb1ES3_N6thrust23THRUST_200600_302600_NS6detail15normal_iteratorINS8_10device_ptrIhEEEEPhh11plus_mod_10IhEEE10hipError_tPvRmT1_T2_T3_mT4_P12ihipStream_tbEUlT_E1_NS1_11comp_targetILNS1_3genE10ELNS1_11target_archE1200ELNS1_3gpuE4ELNS1_3repE0EEENS1_30default_config_static_selectorELNS0_4arch9wavefront6targetE1EEEvSK_
                                        ; -- End function
	.set _ZN7rocprim17ROCPRIM_400000_NS6detail17trampoline_kernelINS0_14default_configENS1_22reduce_config_selectorIhEEZNS1_11reduce_implILb1ES3_N6thrust23THRUST_200600_302600_NS6detail15normal_iteratorINS8_10device_ptrIhEEEEPhh11plus_mod_10IhEEE10hipError_tPvRmT1_T2_T3_mT4_P12ihipStream_tbEUlT_E1_NS1_11comp_targetILNS1_3genE10ELNS1_11target_archE1200ELNS1_3gpuE4ELNS1_3repE0EEENS1_30default_config_static_selectorELNS0_4arch9wavefront6targetE1EEEvSK_.num_vgpr, 0
	.set _ZN7rocprim17ROCPRIM_400000_NS6detail17trampoline_kernelINS0_14default_configENS1_22reduce_config_selectorIhEEZNS1_11reduce_implILb1ES3_N6thrust23THRUST_200600_302600_NS6detail15normal_iteratorINS8_10device_ptrIhEEEEPhh11plus_mod_10IhEEE10hipError_tPvRmT1_T2_T3_mT4_P12ihipStream_tbEUlT_E1_NS1_11comp_targetILNS1_3genE10ELNS1_11target_archE1200ELNS1_3gpuE4ELNS1_3repE0EEENS1_30default_config_static_selectorELNS0_4arch9wavefront6targetE1EEEvSK_.num_agpr, 0
	.set _ZN7rocprim17ROCPRIM_400000_NS6detail17trampoline_kernelINS0_14default_configENS1_22reduce_config_selectorIhEEZNS1_11reduce_implILb1ES3_N6thrust23THRUST_200600_302600_NS6detail15normal_iteratorINS8_10device_ptrIhEEEEPhh11plus_mod_10IhEEE10hipError_tPvRmT1_T2_T3_mT4_P12ihipStream_tbEUlT_E1_NS1_11comp_targetILNS1_3genE10ELNS1_11target_archE1200ELNS1_3gpuE4ELNS1_3repE0EEENS1_30default_config_static_selectorELNS0_4arch9wavefront6targetE1EEEvSK_.numbered_sgpr, 0
	.set _ZN7rocprim17ROCPRIM_400000_NS6detail17trampoline_kernelINS0_14default_configENS1_22reduce_config_selectorIhEEZNS1_11reduce_implILb1ES3_N6thrust23THRUST_200600_302600_NS6detail15normal_iteratorINS8_10device_ptrIhEEEEPhh11plus_mod_10IhEEE10hipError_tPvRmT1_T2_T3_mT4_P12ihipStream_tbEUlT_E1_NS1_11comp_targetILNS1_3genE10ELNS1_11target_archE1200ELNS1_3gpuE4ELNS1_3repE0EEENS1_30default_config_static_selectorELNS0_4arch9wavefront6targetE1EEEvSK_.num_named_barrier, 0
	.set _ZN7rocprim17ROCPRIM_400000_NS6detail17trampoline_kernelINS0_14default_configENS1_22reduce_config_selectorIhEEZNS1_11reduce_implILb1ES3_N6thrust23THRUST_200600_302600_NS6detail15normal_iteratorINS8_10device_ptrIhEEEEPhh11plus_mod_10IhEEE10hipError_tPvRmT1_T2_T3_mT4_P12ihipStream_tbEUlT_E1_NS1_11comp_targetILNS1_3genE10ELNS1_11target_archE1200ELNS1_3gpuE4ELNS1_3repE0EEENS1_30default_config_static_selectorELNS0_4arch9wavefront6targetE1EEEvSK_.private_seg_size, 0
	.set _ZN7rocprim17ROCPRIM_400000_NS6detail17trampoline_kernelINS0_14default_configENS1_22reduce_config_selectorIhEEZNS1_11reduce_implILb1ES3_N6thrust23THRUST_200600_302600_NS6detail15normal_iteratorINS8_10device_ptrIhEEEEPhh11plus_mod_10IhEEE10hipError_tPvRmT1_T2_T3_mT4_P12ihipStream_tbEUlT_E1_NS1_11comp_targetILNS1_3genE10ELNS1_11target_archE1200ELNS1_3gpuE4ELNS1_3repE0EEENS1_30default_config_static_selectorELNS0_4arch9wavefront6targetE1EEEvSK_.uses_vcc, 0
	.set _ZN7rocprim17ROCPRIM_400000_NS6detail17trampoline_kernelINS0_14default_configENS1_22reduce_config_selectorIhEEZNS1_11reduce_implILb1ES3_N6thrust23THRUST_200600_302600_NS6detail15normal_iteratorINS8_10device_ptrIhEEEEPhh11plus_mod_10IhEEE10hipError_tPvRmT1_T2_T3_mT4_P12ihipStream_tbEUlT_E1_NS1_11comp_targetILNS1_3genE10ELNS1_11target_archE1200ELNS1_3gpuE4ELNS1_3repE0EEENS1_30default_config_static_selectorELNS0_4arch9wavefront6targetE1EEEvSK_.uses_flat_scratch, 0
	.set _ZN7rocprim17ROCPRIM_400000_NS6detail17trampoline_kernelINS0_14default_configENS1_22reduce_config_selectorIhEEZNS1_11reduce_implILb1ES3_N6thrust23THRUST_200600_302600_NS6detail15normal_iteratorINS8_10device_ptrIhEEEEPhh11plus_mod_10IhEEE10hipError_tPvRmT1_T2_T3_mT4_P12ihipStream_tbEUlT_E1_NS1_11comp_targetILNS1_3genE10ELNS1_11target_archE1200ELNS1_3gpuE4ELNS1_3repE0EEENS1_30default_config_static_selectorELNS0_4arch9wavefront6targetE1EEEvSK_.has_dyn_sized_stack, 0
	.set _ZN7rocprim17ROCPRIM_400000_NS6detail17trampoline_kernelINS0_14default_configENS1_22reduce_config_selectorIhEEZNS1_11reduce_implILb1ES3_N6thrust23THRUST_200600_302600_NS6detail15normal_iteratorINS8_10device_ptrIhEEEEPhh11plus_mod_10IhEEE10hipError_tPvRmT1_T2_T3_mT4_P12ihipStream_tbEUlT_E1_NS1_11comp_targetILNS1_3genE10ELNS1_11target_archE1200ELNS1_3gpuE4ELNS1_3repE0EEENS1_30default_config_static_selectorELNS0_4arch9wavefront6targetE1EEEvSK_.has_recursion, 0
	.set _ZN7rocprim17ROCPRIM_400000_NS6detail17trampoline_kernelINS0_14default_configENS1_22reduce_config_selectorIhEEZNS1_11reduce_implILb1ES3_N6thrust23THRUST_200600_302600_NS6detail15normal_iteratorINS8_10device_ptrIhEEEEPhh11plus_mod_10IhEEE10hipError_tPvRmT1_T2_T3_mT4_P12ihipStream_tbEUlT_E1_NS1_11comp_targetILNS1_3genE10ELNS1_11target_archE1200ELNS1_3gpuE4ELNS1_3repE0EEENS1_30default_config_static_selectorELNS0_4arch9wavefront6targetE1EEEvSK_.has_indirect_call, 0
	.section	.AMDGPU.csdata,"",@progbits
; Kernel info:
; codeLenInByte = 0
; TotalNumSgprs: 6
; NumVgprs: 0
; NumAgprs: 0
; TotalNumVgprs: 0
; ScratchSize: 0
; MemoryBound: 0
; FloatMode: 240
; IeeeMode: 1
; LDSByteSize: 0 bytes/workgroup (compile time only)
; SGPRBlocks: 0
; VGPRBlocks: 0
; NumSGPRsForWavesPerEU: 6
; NumVGPRsForWavesPerEU: 1
; AccumOffset: 4
; Occupancy: 8
; WaveLimiterHint : 0
; COMPUTE_PGM_RSRC2:SCRATCH_EN: 0
; COMPUTE_PGM_RSRC2:USER_SGPR: 2
; COMPUTE_PGM_RSRC2:TRAP_HANDLER: 0
; COMPUTE_PGM_RSRC2:TGID_X_EN: 1
; COMPUTE_PGM_RSRC2:TGID_Y_EN: 0
; COMPUTE_PGM_RSRC2:TGID_Z_EN: 0
; COMPUTE_PGM_RSRC2:TIDIG_COMP_CNT: 0
; COMPUTE_PGM_RSRC3_GFX90A:ACCUM_OFFSET: 0
; COMPUTE_PGM_RSRC3_GFX90A:TG_SPLIT: 0
	.section	.text._ZN7rocprim17ROCPRIM_400000_NS6detail17trampoline_kernelINS0_14default_configENS1_22reduce_config_selectorIhEEZNS1_11reduce_implILb1ES3_N6thrust23THRUST_200600_302600_NS6detail15normal_iteratorINS8_10device_ptrIhEEEEPhh11plus_mod_10IhEEE10hipError_tPvRmT1_T2_T3_mT4_P12ihipStream_tbEUlT_E1_NS1_11comp_targetILNS1_3genE9ELNS1_11target_archE1100ELNS1_3gpuE3ELNS1_3repE0EEENS1_30default_config_static_selectorELNS0_4arch9wavefront6targetE1EEEvSK_,"axG",@progbits,_ZN7rocprim17ROCPRIM_400000_NS6detail17trampoline_kernelINS0_14default_configENS1_22reduce_config_selectorIhEEZNS1_11reduce_implILb1ES3_N6thrust23THRUST_200600_302600_NS6detail15normal_iteratorINS8_10device_ptrIhEEEEPhh11plus_mod_10IhEEE10hipError_tPvRmT1_T2_T3_mT4_P12ihipStream_tbEUlT_E1_NS1_11comp_targetILNS1_3genE9ELNS1_11target_archE1100ELNS1_3gpuE3ELNS1_3repE0EEENS1_30default_config_static_selectorELNS0_4arch9wavefront6targetE1EEEvSK_,comdat
	.protected	_ZN7rocprim17ROCPRIM_400000_NS6detail17trampoline_kernelINS0_14default_configENS1_22reduce_config_selectorIhEEZNS1_11reduce_implILb1ES3_N6thrust23THRUST_200600_302600_NS6detail15normal_iteratorINS8_10device_ptrIhEEEEPhh11plus_mod_10IhEEE10hipError_tPvRmT1_T2_T3_mT4_P12ihipStream_tbEUlT_E1_NS1_11comp_targetILNS1_3genE9ELNS1_11target_archE1100ELNS1_3gpuE3ELNS1_3repE0EEENS1_30default_config_static_selectorELNS0_4arch9wavefront6targetE1EEEvSK_ ; -- Begin function _ZN7rocprim17ROCPRIM_400000_NS6detail17trampoline_kernelINS0_14default_configENS1_22reduce_config_selectorIhEEZNS1_11reduce_implILb1ES3_N6thrust23THRUST_200600_302600_NS6detail15normal_iteratorINS8_10device_ptrIhEEEEPhh11plus_mod_10IhEEE10hipError_tPvRmT1_T2_T3_mT4_P12ihipStream_tbEUlT_E1_NS1_11comp_targetILNS1_3genE9ELNS1_11target_archE1100ELNS1_3gpuE3ELNS1_3repE0EEENS1_30default_config_static_selectorELNS0_4arch9wavefront6targetE1EEEvSK_
	.globl	_ZN7rocprim17ROCPRIM_400000_NS6detail17trampoline_kernelINS0_14default_configENS1_22reduce_config_selectorIhEEZNS1_11reduce_implILb1ES3_N6thrust23THRUST_200600_302600_NS6detail15normal_iteratorINS8_10device_ptrIhEEEEPhh11plus_mod_10IhEEE10hipError_tPvRmT1_T2_T3_mT4_P12ihipStream_tbEUlT_E1_NS1_11comp_targetILNS1_3genE9ELNS1_11target_archE1100ELNS1_3gpuE3ELNS1_3repE0EEENS1_30default_config_static_selectorELNS0_4arch9wavefront6targetE1EEEvSK_
	.p2align	8
	.type	_ZN7rocprim17ROCPRIM_400000_NS6detail17trampoline_kernelINS0_14default_configENS1_22reduce_config_selectorIhEEZNS1_11reduce_implILb1ES3_N6thrust23THRUST_200600_302600_NS6detail15normal_iteratorINS8_10device_ptrIhEEEEPhh11plus_mod_10IhEEE10hipError_tPvRmT1_T2_T3_mT4_P12ihipStream_tbEUlT_E1_NS1_11comp_targetILNS1_3genE9ELNS1_11target_archE1100ELNS1_3gpuE3ELNS1_3repE0EEENS1_30default_config_static_selectorELNS0_4arch9wavefront6targetE1EEEvSK_,@function
_ZN7rocprim17ROCPRIM_400000_NS6detail17trampoline_kernelINS0_14default_configENS1_22reduce_config_selectorIhEEZNS1_11reduce_implILb1ES3_N6thrust23THRUST_200600_302600_NS6detail15normal_iteratorINS8_10device_ptrIhEEEEPhh11plus_mod_10IhEEE10hipError_tPvRmT1_T2_T3_mT4_P12ihipStream_tbEUlT_E1_NS1_11comp_targetILNS1_3genE9ELNS1_11target_archE1100ELNS1_3gpuE3ELNS1_3repE0EEENS1_30default_config_static_selectorELNS0_4arch9wavefront6targetE1EEEvSK_: ; @_ZN7rocprim17ROCPRIM_400000_NS6detail17trampoline_kernelINS0_14default_configENS1_22reduce_config_selectorIhEEZNS1_11reduce_implILb1ES3_N6thrust23THRUST_200600_302600_NS6detail15normal_iteratorINS8_10device_ptrIhEEEEPhh11plus_mod_10IhEEE10hipError_tPvRmT1_T2_T3_mT4_P12ihipStream_tbEUlT_E1_NS1_11comp_targetILNS1_3genE9ELNS1_11target_archE1100ELNS1_3gpuE3ELNS1_3repE0EEENS1_30default_config_static_selectorELNS0_4arch9wavefront6targetE1EEEvSK_
; %bb.0:
	.section	.rodata,"a",@progbits
	.p2align	6, 0x0
	.amdhsa_kernel _ZN7rocprim17ROCPRIM_400000_NS6detail17trampoline_kernelINS0_14default_configENS1_22reduce_config_selectorIhEEZNS1_11reduce_implILb1ES3_N6thrust23THRUST_200600_302600_NS6detail15normal_iteratorINS8_10device_ptrIhEEEEPhh11plus_mod_10IhEEE10hipError_tPvRmT1_T2_T3_mT4_P12ihipStream_tbEUlT_E1_NS1_11comp_targetILNS1_3genE9ELNS1_11target_archE1100ELNS1_3gpuE3ELNS1_3repE0EEENS1_30default_config_static_selectorELNS0_4arch9wavefront6targetE1EEEvSK_
		.amdhsa_group_segment_fixed_size 0
		.amdhsa_private_segment_fixed_size 0
		.amdhsa_kernarg_size 40
		.amdhsa_user_sgpr_count 2
		.amdhsa_user_sgpr_dispatch_ptr 0
		.amdhsa_user_sgpr_queue_ptr 0
		.amdhsa_user_sgpr_kernarg_segment_ptr 1
		.amdhsa_user_sgpr_dispatch_id 0
		.amdhsa_user_sgpr_kernarg_preload_length 0
		.amdhsa_user_sgpr_kernarg_preload_offset 0
		.amdhsa_user_sgpr_private_segment_size 0
		.amdhsa_uses_dynamic_stack 0
		.amdhsa_enable_private_segment 0
		.amdhsa_system_sgpr_workgroup_id_x 1
		.amdhsa_system_sgpr_workgroup_id_y 0
		.amdhsa_system_sgpr_workgroup_id_z 0
		.amdhsa_system_sgpr_workgroup_info 0
		.amdhsa_system_vgpr_workitem_id 0
		.amdhsa_next_free_vgpr 1
		.amdhsa_next_free_sgpr 0
		.amdhsa_accum_offset 4
		.amdhsa_reserve_vcc 0
		.amdhsa_float_round_mode_32 0
		.amdhsa_float_round_mode_16_64 0
		.amdhsa_float_denorm_mode_32 3
		.amdhsa_float_denorm_mode_16_64 3
		.amdhsa_dx10_clamp 1
		.amdhsa_ieee_mode 1
		.amdhsa_fp16_overflow 0
		.amdhsa_tg_split 0
		.amdhsa_exception_fp_ieee_invalid_op 0
		.amdhsa_exception_fp_denorm_src 0
		.amdhsa_exception_fp_ieee_div_zero 0
		.amdhsa_exception_fp_ieee_overflow 0
		.amdhsa_exception_fp_ieee_underflow 0
		.amdhsa_exception_fp_ieee_inexact 0
		.amdhsa_exception_int_div_zero 0
	.end_amdhsa_kernel
	.section	.text._ZN7rocprim17ROCPRIM_400000_NS6detail17trampoline_kernelINS0_14default_configENS1_22reduce_config_selectorIhEEZNS1_11reduce_implILb1ES3_N6thrust23THRUST_200600_302600_NS6detail15normal_iteratorINS8_10device_ptrIhEEEEPhh11plus_mod_10IhEEE10hipError_tPvRmT1_T2_T3_mT4_P12ihipStream_tbEUlT_E1_NS1_11comp_targetILNS1_3genE9ELNS1_11target_archE1100ELNS1_3gpuE3ELNS1_3repE0EEENS1_30default_config_static_selectorELNS0_4arch9wavefront6targetE1EEEvSK_,"axG",@progbits,_ZN7rocprim17ROCPRIM_400000_NS6detail17trampoline_kernelINS0_14default_configENS1_22reduce_config_selectorIhEEZNS1_11reduce_implILb1ES3_N6thrust23THRUST_200600_302600_NS6detail15normal_iteratorINS8_10device_ptrIhEEEEPhh11plus_mod_10IhEEE10hipError_tPvRmT1_T2_T3_mT4_P12ihipStream_tbEUlT_E1_NS1_11comp_targetILNS1_3genE9ELNS1_11target_archE1100ELNS1_3gpuE3ELNS1_3repE0EEENS1_30default_config_static_selectorELNS0_4arch9wavefront6targetE1EEEvSK_,comdat
.Lfunc_end693:
	.size	_ZN7rocprim17ROCPRIM_400000_NS6detail17trampoline_kernelINS0_14default_configENS1_22reduce_config_selectorIhEEZNS1_11reduce_implILb1ES3_N6thrust23THRUST_200600_302600_NS6detail15normal_iteratorINS8_10device_ptrIhEEEEPhh11plus_mod_10IhEEE10hipError_tPvRmT1_T2_T3_mT4_P12ihipStream_tbEUlT_E1_NS1_11comp_targetILNS1_3genE9ELNS1_11target_archE1100ELNS1_3gpuE3ELNS1_3repE0EEENS1_30default_config_static_selectorELNS0_4arch9wavefront6targetE1EEEvSK_, .Lfunc_end693-_ZN7rocprim17ROCPRIM_400000_NS6detail17trampoline_kernelINS0_14default_configENS1_22reduce_config_selectorIhEEZNS1_11reduce_implILb1ES3_N6thrust23THRUST_200600_302600_NS6detail15normal_iteratorINS8_10device_ptrIhEEEEPhh11plus_mod_10IhEEE10hipError_tPvRmT1_T2_T3_mT4_P12ihipStream_tbEUlT_E1_NS1_11comp_targetILNS1_3genE9ELNS1_11target_archE1100ELNS1_3gpuE3ELNS1_3repE0EEENS1_30default_config_static_selectorELNS0_4arch9wavefront6targetE1EEEvSK_
                                        ; -- End function
	.set _ZN7rocprim17ROCPRIM_400000_NS6detail17trampoline_kernelINS0_14default_configENS1_22reduce_config_selectorIhEEZNS1_11reduce_implILb1ES3_N6thrust23THRUST_200600_302600_NS6detail15normal_iteratorINS8_10device_ptrIhEEEEPhh11plus_mod_10IhEEE10hipError_tPvRmT1_T2_T3_mT4_P12ihipStream_tbEUlT_E1_NS1_11comp_targetILNS1_3genE9ELNS1_11target_archE1100ELNS1_3gpuE3ELNS1_3repE0EEENS1_30default_config_static_selectorELNS0_4arch9wavefront6targetE1EEEvSK_.num_vgpr, 0
	.set _ZN7rocprim17ROCPRIM_400000_NS6detail17trampoline_kernelINS0_14default_configENS1_22reduce_config_selectorIhEEZNS1_11reduce_implILb1ES3_N6thrust23THRUST_200600_302600_NS6detail15normal_iteratorINS8_10device_ptrIhEEEEPhh11plus_mod_10IhEEE10hipError_tPvRmT1_T2_T3_mT4_P12ihipStream_tbEUlT_E1_NS1_11comp_targetILNS1_3genE9ELNS1_11target_archE1100ELNS1_3gpuE3ELNS1_3repE0EEENS1_30default_config_static_selectorELNS0_4arch9wavefront6targetE1EEEvSK_.num_agpr, 0
	.set _ZN7rocprim17ROCPRIM_400000_NS6detail17trampoline_kernelINS0_14default_configENS1_22reduce_config_selectorIhEEZNS1_11reduce_implILb1ES3_N6thrust23THRUST_200600_302600_NS6detail15normal_iteratorINS8_10device_ptrIhEEEEPhh11plus_mod_10IhEEE10hipError_tPvRmT1_T2_T3_mT4_P12ihipStream_tbEUlT_E1_NS1_11comp_targetILNS1_3genE9ELNS1_11target_archE1100ELNS1_3gpuE3ELNS1_3repE0EEENS1_30default_config_static_selectorELNS0_4arch9wavefront6targetE1EEEvSK_.numbered_sgpr, 0
	.set _ZN7rocprim17ROCPRIM_400000_NS6detail17trampoline_kernelINS0_14default_configENS1_22reduce_config_selectorIhEEZNS1_11reduce_implILb1ES3_N6thrust23THRUST_200600_302600_NS6detail15normal_iteratorINS8_10device_ptrIhEEEEPhh11plus_mod_10IhEEE10hipError_tPvRmT1_T2_T3_mT4_P12ihipStream_tbEUlT_E1_NS1_11comp_targetILNS1_3genE9ELNS1_11target_archE1100ELNS1_3gpuE3ELNS1_3repE0EEENS1_30default_config_static_selectorELNS0_4arch9wavefront6targetE1EEEvSK_.num_named_barrier, 0
	.set _ZN7rocprim17ROCPRIM_400000_NS6detail17trampoline_kernelINS0_14default_configENS1_22reduce_config_selectorIhEEZNS1_11reduce_implILb1ES3_N6thrust23THRUST_200600_302600_NS6detail15normal_iteratorINS8_10device_ptrIhEEEEPhh11plus_mod_10IhEEE10hipError_tPvRmT1_T2_T3_mT4_P12ihipStream_tbEUlT_E1_NS1_11comp_targetILNS1_3genE9ELNS1_11target_archE1100ELNS1_3gpuE3ELNS1_3repE0EEENS1_30default_config_static_selectorELNS0_4arch9wavefront6targetE1EEEvSK_.private_seg_size, 0
	.set _ZN7rocprim17ROCPRIM_400000_NS6detail17trampoline_kernelINS0_14default_configENS1_22reduce_config_selectorIhEEZNS1_11reduce_implILb1ES3_N6thrust23THRUST_200600_302600_NS6detail15normal_iteratorINS8_10device_ptrIhEEEEPhh11plus_mod_10IhEEE10hipError_tPvRmT1_T2_T3_mT4_P12ihipStream_tbEUlT_E1_NS1_11comp_targetILNS1_3genE9ELNS1_11target_archE1100ELNS1_3gpuE3ELNS1_3repE0EEENS1_30default_config_static_selectorELNS0_4arch9wavefront6targetE1EEEvSK_.uses_vcc, 0
	.set _ZN7rocprim17ROCPRIM_400000_NS6detail17trampoline_kernelINS0_14default_configENS1_22reduce_config_selectorIhEEZNS1_11reduce_implILb1ES3_N6thrust23THRUST_200600_302600_NS6detail15normal_iteratorINS8_10device_ptrIhEEEEPhh11plus_mod_10IhEEE10hipError_tPvRmT1_T2_T3_mT4_P12ihipStream_tbEUlT_E1_NS1_11comp_targetILNS1_3genE9ELNS1_11target_archE1100ELNS1_3gpuE3ELNS1_3repE0EEENS1_30default_config_static_selectorELNS0_4arch9wavefront6targetE1EEEvSK_.uses_flat_scratch, 0
	.set _ZN7rocprim17ROCPRIM_400000_NS6detail17trampoline_kernelINS0_14default_configENS1_22reduce_config_selectorIhEEZNS1_11reduce_implILb1ES3_N6thrust23THRUST_200600_302600_NS6detail15normal_iteratorINS8_10device_ptrIhEEEEPhh11plus_mod_10IhEEE10hipError_tPvRmT1_T2_T3_mT4_P12ihipStream_tbEUlT_E1_NS1_11comp_targetILNS1_3genE9ELNS1_11target_archE1100ELNS1_3gpuE3ELNS1_3repE0EEENS1_30default_config_static_selectorELNS0_4arch9wavefront6targetE1EEEvSK_.has_dyn_sized_stack, 0
	.set _ZN7rocprim17ROCPRIM_400000_NS6detail17trampoline_kernelINS0_14default_configENS1_22reduce_config_selectorIhEEZNS1_11reduce_implILb1ES3_N6thrust23THRUST_200600_302600_NS6detail15normal_iteratorINS8_10device_ptrIhEEEEPhh11plus_mod_10IhEEE10hipError_tPvRmT1_T2_T3_mT4_P12ihipStream_tbEUlT_E1_NS1_11comp_targetILNS1_3genE9ELNS1_11target_archE1100ELNS1_3gpuE3ELNS1_3repE0EEENS1_30default_config_static_selectorELNS0_4arch9wavefront6targetE1EEEvSK_.has_recursion, 0
	.set _ZN7rocprim17ROCPRIM_400000_NS6detail17trampoline_kernelINS0_14default_configENS1_22reduce_config_selectorIhEEZNS1_11reduce_implILb1ES3_N6thrust23THRUST_200600_302600_NS6detail15normal_iteratorINS8_10device_ptrIhEEEEPhh11plus_mod_10IhEEE10hipError_tPvRmT1_T2_T3_mT4_P12ihipStream_tbEUlT_E1_NS1_11comp_targetILNS1_3genE9ELNS1_11target_archE1100ELNS1_3gpuE3ELNS1_3repE0EEENS1_30default_config_static_selectorELNS0_4arch9wavefront6targetE1EEEvSK_.has_indirect_call, 0
	.section	.AMDGPU.csdata,"",@progbits
; Kernel info:
; codeLenInByte = 0
; TotalNumSgprs: 6
; NumVgprs: 0
; NumAgprs: 0
; TotalNumVgprs: 0
; ScratchSize: 0
; MemoryBound: 0
; FloatMode: 240
; IeeeMode: 1
; LDSByteSize: 0 bytes/workgroup (compile time only)
; SGPRBlocks: 0
; VGPRBlocks: 0
; NumSGPRsForWavesPerEU: 6
; NumVGPRsForWavesPerEU: 1
; AccumOffset: 4
; Occupancy: 8
; WaveLimiterHint : 0
; COMPUTE_PGM_RSRC2:SCRATCH_EN: 0
; COMPUTE_PGM_RSRC2:USER_SGPR: 2
; COMPUTE_PGM_RSRC2:TRAP_HANDLER: 0
; COMPUTE_PGM_RSRC2:TGID_X_EN: 1
; COMPUTE_PGM_RSRC2:TGID_Y_EN: 0
; COMPUTE_PGM_RSRC2:TGID_Z_EN: 0
; COMPUTE_PGM_RSRC2:TIDIG_COMP_CNT: 0
; COMPUTE_PGM_RSRC3_GFX90A:ACCUM_OFFSET: 0
; COMPUTE_PGM_RSRC3_GFX90A:TG_SPLIT: 0
	.section	.text._ZN7rocprim17ROCPRIM_400000_NS6detail17trampoline_kernelINS0_14default_configENS1_22reduce_config_selectorIhEEZNS1_11reduce_implILb1ES3_N6thrust23THRUST_200600_302600_NS6detail15normal_iteratorINS8_10device_ptrIhEEEEPhh11plus_mod_10IhEEE10hipError_tPvRmT1_T2_T3_mT4_P12ihipStream_tbEUlT_E1_NS1_11comp_targetILNS1_3genE8ELNS1_11target_archE1030ELNS1_3gpuE2ELNS1_3repE0EEENS1_30default_config_static_selectorELNS0_4arch9wavefront6targetE1EEEvSK_,"axG",@progbits,_ZN7rocprim17ROCPRIM_400000_NS6detail17trampoline_kernelINS0_14default_configENS1_22reduce_config_selectorIhEEZNS1_11reduce_implILb1ES3_N6thrust23THRUST_200600_302600_NS6detail15normal_iteratorINS8_10device_ptrIhEEEEPhh11plus_mod_10IhEEE10hipError_tPvRmT1_T2_T3_mT4_P12ihipStream_tbEUlT_E1_NS1_11comp_targetILNS1_3genE8ELNS1_11target_archE1030ELNS1_3gpuE2ELNS1_3repE0EEENS1_30default_config_static_selectorELNS0_4arch9wavefront6targetE1EEEvSK_,comdat
	.protected	_ZN7rocprim17ROCPRIM_400000_NS6detail17trampoline_kernelINS0_14default_configENS1_22reduce_config_selectorIhEEZNS1_11reduce_implILb1ES3_N6thrust23THRUST_200600_302600_NS6detail15normal_iteratorINS8_10device_ptrIhEEEEPhh11plus_mod_10IhEEE10hipError_tPvRmT1_T2_T3_mT4_P12ihipStream_tbEUlT_E1_NS1_11comp_targetILNS1_3genE8ELNS1_11target_archE1030ELNS1_3gpuE2ELNS1_3repE0EEENS1_30default_config_static_selectorELNS0_4arch9wavefront6targetE1EEEvSK_ ; -- Begin function _ZN7rocprim17ROCPRIM_400000_NS6detail17trampoline_kernelINS0_14default_configENS1_22reduce_config_selectorIhEEZNS1_11reduce_implILb1ES3_N6thrust23THRUST_200600_302600_NS6detail15normal_iteratorINS8_10device_ptrIhEEEEPhh11plus_mod_10IhEEE10hipError_tPvRmT1_T2_T3_mT4_P12ihipStream_tbEUlT_E1_NS1_11comp_targetILNS1_3genE8ELNS1_11target_archE1030ELNS1_3gpuE2ELNS1_3repE0EEENS1_30default_config_static_selectorELNS0_4arch9wavefront6targetE1EEEvSK_
	.globl	_ZN7rocprim17ROCPRIM_400000_NS6detail17trampoline_kernelINS0_14default_configENS1_22reduce_config_selectorIhEEZNS1_11reduce_implILb1ES3_N6thrust23THRUST_200600_302600_NS6detail15normal_iteratorINS8_10device_ptrIhEEEEPhh11plus_mod_10IhEEE10hipError_tPvRmT1_T2_T3_mT4_P12ihipStream_tbEUlT_E1_NS1_11comp_targetILNS1_3genE8ELNS1_11target_archE1030ELNS1_3gpuE2ELNS1_3repE0EEENS1_30default_config_static_selectorELNS0_4arch9wavefront6targetE1EEEvSK_
	.p2align	8
	.type	_ZN7rocprim17ROCPRIM_400000_NS6detail17trampoline_kernelINS0_14default_configENS1_22reduce_config_selectorIhEEZNS1_11reduce_implILb1ES3_N6thrust23THRUST_200600_302600_NS6detail15normal_iteratorINS8_10device_ptrIhEEEEPhh11plus_mod_10IhEEE10hipError_tPvRmT1_T2_T3_mT4_P12ihipStream_tbEUlT_E1_NS1_11comp_targetILNS1_3genE8ELNS1_11target_archE1030ELNS1_3gpuE2ELNS1_3repE0EEENS1_30default_config_static_selectorELNS0_4arch9wavefront6targetE1EEEvSK_,@function
_ZN7rocprim17ROCPRIM_400000_NS6detail17trampoline_kernelINS0_14default_configENS1_22reduce_config_selectorIhEEZNS1_11reduce_implILb1ES3_N6thrust23THRUST_200600_302600_NS6detail15normal_iteratorINS8_10device_ptrIhEEEEPhh11plus_mod_10IhEEE10hipError_tPvRmT1_T2_T3_mT4_P12ihipStream_tbEUlT_E1_NS1_11comp_targetILNS1_3genE8ELNS1_11target_archE1030ELNS1_3gpuE2ELNS1_3repE0EEENS1_30default_config_static_selectorELNS0_4arch9wavefront6targetE1EEEvSK_: ; @_ZN7rocprim17ROCPRIM_400000_NS6detail17trampoline_kernelINS0_14default_configENS1_22reduce_config_selectorIhEEZNS1_11reduce_implILb1ES3_N6thrust23THRUST_200600_302600_NS6detail15normal_iteratorINS8_10device_ptrIhEEEEPhh11plus_mod_10IhEEE10hipError_tPvRmT1_T2_T3_mT4_P12ihipStream_tbEUlT_E1_NS1_11comp_targetILNS1_3genE8ELNS1_11target_archE1030ELNS1_3gpuE2ELNS1_3repE0EEENS1_30default_config_static_selectorELNS0_4arch9wavefront6targetE1EEEvSK_
; %bb.0:
	.section	.rodata,"a",@progbits
	.p2align	6, 0x0
	.amdhsa_kernel _ZN7rocprim17ROCPRIM_400000_NS6detail17trampoline_kernelINS0_14default_configENS1_22reduce_config_selectorIhEEZNS1_11reduce_implILb1ES3_N6thrust23THRUST_200600_302600_NS6detail15normal_iteratorINS8_10device_ptrIhEEEEPhh11plus_mod_10IhEEE10hipError_tPvRmT1_T2_T3_mT4_P12ihipStream_tbEUlT_E1_NS1_11comp_targetILNS1_3genE8ELNS1_11target_archE1030ELNS1_3gpuE2ELNS1_3repE0EEENS1_30default_config_static_selectorELNS0_4arch9wavefront6targetE1EEEvSK_
		.amdhsa_group_segment_fixed_size 0
		.amdhsa_private_segment_fixed_size 0
		.amdhsa_kernarg_size 40
		.amdhsa_user_sgpr_count 2
		.amdhsa_user_sgpr_dispatch_ptr 0
		.amdhsa_user_sgpr_queue_ptr 0
		.amdhsa_user_sgpr_kernarg_segment_ptr 1
		.amdhsa_user_sgpr_dispatch_id 0
		.amdhsa_user_sgpr_kernarg_preload_length 0
		.amdhsa_user_sgpr_kernarg_preload_offset 0
		.amdhsa_user_sgpr_private_segment_size 0
		.amdhsa_uses_dynamic_stack 0
		.amdhsa_enable_private_segment 0
		.amdhsa_system_sgpr_workgroup_id_x 1
		.amdhsa_system_sgpr_workgroup_id_y 0
		.amdhsa_system_sgpr_workgroup_id_z 0
		.amdhsa_system_sgpr_workgroup_info 0
		.amdhsa_system_vgpr_workitem_id 0
		.amdhsa_next_free_vgpr 1
		.amdhsa_next_free_sgpr 0
		.amdhsa_accum_offset 4
		.amdhsa_reserve_vcc 0
		.amdhsa_float_round_mode_32 0
		.amdhsa_float_round_mode_16_64 0
		.amdhsa_float_denorm_mode_32 3
		.amdhsa_float_denorm_mode_16_64 3
		.amdhsa_dx10_clamp 1
		.amdhsa_ieee_mode 1
		.amdhsa_fp16_overflow 0
		.amdhsa_tg_split 0
		.amdhsa_exception_fp_ieee_invalid_op 0
		.amdhsa_exception_fp_denorm_src 0
		.amdhsa_exception_fp_ieee_div_zero 0
		.amdhsa_exception_fp_ieee_overflow 0
		.amdhsa_exception_fp_ieee_underflow 0
		.amdhsa_exception_fp_ieee_inexact 0
		.amdhsa_exception_int_div_zero 0
	.end_amdhsa_kernel
	.section	.text._ZN7rocprim17ROCPRIM_400000_NS6detail17trampoline_kernelINS0_14default_configENS1_22reduce_config_selectorIhEEZNS1_11reduce_implILb1ES3_N6thrust23THRUST_200600_302600_NS6detail15normal_iteratorINS8_10device_ptrIhEEEEPhh11plus_mod_10IhEEE10hipError_tPvRmT1_T2_T3_mT4_P12ihipStream_tbEUlT_E1_NS1_11comp_targetILNS1_3genE8ELNS1_11target_archE1030ELNS1_3gpuE2ELNS1_3repE0EEENS1_30default_config_static_selectorELNS0_4arch9wavefront6targetE1EEEvSK_,"axG",@progbits,_ZN7rocprim17ROCPRIM_400000_NS6detail17trampoline_kernelINS0_14default_configENS1_22reduce_config_selectorIhEEZNS1_11reduce_implILb1ES3_N6thrust23THRUST_200600_302600_NS6detail15normal_iteratorINS8_10device_ptrIhEEEEPhh11plus_mod_10IhEEE10hipError_tPvRmT1_T2_T3_mT4_P12ihipStream_tbEUlT_E1_NS1_11comp_targetILNS1_3genE8ELNS1_11target_archE1030ELNS1_3gpuE2ELNS1_3repE0EEENS1_30default_config_static_selectorELNS0_4arch9wavefront6targetE1EEEvSK_,comdat
.Lfunc_end694:
	.size	_ZN7rocprim17ROCPRIM_400000_NS6detail17trampoline_kernelINS0_14default_configENS1_22reduce_config_selectorIhEEZNS1_11reduce_implILb1ES3_N6thrust23THRUST_200600_302600_NS6detail15normal_iteratorINS8_10device_ptrIhEEEEPhh11plus_mod_10IhEEE10hipError_tPvRmT1_T2_T3_mT4_P12ihipStream_tbEUlT_E1_NS1_11comp_targetILNS1_3genE8ELNS1_11target_archE1030ELNS1_3gpuE2ELNS1_3repE0EEENS1_30default_config_static_selectorELNS0_4arch9wavefront6targetE1EEEvSK_, .Lfunc_end694-_ZN7rocprim17ROCPRIM_400000_NS6detail17trampoline_kernelINS0_14default_configENS1_22reduce_config_selectorIhEEZNS1_11reduce_implILb1ES3_N6thrust23THRUST_200600_302600_NS6detail15normal_iteratorINS8_10device_ptrIhEEEEPhh11plus_mod_10IhEEE10hipError_tPvRmT1_T2_T3_mT4_P12ihipStream_tbEUlT_E1_NS1_11comp_targetILNS1_3genE8ELNS1_11target_archE1030ELNS1_3gpuE2ELNS1_3repE0EEENS1_30default_config_static_selectorELNS0_4arch9wavefront6targetE1EEEvSK_
                                        ; -- End function
	.set _ZN7rocprim17ROCPRIM_400000_NS6detail17trampoline_kernelINS0_14default_configENS1_22reduce_config_selectorIhEEZNS1_11reduce_implILb1ES3_N6thrust23THRUST_200600_302600_NS6detail15normal_iteratorINS8_10device_ptrIhEEEEPhh11plus_mod_10IhEEE10hipError_tPvRmT1_T2_T3_mT4_P12ihipStream_tbEUlT_E1_NS1_11comp_targetILNS1_3genE8ELNS1_11target_archE1030ELNS1_3gpuE2ELNS1_3repE0EEENS1_30default_config_static_selectorELNS0_4arch9wavefront6targetE1EEEvSK_.num_vgpr, 0
	.set _ZN7rocprim17ROCPRIM_400000_NS6detail17trampoline_kernelINS0_14default_configENS1_22reduce_config_selectorIhEEZNS1_11reduce_implILb1ES3_N6thrust23THRUST_200600_302600_NS6detail15normal_iteratorINS8_10device_ptrIhEEEEPhh11plus_mod_10IhEEE10hipError_tPvRmT1_T2_T3_mT4_P12ihipStream_tbEUlT_E1_NS1_11comp_targetILNS1_3genE8ELNS1_11target_archE1030ELNS1_3gpuE2ELNS1_3repE0EEENS1_30default_config_static_selectorELNS0_4arch9wavefront6targetE1EEEvSK_.num_agpr, 0
	.set _ZN7rocprim17ROCPRIM_400000_NS6detail17trampoline_kernelINS0_14default_configENS1_22reduce_config_selectorIhEEZNS1_11reduce_implILb1ES3_N6thrust23THRUST_200600_302600_NS6detail15normal_iteratorINS8_10device_ptrIhEEEEPhh11plus_mod_10IhEEE10hipError_tPvRmT1_T2_T3_mT4_P12ihipStream_tbEUlT_E1_NS1_11comp_targetILNS1_3genE8ELNS1_11target_archE1030ELNS1_3gpuE2ELNS1_3repE0EEENS1_30default_config_static_selectorELNS0_4arch9wavefront6targetE1EEEvSK_.numbered_sgpr, 0
	.set _ZN7rocprim17ROCPRIM_400000_NS6detail17trampoline_kernelINS0_14default_configENS1_22reduce_config_selectorIhEEZNS1_11reduce_implILb1ES3_N6thrust23THRUST_200600_302600_NS6detail15normal_iteratorINS8_10device_ptrIhEEEEPhh11plus_mod_10IhEEE10hipError_tPvRmT1_T2_T3_mT4_P12ihipStream_tbEUlT_E1_NS1_11comp_targetILNS1_3genE8ELNS1_11target_archE1030ELNS1_3gpuE2ELNS1_3repE0EEENS1_30default_config_static_selectorELNS0_4arch9wavefront6targetE1EEEvSK_.num_named_barrier, 0
	.set _ZN7rocprim17ROCPRIM_400000_NS6detail17trampoline_kernelINS0_14default_configENS1_22reduce_config_selectorIhEEZNS1_11reduce_implILb1ES3_N6thrust23THRUST_200600_302600_NS6detail15normal_iteratorINS8_10device_ptrIhEEEEPhh11plus_mod_10IhEEE10hipError_tPvRmT1_T2_T3_mT4_P12ihipStream_tbEUlT_E1_NS1_11comp_targetILNS1_3genE8ELNS1_11target_archE1030ELNS1_3gpuE2ELNS1_3repE0EEENS1_30default_config_static_selectorELNS0_4arch9wavefront6targetE1EEEvSK_.private_seg_size, 0
	.set _ZN7rocprim17ROCPRIM_400000_NS6detail17trampoline_kernelINS0_14default_configENS1_22reduce_config_selectorIhEEZNS1_11reduce_implILb1ES3_N6thrust23THRUST_200600_302600_NS6detail15normal_iteratorINS8_10device_ptrIhEEEEPhh11plus_mod_10IhEEE10hipError_tPvRmT1_T2_T3_mT4_P12ihipStream_tbEUlT_E1_NS1_11comp_targetILNS1_3genE8ELNS1_11target_archE1030ELNS1_3gpuE2ELNS1_3repE0EEENS1_30default_config_static_selectorELNS0_4arch9wavefront6targetE1EEEvSK_.uses_vcc, 0
	.set _ZN7rocprim17ROCPRIM_400000_NS6detail17trampoline_kernelINS0_14default_configENS1_22reduce_config_selectorIhEEZNS1_11reduce_implILb1ES3_N6thrust23THRUST_200600_302600_NS6detail15normal_iteratorINS8_10device_ptrIhEEEEPhh11plus_mod_10IhEEE10hipError_tPvRmT1_T2_T3_mT4_P12ihipStream_tbEUlT_E1_NS1_11comp_targetILNS1_3genE8ELNS1_11target_archE1030ELNS1_3gpuE2ELNS1_3repE0EEENS1_30default_config_static_selectorELNS0_4arch9wavefront6targetE1EEEvSK_.uses_flat_scratch, 0
	.set _ZN7rocprim17ROCPRIM_400000_NS6detail17trampoline_kernelINS0_14default_configENS1_22reduce_config_selectorIhEEZNS1_11reduce_implILb1ES3_N6thrust23THRUST_200600_302600_NS6detail15normal_iteratorINS8_10device_ptrIhEEEEPhh11plus_mod_10IhEEE10hipError_tPvRmT1_T2_T3_mT4_P12ihipStream_tbEUlT_E1_NS1_11comp_targetILNS1_3genE8ELNS1_11target_archE1030ELNS1_3gpuE2ELNS1_3repE0EEENS1_30default_config_static_selectorELNS0_4arch9wavefront6targetE1EEEvSK_.has_dyn_sized_stack, 0
	.set _ZN7rocprim17ROCPRIM_400000_NS6detail17trampoline_kernelINS0_14default_configENS1_22reduce_config_selectorIhEEZNS1_11reduce_implILb1ES3_N6thrust23THRUST_200600_302600_NS6detail15normal_iteratorINS8_10device_ptrIhEEEEPhh11plus_mod_10IhEEE10hipError_tPvRmT1_T2_T3_mT4_P12ihipStream_tbEUlT_E1_NS1_11comp_targetILNS1_3genE8ELNS1_11target_archE1030ELNS1_3gpuE2ELNS1_3repE0EEENS1_30default_config_static_selectorELNS0_4arch9wavefront6targetE1EEEvSK_.has_recursion, 0
	.set _ZN7rocprim17ROCPRIM_400000_NS6detail17trampoline_kernelINS0_14default_configENS1_22reduce_config_selectorIhEEZNS1_11reduce_implILb1ES3_N6thrust23THRUST_200600_302600_NS6detail15normal_iteratorINS8_10device_ptrIhEEEEPhh11plus_mod_10IhEEE10hipError_tPvRmT1_T2_T3_mT4_P12ihipStream_tbEUlT_E1_NS1_11comp_targetILNS1_3genE8ELNS1_11target_archE1030ELNS1_3gpuE2ELNS1_3repE0EEENS1_30default_config_static_selectorELNS0_4arch9wavefront6targetE1EEEvSK_.has_indirect_call, 0
	.section	.AMDGPU.csdata,"",@progbits
; Kernel info:
; codeLenInByte = 0
; TotalNumSgprs: 6
; NumVgprs: 0
; NumAgprs: 0
; TotalNumVgprs: 0
; ScratchSize: 0
; MemoryBound: 0
; FloatMode: 240
; IeeeMode: 1
; LDSByteSize: 0 bytes/workgroup (compile time only)
; SGPRBlocks: 0
; VGPRBlocks: 0
; NumSGPRsForWavesPerEU: 6
; NumVGPRsForWavesPerEU: 1
; AccumOffset: 4
; Occupancy: 8
; WaveLimiterHint : 0
; COMPUTE_PGM_RSRC2:SCRATCH_EN: 0
; COMPUTE_PGM_RSRC2:USER_SGPR: 2
; COMPUTE_PGM_RSRC2:TRAP_HANDLER: 0
; COMPUTE_PGM_RSRC2:TGID_X_EN: 1
; COMPUTE_PGM_RSRC2:TGID_Y_EN: 0
; COMPUTE_PGM_RSRC2:TGID_Z_EN: 0
; COMPUTE_PGM_RSRC2:TIDIG_COMP_CNT: 0
; COMPUTE_PGM_RSRC3_GFX90A:ACCUM_OFFSET: 0
; COMPUTE_PGM_RSRC3_GFX90A:TG_SPLIT: 0
	.section	.text._ZN7rocprim17ROCPRIM_400000_NS6detail17trampoline_kernelINS0_14default_configENS1_22reduce_config_selectorIdEEZNS1_11reduce_implILb1ES3_PdS7_d9plus_mod3IdEEE10hipError_tPvRmT1_T2_T3_mT4_P12ihipStream_tbEUlT_E0_NS1_11comp_targetILNS1_3genE0ELNS1_11target_archE4294967295ELNS1_3gpuE0ELNS1_3repE0EEENS1_30default_config_static_selectorELNS0_4arch9wavefront6targetE1EEEvSD_,"axG",@progbits,_ZN7rocprim17ROCPRIM_400000_NS6detail17trampoline_kernelINS0_14default_configENS1_22reduce_config_selectorIdEEZNS1_11reduce_implILb1ES3_PdS7_d9plus_mod3IdEEE10hipError_tPvRmT1_T2_T3_mT4_P12ihipStream_tbEUlT_E0_NS1_11comp_targetILNS1_3genE0ELNS1_11target_archE4294967295ELNS1_3gpuE0ELNS1_3repE0EEENS1_30default_config_static_selectorELNS0_4arch9wavefront6targetE1EEEvSD_,comdat
	.protected	_ZN7rocprim17ROCPRIM_400000_NS6detail17trampoline_kernelINS0_14default_configENS1_22reduce_config_selectorIdEEZNS1_11reduce_implILb1ES3_PdS7_d9plus_mod3IdEEE10hipError_tPvRmT1_T2_T3_mT4_P12ihipStream_tbEUlT_E0_NS1_11comp_targetILNS1_3genE0ELNS1_11target_archE4294967295ELNS1_3gpuE0ELNS1_3repE0EEENS1_30default_config_static_selectorELNS0_4arch9wavefront6targetE1EEEvSD_ ; -- Begin function _ZN7rocprim17ROCPRIM_400000_NS6detail17trampoline_kernelINS0_14default_configENS1_22reduce_config_selectorIdEEZNS1_11reduce_implILb1ES3_PdS7_d9plus_mod3IdEEE10hipError_tPvRmT1_T2_T3_mT4_P12ihipStream_tbEUlT_E0_NS1_11comp_targetILNS1_3genE0ELNS1_11target_archE4294967295ELNS1_3gpuE0ELNS1_3repE0EEENS1_30default_config_static_selectorELNS0_4arch9wavefront6targetE1EEEvSD_
	.globl	_ZN7rocprim17ROCPRIM_400000_NS6detail17trampoline_kernelINS0_14default_configENS1_22reduce_config_selectorIdEEZNS1_11reduce_implILb1ES3_PdS7_d9plus_mod3IdEEE10hipError_tPvRmT1_T2_T3_mT4_P12ihipStream_tbEUlT_E0_NS1_11comp_targetILNS1_3genE0ELNS1_11target_archE4294967295ELNS1_3gpuE0ELNS1_3repE0EEENS1_30default_config_static_selectorELNS0_4arch9wavefront6targetE1EEEvSD_
	.p2align	8
	.type	_ZN7rocprim17ROCPRIM_400000_NS6detail17trampoline_kernelINS0_14default_configENS1_22reduce_config_selectorIdEEZNS1_11reduce_implILb1ES3_PdS7_d9plus_mod3IdEEE10hipError_tPvRmT1_T2_T3_mT4_P12ihipStream_tbEUlT_E0_NS1_11comp_targetILNS1_3genE0ELNS1_11target_archE4294967295ELNS1_3gpuE0ELNS1_3repE0EEENS1_30default_config_static_selectorELNS0_4arch9wavefront6targetE1EEEvSD_,@function
_ZN7rocprim17ROCPRIM_400000_NS6detail17trampoline_kernelINS0_14default_configENS1_22reduce_config_selectorIdEEZNS1_11reduce_implILb1ES3_PdS7_d9plus_mod3IdEEE10hipError_tPvRmT1_T2_T3_mT4_P12ihipStream_tbEUlT_E0_NS1_11comp_targetILNS1_3genE0ELNS1_11target_archE4294967295ELNS1_3gpuE0ELNS1_3repE0EEENS1_30default_config_static_selectorELNS0_4arch9wavefront6targetE1EEEvSD_: ; @_ZN7rocprim17ROCPRIM_400000_NS6detail17trampoline_kernelINS0_14default_configENS1_22reduce_config_selectorIdEEZNS1_11reduce_implILb1ES3_PdS7_d9plus_mod3IdEEE10hipError_tPvRmT1_T2_T3_mT4_P12ihipStream_tbEUlT_E0_NS1_11comp_targetILNS1_3genE0ELNS1_11target_archE4294967295ELNS1_3gpuE0ELNS1_3repE0EEENS1_30default_config_static_selectorELNS0_4arch9wavefront6targetE1EEEvSD_
; %bb.0:
	s_load_dwordx16 s[36:51], s[0:1], 0x0
	s_mov_b32 s1, 0
	s_mov_b32 s3, s1
	v_lshlrev_b32_e32 v34, 3, v0
	v_mbcnt_lo_u32_b32 v1, -1, 0
	s_waitcnt lgkmcnt(0)
	s_lshl_b64 s[4:5], s[38:39], 3
	s_add_u32 s8, s36, s4
	s_addc_u32 s9, s37, s5
	s_lshl_b32 s0, s2, 12
	s_lshr_b64 s[4:5], s[40:41], 12
	s_lshl_b64 s[6:7], s[0:1], 3
	s_add_u32 s34, s8, s6
	s_addc_u32 s35, s9, s7
	s_cmp_lg_u64 s[4:5], s[2:3]
	s_cbranch_scc0 .LBB695_6
; %bb.1:
	global_load_dwordx2 v[2:3], v34, s[34:35]
	global_load_dwordx2 v[4:5], v34, s[34:35] offset:2048
	v_mov_b32_e32 v35, 0
	v_lshl_add_u64 v[6:7], s[34:35], 0, v[34:35]
	v_add_co_u32_e32 v8, vcc, 0x1000, v6
	s_waitcnt vmcnt(0)
	v_add_f64 v[2:3], v[2:3], v[4:5]
	v_cvt_i32_f64_e32 v2, v[2:3]
	v_ashrrev_i32_e32 v3, 31, v2
	v_addc_co_u32_e32 v9, vcc, 0, v7, vcc
	v_lshl_add_u64 v[2:3], v[2:3], 3, s[50:51]
	global_load_dwordx2 v[10:11], v[8:9], off
	v_add_co_u32_e32 v4, vcc, 0x2000, v6
	global_load_dwordx2 v[2:3], v[2:3], off
	s_nop 0
	v_addc_co_u32_e32 v5, vcc, 0, v7, vcc
	global_load_dwordx2 v[12:13], v[8:9], off offset:2048
	global_load_dwordx2 v[14:15], v[4:5], off
	global_load_dwordx2 v[16:17], v[4:5], off offset:2048
	v_add_co_u32_e32 v4, vcc, 0x3000, v6
	s_waitcnt vmcnt(3)
	v_add_f64 v[2:3], v[10:11], v[2:3]
	v_cvt_i32_f64_e32 v2, v[2:3]
	v_ashrrev_i32_e32 v3, 31, v2
	v_lshl_add_u64 v[2:3], v[2:3], 3, s[50:51]
	global_load_dwordx2 v[2:3], v[2:3], off
	v_addc_co_u32_e32 v5, vcc, 0, v7, vcc
	global_load_dwordx2 v[8:9], v[4:5], off
	v_add_co_u32_e32 v10, vcc, 0x4000, v6
	s_waitcnt vmcnt(1)
	v_add_f64 v[2:3], v[12:13], v[2:3]
	v_cvt_i32_f64_e32 v2, v[2:3]
	v_ashrrev_i32_e32 v3, 31, v2
	v_lshl_add_u64 v[2:3], v[2:3], 3, s[50:51]
	global_load_dwordx2 v[2:3], v[2:3], off
	v_addc_co_u32_e32 v11, vcc, 0, v7, vcc
	s_waitcnt vmcnt(0)
	v_add_f64 v[2:3], v[14:15], v[2:3]
	v_cvt_i32_f64_e32 v2, v[2:3]
	v_ashrrev_i32_e32 v3, 31, v2
	v_lshl_add_u64 v[2:3], v[2:3], 3, s[50:51]
	global_load_dwordx2 v[2:3], v[2:3], off
	s_waitcnt vmcnt(0)
	v_add_f64 v[2:3], v[16:17], v[2:3]
	v_cvt_i32_f64_e32 v2, v[2:3]
	v_ashrrev_i32_e32 v3, 31, v2
	v_lshl_add_u64 v[2:3], v[2:3], 3, s[50:51]
	global_load_dwordx2 v[2:3], v[2:3], off
	s_nop 0
	global_load_dwordx2 v[12:13], v[4:5], off offset:2048
	global_load_dwordx2 v[14:15], v[10:11], off
	global_load_dwordx2 v[16:17], v[10:11], off offset:2048
	v_add_co_u32_e32 v4, vcc, 0x5000, v6
	s_waitcnt vmcnt(3)
	v_add_f64 v[2:3], v[8:9], v[2:3]
	v_cvt_i32_f64_e32 v2, v[2:3]
	v_ashrrev_i32_e32 v3, 31, v2
	v_lshl_add_u64 v[2:3], v[2:3], 3, s[50:51]
	global_load_dwordx2 v[2:3], v[2:3], off
	v_addc_co_u32_e32 v5, vcc, 0, v7, vcc
	global_load_dwordx2 v[8:9], v[4:5], off
	v_add_co_u32_e32 v10, vcc, 0x6000, v6
	s_waitcnt vmcnt(1)
	v_add_f64 v[2:3], v[12:13], v[2:3]
	v_cvt_i32_f64_e32 v2, v[2:3]
	v_ashrrev_i32_e32 v3, 31, v2
	v_lshl_add_u64 v[2:3], v[2:3], 3, s[50:51]
	global_load_dwordx2 v[2:3], v[2:3], off
	v_addc_co_u32_e32 v11, vcc, 0, v7, vcc
	s_waitcnt vmcnt(0)
	v_add_f64 v[2:3], v[14:15], v[2:3]
	v_cvt_i32_f64_e32 v2, v[2:3]
	v_ashrrev_i32_e32 v3, 31, v2
	v_lshl_add_u64 v[2:3], v[2:3], 3, s[50:51]
	global_load_dwordx2 v[2:3], v[2:3], off
	s_waitcnt vmcnt(0)
	v_add_f64 v[2:3], v[16:17], v[2:3]
	v_cvt_i32_f64_e32 v2, v[2:3]
	v_ashrrev_i32_e32 v3, 31, v2
	v_lshl_add_u64 v[2:3], v[2:3], 3, s[50:51]
	global_load_dwordx2 v[2:3], v[2:3], off
	s_nop 0
	global_load_dwordx2 v[12:13], v[4:5], off offset:2048
	global_load_dwordx2 v[14:15], v[10:11], off
	global_load_dwordx2 v[16:17], v[10:11], off offset:2048
	v_add_co_u32_e32 v4, vcc, 0x7000, v6
	s_waitcnt vmcnt(3)
	v_add_f64 v[2:3], v[8:9], v[2:3]
	v_cvt_i32_f64_e32 v2, v[2:3]
	v_ashrrev_i32_e32 v3, 31, v2
	v_lshl_add_u64 v[2:3], v[2:3], 3, s[50:51]
	global_load_dwordx2 v[2:3], v[2:3], off
	v_addc_co_u32_e32 v5, vcc, 0, v7, vcc
	s_waitcnt vmcnt(0)
	v_add_f64 v[2:3], v[12:13], v[2:3]
	v_cvt_i32_f64_e32 v2, v[2:3]
	v_ashrrev_i32_e32 v3, 31, v2
	v_lshl_add_u64 v[2:3], v[2:3], 3, s[50:51]
	global_load_dwordx2 v[2:3], v[2:3], off
	s_waitcnt vmcnt(0)
	v_add_f64 v[2:3], v[14:15], v[2:3]
	v_cvt_i32_f64_e32 v2, v[2:3]
	v_ashrrev_i32_e32 v3, 31, v2
	v_lshl_add_u64 v[2:3], v[2:3], 3, s[50:51]
	global_load_dwordx2 v[2:3], v[2:3], off
	;; [unrolled: 6-line block ×3, first 2 shown]
	global_load_dwordx2 v[8:9], v[4:5], off
	global_load_dwordx2 v[10:11], v[4:5], off offset:2048
	s_waitcnt vmcnt(1)
	v_add_f64 v[2:3], v[8:9], v[6:7]
	v_cvt_i32_f64_e32 v2, v[2:3]
	v_ashrrev_i32_e32 v3, 31, v2
	v_lshl_add_u64 v[2:3], v[2:3], 3, s[50:51]
	global_load_dwordx2 v[2:3], v[2:3], off
	v_mbcnt_hi_u32_b32 v7, -1, v1
	v_lshlrev_b32_e32 v6, 2, v7
	v_cmp_eq_u32_e32 vcc, 0, v7
	s_waitcnt vmcnt(0)
	v_add_f64 v[2:3], v[10:11], v[2:3]
	v_cvt_i32_f64_e32 v2, v[2:3]
	v_ashrrev_i32_e32 v3, 31, v2
	v_lshl_add_u64 v[2:3], v[2:3], 3, s[50:51]
	global_load_dwordx2 v[2:3], v[2:3], off
	s_waitcnt vmcnt(0)
	s_nop 0
	v_mov_b32_dpp v4, v2 quad_perm:[1,0,3,2] row_mask:0xf bank_mask:0xf bound_ctrl:1
	v_mov_b32_dpp v5, v3 quad_perm:[1,0,3,2] row_mask:0xf bank_mask:0xf bound_ctrl:1
	v_add_f64 v[2:3], v[2:3], v[4:5]
	v_cvt_i32_f64_e32 v2, v[2:3]
	v_ashrrev_i32_e32 v3, 31, v2
	v_lshl_add_u64 v[2:3], v[2:3], 3, s[50:51]
	global_load_dwordx2 v[2:3], v[2:3], off
	s_waitcnt vmcnt(0)
	s_nop 0
	v_mov_b32_dpp v4, v2 quad_perm:[2,3,0,1] row_mask:0xf bank_mask:0xf bound_ctrl:1
	v_mov_b32_dpp v5, v3 quad_perm:[2,3,0,1] row_mask:0xf bank_mask:0xf bound_ctrl:1
	v_add_f64 v[2:3], v[2:3], v[4:5]
	v_cvt_i32_f64_e32 v2, v[2:3]
	v_ashrrev_i32_e32 v3, 31, v2
	v_lshl_add_u64 v[2:3], v[2:3], 3, s[50:51]
	global_load_dwordx2 v[2:3], v[2:3], off
	s_waitcnt vmcnt(0)
	s_nop 0
	v_mov_b32_dpp v4, v2 row_ror:4 row_mask:0xf bank_mask:0xf bound_ctrl:1
	v_mov_b32_dpp v5, v3 row_ror:4 row_mask:0xf bank_mask:0xf bound_ctrl:1
	v_add_f64 v[2:3], v[2:3], v[4:5]
	v_cvt_i32_f64_e32 v2, v[2:3]
	v_ashrrev_i32_e32 v3, 31, v2
	v_lshl_add_u64 v[2:3], v[2:3], 3, s[50:51]
	global_load_dwordx2 v[2:3], v[2:3], off
	s_waitcnt vmcnt(0)
	s_nop 0
	v_mov_b32_dpp v4, v2 row_ror:8 row_mask:0xf bank_mask:0xf bound_ctrl:1
	v_mov_b32_dpp v5, v3 row_ror:8 row_mask:0xf bank_mask:0xf bound_ctrl:1
	v_add_f64 v[2:3], v[2:3], v[4:5]
	v_cvt_i32_f64_e32 v2, v[2:3]
	v_ashrrev_i32_e32 v3, 31, v2
	v_lshl_add_u64 v[2:3], v[2:3], 3, s[50:51]
	global_load_dwordx2 v[2:3], v[2:3], off
	s_waitcnt vmcnt(0)
	s_nop 0
	v_mov_b32_dpp v4, v2 row_bcast:15 row_mask:0xf bank_mask:0xf bound_ctrl:1
	v_mov_b32_dpp v5, v3 row_bcast:15 row_mask:0xf bank_mask:0xf bound_ctrl:1
	v_add_f64 v[2:3], v[2:3], v[4:5]
	v_cvt_i32_f64_e32 v2, v[2:3]
	v_ashrrev_i32_e32 v3, 31, v2
	v_lshl_add_u64 v[2:3], v[2:3], 3, s[50:51]
	global_load_dwordx2 v[2:3], v[2:3], off
	s_waitcnt vmcnt(0)
	s_nop 0
	v_mov_b32_dpp v4, v2 row_bcast:31 row_mask:0xf bank_mask:0xf bound_ctrl:1
	v_mov_b32_dpp v5, v3 row_bcast:31 row_mask:0xf bank_mask:0xf bound_ctrl:1
	v_add_f64 v[2:3], v[2:3], v[4:5]
	v_cvt_i32_f64_e32 v2, v[2:3]
	v_ashrrev_i32_e32 v3, 31, v2
	v_lshl_add_u64 v[2:3], v[2:3], 3, s[50:51]
	global_load_dwordx2 v[2:3], v[2:3], off
	v_or_b32_e32 v4, 0xfc, v6
	s_waitcnt vmcnt(0)
	ds_bpermute_b32 v2, v4, v2
	ds_bpermute_b32 v3, v4, v3
	s_and_saveexec_b64 s[4:5], vcc
	s_cbranch_execz .LBB695_3
; %bb.2:
	v_lshrrev_b32_e32 v4, 3, v0
	v_and_b32_e32 v4, 24, v4
	s_waitcnt lgkmcnt(0)
	ds_write_b64 v4, v[2:3] offset:32
.LBB695_3:
	s_or_b64 exec, exec, s[4:5]
	v_cmp_gt_u32_e32 vcc, 64, v0
	s_mov_b64 s[4:5], 0
	s_mov_b64 s[30:31], 0
	s_waitcnt lgkmcnt(0)
	s_barrier
                                        ; implicit-def: $vgpr4_vgpr5
	s_and_saveexec_b64 s[6:7], vcc
	s_xor_b64 s[6:7], exec, s[6:7]
	s_cbranch_execz .LBB695_5
; %bb.4:
	v_and_b32_e32 v4, 3, v7
	v_lshlrev_b32_e32 v2, 3, v4
	ds_read_b64 v[2:3], v2 offset:32
	v_cmp_ne_u32_e32 vcc, 3, v4
	s_mov_b64 s[30:31], exec
	s_nop 0
	v_addc_co_u32_e32 v4, vcc, 0, v7, vcc
	v_lshlrev_b32_e32 v5, 2, v4
	s_waitcnt lgkmcnt(0)
	ds_bpermute_b32 v4, v5, v2
	ds_bpermute_b32 v5, v5, v3
	s_waitcnt lgkmcnt(0)
	v_add_f64 v[2:3], v[2:3], v[4:5]
	v_cvt_i32_f64_e32 v2, v[2:3]
	v_ashrrev_i32_e32 v3, 31, v2
	v_lshl_add_u64 v[2:3], v[2:3], 3, s[50:51]
	global_load_dwordx2 v[2:3], v[2:3], off
	v_or_b32_e32 v5, 8, v6
	s_waitcnt vmcnt(0)
	ds_bpermute_b32 v4, v5, v2
	ds_bpermute_b32 v5, v5, v3
.LBB695_5:
	s_or_b64 exec, exec, s[6:7]
	s_and_b64 vcc, exec, s[4:5]
	s_cbranch_vccnz .LBB695_7
	s_branch .LBB695_75
.LBB695_6:
	s_mov_b64 s[30:31], 0
                                        ; implicit-def: $vgpr4_vgpr5
                                        ; implicit-def: $vgpr2_vgpr3
	s_cbranch_execz .LBB695_75
.LBB695_7:
	s_sub_i32 s33, s40, s0
	v_mov_b32_e32 v2, 0
	v_cmp_gt_u32_e32 vcc, s33, v0
	v_mov_b32_e32 v3, v2
	s_waitcnt lgkmcnt(1)
	v_mov_b32_e32 v4, v2
	s_waitcnt lgkmcnt(0)
	v_mov_b32_e32 v5, v2
	v_mov_b32_e32 v6, v2
	;; [unrolled: 1-line block ×29, first 2 shown]
	s_and_saveexec_b64 s[0:1], vcc
	s_cbranch_execz .LBB695_9
; %bb.8:
	global_load_dwordx2 v[36:37], v34, s[34:35]
	v_mov_b32_e32 v38, v2
	v_mov_b32_e32 v39, v2
	;; [unrolled: 1-line block ×30, first 2 shown]
	s_waitcnt vmcnt(0)
	v_mov_b64_e32 v[2:3], v[36:37]
	v_mov_b64_e32 v[4:5], v[38:39]
	;; [unrolled: 1-line block ×16, first 2 shown]
.LBB695_9:
	s_or_b64 exec, exec, s[0:1]
	v_or_b32_e32 v35, 0x100, v0
	v_cmp_gt_u32_e64 s[28:29], s33, v35
	s_and_saveexec_b64 s[0:1], s[28:29]
	s_cbranch_execz .LBB695_11
; %bb.10:
	global_load_dwordx2 v[4:5], v34, s[34:35] offset:2048
.LBB695_11:
	s_or_b64 exec, exec, s[0:1]
	v_or_b32_e32 v34, 0x200, v0
	v_cmp_gt_u32_e64 s[26:27], s33, v34
	s_and_saveexec_b64 s[0:1], s[26:27]
	s_cbranch_execz .LBB695_13
; %bb.12:
	v_lshlrev_b32_e32 v6, 3, v34
	global_load_dwordx2 v[6:7], v6, s[34:35]
.LBB695_13:
	s_or_b64 exec, exec, s[0:1]
	v_or_b32_e32 v34, 0x300, v0
	v_cmp_gt_u32_e64 s[24:25], s33, v34
	s_and_saveexec_b64 s[0:1], s[24:25]
	s_cbranch_execz .LBB695_15
; %bb.14:
	v_lshlrev_b32_e32 v8, 3, v34
	global_load_dwordx2 v[8:9], v8, s[34:35]
.LBB695_15:
	;; [unrolled: 9-line block ×13, first 2 shown]
	s_or_b64 exec, exec, s[36:37]
	v_or_b32_e32 v34, 0xf00, v0
	v_cmp_gt_u32_e32 vcc, s33, v34
	s_and_saveexec_b64 s[36:37], vcc
	s_cbranch_execnz .LBB695_80
; %bb.38:
	s_or_b64 exec, exec, s[36:37]
	s_and_saveexec_b64 s[34:35], s[28:29]
	s_cbranch_execnz .LBB695_81
.LBB695_39:
	s_or_b64 exec, exec, s[34:35]
	s_and_saveexec_b64 s[28:29], s[26:27]
	s_cbranch_execnz .LBB695_82
.LBB695_40:
	s_or_b64 exec, exec, s[28:29]
	s_and_saveexec_b64 s[26:27], s[24:25]
	s_cbranch_execnz .LBB695_83
.LBB695_41:
	s_or_b64 exec, exec, s[26:27]
	s_and_saveexec_b64 s[24:25], s[22:23]
	s_cbranch_execnz .LBB695_84
.LBB695_42:
	s_or_b64 exec, exec, s[24:25]
	s_and_saveexec_b64 s[22:23], s[20:21]
	s_cbranch_execnz .LBB695_85
.LBB695_43:
	s_or_b64 exec, exec, s[22:23]
	s_and_saveexec_b64 s[20:21], s[18:19]
	s_cbranch_execnz .LBB695_86
.LBB695_44:
	s_or_b64 exec, exec, s[20:21]
	s_and_saveexec_b64 s[18:19], s[16:17]
	s_cbranch_execnz .LBB695_87
.LBB695_45:
	s_or_b64 exec, exec, s[18:19]
	s_and_saveexec_b64 s[16:17], s[14:15]
	s_cbranch_execnz .LBB695_88
.LBB695_46:
	s_or_b64 exec, exec, s[16:17]
	s_and_saveexec_b64 s[14:15], s[12:13]
	s_cbranch_execnz .LBB695_89
.LBB695_47:
	s_or_b64 exec, exec, s[14:15]
	s_and_saveexec_b64 s[12:13], s[10:11]
	s_cbranch_execnz .LBB695_90
.LBB695_48:
	s_or_b64 exec, exec, s[12:13]
	s_and_saveexec_b64 s[10:11], s[8:9]
	s_cbranch_execnz .LBB695_91
.LBB695_49:
	s_or_b64 exec, exec, s[10:11]
	s_and_saveexec_b64 s[8:9], s[6:7]
	s_cbranch_execnz .LBB695_92
.LBB695_50:
	s_or_b64 exec, exec, s[8:9]
	s_and_saveexec_b64 s[6:7], s[4:5]
	s_cbranch_execnz .LBB695_93
.LBB695_51:
	s_or_b64 exec, exec, s[6:7]
	s_and_saveexec_b64 s[4:5], s[0:1]
	s_cbranch_execnz .LBB695_94
.LBB695_52:
	s_or_b64 exec, exec, s[4:5]
	s_and_saveexec_b64 s[0:1], vcc
	s_cbranch_execz .LBB695_54
.LBB695_53:
	s_waitcnt vmcnt(0)
	v_add_f64 v[2:3], v[32:33], v[2:3]
	v_cvt_i32_f64_e32 v2, v[2:3]
	v_ashrrev_i32_e32 v3, 31, v2
	v_lshl_add_u64 v[2:3], v[2:3], 3, s[50:51]
	global_load_dwordx2 v[2:3], v[2:3], off
.LBB695_54:
	s_or_b64 exec, exec, s[0:1]
	v_mbcnt_hi_u32_b32 v1, -1, v1
	s_waitcnt vmcnt(0)
	v_and_b32_e32 v6, 63, v1
	v_cmp_ne_u32_e32 vcc, 63, v6
	s_min_u32 s4, s33, 0x100
	v_and_b32_e32 v7, 0xc0, v0
	v_addc_co_u32_e32 v4, vcc, 0, v1, vcc
	v_lshlrev_b32_e32 v5, 2, v4
	ds_bpermute_b32 v4, v5, v2
	ds_bpermute_b32 v5, v5, v3
	v_sub_u32_e64 v7, s4, v7 clamp
	v_add_u32_e32 v8, 1, v6
	v_cmp_lt_u32_e32 vcc, v8, v7
	s_and_saveexec_b64 s[0:1], vcc
	s_xor_b64 s[0:1], exec, s[0:1]
	s_cbranch_execz .LBB695_56
; %bb.55:
	s_waitcnt lgkmcnt(0)
	v_add_f64 v[2:3], v[2:3], v[4:5]
	v_cvt_i32_f64_e32 v2, v[2:3]
	v_ashrrev_i32_e32 v3, 31, v2
	v_lshl_add_u64 v[2:3], v[2:3], 3, s[50:51]
	global_load_dwordx2 v[2:3], v[2:3], off
.LBB695_56:
	s_or_b64 exec, exec, s[0:1]
	v_cmp_gt_u32_e32 vcc, 62, v6
	v_add_u32_e32 v8, 2, v6
	s_waitcnt lgkmcnt(1)
	v_cndmask_b32_e64 v4, 0, 2, vcc
	s_waitcnt lgkmcnt(0)
	v_add_lshl_u32 v5, v4, v1, 2
	s_waitcnt vmcnt(0)
	ds_bpermute_b32 v4, v5, v2
	ds_bpermute_b32 v5, v5, v3
	v_cmp_lt_u32_e32 vcc, v8, v7
	s_and_saveexec_b64 s[0:1], vcc
	s_cbranch_execz .LBB695_58
; %bb.57:
	s_waitcnt lgkmcnt(0)
	v_add_f64 v[2:3], v[2:3], v[4:5]
	v_cvt_i32_f64_e32 v2, v[2:3]
	v_ashrrev_i32_e32 v3, 31, v2
	v_lshl_add_u64 v[2:3], v[2:3], 3, s[50:51]
	global_load_dwordx2 v[2:3], v[2:3], off
.LBB695_58:
	s_or_b64 exec, exec, s[0:1]
	v_cmp_gt_u32_e32 vcc, 60, v6
	v_add_u32_e32 v8, 4, v6
	s_waitcnt lgkmcnt(1)
	v_cndmask_b32_e64 v4, 0, 4, vcc
	s_waitcnt lgkmcnt(0)
	v_add_lshl_u32 v5, v4, v1, 2
	s_waitcnt vmcnt(0)
	ds_bpermute_b32 v4, v5, v2
	ds_bpermute_b32 v5, v5, v3
	v_cmp_lt_u32_e32 vcc, v8, v7
	s_and_saveexec_b64 s[0:1], vcc
	;; [unrolled: 21-line block ×4, first 2 shown]
	s_cbranch_execz .LBB695_64
; %bb.63:
	s_waitcnt lgkmcnt(0)
	v_add_f64 v[2:3], v[2:3], v[4:5]
	v_cvt_i32_f64_e32 v2, v[2:3]
	v_ashrrev_i32_e32 v3, 31, v2
	v_lshl_add_u64 v[2:3], v[2:3], 3, s[50:51]
	global_load_dwordx2 v[2:3], v[2:3], off
.LBB695_64:
	s_or_b64 exec, exec, s[0:1]
	v_lshlrev_b32_e32 v8, 2, v1
	s_waitcnt lgkmcnt(0)
	v_or_b32_e32 v5, 0x80, v8
	s_waitcnt vmcnt(0)
	ds_bpermute_b32 v4, v5, v2
	ds_bpermute_b32 v5, v5, v3
	v_add_u32_e32 v6, 32, v6
	v_cmp_lt_u32_e32 vcc, v6, v7
	s_and_saveexec_b64 s[0:1], vcc
	s_cbranch_execz .LBB695_66
; %bb.65:
	s_waitcnt lgkmcnt(0)
	v_add_f64 v[2:3], v[2:3], v[4:5]
	v_cvt_i32_f64_e32 v2, v[2:3]
	v_ashrrev_i32_e32 v3, 31, v2
	v_lshl_add_u64 v[2:3], v[2:3], 3, s[50:51]
	global_load_dwordx2 v[2:3], v[2:3], off
.LBB695_66:
	s_or_b64 exec, exec, s[0:1]
	v_cmp_eq_u32_e32 vcc, 0, v1
	s_and_saveexec_b64 s[0:1], vcc
	s_cbranch_execz .LBB695_68
; %bb.67:
	s_waitcnt lgkmcnt(1)
	v_lshrrev_b32_e32 v4, 3, v0
	v_and_b32_e32 v4, 24, v4
	s_waitcnt vmcnt(0)
	ds_write_b64 v4, v[2:3]
.LBB695_68:
	s_or_b64 exec, exec, s[0:1]
	v_cmp_gt_u32_e32 vcc, 4, v0
	s_waitcnt lgkmcnt(0)
	s_barrier
                                        ; implicit-def: $vgpr4_vgpr5
	s_and_saveexec_b64 s[0:1], vcc
	s_cbranch_execz .LBB695_74
; %bb.69:
	s_waitcnt vmcnt(0)
	v_lshlrev_b32_e32 v2, 3, v1
	ds_read_b64 v[2:3], v2
	v_and_b32_e32 v6, 3, v1
	v_cmp_ne_u32_e32 vcc, 3, v6
	s_add_i32 s4, s4, 63
	s_lshr_b32 s6, s4, 6
	v_addc_co_u32_e32 v1, vcc, 0, v1, vcc
	v_lshlrev_b32_e32 v1, 2, v1
	s_waitcnt lgkmcnt(0)
	ds_bpermute_b32 v4, v1, v2
	ds_bpermute_b32 v5, v1, v3
	v_add_u32_e32 v1, 1, v6
	v_cmp_gt_u32_e32 vcc, s6, v1
	s_and_saveexec_b64 s[4:5], vcc
	s_cbranch_execz .LBB695_71
; %bb.70:
	s_waitcnt lgkmcnt(0)
	v_add_f64 v[2:3], v[2:3], v[4:5]
	v_cvt_i32_f64_e32 v2, v[2:3]
	v_ashrrev_i32_e32 v3, 31, v2
	v_lshl_add_u64 v[2:3], v[2:3], 3, s[50:51]
	global_load_dwordx2 v[2:3], v[2:3], off
.LBB695_71:
	s_or_b64 exec, exec, s[4:5]
	v_or_b32_e32 v1, 8, v8
	s_waitcnt vmcnt(0) lgkmcnt(1)
	ds_bpermute_b32 v4, v1, v2
	s_waitcnt lgkmcnt(1)
	ds_bpermute_b32 v5, v1, v3
	v_add_u32_e32 v1, 2, v6
	v_cmp_gt_u32_e32 vcc, s6, v1
	s_mov_b64 s[4:5], s[30:31]
	s_and_saveexec_b64 s[6:7], vcc
; %bb.72:
	s_or_b64 s[4:5], s[30:31], exec
; %bb.73:
	s_or_b64 exec, exec, s[6:7]
	s_andn2_b64 s[6:7], s[30:31], exec
	s_and_b64 s[4:5], s[4:5], exec
	s_or_b64 s[30:31], s[6:7], s[4:5]
.LBB695_74:
	s_or_b64 exec, exec, s[0:1]
.LBB695_75:
	s_and_saveexec_b64 s[0:1], s[30:31]
	s_cbranch_execnz .LBB695_78
; %bb.76:
	s_or_b64 exec, exec, s[0:1]
	v_cmp_eq_u32_e32 vcc, 0, v0
	s_and_saveexec_b64 s[0:1], vcc
	s_cbranch_execnz .LBB695_79
.LBB695_77:
	s_endpgm
.LBB695_78:
	s_waitcnt vmcnt(0) lgkmcnt(0)
	v_add_f64 v[2:3], v[2:3], v[4:5]
	v_cvt_i32_f64_e32 v2, v[2:3]
	v_ashrrev_i32_e32 v3, 31, v2
	v_lshl_add_u64 v[2:3], v[2:3], 3, s[50:51]
	global_load_dwordx2 v[2:3], v[2:3], off
	s_or_b64 exec, exec, s[0:1]
	v_cmp_eq_u32_e32 vcc, 0, v0
	s_and_saveexec_b64 s[0:1], vcc
	s_cbranch_execz .LBB695_77
.LBB695_79:
	s_mul_i32 s0, s46, s45
	s_mul_hi_u32 s1, s46, s44
	s_add_i32 s0, s1, s0
	s_mul_i32 s1, s47, s44
	s_add_i32 s1, s0, s1
	s_mul_i32 s0, s46, s44
	s_lshl_b64 s[0:1], s[0:1], 3
	s_add_u32 s4, s42, s0
	s_addc_u32 s5, s43, s1
	s_cmp_eq_u64 s[40:41], 0
	v_mov_b32_e32 v0, s49
	s_cselect_b64 vcc, -1, 0
	s_lshl_b64 s[0:1], s[2:3], 3
	s_waitcnt vmcnt(0)
	v_cndmask_b32_e32 v1, v3, v0, vcc
	v_mov_b32_e32 v0, s48
	s_add_u32 s0, s4, s0
	v_cndmask_b32_e32 v0, v2, v0, vcc
	s_addc_u32 s1, s5, s1
	v_mov_b32_e32 v2, 0
	global_store_dwordx2 v2, v[0:1], s[0:1]
	s_endpgm
.LBB695_80:
	v_lshlrev_b32_e32 v32, 3, v34
	global_load_dwordx2 v[32:33], v32, s[34:35]
	s_or_b64 exec, exec, s[36:37]
	s_and_saveexec_b64 s[34:35], s[28:29]
	s_cbranch_execz .LBB695_39
.LBB695_81:
	s_waitcnt vmcnt(0)
	v_add_f64 v[2:3], v[2:3], v[4:5]
	v_cvt_i32_f64_e32 v2, v[2:3]
	v_ashrrev_i32_e32 v3, 31, v2
	v_lshl_add_u64 v[2:3], v[2:3], 3, s[50:51]
	global_load_dwordx2 v[2:3], v[2:3], off
	s_or_b64 exec, exec, s[34:35]
	s_and_saveexec_b64 s[28:29], s[26:27]
	s_cbranch_execz .LBB695_40
.LBB695_82:
	s_waitcnt vmcnt(0)
	v_add_f64 v[2:3], v[6:7], v[2:3]
	v_cvt_i32_f64_e32 v2, v[2:3]
	v_ashrrev_i32_e32 v3, 31, v2
	v_lshl_add_u64 v[2:3], v[2:3], 3, s[50:51]
	global_load_dwordx2 v[2:3], v[2:3], off
	s_or_b64 exec, exec, s[28:29]
	s_and_saveexec_b64 s[26:27], s[24:25]
	s_cbranch_execz .LBB695_41
.LBB695_83:
	s_waitcnt vmcnt(0)
	v_add_f64 v[2:3], v[8:9], v[2:3]
	v_cvt_i32_f64_e32 v2, v[2:3]
	v_ashrrev_i32_e32 v3, 31, v2
	v_lshl_add_u64 v[2:3], v[2:3], 3, s[50:51]
	global_load_dwordx2 v[2:3], v[2:3], off
	s_or_b64 exec, exec, s[26:27]
	s_and_saveexec_b64 s[24:25], s[22:23]
	s_cbranch_execz .LBB695_42
.LBB695_84:
	s_waitcnt vmcnt(0)
	v_add_f64 v[2:3], v[10:11], v[2:3]
	v_cvt_i32_f64_e32 v2, v[2:3]
	v_ashrrev_i32_e32 v3, 31, v2
	v_lshl_add_u64 v[2:3], v[2:3], 3, s[50:51]
	global_load_dwordx2 v[2:3], v[2:3], off
	s_or_b64 exec, exec, s[24:25]
	s_and_saveexec_b64 s[22:23], s[20:21]
	s_cbranch_execz .LBB695_43
.LBB695_85:
	s_waitcnt vmcnt(0)
	v_add_f64 v[2:3], v[12:13], v[2:3]
	v_cvt_i32_f64_e32 v2, v[2:3]
	v_ashrrev_i32_e32 v3, 31, v2
	v_lshl_add_u64 v[2:3], v[2:3], 3, s[50:51]
	global_load_dwordx2 v[2:3], v[2:3], off
	s_or_b64 exec, exec, s[22:23]
	s_and_saveexec_b64 s[20:21], s[18:19]
	s_cbranch_execz .LBB695_44
.LBB695_86:
	s_waitcnt vmcnt(0)
	v_add_f64 v[2:3], v[14:15], v[2:3]
	v_cvt_i32_f64_e32 v2, v[2:3]
	v_ashrrev_i32_e32 v3, 31, v2
	v_lshl_add_u64 v[2:3], v[2:3], 3, s[50:51]
	global_load_dwordx2 v[2:3], v[2:3], off
	s_or_b64 exec, exec, s[20:21]
	s_and_saveexec_b64 s[18:19], s[16:17]
	s_cbranch_execz .LBB695_45
.LBB695_87:
	s_waitcnt vmcnt(0)
	v_add_f64 v[2:3], v[16:17], v[2:3]
	v_cvt_i32_f64_e32 v2, v[2:3]
	v_ashrrev_i32_e32 v3, 31, v2
	v_lshl_add_u64 v[2:3], v[2:3], 3, s[50:51]
	global_load_dwordx2 v[2:3], v[2:3], off
	s_or_b64 exec, exec, s[18:19]
	s_and_saveexec_b64 s[16:17], s[14:15]
	s_cbranch_execz .LBB695_46
.LBB695_88:
	s_waitcnt vmcnt(0)
	v_add_f64 v[2:3], v[18:19], v[2:3]
	v_cvt_i32_f64_e32 v2, v[2:3]
	v_ashrrev_i32_e32 v3, 31, v2
	v_lshl_add_u64 v[2:3], v[2:3], 3, s[50:51]
	global_load_dwordx2 v[2:3], v[2:3], off
	s_or_b64 exec, exec, s[16:17]
	s_and_saveexec_b64 s[14:15], s[12:13]
	s_cbranch_execz .LBB695_47
.LBB695_89:
	s_waitcnt vmcnt(0)
	v_add_f64 v[2:3], v[20:21], v[2:3]
	v_cvt_i32_f64_e32 v2, v[2:3]
	v_ashrrev_i32_e32 v3, 31, v2
	v_lshl_add_u64 v[2:3], v[2:3], 3, s[50:51]
	global_load_dwordx2 v[2:3], v[2:3], off
	s_or_b64 exec, exec, s[14:15]
	s_and_saveexec_b64 s[12:13], s[10:11]
	s_cbranch_execz .LBB695_48
.LBB695_90:
	s_waitcnt vmcnt(0)
	v_add_f64 v[2:3], v[22:23], v[2:3]
	v_cvt_i32_f64_e32 v2, v[2:3]
	v_ashrrev_i32_e32 v3, 31, v2
	v_lshl_add_u64 v[2:3], v[2:3], 3, s[50:51]
	global_load_dwordx2 v[2:3], v[2:3], off
	s_or_b64 exec, exec, s[12:13]
	s_and_saveexec_b64 s[10:11], s[8:9]
	s_cbranch_execz .LBB695_49
.LBB695_91:
	s_waitcnt vmcnt(0)
	v_add_f64 v[2:3], v[24:25], v[2:3]
	v_cvt_i32_f64_e32 v2, v[2:3]
	v_ashrrev_i32_e32 v3, 31, v2
	v_lshl_add_u64 v[2:3], v[2:3], 3, s[50:51]
	global_load_dwordx2 v[2:3], v[2:3], off
	s_or_b64 exec, exec, s[10:11]
	s_and_saveexec_b64 s[8:9], s[6:7]
	s_cbranch_execz .LBB695_50
.LBB695_92:
	s_waitcnt vmcnt(0)
	v_add_f64 v[2:3], v[26:27], v[2:3]
	v_cvt_i32_f64_e32 v2, v[2:3]
	v_ashrrev_i32_e32 v3, 31, v2
	v_lshl_add_u64 v[2:3], v[2:3], 3, s[50:51]
	global_load_dwordx2 v[2:3], v[2:3], off
	s_or_b64 exec, exec, s[8:9]
	s_and_saveexec_b64 s[6:7], s[4:5]
	s_cbranch_execz .LBB695_51
.LBB695_93:
	s_waitcnt vmcnt(0)
	v_add_f64 v[2:3], v[28:29], v[2:3]
	v_cvt_i32_f64_e32 v2, v[2:3]
	v_ashrrev_i32_e32 v3, 31, v2
	v_lshl_add_u64 v[2:3], v[2:3], 3, s[50:51]
	global_load_dwordx2 v[2:3], v[2:3], off
	s_or_b64 exec, exec, s[6:7]
	s_and_saveexec_b64 s[4:5], s[0:1]
	s_cbranch_execz .LBB695_52
.LBB695_94:
	s_waitcnt vmcnt(0)
	v_add_f64 v[2:3], v[30:31], v[2:3]
	v_cvt_i32_f64_e32 v2, v[2:3]
	v_ashrrev_i32_e32 v3, 31, v2
	v_lshl_add_u64 v[2:3], v[2:3], 3, s[50:51]
	global_load_dwordx2 v[2:3], v[2:3], off
	s_or_b64 exec, exec, s[4:5]
	s_and_saveexec_b64 s[0:1], vcc
	s_cbranch_execnz .LBB695_53
	s_branch .LBB695_54
	.section	.rodata,"a",@progbits
	.p2align	6, 0x0
	.amdhsa_kernel _ZN7rocprim17ROCPRIM_400000_NS6detail17trampoline_kernelINS0_14default_configENS1_22reduce_config_selectorIdEEZNS1_11reduce_implILb1ES3_PdS7_d9plus_mod3IdEEE10hipError_tPvRmT1_T2_T3_mT4_P12ihipStream_tbEUlT_E0_NS1_11comp_targetILNS1_3genE0ELNS1_11target_archE4294967295ELNS1_3gpuE0ELNS1_3repE0EEENS1_30default_config_static_selectorELNS0_4arch9wavefront6targetE1EEEvSD_
		.amdhsa_group_segment_fixed_size 64
		.amdhsa_private_segment_fixed_size 0
		.amdhsa_kernarg_size 64
		.amdhsa_user_sgpr_count 2
		.amdhsa_user_sgpr_dispatch_ptr 0
		.amdhsa_user_sgpr_queue_ptr 0
		.amdhsa_user_sgpr_kernarg_segment_ptr 1
		.amdhsa_user_sgpr_dispatch_id 0
		.amdhsa_user_sgpr_kernarg_preload_length 0
		.amdhsa_user_sgpr_kernarg_preload_offset 0
		.amdhsa_user_sgpr_private_segment_size 0
		.amdhsa_uses_dynamic_stack 0
		.amdhsa_enable_private_segment 0
		.amdhsa_system_sgpr_workgroup_id_x 1
		.amdhsa_system_sgpr_workgroup_id_y 0
		.amdhsa_system_sgpr_workgroup_id_z 0
		.amdhsa_system_sgpr_workgroup_info 0
		.amdhsa_system_vgpr_workitem_id 0
		.amdhsa_next_free_vgpr 68
		.amdhsa_next_free_sgpr 52
		.amdhsa_accum_offset 68
		.amdhsa_reserve_vcc 1
		.amdhsa_float_round_mode_32 0
		.amdhsa_float_round_mode_16_64 0
		.amdhsa_float_denorm_mode_32 3
		.amdhsa_float_denorm_mode_16_64 3
		.amdhsa_dx10_clamp 1
		.amdhsa_ieee_mode 1
		.amdhsa_fp16_overflow 0
		.amdhsa_tg_split 0
		.amdhsa_exception_fp_ieee_invalid_op 0
		.amdhsa_exception_fp_denorm_src 0
		.amdhsa_exception_fp_ieee_div_zero 0
		.amdhsa_exception_fp_ieee_overflow 0
		.amdhsa_exception_fp_ieee_underflow 0
		.amdhsa_exception_fp_ieee_inexact 0
		.amdhsa_exception_int_div_zero 0
	.end_amdhsa_kernel
	.section	.text._ZN7rocprim17ROCPRIM_400000_NS6detail17trampoline_kernelINS0_14default_configENS1_22reduce_config_selectorIdEEZNS1_11reduce_implILb1ES3_PdS7_d9plus_mod3IdEEE10hipError_tPvRmT1_T2_T3_mT4_P12ihipStream_tbEUlT_E0_NS1_11comp_targetILNS1_3genE0ELNS1_11target_archE4294967295ELNS1_3gpuE0ELNS1_3repE0EEENS1_30default_config_static_selectorELNS0_4arch9wavefront6targetE1EEEvSD_,"axG",@progbits,_ZN7rocprim17ROCPRIM_400000_NS6detail17trampoline_kernelINS0_14default_configENS1_22reduce_config_selectorIdEEZNS1_11reduce_implILb1ES3_PdS7_d9plus_mod3IdEEE10hipError_tPvRmT1_T2_T3_mT4_P12ihipStream_tbEUlT_E0_NS1_11comp_targetILNS1_3genE0ELNS1_11target_archE4294967295ELNS1_3gpuE0ELNS1_3repE0EEENS1_30default_config_static_selectorELNS0_4arch9wavefront6targetE1EEEvSD_,comdat
.Lfunc_end695:
	.size	_ZN7rocprim17ROCPRIM_400000_NS6detail17trampoline_kernelINS0_14default_configENS1_22reduce_config_selectorIdEEZNS1_11reduce_implILb1ES3_PdS7_d9plus_mod3IdEEE10hipError_tPvRmT1_T2_T3_mT4_P12ihipStream_tbEUlT_E0_NS1_11comp_targetILNS1_3genE0ELNS1_11target_archE4294967295ELNS1_3gpuE0ELNS1_3repE0EEENS1_30default_config_static_selectorELNS0_4arch9wavefront6targetE1EEEvSD_, .Lfunc_end695-_ZN7rocprim17ROCPRIM_400000_NS6detail17trampoline_kernelINS0_14default_configENS1_22reduce_config_selectorIdEEZNS1_11reduce_implILb1ES3_PdS7_d9plus_mod3IdEEE10hipError_tPvRmT1_T2_T3_mT4_P12ihipStream_tbEUlT_E0_NS1_11comp_targetILNS1_3genE0ELNS1_11target_archE4294967295ELNS1_3gpuE0ELNS1_3repE0EEENS1_30default_config_static_selectorELNS0_4arch9wavefront6targetE1EEEvSD_
                                        ; -- End function
	.set _ZN7rocprim17ROCPRIM_400000_NS6detail17trampoline_kernelINS0_14default_configENS1_22reduce_config_selectorIdEEZNS1_11reduce_implILb1ES3_PdS7_d9plus_mod3IdEEE10hipError_tPvRmT1_T2_T3_mT4_P12ihipStream_tbEUlT_E0_NS1_11comp_targetILNS1_3genE0ELNS1_11target_archE4294967295ELNS1_3gpuE0ELNS1_3repE0EEENS1_30default_config_static_selectorELNS0_4arch9wavefront6targetE1EEEvSD_.num_vgpr, 68
	.set _ZN7rocprim17ROCPRIM_400000_NS6detail17trampoline_kernelINS0_14default_configENS1_22reduce_config_selectorIdEEZNS1_11reduce_implILb1ES3_PdS7_d9plus_mod3IdEEE10hipError_tPvRmT1_T2_T3_mT4_P12ihipStream_tbEUlT_E0_NS1_11comp_targetILNS1_3genE0ELNS1_11target_archE4294967295ELNS1_3gpuE0ELNS1_3repE0EEENS1_30default_config_static_selectorELNS0_4arch9wavefront6targetE1EEEvSD_.num_agpr, 0
	.set _ZN7rocprim17ROCPRIM_400000_NS6detail17trampoline_kernelINS0_14default_configENS1_22reduce_config_selectorIdEEZNS1_11reduce_implILb1ES3_PdS7_d9plus_mod3IdEEE10hipError_tPvRmT1_T2_T3_mT4_P12ihipStream_tbEUlT_E0_NS1_11comp_targetILNS1_3genE0ELNS1_11target_archE4294967295ELNS1_3gpuE0ELNS1_3repE0EEENS1_30default_config_static_selectorELNS0_4arch9wavefront6targetE1EEEvSD_.numbered_sgpr, 52
	.set _ZN7rocprim17ROCPRIM_400000_NS6detail17trampoline_kernelINS0_14default_configENS1_22reduce_config_selectorIdEEZNS1_11reduce_implILb1ES3_PdS7_d9plus_mod3IdEEE10hipError_tPvRmT1_T2_T3_mT4_P12ihipStream_tbEUlT_E0_NS1_11comp_targetILNS1_3genE0ELNS1_11target_archE4294967295ELNS1_3gpuE0ELNS1_3repE0EEENS1_30default_config_static_selectorELNS0_4arch9wavefront6targetE1EEEvSD_.num_named_barrier, 0
	.set _ZN7rocprim17ROCPRIM_400000_NS6detail17trampoline_kernelINS0_14default_configENS1_22reduce_config_selectorIdEEZNS1_11reduce_implILb1ES3_PdS7_d9plus_mod3IdEEE10hipError_tPvRmT1_T2_T3_mT4_P12ihipStream_tbEUlT_E0_NS1_11comp_targetILNS1_3genE0ELNS1_11target_archE4294967295ELNS1_3gpuE0ELNS1_3repE0EEENS1_30default_config_static_selectorELNS0_4arch9wavefront6targetE1EEEvSD_.private_seg_size, 0
	.set _ZN7rocprim17ROCPRIM_400000_NS6detail17trampoline_kernelINS0_14default_configENS1_22reduce_config_selectorIdEEZNS1_11reduce_implILb1ES3_PdS7_d9plus_mod3IdEEE10hipError_tPvRmT1_T2_T3_mT4_P12ihipStream_tbEUlT_E0_NS1_11comp_targetILNS1_3genE0ELNS1_11target_archE4294967295ELNS1_3gpuE0ELNS1_3repE0EEENS1_30default_config_static_selectorELNS0_4arch9wavefront6targetE1EEEvSD_.uses_vcc, 1
	.set _ZN7rocprim17ROCPRIM_400000_NS6detail17trampoline_kernelINS0_14default_configENS1_22reduce_config_selectorIdEEZNS1_11reduce_implILb1ES3_PdS7_d9plus_mod3IdEEE10hipError_tPvRmT1_T2_T3_mT4_P12ihipStream_tbEUlT_E0_NS1_11comp_targetILNS1_3genE0ELNS1_11target_archE4294967295ELNS1_3gpuE0ELNS1_3repE0EEENS1_30default_config_static_selectorELNS0_4arch9wavefront6targetE1EEEvSD_.uses_flat_scratch, 0
	.set _ZN7rocprim17ROCPRIM_400000_NS6detail17trampoline_kernelINS0_14default_configENS1_22reduce_config_selectorIdEEZNS1_11reduce_implILb1ES3_PdS7_d9plus_mod3IdEEE10hipError_tPvRmT1_T2_T3_mT4_P12ihipStream_tbEUlT_E0_NS1_11comp_targetILNS1_3genE0ELNS1_11target_archE4294967295ELNS1_3gpuE0ELNS1_3repE0EEENS1_30default_config_static_selectorELNS0_4arch9wavefront6targetE1EEEvSD_.has_dyn_sized_stack, 0
	.set _ZN7rocprim17ROCPRIM_400000_NS6detail17trampoline_kernelINS0_14default_configENS1_22reduce_config_selectorIdEEZNS1_11reduce_implILb1ES3_PdS7_d9plus_mod3IdEEE10hipError_tPvRmT1_T2_T3_mT4_P12ihipStream_tbEUlT_E0_NS1_11comp_targetILNS1_3genE0ELNS1_11target_archE4294967295ELNS1_3gpuE0ELNS1_3repE0EEENS1_30default_config_static_selectorELNS0_4arch9wavefront6targetE1EEEvSD_.has_recursion, 0
	.set _ZN7rocprim17ROCPRIM_400000_NS6detail17trampoline_kernelINS0_14default_configENS1_22reduce_config_selectorIdEEZNS1_11reduce_implILb1ES3_PdS7_d9plus_mod3IdEEE10hipError_tPvRmT1_T2_T3_mT4_P12ihipStream_tbEUlT_E0_NS1_11comp_targetILNS1_3genE0ELNS1_11target_archE4294967295ELNS1_3gpuE0ELNS1_3repE0EEENS1_30default_config_static_selectorELNS0_4arch9wavefront6targetE1EEEvSD_.has_indirect_call, 0
	.section	.AMDGPU.csdata,"",@progbits
; Kernel info:
; codeLenInByte = 4332
; TotalNumSgprs: 58
; NumVgprs: 68
; NumAgprs: 0
; TotalNumVgprs: 68
; ScratchSize: 0
; MemoryBound: 0
; FloatMode: 240
; IeeeMode: 1
; LDSByteSize: 64 bytes/workgroup (compile time only)
; SGPRBlocks: 7
; VGPRBlocks: 8
; NumSGPRsForWavesPerEU: 58
; NumVGPRsForWavesPerEU: 68
; AccumOffset: 68
; Occupancy: 7
; WaveLimiterHint : 1
; COMPUTE_PGM_RSRC2:SCRATCH_EN: 0
; COMPUTE_PGM_RSRC2:USER_SGPR: 2
; COMPUTE_PGM_RSRC2:TRAP_HANDLER: 0
; COMPUTE_PGM_RSRC2:TGID_X_EN: 1
; COMPUTE_PGM_RSRC2:TGID_Y_EN: 0
; COMPUTE_PGM_RSRC2:TGID_Z_EN: 0
; COMPUTE_PGM_RSRC2:TIDIG_COMP_CNT: 0
; COMPUTE_PGM_RSRC3_GFX90A:ACCUM_OFFSET: 16
; COMPUTE_PGM_RSRC3_GFX90A:TG_SPLIT: 0
	.section	.text._ZN7rocprim17ROCPRIM_400000_NS6detail17trampoline_kernelINS0_14default_configENS1_22reduce_config_selectorIdEEZNS1_11reduce_implILb1ES3_PdS7_d9plus_mod3IdEEE10hipError_tPvRmT1_T2_T3_mT4_P12ihipStream_tbEUlT_E0_NS1_11comp_targetILNS1_3genE5ELNS1_11target_archE942ELNS1_3gpuE9ELNS1_3repE0EEENS1_30default_config_static_selectorELNS0_4arch9wavefront6targetE1EEEvSD_,"axG",@progbits,_ZN7rocprim17ROCPRIM_400000_NS6detail17trampoline_kernelINS0_14default_configENS1_22reduce_config_selectorIdEEZNS1_11reduce_implILb1ES3_PdS7_d9plus_mod3IdEEE10hipError_tPvRmT1_T2_T3_mT4_P12ihipStream_tbEUlT_E0_NS1_11comp_targetILNS1_3genE5ELNS1_11target_archE942ELNS1_3gpuE9ELNS1_3repE0EEENS1_30default_config_static_selectorELNS0_4arch9wavefront6targetE1EEEvSD_,comdat
	.protected	_ZN7rocprim17ROCPRIM_400000_NS6detail17trampoline_kernelINS0_14default_configENS1_22reduce_config_selectorIdEEZNS1_11reduce_implILb1ES3_PdS7_d9plus_mod3IdEEE10hipError_tPvRmT1_T2_T3_mT4_P12ihipStream_tbEUlT_E0_NS1_11comp_targetILNS1_3genE5ELNS1_11target_archE942ELNS1_3gpuE9ELNS1_3repE0EEENS1_30default_config_static_selectorELNS0_4arch9wavefront6targetE1EEEvSD_ ; -- Begin function _ZN7rocprim17ROCPRIM_400000_NS6detail17trampoline_kernelINS0_14default_configENS1_22reduce_config_selectorIdEEZNS1_11reduce_implILb1ES3_PdS7_d9plus_mod3IdEEE10hipError_tPvRmT1_T2_T3_mT4_P12ihipStream_tbEUlT_E0_NS1_11comp_targetILNS1_3genE5ELNS1_11target_archE942ELNS1_3gpuE9ELNS1_3repE0EEENS1_30default_config_static_selectorELNS0_4arch9wavefront6targetE1EEEvSD_
	.globl	_ZN7rocprim17ROCPRIM_400000_NS6detail17trampoline_kernelINS0_14default_configENS1_22reduce_config_selectorIdEEZNS1_11reduce_implILb1ES3_PdS7_d9plus_mod3IdEEE10hipError_tPvRmT1_T2_T3_mT4_P12ihipStream_tbEUlT_E0_NS1_11comp_targetILNS1_3genE5ELNS1_11target_archE942ELNS1_3gpuE9ELNS1_3repE0EEENS1_30default_config_static_selectorELNS0_4arch9wavefront6targetE1EEEvSD_
	.p2align	8
	.type	_ZN7rocprim17ROCPRIM_400000_NS6detail17trampoline_kernelINS0_14default_configENS1_22reduce_config_selectorIdEEZNS1_11reduce_implILb1ES3_PdS7_d9plus_mod3IdEEE10hipError_tPvRmT1_T2_T3_mT4_P12ihipStream_tbEUlT_E0_NS1_11comp_targetILNS1_3genE5ELNS1_11target_archE942ELNS1_3gpuE9ELNS1_3repE0EEENS1_30default_config_static_selectorELNS0_4arch9wavefront6targetE1EEEvSD_,@function
_ZN7rocprim17ROCPRIM_400000_NS6detail17trampoline_kernelINS0_14default_configENS1_22reduce_config_selectorIdEEZNS1_11reduce_implILb1ES3_PdS7_d9plus_mod3IdEEE10hipError_tPvRmT1_T2_T3_mT4_P12ihipStream_tbEUlT_E0_NS1_11comp_targetILNS1_3genE5ELNS1_11target_archE942ELNS1_3gpuE9ELNS1_3repE0EEENS1_30default_config_static_selectorELNS0_4arch9wavefront6targetE1EEEvSD_: ; @_ZN7rocprim17ROCPRIM_400000_NS6detail17trampoline_kernelINS0_14default_configENS1_22reduce_config_selectorIdEEZNS1_11reduce_implILb1ES3_PdS7_d9plus_mod3IdEEE10hipError_tPvRmT1_T2_T3_mT4_P12ihipStream_tbEUlT_E0_NS1_11comp_targetILNS1_3genE5ELNS1_11target_archE942ELNS1_3gpuE9ELNS1_3repE0EEENS1_30default_config_static_selectorELNS0_4arch9wavefront6targetE1EEEvSD_
; %bb.0:
	.section	.rodata,"a",@progbits
	.p2align	6, 0x0
	.amdhsa_kernel _ZN7rocprim17ROCPRIM_400000_NS6detail17trampoline_kernelINS0_14default_configENS1_22reduce_config_selectorIdEEZNS1_11reduce_implILb1ES3_PdS7_d9plus_mod3IdEEE10hipError_tPvRmT1_T2_T3_mT4_P12ihipStream_tbEUlT_E0_NS1_11comp_targetILNS1_3genE5ELNS1_11target_archE942ELNS1_3gpuE9ELNS1_3repE0EEENS1_30default_config_static_selectorELNS0_4arch9wavefront6targetE1EEEvSD_
		.amdhsa_group_segment_fixed_size 0
		.amdhsa_private_segment_fixed_size 0
		.amdhsa_kernarg_size 64
		.amdhsa_user_sgpr_count 2
		.amdhsa_user_sgpr_dispatch_ptr 0
		.amdhsa_user_sgpr_queue_ptr 0
		.amdhsa_user_sgpr_kernarg_segment_ptr 1
		.amdhsa_user_sgpr_dispatch_id 0
		.amdhsa_user_sgpr_kernarg_preload_length 0
		.amdhsa_user_sgpr_kernarg_preload_offset 0
		.amdhsa_user_sgpr_private_segment_size 0
		.amdhsa_uses_dynamic_stack 0
		.amdhsa_enable_private_segment 0
		.amdhsa_system_sgpr_workgroup_id_x 1
		.amdhsa_system_sgpr_workgroup_id_y 0
		.amdhsa_system_sgpr_workgroup_id_z 0
		.amdhsa_system_sgpr_workgroup_info 0
		.amdhsa_system_vgpr_workitem_id 0
		.amdhsa_next_free_vgpr 1
		.amdhsa_next_free_sgpr 0
		.amdhsa_accum_offset 4
		.amdhsa_reserve_vcc 0
		.amdhsa_float_round_mode_32 0
		.amdhsa_float_round_mode_16_64 0
		.amdhsa_float_denorm_mode_32 3
		.amdhsa_float_denorm_mode_16_64 3
		.amdhsa_dx10_clamp 1
		.amdhsa_ieee_mode 1
		.amdhsa_fp16_overflow 0
		.amdhsa_tg_split 0
		.amdhsa_exception_fp_ieee_invalid_op 0
		.amdhsa_exception_fp_denorm_src 0
		.amdhsa_exception_fp_ieee_div_zero 0
		.amdhsa_exception_fp_ieee_overflow 0
		.amdhsa_exception_fp_ieee_underflow 0
		.amdhsa_exception_fp_ieee_inexact 0
		.amdhsa_exception_int_div_zero 0
	.end_amdhsa_kernel
	.section	.text._ZN7rocprim17ROCPRIM_400000_NS6detail17trampoline_kernelINS0_14default_configENS1_22reduce_config_selectorIdEEZNS1_11reduce_implILb1ES3_PdS7_d9plus_mod3IdEEE10hipError_tPvRmT1_T2_T3_mT4_P12ihipStream_tbEUlT_E0_NS1_11comp_targetILNS1_3genE5ELNS1_11target_archE942ELNS1_3gpuE9ELNS1_3repE0EEENS1_30default_config_static_selectorELNS0_4arch9wavefront6targetE1EEEvSD_,"axG",@progbits,_ZN7rocprim17ROCPRIM_400000_NS6detail17trampoline_kernelINS0_14default_configENS1_22reduce_config_selectorIdEEZNS1_11reduce_implILb1ES3_PdS7_d9plus_mod3IdEEE10hipError_tPvRmT1_T2_T3_mT4_P12ihipStream_tbEUlT_E0_NS1_11comp_targetILNS1_3genE5ELNS1_11target_archE942ELNS1_3gpuE9ELNS1_3repE0EEENS1_30default_config_static_selectorELNS0_4arch9wavefront6targetE1EEEvSD_,comdat
.Lfunc_end696:
	.size	_ZN7rocprim17ROCPRIM_400000_NS6detail17trampoline_kernelINS0_14default_configENS1_22reduce_config_selectorIdEEZNS1_11reduce_implILb1ES3_PdS7_d9plus_mod3IdEEE10hipError_tPvRmT1_T2_T3_mT4_P12ihipStream_tbEUlT_E0_NS1_11comp_targetILNS1_3genE5ELNS1_11target_archE942ELNS1_3gpuE9ELNS1_3repE0EEENS1_30default_config_static_selectorELNS0_4arch9wavefront6targetE1EEEvSD_, .Lfunc_end696-_ZN7rocprim17ROCPRIM_400000_NS6detail17trampoline_kernelINS0_14default_configENS1_22reduce_config_selectorIdEEZNS1_11reduce_implILb1ES3_PdS7_d9plus_mod3IdEEE10hipError_tPvRmT1_T2_T3_mT4_P12ihipStream_tbEUlT_E0_NS1_11comp_targetILNS1_3genE5ELNS1_11target_archE942ELNS1_3gpuE9ELNS1_3repE0EEENS1_30default_config_static_selectorELNS0_4arch9wavefront6targetE1EEEvSD_
                                        ; -- End function
	.set _ZN7rocprim17ROCPRIM_400000_NS6detail17trampoline_kernelINS0_14default_configENS1_22reduce_config_selectorIdEEZNS1_11reduce_implILb1ES3_PdS7_d9plus_mod3IdEEE10hipError_tPvRmT1_T2_T3_mT4_P12ihipStream_tbEUlT_E0_NS1_11comp_targetILNS1_3genE5ELNS1_11target_archE942ELNS1_3gpuE9ELNS1_3repE0EEENS1_30default_config_static_selectorELNS0_4arch9wavefront6targetE1EEEvSD_.num_vgpr, 0
	.set _ZN7rocprim17ROCPRIM_400000_NS6detail17trampoline_kernelINS0_14default_configENS1_22reduce_config_selectorIdEEZNS1_11reduce_implILb1ES3_PdS7_d9plus_mod3IdEEE10hipError_tPvRmT1_T2_T3_mT4_P12ihipStream_tbEUlT_E0_NS1_11comp_targetILNS1_3genE5ELNS1_11target_archE942ELNS1_3gpuE9ELNS1_3repE0EEENS1_30default_config_static_selectorELNS0_4arch9wavefront6targetE1EEEvSD_.num_agpr, 0
	.set _ZN7rocprim17ROCPRIM_400000_NS6detail17trampoline_kernelINS0_14default_configENS1_22reduce_config_selectorIdEEZNS1_11reduce_implILb1ES3_PdS7_d9plus_mod3IdEEE10hipError_tPvRmT1_T2_T3_mT4_P12ihipStream_tbEUlT_E0_NS1_11comp_targetILNS1_3genE5ELNS1_11target_archE942ELNS1_3gpuE9ELNS1_3repE0EEENS1_30default_config_static_selectorELNS0_4arch9wavefront6targetE1EEEvSD_.numbered_sgpr, 0
	.set _ZN7rocprim17ROCPRIM_400000_NS6detail17trampoline_kernelINS0_14default_configENS1_22reduce_config_selectorIdEEZNS1_11reduce_implILb1ES3_PdS7_d9plus_mod3IdEEE10hipError_tPvRmT1_T2_T3_mT4_P12ihipStream_tbEUlT_E0_NS1_11comp_targetILNS1_3genE5ELNS1_11target_archE942ELNS1_3gpuE9ELNS1_3repE0EEENS1_30default_config_static_selectorELNS0_4arch9wavefront6targetE1EEEvSD_.num_named_barrier, 0
	.set _ZN7rocprim17ROCPRIM_400000_NS6detail17trampoline_kernelINS0_14default_configENS1_22reduce_config_selectorIdEEZNS1_11reduce_implILb1ES3_PdS7_d9plus_mod3IdEEE10hipError_tPvRmT1_T2_T3_mT4_P12ihipStream_tbEUlT_E0_NS1_11comp_targetILNS1_3genE5ELNS1_11target_archE942ELNS1_3gpuE9ELNS1_3repE0EEENS1_30default_config_static_selectorELNS0_4arch9wavefront6targetE1EEEvSD_.private_seg_size, 0
	.set _ZN7rocprim17ROCPRIM_400000_NS6detail17trampoline_kernelINS0_14default_configENS1_22reduce_config_selectorIdEEZNS1_11reduce_implILb1ES3_PdS7_d9plus_mod3IdEEE10hipError_tPvRmT1_T2_T3_mT4_P12ihipStream_tbEUlT_E0_NS1_11comp_targetILNS1_3genE5ELNS1_11target_archE942ELNS1_3gpuE9ELNS1_3repE0EEENS1_30default_config_static_selectorELNS0_4arch9wavefront6targetE1EEEvSD_.uses_vcc, 0
	.set _ZN7rocprim17ROCPRIM_400000_NS6detail17trampoline_kernelINS0_14default_configENS1_22reduce_config_selectorIdEEZNS1_11reduce_implILb1ES3_PdS7_d9plus_mod3IdEEE10hipError_tPvRmT1_T2_T3_mT4_P12ihipStream_tbEUlT_E0_NS1_11comp_targetILNS1_3genE5ELNS1_11target_archE942ELNS1_3gpuE9ELNS1_3repE0EEENS1_30default_config_static_selectorELNS0_4arch9wavefront6targetE1EEEvSD_.uses_flat_scratch, 0
	.set _ZN7rocprim17ROCPRIM_400000_NS6detail17trampoline_kernelINS0_14default_configENS1_22reduce_config_selectorIdEEZNS1_11reduce_implILb1ES3_PdS7_d9plus_mod3IdEEE10hipError_tPvRmT1_T2_T3_mT4_P12ihipStream_tbEUlT_E0_NS1_11comp_targetILNS1_3genE5ELNS1_11target_archE942ELNS1_3gpuE9ELNS1_3repE0EEENS1_30default_config_static_selectorELNS0_4arch9wavefront6targetE1EEEvSD_.has_dyn_sized_stack, 0
	.set _ZN7rocprim17ROCPRIM_400000_NS6detail17trampoline_kernelINS0_14default_configENS1_22reduce_config_selectorIdEEZNS1_11reduce_implILb1ES3_PdS7_d9plus_mod3IdEEE10hipError_tPvRmT1_T2_T3_mT4_P12ihipStream_tbEUlT_E0_NS1_11comp_targetILNS1_3genE5ELNS1_11target_archE942ELNS1_3gpuE9ELNS1_3repE0EEENS1_30default_config_static_selectorELNS0_4arch9wavefront6targetE1EEEvSD_.has_recursion, 0
	.set _ZN7rocprim17ROCPRIM_400000_NS6detail17trampoline_kernelINS0_14default_configENS1_22reduce_config_selectorIdEEZNS1_11reduce_implILb1ES3_PdS7_d9plus_mod3IdEEE10hipError_tPvRmT1_T2_T3_mT4_P12ihipStream_tbEUlT_E0_NS1_11comp_targetILNS1_3genE5ELNS1_11target_archE942ELNS1_3gpuE9ELNS1_3repE0EEENS1_30default_config_static_selectorELNS0_4arch9wavefront6targetE1EEEvSD_.has_indirect_call, 0
	.section	.AMDGPU.csdata,"",@progbits
; Kernel info:
; codeLenInByte = 0
; TotalNumSgprs: 6
; NumVgprs: 0
; NumAgprs: 0
; TotalNumVgprs: 0
; ScratchSize: 0
; MemoryBound: 0
; FloatMode: 240
; IeeeMode: 1
; LDSByteSize: 0 bytes/workgroup (compile time only)
; SGPRBlocks: 0
; VGPRBlocks: 0
; NumSGPRsForWavesPerEU: 6
; NumVGPRsForWavesPerEU: 1
; AccumOffset: 4
; Occupancy: 8
; WaveLimiterHint : 0
; COMPUTE_PGM_RSRC2:SCRATCH_EN: 0
; COMPUTE_PGM_RSRC2:USER_SGPR: 2
; COMPUTE_PGM_RSRC2:TRAP_HANDLER: 0
; COMPUTE_PGM_RSRC2:TGID_X_EN: 1
; COMPUTE_PGM_RSRC2:TGID_Y_EN: 0
; COMPUTE_PGM_RSRC2:TGID_Z_EN: 0
; COMPUTE_PGM_RSRC2:TIDIG_COMP_CNT: 0
; COMPUTE_PGM_RSRC3_GFX90A:ACCUM_OFFSET: 0
; COMPUTE_PGM_RSRC3_GFX90A:TG_SPLIT: 0
	.section	.text._ZN7rocprim17ROCPRIM_400000_NS6detail17trampoline_kernelINS0_14default_configENS1_22reduce_config_selectorIdEEZNS1_11reduce_implILb1ES3_PdS7_d9plus_mod3IdEEE10hipError_tPvRmT1_T2_T3_mT4_P12ihipStream_tbEUlT_E0_NS1_11comp_targetILNS1_3genE4ELNS1_11target_archE910ELNS1_3gpuE8ELNS1_3repE0EEENS1_30default_config_static_selectorELNS0_4arch9wavefront6targetE1EEEvSD_,"axG",@progbits,_ZN7rocprim17ROCPRIM_400000_NS6detail17trampoline_kernelINS0_14default_configENS1_22reduce_config_selectorIdEEZNS1_11reduce_implILb1ES3_PdS7_d9plus_mod3IdEEE10hipError_tPvRmT1_T2_T3_mT4_P12ihipStream_tbEUlT_E0_NS1_11comp_targetILNS1_3genE4ELNS1_11target_archE910ELNS1_3gpuE8ELNS1_3repE0EEENS1_30default_config_static_selectorELNS0_4arch9wavefront6targetE1EEEvSD_,comdat
	.protected	_ZN7rocprim17ROCPRIM_400000_NS6detail17trampoline_kernelINS0_14default_configENS1_22reduce_config_selectorIdEEZNS1_11reduce_implILb1ES3_PdS7_d9plus_mod3IdEEE10hipError_tPvRmT1_T2_T3_mT4_P12ihipStream_tbEUlT_E0_NS1_11comp_targetILNS1_3genE4ELNS1_11target_archE910ELNS1_3gpuE8ELNS1_3repE0EEENS1_30default_config_static_selectorELNS0_4arch9wavefront6targetE1EEEvSD_ ; -- Begin function _ZN7rocprim17ROCPRIM_400000_NS6detail17trampoline_kernelINS0_14default_configENS1_22reduce_config_selectorIdEEZNS1_11reduce_implILb1ES3_PdS7_d9plus_mod3IdEEE10hipError_tPvRmT1_T2_T3_mT4_P12ihipStream_tbEUlT_E0_NS1_11comp_targetILNS1_3genE4ELNS1_11target_archE910ELNS1_3gpuE8ELNS1_3repE0EEENS1_30default_config_static_selectorELNS0_4arch9wavefront6targetE1EEEvSD_
	.globl	_ZN7rocprim17ROCPRIM_400000_NS6detail17trampoline_kernelINS0_14default_configENS1_22reduce_config_selectorIdEEZNS1_11reduce_implILb1ES3_PdS7_d9plus_mod3IdEEE10hipError_tPvRmT1_T2_T3_mT4_P12ihipStream_tbEUlT_E0_NS1_11comp_targetILNS1_3genE4ELNS1_11target_archE910ELNS1_3gpuE8ELNS1_3repE0EEENS1_30default_config_static_selectorELNS0_4arch9wavefront6targetE1EEEvSD_
	.p2align	8
	.type	_ZN7rocprim17ROCPRIM_400000_NS6detail17trampoline_kernelINS0_14default_configENS1_22reduce_config_selectorIdEEZNS1_11reduce_implILb1ES3_PdS7_d9plus_mod3IdEEE10hipError_tPvRmT1_T2_T3_mT4_P12ihipStream_tbEUlT_E0_NS1_11comp_targetILNS1_3genE4ELNS1_11target_archE910ELNS1_3gpuE8ELNS1_3repE0EEENS1_30default_config_static_selectorELNS0_4arch9wavefront6targetE1EEEvSD_,@function
_ZN7rocprim17ROCPRIM_400000_NS6detail17trampoline_kernelINS0_14default_configENS1_22reduce_config_selectorIdEEZNS1_11reduce_implILb1ES3_PdS7_d9plus_mod3IdEEE10hipError_tPvRmT1_T2_T3_mT4_P12ihipStream_tbEUlT_E0_NS1_11comp_targetILNS1_3genE4ELNS1_11target_archE910ELNS1_3gpuE8ELNS1_3repE0EEENS1_30default_config_static_selectorELNS0_4arch9wavefront6targetE1EEEvSD_: ; @_ZN7rocprim17ROCPRIM_400000_NS6detail17trampoline_kernelINS0_14default_configENS1_22reduce_config_selectorIdEEZNS1_11reduce_implILb1ES3_PdS7_d9plus_mod3IdEEE10hipError_tPvRmT1_T2_T3_mT4_P12ihipStream_tbEUlT_E0_NS1_11comp_targetILNS1_3genE4ELNS1_11target_archE910ELNS1_3gpuE8ELNS1_3repE0EEENS1_30default_config_static_selectorELNS0_4arch9wavefront6targetE1EEEvSD_
; %bb.0:
	.section	.rodata,"a",@progbits
	.p2align	6, 0x0
	.amdhsa_kernel _ZN7rocprim17ROCPRIM_400000_NS6detail17trampoline_kernelINS0_14default_configENS1_22reduce_config_selectorIdEEZNS1_11reduce_implILb1ES3_PdS7_d9plus_mod3IdEEE10hipError_tPvRmT1_T2_T3_mT4_P12ihipStream_tbEUlT_E0_NS1_11comp_targetILNS1_3genE4ELNS1_11target_archE910ELNS1_3gpuE8ELNS1_3repE0EEENS1_30default_config_static_selectorELNS0_4arch9wavefront6targetE1EEEvSD_
		.amdhsa_group_segment_fixed_size 0
		.amdhsa_private_segment_fixed_size 0
		.amdhsa_kernarg_size 64
		.amdhsa_user_sgpr_count 2
		.amdhsa_user_sgpr_dispatch_ptr 0
		.amdhsa_user_sgpr_queue_ptr 0
		.amdhsa_user_sgpr_kernarg_segment_ptr 1
		.amdhsa_user_sgpr_dispatch_id 0
		.amdhsa_user_sgpr_kernarg_preload_length 0
		.amdhsa_user_sgpr_kernarg_preload_offset 0
		.amdhsa_user_sgpr_private_segment_size 0
		.amdhsa_uses_dynamic_stack 0
		.amdhsa_enable_private_segment 0
		.amdhsa_system_sgpr_workgroup_id_x 1
		.amdhsa_system_sgpr_workgroup_id_y 0
		.amdhsa_system_sgpr_workgroup_id_z 0
		.amdhsa_system_sgpr_workgroup_info 0
		.amdhsa_system_vgpr_workitem_id 0
		.amdhsa_next_free_vgpr 1
		.amdhsa_next_free_sgpr 0
		.amdhsa_accum_offset 4
		.amdhsa_reserve_vcc 0
		.amdhsa_float_round_mode_32 0
		.amdhsa_float_round_mode_16_64 0
		.amdhsa_float_denorm_mode_32 3
		.amdhsa_float_denorm_mode_16_64 3
		.amdhsa_dx10_clamp 1
		.amdhsa_ieee_mode 1
		.amdhsa_fp16_overflow 0
		.amdhsa_tg_split 0
		.amdhsa_exception_fp_ieee_invalid_op 0
		.amdhsa_exception_fp_denorm_src 0
		.amdhsa_exception_fp_ieee_div_zero 0
		.amdhsa_exception_fp_ieee_overflow 0
		.amdhsa_exception_fp_ieee_underflow 0
		.amdhsa_exception_fp_ieee_inexact 0
		.amdhsa_exception_int_div_zero 0
	.end_amdhsa_kernel
	.section	.text._ZN7rocprim17ROCPRIM_400000_NS6detail17trampoline_kernelINS0_14default_configENS1_22reduce_config_selectorIdEEZNS1_11reduce_implILb1ES3_PdS7_d9plus_mod3IdEEE10hipError_tPvRmT1_T2_T3_mT4_P12ihipStream_tbEUlT_E0_NS1_11comp_targetILNS1_3genE4ELNS1_11target_archE910ELNS1_3gpuE8ELNS1_3repE0EEENS1_30default_config_static_selectorELNS0_4arch9wavefront6targetE1EEEvSD_,"axG",@progbits,_ZN7rocprim17ROCPRIM_400000_NS6detail17trampoline_kernelINS0_14default_configENS1_22reduce_config_selectorIdEEZNS1_11reduce_implILb1ES3_PdS7_d9plus_mod3IdEEE10hipError_tPvRmT1_T2_T3_mT4_P12ihipStream_tbEUlT_E0_NS1_11comp_targetILNS1_3genE4ELNS1_11target_archE910ELNS1_3gpuE8ELNS1_3repE0EEENS1_30default_config_static_selectorELNS0_4arch9wavefront6targetE1EEEvSD_,comdat
.Lfunc_end697:
	.size	_ZN7rocprim17ROCPRIM_400000_NS6detail17trampoline_kernelINS0_14default_configENS1_22reduce_config_selectorIdEEZNS1_11reduce_implILb1ES3_PdS7_d9plus_mod3IdEEE10hipError_tPvRmT1_T2_T3_mT4_P12ihipStream_tbEUlT_E0_NS1_11comp_targetILNS1_3genE4ELNS1_11target_archE910ELNS1_3gpuE8ELNS1_3repE0EEENS1_30default_config_static_selectorELNS0_4arch9wavefront6targetE1EEEvSD_, .Lfunc_end697-_ZN7rocprim17ROCPRIM_400000_NS6detail17trampoline_kernelINS0_14default_configENS1_22reduce_config_selectorIdEEZNS1_11reduce_implILb1ES3_PdS7_d9plus_mod3IdEEE10hipError_tPvRmT1_T2_T3_mT4_P12ihipStream_tbEUlT_E0_NS1_11comp_targetILNS1_3genE4ELNS1_11target_archE910ELNS1_3gpuE8ELNS1_3repE0EEENS1_30default_config_static_selectorELNS0_4arch9wavefront6targetE1EEEvSD_
                                        ; -- End function
	.set _ZN7rocprim17ROCPRIM_400000_NS6detail17trampoline_kernelINS0_14default_configENS1_22reduce_config_selectorIdEEZNS1_11reduce_implILb1ES3_PdS7_d9plus_mod3IdEEE10hipError_tPvRmT1_T2_T3_mT4_P12ihipStream_tbEUlT_E0_NS1_11comp_targetILNS1_3genE4ELNS1_11target_archE910ELNS1_3gpuE8ELNS1_3repE0EEENS1_30default_config_static_selectorELNS0_4arch9wavefront6targetE1EEEvSD_.num_vgpr, 0
	.set _ZN7rocprim17ROCPRIM_400000_NS6detail17trampoline_kernelINS0_14default_configENS1_22reduce_config_selectorIdEEZNS1_11reduce_implILb1ES3_PdS7_d9plus_mod3IdEEE10hipError_tPvRmT1_T2_T3_mT4_P12ihipStream_tbEUlT_E0_NS1_11comp_targetILNS1_3genE4ELNS1_11target_archE910ELNS1_3gpuE8ELNS1_3repE0EEENS1_30default_config_static_selectorELNS0_4arch9wavefront6targetE1EEEvSD_.num_agpr, 0
	.set _ZN7rocprim17ROCPRIM_400000_NS6detail17trampoline_kernelINS0_14default_configENS1_22reduce_config_selectorIdEEZNS1_11reduce_implILb1ES3_PdS7_d9plus_mod3IdEEE10hipError_tPvRmT1_T2_T3_mT4_P12ihipStream_tbEUlT_E0_NS1_11comp_targetILNS1_3genE4ELNS1_11target_archE910ELNS1_3gpuE8ELNS1_3repE0EEENS1_30default_config_static_selectorELNS0_4arch9wavefront6targetE1EEEvSD_.numbered_sgpr, 0
	.set _ZN7rocprim17ROCPRIM_400000_NS6detail17trampoline_kernelINS0_14default_configENS1_22reduce_config_selectorIdEEZNS1_11reduce_implILb1ES3_PdS7_d9plus_mod3IdEEE10hipError_tPvRmT1_T2_T3_mT4_P12ihipStream_tbEUlT_E0_NS1_11comp_targetILNS1_3genE4ELNS1_11target_archE910ELNS1_3gpuE8ELNS1_3repE0EEENS1_30default_config_static_selectorELNS0_4arch9wavefront6targetE1EEEvSD_.num_named_barrier, 0
	.set _ZN7rocprim17ROCPRIM_400000_NS6detail17trampoline_kernelINS0_14default_configENS1_22reduce_config_selectorIdEEZNS1_11reduce_implILb1ES3_PdS7_d9plus_mod3IdEEE10hipError_tPvRmT1_T2_T3_mT4_P12ihipStream_tbEUlT_E0_NS1_11comp_targetILNS1_3genE4ELNS1_11target_archE910ELNS1_3gpuE8ELNS1_3repE0EEENS1_30default_config_static_selectorELNS0_4arch9wavefront6targetE1EEEvSD_.private_seg_size, 0
	.set _ZN7rocprim17ROCPRIM_400000_NS6detail17trampoline_kernelINS0_14default_configENS1_22reduce_config_selectorIdEEZNS1_11reduce_implILb1ES3_PdS7_d9plus_mod3IdEEE10hipError_tPvRmT1_T2_T3_mT4_P12ihipStream_tbEUlT_E0_NS1_11comp_targetILNS1_3genE4ELNS1_11target_archE910ELNS1_3gpuE8ELNS1_3repE0EEENS1_30default_config_static_selectorELNS0_4arch9wavefront6targetE1EEEvSD_.uses_vcc, 0
	.set _ZN7rocprim17ROCPRIM_400000_NS6detail17trampoline_kernelINS0_14default_configENS1_22reduce_config_selectorIdEEZNS1_11reduce_implILb1ES3_PdS7_d9plus_mod3IdEEE10hipError_tPvRmT1_T2_T3_mT4_P12ihipStream_tbEUlT_E0_NS1_11comp_targetILNS1_3genE4ELNS1_11target_archE910ELNS1_3gpuE8ELNS1_3repE0EEENS1_30default_config_static_selectorELNS0_4arch9wavefront6targetE1EEEvSD_.uses_flat_scratch, 0
	.set _ZN7rocprim17ROCPRIM_400000_NS6detail17trampoline_kernelINS0_14default_configENS1_22reduce_config_selectorIdEEZNS1_11reduce_implILb1ES3_PdS7_d9plus_mod3IdEEE10hipError_tPvRmT1_T2_T3_mT4_P12ihipStream_tbEUlT_E0_NS1_11comp_targetILNS1_3genE4ELNS1_11target_archE910ELNS1_3gpuE8ELNS1_3repE0EEENS1_30default_config_static_selectorELNS0_4arch9wavefront6targetE1EEEvSD_.has_dyn_sized_stack, 0
	.set _ZN7rocprim17ROCPRIM_400000_NS6detail17trampoline_kernelINS0_14default_configENS1_22reduce_config_selectorIdEEZNS1_11reduce_implILb1ES3_PdS7_d9plus_mod3IdEEE10hipError_tPvRmT1_T2_T3_mT4_P12ihipStream_tbEUlT_E0_NS1_11comp_targetILNS1_3genE4ELNS1_11target_archE910ELNS1_3gpuE8ELNS1_3repE0EEENS1_30default_config_static_selectorELNS0_4arch9wavefront6targetE1EEEvSD_.has_recursion, 0
	.set _ZN7rocprim17ROCPRIM_400000_NS6detail17trampoline_kernelINS0_14default_configENS1_22reduce_config_selectorIdEEZNS1_11reduce_implILb1ES3_PdS7_d9plus_mod3IdEEE10hipError_tPvRmT1_T2_T3_mT4_P12ihipStream_tbEUlT_E0_NS1_11comp_targetILNS1_3genE4ELNS1_11target_archE910ELNS1_3gpuE8ELNS1_3repE0EEENS1_30default_config_static_selectorELNS0_4arch9wavefront6targetE1EEEvSD_.has_indirect_call, 0
	.section	.AMDGPU.csdata,"",@progbits
; Kernel info:
; codeLenInByte = 0
; TotalNumSgprs: 6
; NumVgprs: 0
; NumAgprs: 0
; TotalNumVgprs: 0
; ScratchSize: 0
; MemoryBound: 0
; FloatMode: 240
; IeeeMode: 1
; LDSByteSize: 0 bytes/workgroup (compile time only)
; SGPRBlocks: 0
; VGPRBlocks: 0
; NumSGPRsForWavesPerEU: 6
; NumVGPRsForWavesPerEU: 1
; AccumOffset: 4
; Occupancy: 8
; WaveLimiterHint : 0
; COMPUTE_PGM_RSRC2:SCRATCH_EN: 0
; COMPUTE_PGM_RSRC2:USER_SGPR: 2
; COMPUTE_PGM_RSRC2:TRAP_HANDLER: 0
; COMPUTE_PGM_RSRC2:TGID_X_EN: 1
; COMPUTE_PGM_RSRC2:TGID_Y_EN: 0
; COMPUTE_PGM_RSRC2:TGID_Z_EN: 0
; COMPUTE_PGM_RSRC2:TIDIG_COMP_CNT: 0
; COMPUTE_PGM_RSRC3_GFX90A:ACCUM_OFFSET: 0
; COMPUTE_PGM_RSRC3_GFX90A:TG_SPLIT: 0
	.section	.text._ZN7rocprim17ROCPRIM_400000_NS6detail17trampoline_kernelINS0_14default_configENS1_22reduce_config_selectorIdEEZNS1_11reduce_implILb1ES3_PdS7_d9plus_mod3IdEEE10hipError_tPvRmT1_T2_T3_mT4_P12ihipStream_tbEUlT_E0_NS1_11comp_targetILNS1_3genE3ELNS1_11target_archE908ELNS1_3gpuE7ELNS1_3repE0EEENS1_30default_config_static_selectorELNS0_4arch9wavefront6targetE1EEEvSD_,"axG",@progbits,_ZN7rocprim17ROCPRIM_400000_NS6detail17trampoline_kernelINS0_14default_configENS1_22reduce_config_selectorIdEEZNS1_11reduce_implILb1ES3_PdS7_d9plus_mod3IdEEE10hipError_tPvRmT1_T2_T3_mT4_P12ihipStream_tbEUlT_E0_NS1_11comp_targetILNS1_3genE3ELNS1_11target_archE908ELNS1_3gpuE7ELNS1_3repE0EEENS1_30default_config_static_selectorELNS0_4arch9wavefront6targetE1EEEvSD_,comdat
	.protected	_ZN7rocprim17ROCPRIM_400000_NS6detail17trampoline_kernelINS0_14default_configENS1_22reduce_config_selectorIdEEZNS1_11reduce_implILb1ES3_PdS7_d9plus_mod3IdEEE10hipError_tPvRmT1_T2_T3_mT4_P12ihipStream_tbEUlT_E0_NS1_11comp_targetILNS1_3genE3ELNS1_11target_archE908ELNS1_3gpuE7ELNS1_3repE0EEENS1_30default_config_static_selectorELNS0_4arch9wavefront6targetE1EEEvSD_ ; -- Begin function _ZN7rocprim17ROCPRIM_400000_NS6detail17trampoline_kernelINS0_14default_configENS1_22reduce_config_selectorIdEEZNS1_11reduce_implILb1ES3_PdS7_d9plus_mod3IdEEE10hipError_tPvRmT1_T2_T3_mT4_P12ihipStream_tbEUlT_E0_NS1_11comp_targetILNS1_3genE3ELNS1_11target_archE908ELNS1_3gpuE7ELNS1_3repE0EEENS1_30default_config_static_selectorELNS0_4arch9wavefront6targetE1EEEvSD_
	.globl	_ZN7rocprim17ROCPRIM_400000_NS6detail17trampoline_kernelINS0_14default_configENS1_22reduce_config_selectorIdEEZNS1_11reduce_implILb1ES3_PdS7_d9plus_mod3IdEEE10hipError_tPvRmT1_T2_T3_mT4_P12ihipStream_tbEUlT_E0_NS1_11comp_targetILNS1_3genE3ELNS1_11target_archE908ELNS1_3gpuE7ELNS1_3repE0EEENS1_30default_config_static_selectorELNS0_4arch9wavefront6targetE1EEEvSD_
	.p2align	8
	.type	_ZN7rocprim17ROCPRIM_400000_NS6detail17trampoline_kernelINS0_14default_configENS1_22reduce_config_selectorIdEEZNS1_11reduce_implILb1ES3_PdS7_d9plus_mod3IdEEE10hipError_tPvRmT1_T2_T3_mT4_P12ihipStream_tbEUlT_E0_NS1_11comp_targetILNS1_3genE3ELNS1_11target_archE908ELNS1_3gpuE7ELNS1_3repE0EEENS1_30default_config_static_selectorELNS0_4arch9wavefront6targetE1EEEvSD_,@function
_ZN7rocprim17ROCPRIM_400000_NS6detail17trampoline_kernelINS0_14default_configENS1_22reduce_config_selectorIdEEZNS1_11reduce_implILb1ES3_PdS7_d9plus_mod3IdEEE10hipError_tPvRmT1_T2_T3_mT4_P12ihipStream_tbEUlT_E0_NS1_11comp_targetILNS1_3genE3ELNS1_11target_archE908ELNS1_3gpuE7ELNS1_3repE0EEENS1_30default_config_static_selectorELNS0_4arch9wavefront6targetE1EEEvSD_: ; @_ZN7rocprim17ROCPRIM_400000_NS6detail17trampoline_kernelINS0_14default_configENS1_22reduce_config_selectorIdEEZNS1_11reduce_implILb1ES3_PdS7_d9plus_mod3IdEEE10hipError_tPvRmT1_T2_T3_mT4_P12ihipStream_tbEUlT_E0_NS1_11comp_targetILNS1_3genE3ELNS1_11target_archE908ELNS1_3gpuE7ELNS1_3repE0EEENS1_30default_config_static_selectorELNS0_4arch9wavefront6targetE1EEEvSD_
; %bb.0:
	.section	.rodata,"a",@progbits
	.p2align	6, 0x0
	.amdhsa_kernel _ZN7rocprim17ROCPRIM_400000_NS6detail17trampoline_kernelINS0_14default_configENS1_22reduce_config_selectorIdEEZNS1_11reduce_implILb1ES3_PdS7_d9plus_mod3IdEEE10hipError_tPvRmT1_T2_T3_mT4_P12ihipStream_tbEUlT_E0_NS1_11comp_targetILNS1_3genE3ELNS1_11target_archE908ELNS1_3gpuE7ELNS1_3repE0EEENS1_30default_config_static_selectorELNS0_4arch9wavefront6targetE1EEEvSD_
		.amdhsa_group_segment_fixed_size 0
		.amdhsa_private_segment_fixed_size 0
		.amdhsa_kernarg_size 64
		.amdhsa_user_sgpr_count 2
		.amdhsa_user_sgpr_dispatch_ptr 0
		.amdhsa_user_sgpr_queue_ptr 0
		.amdhsa_user_sgpr_kernarg_segment_ptr 1
		.amdhsa_user_sgpr_dispatch_id 0
		.amdhsa_user_sgpr_kernarg_preload_length 0
		.amdhsa_user_sgpr_kernarg_preload_offset 0
		.amdhsa_user_sgpr_private_segment_size 0
		.amdhsa_uses_dynamic_stack 0
		.amdhsa_enable_private_segment 0
		.amdhsa_system_sgpr_workgroup_id_x 1
		.amdhsa_system_sgpr_workgroup_id_y 0
		.amdhsa_system_sgpr_workgroup_id_z 0
		.amdhsa_system_sgpr_workgroup_info 0
		.amdhsa_system_vgpr_workitem_id 0
		.amdhsa_next_free_vgpr 1
		.amdhsa_next_free_sgpr 0
		.amdhsa_accum_offset 4
		.amdhsa_reserve_vcc 0
		.amdhsa_float_round_mode_32 0
		.amdhsa_float_round_mode_16_64 0
		.amdhsa_float_denorm_mode_32 3
		.amdhsa_float_denorm_mode_16_64 3
		.amdhsa_dx10_clamp 1
		.amdhsa_ieee_mode 1
		.amdhsa_fp16_overflow 0
		.amdhsa_tg_split 0
		.amdhsa_exception_fp_ieee_invalid_op 0
		.amdhsa_exception_fp_denorm_src 0
		.amdhsa_exception_fp_ieee_div_zero 0
		.amdhsa_exception_fp_ieee_overflow 0
		.amdhsa_exception_fp_ieee_underflow 0
		.amdhsa_exception_fp_ieee_inexact 0
		.amdhsa_exception_int_div_zero 0
	.end_amdhsa_kernel
	.section	.text._ZN7rocprim17ROCPRIM_400000_NS6detail17trampoline_kernelINS0_14default_configENS1_22reduce_config_selectorIdEEZNS1_11reduce_implILb1ES3_PdS7_d9plus_mod3IdEEE10hipError_tPvRmT1_T2_T3_mT4_P12ihipStream_tbEUlT_E0_NS1_11comp_targetILNS1_3genE3ELNS1_11target_archE908ELNS1_3gpuE7ELNS1_3repE0EEENS1_30default_config_static_selectorELNS0_4arch9wavefront6targetE1EEEvSD_,"axG",@progbits,_ZN7rocprim17ROCPRIM_400000_NS6detail17trampoline_kernelINS0_14default_configENS1_22reduce_config_selectorIdEEZNS1_11reduce_implILb1ES3_PdS7_d9plus_mod3IdEEE10hipError_tPvRmT1_T2_T3_mT4_P12ihipStream_tbEUlT_E0_NS1_11comp_targetILNS1_3genE3ELNS1_11target_archE908ELNS1_3gpuE7ELNS1_3repE0EEENS1_30default_config_static_selectorELNS0_4arch9wavefront6targetE1EEEvSD_,comdat
.Lfunc_end698:
	.size	_ZN7rocprim17ROCPRIM_400000_NS6detail17trampoline_kernelINS0_14default_configENS1_22reduce_config_selectorIdEEZNS1_11reduce_implILb1ES3_PdS7_d9plus_mod3IdEEE10hipError_tPvRmT1_T2_T3_mT4_P12ihipStream_tbEUlT_E0_NS1_11comp_targetILNS1_3genE3ELNS1_11target_archE908ELNS1_3gpuE7ELNS1_3repE0EEENS1_30default_config_static_selectorELNS0_4arch9wavefront6targetE1EEEvSD_, .Lfunc_end698-_ZN7rocprim17ROCPRIM_400000_NS6detail17trampoline_kernelINS0_14default_configENS1_22reduce_config_selectorIdEEZNS1_11reduce_implILb1ES3_PdS7_d9plus_mod3IdEEE10hipError_tPvRmT1_T2_T3_mT4_P12ihipStream_tbEUlT_E0_NS1_11comp_targetILNS1_3genE3ELNS1_11target_archE908ELNS1_3gpuE7ELNS1_3repE0EEENS1_30default_config_static_selectorELNS0_4arch9wavefront6targetE1EEEvSD_
                                        ; -- End function
	.set _ZN7rocprim17ROCPRIM_400000_NS6detail17trampoline_kernelINS0_14default_configENS1_22reduce_config_selectorIdEEZNS1_11reduce_implILb1ES3_PdS7_d9plus_mod3IdEEE10hipError_tPvRmT1_T2_T3_mT4_P12ihipStream_tbEUlT_E0_NS1_11comp_targetILNS1_3genE3ELNS1_11target_archE908ELNS1_3gpuE7ELNS1_3repE0EEENS1_30default_config_static_selectorELNS0_4arch9wavefront6targetE1EEEvSD_.num_vgpr, 0
	.set _ZN7rocprim17ROCPRIM_400000_NS6detail17trampoline_kernelINS0_14default_configENS1_22reduce_config_selectorIdEEZNS1_11reduce_implILb1ES3_PdS7_d9plus_mod3IdEEE10hipError_tPvRmT1_T2_T3_mT4_P12ihipStream_tbEUlT_E0_NS1_11comp_targetILNS1_3genE3ELNS1_11target_archE908ELNS1_3gpuE7ELNS1_3repE0EEENS1_30default_config_static_selectorELNS0_4arch9wavefront6targetE1EEEvSD_.num_agpr, 0
	.set _ZN7rocprim17ROCPRIM_400000_NS6detail17trampoline_kernelINS0_14default_configENS1_22reduce_config_selectorIdEEZNS1_11reduce_implILb1ES3_PdS7_d9plus_mod3IdEEE10hipError_tPvRmT1_T2_T3_mT4_P12ihipStream_tbEUlT_E0_NS1_11comp_targetILNS1_3genE3ELNS1_11target_archE908ELNS1_3gpuE7ELNS1_3repE0EEENS1_30default_config_static_selectorELNS0_4arch9wavefront6targetE1EEEvSD_.numbered_sgpr, 0
	.set _ZN7rocprim17ROCPRIM_400000_NS6detail17trampoline_kernelINS0_14default_configENS1_22reduce_config_selectorIdEEZNS1_11reduce_implILb1ES3_PdS7_d9plus_mod3IdEEE10hipError_tPvRmT1_T2_T3_mT4_P12ihipStream_tbEUlT_E0_NS1_11comp_targetILNS1_3genE3ELNS1_11target_archE908ELNS1_3gpuE7ELNS1_3repE0EEENS1_30default_config_static_selectorELNS0_4arch9wavefront6targetE1EEEvSD_.num_named_barrier, 0
	.set _ZN7rocprim17ROCPRIM_400000_NS6detail17trampoline_kernelINS0_14default_configENS1_22reduce_config_selectorIdEEZNS1_11reduce_implILb1ES3_PdS7_d9plus_mod3IdEEE10hipError_tPvRmT1_T2_T3_mT4_P12ihipStream_tbEUlT_E0_NS1_11comp_targetILNS1_3genE3ELNS1_11target_archE908ELNS1_3gpuE7ELNS1_3repE0EEENS1_30default_config_static_selectorELNS0_4arch9wavefront6targetE1EEEvSD_.private_seg_size, 0
	.set _ZN7rocprim17ROCPRIM_400000_NS6detail17trampoline_kernelINS0_14default_configENS1_22reduce_config_selectorIdEEZNS1_11reduce_implILb1ES3_PdS7_d9plus_mod3IdEEE10hipError_tPvRmT1_T2_T3_mT4_P12ihipStream_tbEUlT_E0_NS1_11comp_targetILNS1_3genE3ELNS1_11target_archE908ELNS1_3gpuE7ELNS1_3repE0EEENS1_30default_config_static_selectorELNS0_4arch9wavefront6targetE1EEEvSD_.uses_vcc, 0
	.set _ZN7rocprim17ROCPRIM_400000_NS6detail17trampoline_kernelINS0_14default_configENS1_22reduce_config_selectorIdEEZNS1_11reduce_implILb1ES3_PdS7_d9plus_mod3IdEEE10hipError_tPvRmT1_T2_T3_mT4_P12ihipStream_tbEUlT_E0_NS1_11comp_targetILNS1_3genE3ELNS1_11target_archE908ELNS1_3gpuE7ELNS1_3repE0EEENS1_30default_config_static_selectorELNS0_4arch9wavefront6targetE1EEEvSD_.uses_flat_scratch, 0
	.set _ZN7rocprim17ROCPRIM_400000_NS6detail17trampoline_kernelINS0_14default_configENS1_22reduce_config_selectorIdEEZNS1_11reduce_implILb1ES3_PdS7_d9plus_mod3IdEEE10hipError_tPvRmT1_T2_T3_mT4_P12ihipStream_tbEUlT_E0_NS1_11comp_targetILNS1_3genE3ELNS1_11target_archE908ELNS1_3gpuE7ELNS1_3repE0EEENS1_30default_config_static_selectorELNS0_4arch9wavefront6targetE1EEEvSD_.has_dyn_sized_stack, 0
	.set _ZN7rocprim17ROCPRIM_400000_NS6detail17trampoline_kernelINS0_14default_configENS1_22reduce_config_selectorIdEEZNS1_11reduce_implILb1ES3_PdS7_d9plus_mod3IdEEE10hipError_tPvRmT1_T2_T3_mT4_P12ihipStream_tbEUlT_E0_NS1_11comp_targetILNS1_3genE3ELNS1_11target_archE908ELNS1_3gpuE7ELNS1_3repE0EEENS1_30default_config_static_selectorELNS0_4arch9wavefront6targetE1EEEvSD_.has_recursion, 0
	.set _ZN7rocprim17ROCPRIM_400000_NS6detail17trampoline_kernelINS0_14default_configENS1_22reduce_config_selectorIdEEZNS1_11reduce_implILb1ES3_PdS7_d9plus_mod3IdEEE10hipError_tPvRmT1_T2_T3_mT4_P12ihipStream_tbEUlT_E0_NS1_11comp_targetILNS1_3genE3ELNS1_11target_archE908ELNS1_3gpuE7ELNS1_3repE0EEENS1_30default_config_static_selectorELNS0_4arch9wavefront6targetE1EEEvSD_.has_indirect_call, 0
	.section	.AMDGPU.csdata,"",@progbits
; Kernel info:
; codeLenInByte = 0
; TotalNumSgprs: 6
; NumVgprs: 0
; NumAgprs: 0
; TotalNumVgprs: 0
; ScratchSize: 0
; MemoryBound: 0
; FloatMode: 240
; IeeeMode: 1
; LDSByteSize: 0 bytes/workgroup (compile time only)
; SGPRBlocks: 0
; VGPRBlocks: 0
; NumSGPRsForWavesPerEU: 6
; NumVGPRsForWavesPerEU: 1
; AccumOffset: 4
; Occupancy: 8
; WaveLimiterHint : 0
; COMPUTE_PGM_RSRC2:SCRATCH_EN: 0
; COMPUTE_PGM_RSRC2:USER_SGPR: 2
; COMPUTE_PGM_RSRC2:TRAP_HANDLER: 0
; COMPUTE_PGM_RSRC2:TGID_X_EN: 1
; COMPUTE_PGM_RSRC2:TGID_Y_EN: 0
; COMPUTE_PGM_RSRC2:TGID_Z_EN: 0
; COMPUTE_PGM_RSRC2:TIDIG_COMP_CNT: 0
; COMPUTE_PGM_RSRC3_GFX90A:ACCUM_OFFSET: 0
; COMPUTE_PGM_RSRC3_GFX90A:TG_SPLIT: 0
	.section	.text._ZN7rocprim17ROCPRIM_400000_NS6detail17trampoline_kernelINS0_14default_configENS1_22reduce_config_selectorIdEEZNS1_11reduce_implILb1ES3_PdS7_d9plus_mod3IdEEE10hipError_tPvRmT1_T2_T3_mT4_P12ihipStream_tbEUlT_E0_NS1_11comp_targetILNS1_3genE2ELNS1_11target_archE906ELNS1_3gpuE6ELNS1_3repE0EEENS1_30default_config_static_selectorELNS0_4arch9wavefront6targetE1EEEvSD_,"axG",@progbits,_ZN7rocprim17ROCPRIM_400000_NS6detail17trampoline_kernelINS0_14default_configENS1_22reduce_config_selectorIdEEZNS1_11reduce_implILb1ES3_PdS7_d9plus_mod3IdEEE10hipError_tPvRmT1_T2_T3_mT4_P12ihipStream_tbEUlT_E0_NS1_11comp_targetILNS1_3genE2ELNS1_11target_archE906ELNS1_3gpuE6ELNS1_3repE0EEENS1_30default_config_static_selectorELNS0_4arch9wavefront6targetE1EEEvSD_,comdat
	.protected	_ZN7rocprim17ROCPRIM_400000_NS6detail17trampoline_kernelINS0_14default_configENS1_22reduce_config_selectorIdEEZNS1_11reduce_implILb1ES3_PdS7_d9plus_mod3IdEEE10hipError_tPvRmT1_T2_T3_mT4_P12ihipStream_tbEUlT_E0_NS1_11comp_targetILNS1_3genE2ELNS1_11target_archE906ELNS1_3gpuE6ELNS1_3repE0EEENS1_30default_config_static_selectorELNS0_4arch9wavefront6targetE1EEEvSD_ ; -- Begin function _ZN7rocprim17ROCPRIM_400000_NS6detail17trampoline_kernelINS0_14default_configENS1_22reduce_config_selectorIdEEZNS1_11reduce_implILb1ES3_PdS7_d9plus_mod3IdEEE10hipError_tPvRmT1_T2_T3_mT4_P12ihipStream_tbEUlT_E0_NS1_11comp_targetILNS1_3genE2ELNS1_11target_archE906ELNS1_3gpuE6ELNS1_3repE0EEENS1_30default_config_static_selectorELNS0_4arch9wavefront6targetE1EEEvSD_
	.globl	_ZN7rocprim17ROCPRIM_400000_NS6detail17trampoline_kernelINS0_14default_configENS1_22reduce_config_selectorIdEEZNS1_11reduce_implILb1ES3_PdS7_d9plus_mod3IdEEE10hipError_tPvRmT1_T2_T3_mT4_P12ihipStream_tbEUlT_E0_NS1_11comp_targetILNS1_3genE2ELNS1_11target_archE906ELNS1_3gpuE6ELNS1_3repE0EEENS1_30default_config_static_selectorELNS0_4arch9wavefront6targetE1EEEvSD_
	.p2align	8
	.type	_ZN7rocprim17ROCPRIM_400000_NS6detail17trampoline_kernelINS0_14default_configENS1_22reduce_config_selectorIdEEZNS1_11reduce_implILb1ES3_PdS7_d9plus_mod3IdEEE10hipError_tPvRmT1_T2_T3_mT4_P12ihipStream_tbEUlT_E0_NS1_11comp_targetILNS1_3genE2ELNS1_11target_archE906ELNS1_3gpuE6ELNS1_3repE0EEENS1_30default_config_static_selectorELNS0_4arch9wavefront6targetE1EEEvSD_,@function
_ZN7rocprim17ROCPRIM_400000_NS6detail17trampoline_kernelINS0_14default_configENS1_22reduce_config_selectorIdEEZNS1_11reduce_implILb1ES3_PdS7_d9plus_mod3IdEEE10hipError_tPvRmT1_T2_T3_mT4_P12ihipStream_tbEUlT_E0_NS1_11comp_targetILNS1_3genE2ELNS1_11target_archE906ELNS1_3gpuE6ELNS1_3repE0EEENS1_30default_config_static_selectorELNS0_4arch9wavefront6targetE1EEEvSD_: ; @_ZN7rocprim17ROCPRIM_400000_NS6detail17trampoline_kernelINS0_14default_configENS1_22reduce_config_selectorIdEEZNS1_11reduce_implILb1ES3_PdS7_d9plus_mod3IdEEE10hipError_tPvRmT1_T2_T3_mT4_P12ihipStream_tbEUlT_E0_NS1_11comp_targetILNS1_3genE2ELNS1_11target_archE906ELNS1_3gpuE6ELNS1_3repE0EEENS1_30default_config_static_selectorELNS0_4arch9wavefront6targetE1EEEvSD_
; %bb.0:
	.section	.rodata,"a",@progbits
	.p2align	6, 0x0
	.amdhsa_kernel _ZN7rocprim17ROCPRIM_400000_NS6detail17trampoline_kernelINS0_14default_configENS1_22reduce_config_selectorIdEEZNS1_11reduce_implILb1ES3_PdS7_d9plus_mod3IdEEE10hipError_tPvRmT1_T2_T3_mT4_P12ihipStream_tbEUlT_E0_NS1_11comp_targetILNS1_3genE2ELNS1_11target_archE906ELNS1_3gpuE6ELNS1_3repE0EEENS1_30default_config_static_selectorELNS0_4arch9wavefront6targetE1EEEvSD_
		.amdhsa_group_segment_fixed_size 0
		.amdhsa_private_segment_fixed_size 0
		.amdhsa_kernarg_size 64
		.amdhsa_user_sgpr_count 2
		.amdhsa_user_sgpr_dispatch_ptr 0
		.amdhsa_user_sgpr_queue_ptr 0
		.amdhsa_user_sgpr_kernarg_segment_ptr 1
		.amdhsa_user_sgpr_dispatch_id 0
		.amdhsa_user_sgpr_kernarg_preload_length 0
		.amdhsa_user_sgpr_kernarg_preload_offset 0
		.amdhsa_user_sgpr_private_segment_size 0
		.amdhsa_uses_dynamic_stack 0
		.amdhsa_enable_private_segment 0
		.amdhsa_system_sgpr_workgroup_id_x 1
		.amdhsa_system_sgpr_workgroup_id_y 0
		.amdhsa_system_sgpr_workgroup_id_z 0
		.amdhsa_system_sgpr_workgroup_info 0
		.amdhsa_system_vgpr_workitem_id 0
		.amdhsa_next_free_vgpr 1
		.amdhsa_next_free_sgpr 0
		.amdhsa_accum_offset 4
		.amdhsa_reserve_vcc 0
		.amdhsa_float_round_mode_32 0
		.amdhsa_float_round_mode_16_64 0
		.amdhsa_float_denorm_mode_32 3
		.amdhsa_float_denorm_mode_16_64 3
		.amdhsa_dx10_clamp 1
		.amdhsa_ieee_mode 1
		.amdhsa_fp16_overflow 0
		.amdhsa_tg_split 0
		.amdhsa_exception_fp_ieee_invalid_op 0
		.amdhsa_exception_fp_denorm_src 0
		.amdhsa_exception_fp_ieee_div_zero 0
		.amdhsa_exception_fp_ieee_overflow 0
		.amdhsa_exception_fp_ieee_underflow 0
		.amdhsa_exception_fp_ieee_inexact 0
		.amdhsa_exception_int_div_zero 0
	.end_amdhsa_kernel
	.section	.text._ZN7rocprim17ROCPRIM_400000_NS6detail17trampoline_kernelINS0_14default_configENS1_22reduce_config_selectorIdEEZNS1_11reduce_implILb1ES3_PdS7_d9plus_mod3IdEEE10hipError_tPvRmT1_T2_T3_mT4_P12ihipStream_tbEUlT_E0_NS1_11comp_targetILNS1_3genE2ELNS1_11target_archE906ELNS1_3gpuE6ELNS1_3repE0EEENS1_30default_config_static_selectorELNS0_4arch9wavefront6targetE1EEEvSD_,"axG",@progbits,_ZN7rocprim17ROCPRIM_400000_NS6detail17trampoline_kernelINS0_14default_configENS1_22reduce_config_selectorIdEEZNS1_11reduce_implILb1ES3_PdS7_d9plus_mod3IdEEE10hipError_tPvRmT1_T2_T3_mT4_P12ihipStream_tbEUlT_E0_NS1_11comp_targetILNS1_3genE2ELNS1_11target_archE906ELNS1_3gpuE6ELNS1_3repE0EEENS1_30default_config_static_selectorELNS0_4arch9wavefront6targetE1EEEvSD_,comdat
.Lfunc_end699:
	.size	_ZN7rocprim17ROCPRIM_400000_NS6detail17trampoline_kernelINS0_14default_configENS1_22reduce_config_selectorIdEEZNS1_11reduce_implILb1ES3_PdS7_d9plus_mod3IdEEE10hipError_tPvRmT1_T2_T3_mT4_P12ihipStream_tbEUlT_E0_NS1_11comp_targetILNS1_3genE2ELNS1_11target_archE906ELNS1_3gpuE6ELNS1_3repE0EEENS1_30default_config_static_selectorELNS0_4arch9wavefront6targetE1EEEvSD_, .Lfunc_end699-_ZN7rocprim17ROCPRIM_400000_NS6detail17trampoline_kernelINS0_14default_configENS1_22reduce_config_selectorIdEEZNS1_11reduce_implILb1ES3_PdS7_d9plus_mod3IdEEE10hipError_tPvRmT1_T2_T3_mT4_P12ihipStream_tbEUlT_E0_NS1_11comp_targetILNS1_3genE2ELNS1_11target_archE906ELNS1_3gpuE6ELNS1_3repE0EEENS1_30default_config_static_selectorELNS0_4arch9wavefront6targetE1EEEvSD_
                                        ; -- End function
	.set _ZN7rocprim17ROCPRIM_400000_NS6detail17trampoline_kernelINS0_14default_configENS1_22reduce_config_selectorIdEEZNS1_11reduce_implILb1ES3_PdS7_d9plus_mod3IdEEE10hipError_tPvRmT1_T2_T3_mT4_P12ihipStream_tbEUlT_E0_NS1_11comp_targetILNS1_3genE2ELNS1_11target_archE906ELNS1_3gpuE6ELNS1_3repE0EEENS1_30default_config_static_selectorELNS0_4arch9wavefront6targetE1EEEvSD_.num_vgpr, 0
	.set _ZN7rocprim17ROCPRIM_400000_NS6detail17trampoline_kernelINS0_14default_configENS1_22reduce_config_selectorIdEEZNS1_11reduce_implILb1ES3_PdS7_d9plus_mod3IdEEE10hipError_tPvRmT1_T2_T3_mT4_P12ihipStream_tbEUlT_E0_NS1_11comp_targetILNS1_3genE2ELNS1_11target_archE906ELNS1_3gpuE6ELNS1_3repE0EEENS1_30default_config_static_selectorELNS0_4arch9wavefront6targetE1EEEvSD_.num_agpr, 0
	.set _ZN7rocprim17ROCPRIM_400000_NS6detail17trampoline_kernelINS0_14default_configENS1_22reduce_config_selectorIdEEZNS1_11reduce_implILb1ES3_PdS7_d9plus_mod3IdEEE10hipError_tPvRmT1_T2_T3_mT4_P12ihipStream_tbEUlT_E0_NS1_11comp_targetILNS1_3genE2ELNS1_11target_archE906ELNS1_3gpuE6ELNS1_3repE0EEENS1_30default_config_static_selectorELNS0_4arch9wavefront6targetE1EEEvSD_.numbered_sgpr, 0
	.set _ZN7rocprim17ROCPRIM_400000_NS6detail17trampoline_kernelINS0_14default_configENS1_22reduce_config_selectorIdEEZNS1_11reduce_implILb1ES3_PdS7_d9plus_mod3IdEEE10hipError_tPvRmT1_T2_T3_mT4_P12ihipStream_tbEUlT_E0_NS1_11comp_targetILNS1_3genE2ELNS1_11target_archE906ELNS1_3gpuE6ELNS1_3repE0EEENS1_30default_config_static_selectorELNS0_4arch9wavefront6targetE1EEEvSD_.num_named_barrier, 0
	.set _ZN7rocprim17ROCPRIM_400000_NS6detail17trampoline_kernelINS0_14default_configENS1_22reduce_config_selectorIdEEZNS1_11reduce_implILb1ES3_PdS7_d9plus_mod3IdEEE10hipError_tPvRmT1_T2_T3_mT4_P12ihipStream_tbEUlT_E0_NS1_11comp_targetILNS1_3genE2ELNS1_11target_archE906ELNS1_3gpuE6ELNS1_3repE0EEENS1_30default_config_static_selectorELNS0_4arch9wavefront6targetE1EEEvSD_.private_seg_size, 0
	.set _ZN7rocprim17ROCPRIM_400000_NS6detail17trampoline_kernelINS0_14default_configENS1_22reduce_config_selectorIdEEZNS1_11reduce_implILb1ES3_PdS7_d9plus_mod3IdEEE10hipError_tPvRmT1_T2_T3_mT4_P12ihipStream_tbEUlT_E0_NS1_11comp_targetILNS1_3genE2ELNS1_11target_archE906ELNS1_3gpuE6ELNS1_3repE0EEENS1_30default_config_static_selectorELNS0_4arch9wavefront6targetE1EEEvSD_.uses_vcc, 0
	.set _ZN7rocprim17ROCPRIM_400000_NS6detail17trampoline_kernelINS0_14default_configENS1_22reduce_config_selectorIdEEZNS1_11reduce_implILb1ES3_PdS7_d9plus_mod3IdEEE10hipError_tPvRmT1_T2_T3_mT4_P12ihipStream_tbEUlT_E0_NS1_11comp_targetILNS1_3genE2ELNS1_11target_archE906ELNS1_3gpuE6ELNS1_3repE0EEENS1_30default_config_static_selectorELNS0_4arch9wavefront6targetE1EEEvSD_.uses_flat_scratch, 0
	.set _ZN7rocprim17ROCPRIM_400000_NS6detail17trampoline_kernelINS0_14default_configENS1_22reduce_config_selectorIdEEZNS1_11reduce_implILb1ES3_PdS7_d9plus_mod3IdEEE10hipError_tPvRmT1_T2_T3_mT4_P12ihipStream_tbEUlT_E0_NS1_11comp_targetILNS1_3genE2ELNS1_11target_archE906ELNS1_3gpuE6ELNS1_3repE0EEENS1_30default_config_static_selectorELNS0_4arch9wavefront6targetE1EEEvSD_.has_dyn_sized_stack, 0
	.set _ZN7rocprim17ROCPRIM_400000_NS6detail17trampoline_kernelINS0_14default_configENS1_22reduce_config_selectorIdEEZNS1_11reduce_implILb1ES3_PdS7_d9plus_mod3IdEEE10hipError_tPvRmT1_T2_T3_mT4_P12ihipStream_tbEUlT_E0_NS1_11comp_targetILNS1_3genE2ELNS1_11target_archE906ELNS1_3gpuE6ELNS1_3repE0EEENS1_30default_config_static_selectorELNS0_4arch9wavefront6targetE1EEEvSD_.has_recursion, 0
	.set _ZN7rocprim17ROCPRIM_400000_NS6detail17trampoline_kernelINS0_14default_configENS1_22reduce_config_selectorIdEEZNS1_11reduce_implILb1ES3_PdS7_d9plus_mod3IdEEE10hipError_tPvRmT1_T2_T3_mT4_P12ihipStream_tbEUlT_E0_NS1_11comp_targetILNS1_3genE2ELNS1_11target_archE906ELNS1_3gpuE6ELNS1_3repE0EEENS1_30default_config_static_selectorELNS0_4arch9wavefront6targetE1EEEvSD_.has_indirect_call, 0
	.section	.AMDGPU.csdata,"",@progbits
; Kernel info:
; codeLenInByte = 0
; TotalNumSgprs: 6
; NumVgprs: 0
; NumAgprs: 0
; TotalNumVgprs: 0
; ScratchSize: 0
; MemoryBound: 0
; FloatMode: 240
; IeeeMode: 1
; LDSByteSize: 0 bytes/workgroup (compile time only)
; SGPRBlocks: 0
; VGPRBlocks: 0
; NumSGPRsForWavesPerEU: 6
; NumVGPRsForWavesPerEU: 1
; AccumOffset: 4
; Occupancy: 8
; WaveLimiterHint : 0
; COMPUTE_PGM_RSRC2:SCRATCH_EN: 0
; COMPUTE_PGM_RSRC2:USER_SGPR: 2
; COMPUTE_PGM_RSRC2:TRAP_HANDLER: 0
; COMPUTE_PGM_RSRC2:TGID_X_EN: 1
; COMPUTE_PGM_RSRC2:TGID_Y_EN: 0
; COMPUTE_PGM_RSRC2:TGID_Z_EN: 0
; COMPUTE_PGM_RSRC2:TIDIG_COMP_CNT: 0
; COMPUTE_PGM_RSRC3_GFX90A:ACCUM_OFFSET: 0
; COMPUTE_PGM_RSRC3_GFX90A:TG_SPLIT: 0
	.section	.text._ZN7rocprim17ROCPRIM_400000_NS6detail17trampoline_kernelINS0_14default_configENS1_22reduce_config_selectorIdEEZNS1_11reduce_implILb1ES3_PdS7_d9plus_mod3IdEEE10hipError_tPvRmT1_T2_T3_mT4_P12ihipStream_tbEUlT_E0_NS1_11comp_targetILNS1_3genE10ELNS1_11target_archE1201ELNS1_3gpuE5ELNS1_3repE0EEENS1_30default_config_static_selectorELNS0_4arch9wavefront6targetE1EEEvSD_,"axG",@progbits,_ZN7rocprim17ROCPRIM_400000_NS6detail17trampoline_kernelINS0_14default_configENS1_22reduce_config_selectorIdEEZNS1_11reduce_implILb1ES3_PdS7_d9plus_mod3IdEEE10hipError_tPvRmT1_T2_T3_mT4_P12ihipStream_tbEUlT_E0_NS1_11comp_targetILNS1_3genE10ELNS1_11target_archE1201ELNS1_3gpuE5ELNS1_3repE0EEENS1_30default_config_static_selectorELNS0_4arch9wavefront6targetE1EEEvSD_,comdat
	.protected	_ZN7rocprim17ROCPRIM_400000_NS6detail17trampoline_kernelINS0_14default_configENS1_22reduce_config_selectorIdEEZNS1_11reduce_implILb1ES3_PdS7_d9plus_mod3IdEEE10hipError_tPvRmT1_T2_T3_mT4_P12ihipStream_tbEUlT_E0_NS1_11comp_targetILNS1_3genE10ELNS1_11target_archE1201ELNS1_3gpuE5ELNS1_3repE0EEENS1_30default_config_static_selectorELNS0_4arch9wavefront6targetE1EEEvSD_ ; -- Begin function _ZN7rocprim17ROCPRIM_400000_NS6detail17trampoline_kernelINS0_14default_configENS1_22reduce_config_selectorIdEEZNS1_11reduce_implILb1ES3_PdS7_d9plus_mod3IdEEE10hipError_tPvRmT1_T2_T3_mT4_P12ihipStream_tbEUlT_E0_NS1_11comp_targetILNS1_3genE10ELNS1_11target_archE1201ELNS1_3gpuE5ELNS1_3repE0EEENS1_30default_config_static_selectorELNS0_4arch9wavefront6targetE1EEEvSD_
	.globl	_ZN7rocprim17ROCPRIM_400000_NS6detail17trampoline_kernelINS0_14default_configENS1_22reduce_config_selectorIdEEZNS1_11reduce_implILb1ES3_PdS7_d9plus_mod3IdEEE10hipError_tPvRmT1_T2_T3_mT4_P12ihipStream_tbEUlT_E0_NS1_11comp_targetILNS1_3genE10ELNS1_11target_archE1201ELNS1_3gpuE5ELNS1_3repE0EEENS1_30default_config_static_selectorELNS0_4arch9wavefront6targetE1EEEvSD_
	.p2align	8
	.type	_ZN7rocprim17ROCPRIM_400000_NS6detail17trampoline_kernelINS0_14default_configENS1_22reduce_config_selectorIdEEZNS1_11reduce_implILb1ES3_PdS7_d9plus_mod3IdEEE10hipError_tPvRmT1_T2_T3_mT4_P12ihipStream_tbEUlT_E0_NS1_11comp_targetILNS1_3genE10ELNS1_11target_archE1201ELNS1_3gpuE5ELNS1_3repE0EEENS1_30default_config_static_selectorELNS0_4arch9wavefront6targetE1EEEvSD_,@function
_ZN7rocprim17ROCPRIM_400000_NS6detail17trampoline_kernelINS0_14default_configENS1_22reduce_config_selectorIdEEZNS1_11reduce_implILb1ES3_PdS7_d9plus_mod3IdEEE10hipError_tPvRmT1_T2_T3_mT4_P12ihipStream_tbEUlT_E0_NS1_11comp_targetILNS1_3genE10ELNS1_11target_archE1201ELNS1_3gpuE5ELNS1_3repE0EEENS1_30default_config_static_selectorELNS0_4arch9wavefront6targetE1EEEvSD_: ; @_ZN7rocprim17ROCPRIM_400000_NS6detail17trampoline_kernelINS0_14default_configENS1_22reduce_config_selectorIdEEZNS1_11reduce_implILb1ES3_PdS7_d9plus_mod3IdEEE10hipError_tPvRmT1_T2_T3_mT4_P12ihipStream_tbEUlT_E0_NS1_11comp_targetILNS1_3genE10ELNS1_11target_archE1201ELNS1_3gpuE5ELNS1_3repE0EEENS1_30default_config_static_selectorELNS0_4arch9wavefront6targetE1EEEvSD_
; %bb.0:
	.section	.rodata,"a",@progbits
	.p2align	6, 0x0
	.amdhsa_kernel _ZN7rocprim17ROCPRIM_400000_NS6detail17trampoline_kernelINS0_14default_configENS1_22reduce_config_selectorIdEEZNS1_11reduce_implILb1ES3_PdS7_d9plus_mod3IdEEE10hipError_tPvRmT1_T2_T3_mT4_P12ihipStream_tbEUlT_E0_NS1_11comp_targetILNS1_3genE10ELNS1_11target_archE1201ELNS1_3gpuE5ELNS1_3repE0EEENS1_30default_config_static_selectorELNS0_4arch9wavefront6targetE1EEEvSD_
		.amdhsa_group_segment_fixed_size 0
		.amdhsa_private_segment_fixed_size 0
		.amdhsa_kernarg_size 64
		.amdhsa_user_sgpr_count 2
		.amdhsa_user_sgpr_dispatch_ptr 0
		.amdhsa_user_sgpr_queue_ptr 0
		.amdhsa_user_sgpr_kernarg_segment_ptr 1
		.amdhsa_user_sgpr_dispatch_id 0
		.amdhsa_user_sgpr_kernarg_preload_length 0
		.amdhsa_user_sgpr_kernarg_preload_offset 0
		.amdhsa_user_sgpr_private_segment_size 0
		.amdhsa_uses_dynamic_stack 0
		.amdhsa_enable_private_segment 0
		.amdhsa_system_sgpr_workgroup_id_x 1
		.amdhsa_system_sgpr_workgroup_id_y 0
		.amdhsa_system_sgpr_workgroup_id_z 0
		.amdhsa_system_sgpr_workgroup_info 0
		.amdhsa_system_vgpr_workitem_id 0
		.amdhsa_next_free_vgpr 1
		.amdhsa_next_free_sgpr 0
		.amdhsa_accum_offset 4
		.amdhsa_reserve_vcc 0
		.amdhsa_float_round_mode_32 0
		.amdhsa_float_round_mode_16_64 0
		.amdhsa_float_denorm_mode_32 3
		.amdhsa_float_denorm_mode_16_64 3
		.amdhsa_dx10_clamp 1
		.amdhsa_ieee_mode 1
		.amdhsa_fp16_overflow 0
		.amdhsa_tg_split 0
		.amdhsa_exception_fp_ieee_invalid_op 0
		.amdhsa_exception_fp_denorm_src 0
		.amdhsa_exception_fp_ieee_div_zero 0
		.amdhsa_exception_fp_ieee_overflow 0
		.amdhsa_exception_fp_ieee_underflow 0
		.amdhsa_exception_fp_ieee_inexact 0
		.amdhsa_exception_int_div_zero 0
	.end_amdhsa_kernel
	.section	.text._ZN7rocprim17ROCPRIM_400000_NS6detail17trampoline_kernelINS0_14default_configENS1_22reduce_config_selectorIdEEZNS1_11reduce_implILb1ES3_PdS7_d9plus_mod3IdEEE10hipError_tPvRmT1_T2_T3_mT4_P12ihipStream_tbEUlT_E0_NS1_11comp_targetILNS1_3genE10ELNS1_11target_archE1201ELNS1_3gpuE5ELNS1_3repE0EEENS1_30default_config_static_selectorELNS0_4arch9wavefront6targetE1EEEvSD_,"axG",@progbits,_ZN7rocprim17ROCPRIM_400000_NS6detail17trampoline_kernelINS0_14default_configENS1_22reduce_config_selectorIdEEZNS1_11reduce_implILb1ES3_PdS7_d9plus_mod3IdEEE10hipError_tPvRmT1_T2_T3_mT4_P12ihipStream_tbEUlT_E0_NS1_11comp_targetILNS1_3genE10ELNS1_11target_archE1201ELNS1_3gpuE5ELNS1_3repE0EEENS1_30default_config_static_selectorELNS0_4arch9wavefront6targetE1EEEvSD_,comdat
.Lfunc_end700:
	.size	_ZN7rocprim17ROCPRIM_400000_NS6detail17trampoline_kernelINS0_14default_configENS1_22reduce_config_selectorIdEEZNS1_11reduce_implILb1ES3_PdS7_d9plus_mod3IdEEE10hipError_tPvRmT1_T2_T3_mT4_P12ihipStream_tbEUlT_E0_NS1_11comp_targetILNS1_3genE10ELNS1_11target_archE1201ELNS1_3gpuE5ELNS1_3repE0EEENS1_30default_config_static_selectorELNS0_4arch9wavefront6targetE1EEEvSD_, .Lfunc_end700-_ZN7rocprim17ROCPRIM_400000_NS6detail17trampoline_kernelINS0_14default_configENS1_22reduce_config_selectorIdEEZNS1_11reduce_implILb1ES3_PdS7_d9plus_mod3IdEEE10hipError_tPvRmT1_T2_T3_mT4_P12ihipStream_tbEUlT_E0_NS1_11comp_targetILNS1_3genE10ELNS1_11target_archE1201ELNS1_3gpuE5ELNS1_3repE0EEENS1_30default_config_static_selectorELNS0_4arch9wavefront6targetE1EEEvSD_
                                        ; -- End function
	.set _ZN7rocprim17ROCPRIM_400000_NS6detail17trampoline_kernelINS0_14default_configENS1_22reduce_config_selectorIdEEZNS1_11reduce_implILb1ES3_PdS7_d9plus_mod3IdEEE10hipError_tPvRmT1_T2_T3_mT4_P12ihipStream_tbEUlT_E0_NS1_11comp_targetILNS1_3genE10ELNS1_11target_archE1201ELNS1_3gpuE5ELNS1_3repE0EEENS1_30default_config_static_selectorELNS0_4arch9wavefront6targetE1EEEvSD_.num_vgpr, 0
	.set _ZN7rocprim17ROCPRIM_400000_NS6detail17trampoline_kernelINS0_14default_configENS1_22reduce_config_selectorIdEEZNS1_11reduce_implILb1ES3_PdS7_d9plus_mod3IdEEE10hipError_tPvRmT1_T2_T3_mT4_P12ihipStream_tbEUlT_E0_NS1_11comp_targetILNS1_3genE10ELNS1_11target_archE1201ELNS1_3gpuE5ELNS1_3repE0EEENS1_30default_config_static_selectorELNS0_4arch9wavefront6targetE1EEEvSD_.num_agpr, 0
	.set _ZN7rocprim17ROCPRIM_400000_NS6detail17trampoline_kernelINS0_14default_configENS1_22reduce_config_selectorIdEEZNS1_11reduce_implILb1ES3_PdS7_d9plus_mod3IdEEE10hipError_tPvRmT1_T2_T3_mT4_P12ihipStream_tbEUlT_E0_NS1_11comp_targetILNS1_3genE10ELNS1_11target_archE1201ELNS1_3gpuE5ELNS1_3repE0EEENS1_30default_config_static_selectorELNS0_4arch9wavefront6targetE1EEEvSD_.numbered_sgpr, 0
	.set _ZN7rocprim17ROCPRIM_400000_NS6detail17trampoline_kernelINS0_14default_configENS1_22reduce_config_selectorIdEEZNS1_11reduce_implILb1ES3_PdS7_d9plus_mod3IdEEE10hipError_tPvRmT1_T2_T3_mT4_P12ihipStream_tbEUlT_E0_NS1_11comp_targetILNS1_3genE10ELNS1_11target_archE1201ELNS1_3gpuE5ELNS1_3repE0EEENS1_30default_config_static_selectorELNS0_4arch9wavefront6targetE1EEEvSD_.num_named_barrier, 0
	.set _ZN7rocprim17ROCPRIM_400000_NS6detail17trampoline_kernelINS0_14default_configENS1_22reduce_config_selectorIdEEZNS1_11reduce_implILb1ES3_PdS7_d9plus_mod3IdEEE10hipError_tPvRmT1_T2_T3_mT4_P12ihipStream_tbEUlT_E0_NS1_11comp_targetILNS1_3genE10ELNS1_11target_archE1201ELNS1_3gpuE5ELNS1_3repE0EEENS1_30default_config_static_selectorELNS0_4arch9wavefront6targetE1EEEvSD_.private_seg_size, 0
	.set _ZN7rocprim17ROCPRIM_400000_NS6detail17trampoline_kernelINS0_14default_configENS1_22reduce_config_selectorIdEEZNS1_11reduce_implILb1ES3_PdS7_d9plus_mod3IdEEE10hipError_tPvRmT1_T2_T3_mT4_P12ihipStream_tbEUlT_E0_NS1_11comp_targetILNS1_3genE10ELNS1_11target_archE1201ELNS1_3gpuE5ELNS1_3repE0EEENS1_30default_config_static_selectorELNS0_4arch9wavefront6targetE1EEEvSD_.uses_vcc, 0
	.set _ZN7rocprim17ROCPRIM_400000_NS6detail17trampoline_kernelINS0_14default_configENS1_22reduce_config_selectorIdEEZNS1_11reduce_implILb1ES3_PdS7_d9plus_mod3IdEEE10hipError_tPvRmT1_T2_T3_mT4_P12ihipStream_tbEUlT_E0_NS1_11comp_targetILNS1_3genE10ELNS1_11target_archE1201ELNS1_3gpuE5ELNS1_3repE0EEENS1_30default_config_static_selectorELNS0_4arch9wavefront6targetE1EEEvSD_.uses_flat_scratch, 0
	.set _ZN7rocprim17ROCPRIM_400000_NS6detail17trampoline_kernelINS0_14default_configENS1_22reduce_config_selectorIdEEZNS1_11reduce_implILb1ES3_PdS7_d9plus_mod3IdEEE10hipError_tPvRmT1_T2_T3_mT4_P12ihipStream_tbEUlT_E0_NS1_11comp_targetILNS1_3genE10ELNS1_11target_archE1201ELNS1_3gpuE5ELNS1_3repE0EEENS1_30default_config_static_selectorELNS0_4arch9wavefront6targetE1EEEvSD_.has_dyn_sized_stack, 0
	.set _ZN7rocprim17ROCPRIM_400000_NS6detail17trampoline_kernelINS0_14default_configENS1_22reduce_config_selectorIdEEZNS1_11reduce_implILb1ES3_PdS7_d9plus_mod3IdEEE10hipError_tPvRmT1_T2_T3_mT4_P12ihipStream_tbEUlT_E0_NS1_11comp_targetILNS1_3genE10ELNS1_11target_archE1201ELNS1_3gpuE5ELNS1_3repE0EEENS1_30default_config_static_selectorELNS0_4arch9wavefront6targetE1EEEvSD_.has_recursion, 0
	.set _ZN7rocprim17ROCPRIM_400000_NS6detail17trampoline_kernelINS0_14default_configENS1_22reduce_config_selectorIdEEZNS1_11reduce_implILb1ES3_PdS7_d9plus_mod3IdEEE10hipError_tPvRmT1_T2_T3_mT4_P12ihipStream_tbEUlT_E0_NS1_11comp_targetILNS1_3genE10ELNS1_11target_archE1201ELNS1_3gpuE5ELNS1_3repE0EEENS1_30default_config_static_selectorELNS0_4arch9wavefront6targetE1EEEvSD_.has_indirect_call, 0
	.section	.AMDGPU.csdata,"",@progbits
; Kernel info:
; codeLenInByte = 0
; TotalNumSgprs: 6
; NumVgprs: 0
; NumAgprs: 0
; TotalNumVgprs: 0
; ScratchSize: 0
; MemoryBound: 0
; FloatMode: 240
; IeeeMode: 1
; LDSByteSize: 0 bytes/workgroup (compile time only)
; SGPRBlocks: 0
; VGPRBlocks: 0
; NumSGPRsForWavesPerEU: 6
; NumVGPRsForWavesPerEU: 1
; AccumOffset: 4
; Occupancy: 8
; WaveLimiterHint : 0
; COMPUTE_PGM_RSRC2:SCRATCH_EN: 0
; COMPUTE_PGM_RSRC2:USER_SGPR: 2
; COMPUTE_PGM_RSRC2:TRAP_HANDLER: 0
; COMPUTE_PGM_RSRC2:TGID_X_EN: 1
; COMPUTE_PGM_RSRC2:TGID_Y_EN: 0
; COMPUTE_PGM_RSRC2:TGID_Z_EN: 0
; COMPUTE_PGM_RSRC2:TIDIG_COMP_CNT: 0
; COMPUTE_PGM_RSRC3_GFX90A:ACCUM_OFFSET: 0
; COMPUTE_PGM_RSRC3_GFX90A:TG_SPLIT: 0
	.section	.text._ZN7rocprim17ROCPRIM_400000_NS6detail17trampoline_kernelINS0_14default_configENS1_22reduce_config_selectorIdEEZNS1_11reduce_implILb1ES3_PdS7_d9plus_mod3IdEEE10hipError_tPvRmT1_T2_T3_mT4_P12ihipStream_tbEUlT_E0_NS1_11comp_targetILNS1_3genE10ELNS1_11target_archE1200ELNS1_3gpuE4ELNS1_3repE0EEENS1_30default_config_static_selectorELNS0_4arch9wavefront6targetE1EEEvSD_,"axG",@progbits,_ZN7rocprim17ROCPRIM_400000_NS6detail17trampoline_kernelINS0_14default_configENS1_22reduce_config_selectorIdEEZNS1_11reduce_implILb1ES3_PdS7_d9plus_mod3IdEEE10hipError_tPvRmT1_T2_T3_mT4_P12ihipStream_tbEUlT_E0_NS1_11comp_targetILNS1_3genE10ELNS1_11target_archE1200ELNS1_3gpuE4ELNS1_3repE0EEENS1_30default_config_static_selectorELNS0_4arch9wavefront6targetE1EEEvSD_,comdat
	.protected	_ZN7rocprim17ROCPRIM_400000_NS6detail17trampoline_kernelINS0_14default_configENS1_22reduce_config_selectorIdEEZNS1_11reduce_implILb1ES3_PdS7_d9plus_mod3IdEEE10hipError_tPvRmT1_T2_T3_mT4_P12ihipStream_tbEUlT_E0_NS1_11comp_targetILNS1_3genE10ELNS1_11target_archE1200ELNS1_3gpuE4ELNS1_3repE0EEENS1_30default_config_static_selectorELNS0_4arch9wavefront6targetE1EEEvSD_ ; -- Begin function _ZN7rocprim17ROCPRIM_400000_NS6detail17trampoline_kernelINS0_14default_configENS1_22reduce_config_selectorIdEEZNS1_11reduce_implILb1ES3_PdS7_d9plus_mod3IdEEE10hipError_tPvRmT1_T2_T3_mT4_P12ihipStream_tbEUlT_E0_NS1_11comp_targetILNS1_3genE10ELNS1_11target_archE1200ELNS1_3gpuE4ELNS1_3repE0EEENS1_30default_config_static_selectorELNS0_4arch9wavefront6targetE1EEEvSD_
	.globl	_ZN7rocprim17ROCPRIM_400000_NS6detail17trampoline_kernelINS0_14default_configENS1_22reduce_config_selectorIdEEZNS1_11reduce_implILb1ES3_PdS7_d9plus_mod3IdEEE10hipError_tPvRmT1_T2_T3_mT4_P12ihipStream_tbEUlT_E0_NS1_11comp_targetILNS1_3genE10ELNS1_11target_archE1200ELNS1_3gpuE4ELNS1_3repE0EEENS1_30default_config_static_selectorELNS0_4arch9wavefront6targetE1EEEvSD_
	.p2align	8
	.type	_ZN7rocprim17ROCPRIM_400000_NS6detail17trampoline_kernelINS0_14default_configENS1_22reduce_config_selectorIdEEZNS1_11reduce_implILb1ES3_PdS7_d9plus_mod3IdEEE10hipError_tPvRmT1_T2_T3_mT4_P12ihipStream_tbEUlT_E0_NS1_11comp_targetILNS1_3genE10ELNS1_11target_archE1200ELNS1_3gpuE4ELNS1_3repE0EEENS1_30default_config_static_selectorELNS0_4arch9wavefront6targetE1EEEvSD_,@function
_ZN7rocprim17ROCPRIM_400000_NS6detail17trampoline_kernelINS0_14default_configENS1_22reduce_config_selectorIdEEZNS1_11reduce_implILb1ES3_PdS7_d9plus_mod3IdEEE10hipError_tPvRmT1_T2_T3_mT4_P12ihipStream_tbEUlT_E0_NS1_11comp_targetILNS1_3genE10ELNS1_11target_archE1200ELNS1_3gpuE4ELNS1_3repE0EEENS1_30default_config_static_selectorELNS0_4arch9wavefront6targetE1EEEvSD_: ; @_ZN7rocprim17ROCPRIM_400000_NS6detail17trampoline_kernelINS0_14default_configENS1_22reduce_config_selectorIdEEZNS1_11reduce_implILb1ES3_PdS7_d9plus_mod3IdEEE10hipError_tPvRmT1_T2_T3_mT4_P12ihipStream_tbEUlT_E0_NS1_11comp_targetILNS1_3genE10ELNS1_11target_archE1200ELNS1_3gpuE4ELNS1_3repE0EEENS1_30default_config_static_selectorELNS0_4arch9wavefront6targetE1EEEvSD_
; %bb.0:
	.section	.rodata,"a",@progbits
	.p2align	6, 0x0
	.amdhsa_kernel _ZN7rocprim17ROCPRIM_400000_NS6detail17trampoline_kernelINS0_14default_configENS1_22reduce_config_selectorIdEEZNS1_11reduce_implILb1ES3_PdS7_d9plus_mod3IdEEE10hipError_tPvRmT1_T2_T3_mT4_P12ihipStream_tbEUlT_E0_NS1_11comp_targetILNS1_3genE10ELNS1_11target_archE1200ELNS1_3gpuE4ELNS1_3repE0EEENS1_30default_config_static_selectorELNS0_4arch9wavefront6targetE1EEEvSD_
		.amdhsa_group_segment_fixed_size 0
		.amdhsa_private_segment_fixed_size 0
		.amdhsa_kernarg_size 64
		.amdhsa_user_sgpr_count 2
		.amdhsa_user_sgpr_dispatch_ptr 0
		.amdhsa_user_sgpr_queue_ptr 0
		.amdhsa_user_sgpr_kernarg_segment_ptr 1
		.amdhsa_user_sgpr_dispatch_id 0
		.amdhsa_user_sgpr_kernarg_preload_length 0
		.amdhsa_user_sgpr_kernarg_preload_offset 0
		.amdhsa_user_sgpr_private_segment_size 0
		.amdhsa_uses_dynamic_stack 0
		.amdhsa_enable_private_segment 0
		.amdhsa_system_sgpr_workgroup_id_x 1
		.amdhsa_system_sgpr_workgroup_id_y 0
		.amdhsa_system_sgpr_workgroup_id_z 0
		.amdhsa_system_sgpr_workgroup_info 0
		.amdhsa_system_vgpr_workitem_id 0
		.amdhsa_next_free_vgpr 1
		.amdhsa_next_free_sgpr 0
		.amdhsa_accum_offset 4
		.amdhsa_reserve_vcc 0
		.amdhsa_float_round_mode_32 0
		.amdhsa_float_round_mode_16_64 0
		.amdhsa_float_denorm_mode_32 3
		.amdhsa_float_denorm_mode_16_64 3
		.amdhsa_dx10_clamp 1
		.amdhsa_ieee_mode 1
		.amdhsa_fp16_overflow 0
		.amdhsa_tg_split 0
		.amdhsa_exception_fp_ieee_invalid_op 0
		.amdhsa_exception_fp_denorm_src 0
		.amdhsa_exception_fp_ieee_div_zero 0
		.amdhsa_exception_fp_ieee_overflow 0
		.amdhsa_exception_fp_ieee_underflow 0
		.amdhsa_exception_fp_ieee_inexact 0
		.amdhsa_exception_int_div_zero 0
	.end_amdhsa_kernel
	.section	.text._ZN7rocprim17ROCPRIM_400000_NS6detail17trampoline_kernelINS0_14default_configENS1_22reduce_config_selectorIdEEZNS1_11reduce_implILb1ES3_PdS7_d9plus_mod3IdEEE10hipError_tPvRmT1_T2_T3_mT4_P12ihipStream_tbEUlT_E0_NS1_11comp_targetILNS1_3genE10ELNS1_11target_archE1200ELNS1_3gpuE4ELNS1_3repE0EEENS1_30default_config_static_selectorELNS0_4arch9wavefront6targetE1EEEvSD_,"axG",@progbits,_ZN7rocprim17ROCPRIM_400000_NS6detail17trampoline_kernelINS0_14default_configENS1_22reduce_config_selectorIdEEZNS1_11reduce_implILb1ES3_PdS7_d9plus_mod3IdEEE10hipError_tPvRmT1_T2_T3_mT4_P12ihipStream_tbEUlT_E0_NS1_11comp_targetILNS1_3genE10ELNS1_11target_archE1200ELNS1_3gpuE4ELNS1_3repE0EEENS1_30default_config_static_selectorELNS0_4arch9wavefront6targetE1EEEvSD_,comdat
.Lfunc_end701:
	.size	_ZN7rocprim17ROCPRIM_400000_NS6detail17trampoline_kernelINS0_14default_configENS1_22reduce_config_selectorIdEEZNS1_11reduce_implILb1ES3_PdS7_d9plus_mod3IdEEE10hipError_tPvRmT1_T2_T3_mT4_P12ihipStream_tbEUlT_E0_NS1_11comp_targetILNS1_3genE10ELNS1_11target_archE1200ELNS1_3gpuE4ELNS1_3repE0EEENS1_30default_config_static_selectorELNS0_4arch9wavefront6targetE1EEEvSD_, .Lfunc_end701-_ZN7rocprim17ROCPRIM_400000_NS6detail17trampoline_kernelINS0_14default_configENS1_22reduce_config_selectorIdEEZNS1_11reduce_implILb1ES3_PdS7_d9plus_mod3IdEEE10hipError_tPvRmT1_T2_T3_mT4_P12ihipStream_tbEUlT_E0_NS1_11comp_targetILNS1_3genE10ELNS1_11target_archE1200ELNS1_3gpuE4ELNS1_3repE0EEENS1_30default_config_static_selectorELNS0_4arch9wavefront6targetE1EEEvSD_
                                        ; -- End function
	.set _ZN7rocprim17ROCPRIM_400000_NS6detail17trampoline_kernelINS0_14default_configENS1_22reduce_config_selectorIdEEZNS1_11reduce_implILb1ES3_PdS7_d9plus_mod3IdEEE10hipError_tPvRmT1_T2_T3_mT4_P12ihipStream_tbEUlT_E0_NS1_11comp_targetILNS1_3genE10ELNS1_11target_archE1200ELNS1_3gpuE4ELNS1_3repE0EEENS1_30default_config_static_selectorELNS0_4arch9wavefront6targetE1EEEvSD_.num_vgpr, 0
	.set _ZN7rocprim17ROCPRIM_400000_NS6detail17trampoline_kernelINS0_14default_configENS1_22reduce_config_selectorIdEEZNS1_11reduce_implILb1ES3_PdS7_d9plus_mod3IdEEE10hipError_tPvRmT1_T2_T3_mT4_P12ihipStream_tbEUlT_E0_NS1_11comp_targetILNS1_3genE10ELNS1_11target_archE1200ELNS1_3gpuE4ELNS1_3repE0EEENS1_30default_config_static_selectorELNS0_4arch9wavefront6targetE1EEEvSD_.num_agpr, 0
	.set _ZN7rocprim17ROCPRIM_400000_NS6detail17trampoline_kernelINS0_14default_configENS1_22reduce_config_selectorIdEEZNS1_11reduce_implILb1ES3_PdS7_d9plus_mod3IdEEE10hipError_tPvRmT1_T2_T3_mT4_P12ihipStream_tbEUlT_E0_NS1_11comp_targetILNS1_3genE10ELNS1_11target_archE1200ELNS1_3gpuE4ELNS1_3repE0EEENS1_30default_config_static_selectorELNS0_4arch9wavefront6targetE1EEEvSD_.numbered_sgpr, 0
	.set _ZN7rocprim17ROCPRIM_400000_NS6detail17trampoline_kernelINS0_14default_configENS1_22reduce_config_selectorIdEEZNS1_11reduce_implILb1ES3_PdS7_d9plus_mod3IdEEE10hipError_tPvRmT1_T2_T3_mT4_P12ihipStream_tbEUlT_E0_NS1_11comp_targetILNS1_3genE10ELNS1_11target_archE1200ELNS1_3gpuE4ELNS1_3repE0EEENS1_30default_config_static_selectorELNS0_4arch9wavefront6targetE1EEEvSD_.num_named_barrier, 0
	.set _ZN7rocprim17ROCPRIM_400000_NS6detail17trampoline_kernelINS0_14default_configENS1_22reduce_config_selectorIdEEZNS1_11reduce_implILb1ES3_PdS7_d9plus_mod3IdEEE10hipError_tPvRmT1_T2_T3_mT4_P12ihipStream_tbEUlT_E0_NS1_11comp_targetILNS1_3genE10ELNS1_11target_archE1200ELNS1_3gpuE4ELNS1_3repE0EEENS1_30default_config_static_selectorELNS0_4arch9wavefront6targetE1EEEvSD_.private_seg_size, 0
	.set _ZN7rocprim17ROCPRIM_400000_NS6detail17trampoline_kernelINS0_14default_configENS1_22reduce_config_selectorIdEEZNS1_11reduce_implILb1ES3_PdS7_d9plus_mod3IdEEE10hipError_tPvRmT1_T2_T3_mT4_P12ihipStream_tbEUlT_E0_NS1_11comp_targetILNS1_3genE10ELNS1_11target_archE1200ELNS1_3gpuE4ELNS1_3repE0EEENS1_30default_config_static_selectorELNS0_4arch9wavefront6targetE1EEEvSD_.uses_vcc, 0
	.set _ZN7rocprim17ROCPRIM_400000_NS6detail17trampoline_kernelINS0_14default_configENS1_22reduce_config_selectorIdEEZNS1_11reduce_implILb1ES3_PdS7_d9plus_mod3IdEEE10hipError_tPvRmT1_T2_T3_mT4_P12ihipStream_tbEUlT_E0_NS1_11comp_targetILNS1_3genE10ELNS1_11target_archE1200ELNS1_3gpuE4ELNS1_3repE0EEENS1_30default_config_static_selectorELNS0_4arch9wavefront6targetE1EEEvSD_.uses_flat_scratch, 0
	.set _ZN7rocprim17ROCPRIM_400000_NS6detail17trampoline_kernelINS0_14default_configENS1_22reduce_config_selectorIdEEZNS1_11reduce_implILb1ES3_PdS7_d9plus_mod3IdEEE10hipError_tPvRmT1_T2_T3_mT4_P12ihipStream_tbEUlT_E0_NS1_11comp_targetILNS1_3genE10ELNS1_11target_archE1200ELNS1_3gpuE4ELNS1_3repE0EEENS1_30default_config_static_selectorELNS0_4arch9wavefront6targetE1EEEvSD_.has_dyn_sized_stack, 0
	.set _ZN7rocprim17ROCPRIM_400000_NS6detail17trampoline_kernelINS0_14default_configENS1_22reduce_config_selectorIdEEZNS1_11reduce_implILb1ES3_PdS7_d9plus_mod3IdEEE10hipError_tPvRmT1_T2_T3_mT4_P12ihipStream_tbEUlT_E0_NS1_11comp_targetILNS1_3genE10ELNS1_11target_archE1200ELNS1_3gpuE4ELNS1_3repE0EEENS1_30default_config_static_selectorELNS0_4arch9wavefront6targetE1EEEvSD_.has_recursion, 0
	.set _ZN7rocprim17ROCPRIM_400000_NS6detail17trampoline_kernelINS0_14default_configENS1_22reduce_config_selectorIdEEZNS1_11reduce_implILb1ES3_PdS7_d9plus_mod3IdEEE10hipError_tPvRmT1_T2_T3_mT4_P12ihipStream_tbEUlT_E0_NS1_11comp_targetILNS1_3genE10ELNS1_11target_archE1200ELNS1_3gpuE4ELNS1_3repE0EEENS1_30default_config_static_selectorELNS0_4arch9wavefront6targetE1EEEvSD_.has_indirect_call, 0
	.section	.AMDGPU.csdata,"",@progbits
; Kernel info:
; codeLenInByte = 0
; TotalNumSgprs: 6
; NumVgprs: 0
; NumAgprs: 0
; TotalNumVgprs: 0
; ScratchSize: 0
; MemoryBound: 0
; FloatMode: 240
; IeeeMode: 1
; LDSByteSize: 0 bytes/workgroup (compile time only)
; SGPRBlocks: 0
; VGPRBlocks: 0
; NumSGPRsForWavesPerEU: 6
; NumVGPRsForWavesPerEU: 1
; AccumOffset: 4
; Occupancy: 8
; WaveLimiterHint : 0
; COMPUTE_PGM_RSRC2:SCRATCH_EN: 0
; COMPUTE_PGM_RSRC2:USER_SGPR: 2
; COMPUTE_PGM_RSRC2:TRAP_HANDLER: 0
; COMPUTE_PGM_RSRC2:TGID_X_EN: 1
; COMPUTE_PGM_RSRC2:TGID_Y_EN: 0
; COMPUTE_PGM_RSRC2:TGID_Z_EN: 0
; COMPUTE_PGM_RSRC2:TIDIG_COMP_CNT: 0
; COMPUTE_PGM_RSRC3_GFX90A:ACCUM_OFFSET: 0
; COMPUTE_PGM_RSRC3_GFX90A:TG_SPLIT: 0
	.section	.text._ZN7rocprim17ROCPRIM_400000_NS6detail17trampoline_kernelINS0_14default_configENS1_22reduce_config_selectorIdEEZNS1_11reduce_implILb1ES3_PdS7_d9plus_mod3IdEEE10hipError_tPvRmT1_T2_T3_mT4_P12ihipStream_tbEUlT_E0_NS1_11comp_targetILNS1_3genE9ELNS1_11target_archE1100ELNS1_3gpuE3ELNS1_3repE0EEENS1_30default_config_static_selectorELNS0_4arch9wavefront6targetE1EEEvSD_,"axG",@progbits,_ZN7rocprim17ROCPRIM_400000_NS6detail17trampoline_kernelINS0_14default_configENS1_22reduce_config_selectorIdEEZNS1_11reduce_implILb1ES3_PdS7_d9plus_mod3IdEEE10hipError_tPvRmT1_T2_T3_mT4_P12ihipStream_tbEUlT_E0_NS1_11comp_targetILNS1_3genE9ELNS1_11target_archE1100ELNS1_3gpuE3ELNS1_3repE0EEENS1_30default_config_static_selectorELNS0_4arch9wavefront6targetE1EEEvSD_,comdat
	.protected	_ZN7rocprim17ROCPRIM_400000_NS6detail17trampoline_kernelINS0_14default_configENS1_22reduce_config_selectorIdEEZNS1_11reduce_implILb1ES3_PdS7_d9plus_mod3IdEEE10hipError_tPvRmT1_T2_T3_mT4_P12ihipStream_tbEUlT_E0_NS1_11comp_targetILNS1_3genE9ELNS1_11target_archE1100ELNS1_3gpuE3ELNS1_3repE0EEENS1_30default_config_static_selectorELNS0_4arch9wavefront6targetE1EEEvSD_ ; -- Begin function _ZN7rocprim17ROCPRIM_400000_NS6detail17trampoline_kernelINS0_14default_configENS1_22reduce_config_selectorIdEEZNS1_11reduce_implILb1ES3_PdS7_d9plus_mod3IdEEE10hipError_tPvRmT1_T2_T3_mT4_P12ihipStream_tbEUlT_E0_NS1_11comp_targetILNS1_3genE9ELNS1_11target_archE1100ELNS1_3gpuE3ELNS1_3repE0EEENS1_30default_config_static_selectorELNS0_4arch9wavefront6targetE1EEEvSD_
	.globl	_ZN7rocprim17ROCPRIM_400000_NS6detail17trampoline_kernelINS0_14default_configENS1_22reduce_config_selectorIdEEZNS1_11reduce_implILb1ES3_PdS7_d9plus_mod3IdEEE10hipError_tPvRmT1_T2_T3_mT4_P12ihipStream_tbEUlT_E0_NS1_11comp_targetILNS1_3genE9ELNS1_11target_archE1100ELNS1_3gpuE3ELNS1_3repE0EEENS1_30default_config_static_selectorELNS0_4arch9wavefront6targetE1EEEvSD_
	.p2align	8
	.type	_ZN7rocprim17ROCPRIM_400000_NS6detail17trampoline_kernelINS0_14default_configENS1_22reduce_config_selectorIdEEZNS1_11reduce_implILb1ES3_PdS7_d9plus_mod3IdEEE10hipError_tPvRmT1_T2_T3_mT4_P12ihipStream_tbEUlT_E0_NS1_11comp_targetILNS1_3genE9ELNS1_11target_archE1100ELNS1_3gpuE3ELNS1_3repE0EEENS1_30default_config_static_selectorELNS0_4arch9wavefront6targetE1EEEvSD_,@function
_ZN7rocprim17ROCPRIM_400000_NS6detail17trampoline_kernelINS0_14default_configENS1_22reduce_config_selectorIdEEZNS1_11reduce_implILb1ES3_PdS7_d9plus_mod3IdEEE10hipError_tPvRmT1_T2_T3_mT4_P12ihipStream_tbEUlT_E0_NS1_11comp_targetILNS1_3genE9ELNS1_11target_archE1100ELNS1_3gpuE3ELNS1_3repE0EEENS1_30default_config_static_selectorELNS0_4arch9wavefront6targetE1EEEvSD_: ; @_ZN7rocprim17ROCPRIM_400000_NS6detail17trampoline_kernelINS0_14default_configENS1_22reduce_config_selectorIdEEZNS1_11reduce_implILb1ES3_PdS7_d9plus_mod3IdEEE10hipError_tPvRmT1_T2_T3_mT4_P12ihipStream_tbEUlT_E0_NS1_11comp_targetILNS1_3genE9ELNS1_11target_archE1100ELNS1_3gpuE3ELNS1_3repE0EEENS1_30default_config_static_selectorELNS0_4arch9wavefront6targetE1EEEvSD_
; %bb.0:
	.section	.rodata,"a",@progbits
	.p2align	6, 0x0
	.amdhsa_kernel _ZN7rocprim17ROCPRIM_400000_NS6detail17trampoline_kernelINS0_14default_configENS1_22reduce_config_selectorIdEEZNS1_11reduce_implILb1ES3_PdS7_d9plus_mod3IdEEE10hipError_tPvRmT1_T2_T3_mT4_P12ihipStream_tbEUlT_E0_NS1_11comp_targetILNS1_3genE9ELNS1_11target_archE1100ELNS1_3gpuE3ELNS1_3repE0EEENS1_30default_config_static_selectorELNS0_4arch9wavefront6targetE1EEEvSD_
		.amdhsa_group_segment_fixed_size 0
		.amdhsa_private_segment_fixed_size 0
		.amdhsa_kernarg_size 64
		.amdhsa_user_sgpr_count 2
		.amdhsa_user_sgpr_dispatch_ptr 0
		.amdhsa_user_sgpr_queue_ptr 0
		.amdhsa_user_sgpr_kernarg_segment_ptr 1
		.amdhsa_user_sgpr_dispatch_id 0
		.amdhsa_user_sgpr_kernarg_preload_length 0
		.amdhsa_user_sgpr_kernarg_preload_offset 0
		.amdhsa_user_sgpr_private_segment_size 0
		.amdhsa_uses_dynamic_stack 0
		.amdhsa_enable_private_segment 0
		.amdhsa_system_sgpr_workgroup_id_x 1
		.amdhsa_system_sgpr_workgroup_id_y 0
		.amdhsa_system_sgpr_workgroup_id_z 0
		.amdhsa_system_sgpr_workgroup_info 0
		.amdhsa_system_vgpr_workitem_id 0
		.amdhsa_next_free_vgpr 1
		.amdhsa_next_free_sgpr 0
		.amdhsa_accum_offset 4
		.amdhsa_reserve_vcc 0
		.amdhsa_float_round_mode_32 0
		.amdhsa_float_round_mode_16_64 0
		.amdhsa_float_denorm_mode_32 3
		.amdhsa_float_denorm_mode_16_64 3
		.amdhsa_dx10_clamp 1
		.amdhsa_ieee_mode 1
		.amdhsa_fp16_overflow 0
		.amdhsa_tg_split 0
		.amdhsa_exception_fp_ieee_invalid_op 0
		.amdhsa_exception_fp_denorm_src 0
		.amdhsa_exception_fp_ieee_div_zero 0
		.amdhsa_exception_fp_ieee_overflow 0
		.amdhsa_exception_fp_ieee_underflow 0
		.amdhsa_exception_fp_ieee_inexact 0
		.amdhsa_exception_int_div_zero 0
	.end_amdhsa_kernel
	.section	.text._ZN7rocprim17ROCPRIM_400000_NS6detail17trampoline_kernelINS0_14default_configENS1_22reduce_config_selectorIdEEZNS1_11reduce_implILb1ES3_PdS7_d9plus_mod3IdEEE10hipError_tPvRmT1_T2_T3_mT4_P12ihipStream_tbEUlT_E0_NS1_11comp_targetILNS1_3genE9ELNS1_11target_archE1100ELNS1_3gpuE3ELNS1_3repE0EEENS1_30default_config_static_selectorELNS0_4arch9wavefront6targetE1EEEvSD_,"axG",@progbits,_ZN7rocprim17ROCPRIM_400000_NS6detail17trampoline_kernelINS0_14default_configENS1_22reduce_config_selectorIdEEZNS1_11reduce_implILb1ES3_PdS7_d9plus_mod3IdEEE10hipError_tPvRmT1_T2_T3_mT4_P12ihipStream_tbEUlT_E0_NS1_11comp_targetILNS1_3genE9ELNS1_11target_archE1100ELNS1_3gpuE3ELNS1_3repE0EEENS1_30default_config_static_selectorELNS0_4arch9wavefront6targetE1EEEvSD_,comdat
.Lfunc_end702:
	.size	_ZN7rocprim17ROCPRIM_400000_NS6detail17trampoline_kernelINS0_14default_configENS1_22reduce_config_selectorIdEEZNS1_11reduce_implILb1ES3_PdS7_d9plus_mod3IdEEE10hipError_tPvRmT1_T2_T3_mT4_P12ihipStream_tbEUlT_E0_NS1_11comp_targetILNS1_3genE9ELNS1_11target_archE1100ELNS1_3gpuE3ELNS1_3repE0EEENS1_30default_config_static_selectorELNS0_4arch9wavefront6targetE1EEEvSD_, .Lfunc_end702-_ZN7rocprim17ROCPRIM_400000_NS6detail17trampoline_kernelINS0_14default_configENS1_22reduce_config_selectorIdEEZNS1_11reduce_implILb1ES3_PdS7_d9plus_mod3IdEEE10hipError_tPvRmT1_T2_T3_mT4_P12ihipStream_tbEUlT_E0_NS1_11comp_targetILNS1_3genE9ELNS1_11target_archE1100ELNS1_3gpuE3ELNS1_3repE0EEENS1_30default_config_static_selectorELNS0_4arch9wavefront6targetE1EEEvSD_
                                        ; -- End function
	.set _ZN7rocprim17ROCPRIM_400000_NS6detail17trampoline_kernelINS0_14default_configENS1_22reduce_config_selectorIdEEZNS1_11reduce_implILb1ES3_PdS7_d9plus_mod3IdEEE10hipError_tPvRmT1_T2_T3_mT4_P12ihipStream_tbEUlT_E0_NS1_11comp_targetILNS1_3genE9ELNS1_11target_archE1100ELNS1_3gpuE3ELNS1_3repE0EEENS1_30default_config_static_selectorELNS0_4arch9wavefront6targetE1EEEvSD_.num_vgpr, 0
	.set _ZN7rocprim17ROCPRIM_400000_NS6detail17trampoline_kernelINS0_14default_configENS1_22reduce_config_selectorIdEEZNS1_11reduce_implILb1ES3_PdS7_d9plus_mod3IdEEE10hipError_tPvRmT1_T2_T3_mT4_P12ihipStream_tbEUlT_E0_NS1_11comp_targetILNS1_3genE9ELNS1_11target_archE1100ELNS1_3gpuE3ELNS1_3repE0EEENS1_30default_config_static_selectorELNS0_4arch9wavefront6targetE1EEEvSD_.num_agpr, 0
	.set _ZN7rocprim17ROCPRIM_400000_NS6detail17trampoline_kernelINS0_14default_configENS1_22reduce_config_selectorIdEEZNS1_11reduce_implILb1ES3_PdS7_d9plus_mod3IdEEE10hipError_tPvRmT1_T2_T3_mT4_P12ihipStream_tbEUlT_E0_NS1_11comp_targetILNS1_3genE9ELNS1_11target_archE1100ELNS1_3gpuE3ELNS1_3repE0EEENS1_30default_config_static_selectorELNS0_4arch9wavefront6targetE1EEEvSD_.numbered_sgpr, 0
	.set _ZN7rocprim17ROCPRIM_400000_NS6detail17trampoline_kernelINS0_14default_configENS1_22reduce_config_selectorIdEEZNS1_11reduce_implILb1ES3_PdS7_d9plus_mod3IdEEE10hipError_tPvRmT1_T2_T3_mT4_P12ihipStream_tbEUlT_E0_NS1_11comp_targetILNS1_3genE9ELNS1_11target_archE1100ELNS1_3gpuE3ELNS1_3repE0EEENS1_30default_config_static_selectorELNS0_4arch9wavefront6targetE1EEEvSD_.num_named_barrier, 0
	.set _ZN7rocprim17ROCPRIM_400000_NS6detail17trampoline_kernelINS0_14default_configENS1_22reduce_config_selectorIdEEZNS1_11reduce_implILb1ES3_PdS7_d9plus_mod3IdEEE10hipError_tPvRmT1_T2_T3_mT4_P12ihipStream_tbEUlT_E0_NS1_11comp_targetILNS1_3genE9ELNS1_11target_archE1100ELNS1_3gpuE3ELNS1_3repE0EEENS1_30default_config_static_selectorELNS0_4arch9wavefront6targetE1EEEvSD_.private_seg_size, 0
	.set _ZN7rocprim17ROCPRIM_400000_NS6detail17trampoline_kernelINS0_14default_configENS1_22reduce_config_selectorIdEEZNS1_11reduce_implILb1ES3_PdS7_d9plus_mod3IdEEE10hipError_tPvRmT1_T2_T3_mT4_P12ihipStream_tbEUlT_E0_NS1_11comp_targetILNS1_3genE9ELNS1_11target_archE1100ELNS1_3gpuE3ELNS1_3repE0EEENS1_30default_config_static_selectorELNS0_4arch9wavefront6targetE1EEEvSD_.uses_vcc, 0
	.set _ZN7rocprim17ROCPRIM_400000_NS6detail17trampoline_kernelINS0_14default_configENS1_22reduce_config_selectorIdEEZNS1_11reduce_implILb1ES3_PdS7_d9plus_mod3IdEEE10hipError_tPvRmT1_T2_T3_mT4_P12ihipStream_tbEUlT_E0_NS1_11comp_targetILNS1_3genE9ELNS1_11target_archE1100ELNS1_3gpuE3ELNS1_3repE0EEENS1_30default_config_static_selectorELNS0_4arch9wavefront6targetE1EEEvSD_.uses_flat_scratch, 0
	.set _ZN7rocprim17ROCPRIM_400000_NS6detail17trampoline_kernelINS0_14default_configENS1_22reduce_config_selectorIdEEZNS1_11reduce_implILb1ES3_PdS7_d9plus_mod3IdEEE10hipError_tPvRmT1_T2_T3_mT4_P12ihipStream_tbEUlT_E0_NS1_11comp_targetILNS1_3genE9ELNS1_11target_archE1100ELNS1_3gpuE3ELNS1_3repE0EEENS1_30default_config_static_selectorELNS0_4arch9wavefront6targetE1EEEvSD_.has_dyn_sized_stack, 0
	.set _ZN7rocprim17ROCPRIM_400000_NS6detail17trampoline_kernelINS0_14default_configENS1_22reduce_config_selectorIdEEZNS1_11reduce_implILb1ES3_PdS7_d9plus_mod3IdEEE10hipError_tPvRmT1_T2_T3_mT4_P12ihipStream_tbEUlT_E0_NS1_11comp_targetILNS1_3genE9ELNS1_11target_archE1100ELNS1_3gpuE3ELNS1_3repE0EEENS1_30default_config_static_selectorELNS0_4arch9wavefront6targetE1EEEvSD_.has_recursion, 0
	.set _ZN7rocprim17ROCPRIM_400000_NS6detail17trampoline_kernelINS0_14default_configENS1_22reduce_config_selectorIdEEZNS1_11reduce_implILb1ES3_PdS7_d9plus_mod3IdEEE10hipError_tPvRmT1_T2_T3_mT4_P12ihipStream_tbEUlT_E0_NS1_11comp_targetILNS1_3genE9ELNS1_11target_archE1100ELNS1_3gpuE3ELNS1_3repE0EEENS1_30default_config_static_selectorELNS0_4arch9wavefront6targetE1EEEvSD_.has_indirect_call, 0
	.section	.AMDGPU.csdata,"",@progbits
; Kernel info:
; codeLenInByte = 0
; TotalNumSgprs: 6
; NumVgprs: 0
; NumAgprs: 0
; TotalNumVgprs: 0
; ScratchSize: 0
; MemoryBound: 0
; FloatMode: 240
; IeeeMode: 1
; LDSByteSize: 0 bytes/workgroup (compile time only)
; SGPRBlocks: 0
; VGPRBlocks: 0
; NumSGPRsForWavesPerEU: 6
; NumVGPRsForWavesPerEU: 1
; AccumOffset: 4
; Occupancy: 8
; WaveLimiterHint : 0
; COMPUTE_PGM_RSRC2:SCRATCH_EN: 0
; COMPUTE_PGM_RSRC2:USER_SGPR: 2
; COMPUTE_PGM_RSRC2:TRAP_HANDLER: 0
; COMPUTE_PGM_RSRC2:TGID_X_EN: 1
; COMPUTE_PGM_RSRC2:TGID_Y_EN: 0
; COMPUTE_PGM_RSRC2:TGID_Z_EN: 0
; COMPUTE_PGM_RSRC2:TIDIG_COMP_CNT: 0
; COMPUTE_PGM_RSRC3_GFX90A:ACCUM_OFFSET: 0
; COMPUTE_PGM_RSRC3_GFX90A:TG_SPLIT: 0
	.section	.text._ZN7rocprim17ROCPRIM_400000_NS6detail17trampoline_kernelINS0_14default_configENS1_22reduce_config_selectorIdEEZNS1_11reduce_implILb1ES3_PdS7_d9plus_mod3IdEEE10hipError_tPvRmT1_T2_T3_mT4_P12ihipStream_tbEUlT_E0_NS1_11comp_targetILNS1_3genE8ELNS1_11target_archE1030ELNS1_3gpuE2ELNS1_3repE0EEENS1_30default_config_static_selectorELNS0_4arch9wavefront6targetE1EEEvSD_,"axG",@progbits,_ZN7rocprim17ROCPRIM_400000_NS6detail17trampoline_kernelINS0_14default_configENS1_22reduce_config_selectorIdEEZNS1_11reduce_implILb1ES3_PdS7_d9plus_mod3IdEEE10hipError_tPvRmT1_T2_T3_mT4_P12ihipStream_tbEUlT_E0_NS1_11comp_targetILNS1_3genE8ELNS1_11target_archE1030ELNS1_3gpuE2ELNS1_3repE0EEENS1_30default_config_static_selectorELNS0_4arch9wavefront6targetE1EEEvSD_,comdat
	.protected	_ZN7rocprim17ROCPRIM_400000_NS6detail17trampoline_kernelINS0_14default_configENS1_22reduce_config_selectorIdEEZNS1_11reduce_implILb1ES3_PdS7_d9plus_mod3IdEEE10hipError_tPvRmT1_T2_T3_mT4_P12ihipStream_tbEUlT_E0_NS1_11comp_targetILNS1_3genE8ELNS1_11target_archE1030ELNS1_3gpuE2ELNS1_3repE0EEENS1_30default_config_static_selectorELNS0_4arch9wavefront6targetE1EEEvSD_ ; -- Begin function _ZN7rocprim17ROCPRIM_400000_NS6detail17trampoline_kernelINS0_14default_configENS1_22reduce_config_selectorIdEEZNS1_11reduce_implILb1ES3_PdS7_d9plus_mod3IdEEE10hipError_tPvRmT1_T2_T3_mT4_P12ihipStream_tbEUlT_E0_NS1_11comp_targetILNS1_3genE8ELNS1_11target_archE1030ELNS1_3gpuE2ELNS1_3repE0EEENS1_30default_config_static_selectorELNS0_4arch9wavefront6targetE1EEEvSD_
	.globl	_ZN7rocprim17ROCPRIM_400000_NS6detail17trampoline_kernelINS0_14default_configENS1_22reduce_config_selectorIdEEZNS1_11reduce_implILb1ES3_PdS7_d9plus_mod3IdEEE10hipError_tPvRmT1_T2_T3_mT4_P12ihipStream_tbEUlT_E0_NS1_11comp_targetILNS1_3genE8ELNS1_11target_archE1030ELNS1_3gpuE2ELNS1_3repE0EEENS1_30default_config_static_selectorELNS0_4arch9wavefront6targetE1EEEvSD_
	.p2align	8
	.type	_ZN7rocprim17ROCPRIM_400000_NS6detail17trampoline_kernelINS0_14default_configENS1_22reduce_config_selectorIdEEZNS1_11reduce_implILb1ES3_PdS7_d9plus_mod3IdEEE10hipError_tPvRmT1_T2_T3_mT4_P12ihipStream_tbEUlT_E0_NS1_11comp_targetILNS1_3genE8ELNS1_11target_archE1030ELNS1_3gpuE2ELNS1_3repE0EEENS1_30default_config_static_selectorELNS0_4arch9wavefront6targetE1EEEvSD_,@function
_ZN7rocprim17ROCPRIM_400000_NS6detail17trampoline_kernelINS0_14default_configENS1_22reduce_config_selectorIdEEZNS1_11reduce_implILb1ES3_PdS7_d9plus_mod3IdEEE10hipError_tPvRmT1_T2_T3_mT4_P12ihipStream_tbEUlT_E0_NS1_11comp_targetILNS1_3genE8ELNS1_11target_archE1030ELNS1_3gpuE2ELNS1_3repE0EEENS1_30default_config_static_selectorELNS0_4arch9wavefront6targetE1EEEvSD_: ; @_ZN7rocprim17ROCPRIM_400000_NS6detail17trampoline_kernelINS0_14default_configENS1_22reduce_config_selectorIdEEZNS1_11reduce_implILb1ES3_PdS7_d9plus_mod3IdEEE10hipError_tPvRmT1_T2_T3_mT4_P12ihipStream_tbEUlT_E0_NS1_11comp_targetILNS1_3genE8ELNS1_11target_archE1030ELNS1_3gpuE2ELNS1_3repE0EEENS1_30default_config_static_selectorELNS0_4arch9wavefront6targetE1EEEvSD_
; %bb.0:
	.section	.rodata,"a",@progbits
	.p2align	6, 0x0
	.amdhsa_kernel _ZN7rocprim17ROCPRIM_400000_NS6detail17trampoline_kernelINS0_14default_configENS1_22reduce_config_selectorIdEEZNS1_11reduce_implILb1ES3_PdS7_d9plus_mod3IdEEE10hipError_tPvRmT1_T2_T3_mT4_P12ihipStream_tbEUlT_E0_NS1_11comp_targetILNS1_3genE8ELNS1_11target_archE1030ELNS1_3gpuE2ELNS1_3repE0EEENS1_30default_config_static_selectorELNS0_4arch9wavefront6targetE1EEEvSD_
		.amdhsa_group_segment_fixed_size 0
		.amdhsa_private_segment_fixed_size 0
		.amdhsa_kernarg_size 64
		.amdhsa_user_sgpr_count 2
		.amdhsa_user_sgpr_dispatch_ptr 0
		.amdhsa_user_sgpr_queue_ptr 0
		.amdhsa_user_sgpr_kernarg_segment_ptr 1
		.amdhsa_user_sgpr_dispatch_id 0
		.amdhsa_user_sgpr_kernarg_preload_length 0
		.amdhsa_user_sgpr_kernarg_preload_offset 0
		.amdhsa_user_sgpr_private_segment_size 0
		.amdhsa_uses_dynamic_stack 0
		.amdhsa_enable_private_segment 0
		.amdhsa_system_sgpr_workgroup_id_x 1
		.amdhsa_system_sgpr_workgroup_id_y 0
		.amdhsa_system_sgpr_workgroup_id_z 0
		.amdhsa_system_sgpr_workgroup_info 0
		.amdhsa_system_vgpr_workitem_id 0
		.amdhsa_next_free_vgpr 1
		.amdhsa_next_free_sgpr 0
		.amdhsa_accum_offset 4
		.amdhsa_reserve_vcc 0
		.amdhsa_float_round_mode_32 0
		.amdhsa_float_round_mode_16_64 0
		.amdhsa_float_denorm_mode_32 3
		.amdhsa_float_denorm_mode_16_64 3
		.amdhsa_dx10_clamp 1
		.amdhsa_ieee_mode 1
		.amdhsa_fp16_overflow 0
		.amdhsa_tg_split 0
		.amdhsa_exception_fp_ieee_invalid_op 0
		.amdhsa_exception_fp_denorm_src 0
		.amdhsa_exception_fp_ieee_div_zero 0
		.amdhsa_exception_fp_ieee_overflow 0
		.amdhsa_exception_fp_ieee_underflow 0
		.amdhsa_exception_fp_ieee_inexact 0
		.amdhsa_exception_int_div_zero 0
	.end_amdhsa_kernel
	.section	.text._ZN7rocprim17ROCPRIM_400000_NS6detail17trampoline_kernelINS0_14default_configENS1_22reduce_config_selectorIdEEZNS1_11reduce_implILb1ES3_PdS7_d9plus_mod3IdEEE10hipError_tPvRmT1_T2_T3_mT4_P12ihipStream_tbEUlT_E0_NS1_11comp_targetILNS1_3genE8ELNS1_11target_archE1030ELNS1_3gpuE2ELNS1_3repE0EEENS1_30default_config_static_selectorELNS0_4arch9wavefront6targetE1EEEvSD_,"axG",@progbits,_ZN7rocprim17ROCPRIM_400000_NS6detail17trampoline_kernelINS0_14default_configENS1_22reduce_config_selectorIdEEZNS1_11reduce_implILb1ES3_PdS7_d9plus_mod3IdEEE10hipError_tPvRmT1_T2_T3_mT4_P12ihipStream_tbEUlT_E0_NS1_11comp_targetILNS1_3genE8ELNS1_11target_archE1030ELNS1_3gpuE2ELNS1_3repE0EEENS1_30default_config_static_selectorELNS0_4arch9wavefront6targetE1EEEvSD_,comdat
.Lfunc_end703:
	.size	_ZN7rocprim17ROCPRIM_400000_NS6detail17trampoline_kernelINS0_14default_configENS1_22reduce_config_selectorIdEEZNS1_11reduce_implILb1ES3_PdS7_d9plus_mod3IdEEE10hipError_tPvRmT1_T2_T3_mT4_P12ihipStream_tbEUlT_E0_NS1_11comp_targetILNS1_3genE8ELNS1_11target_archE1030ELNS1_3gpuE2ELNS1_3repE0EEENS1_30default_config_static_selectorELNS0_4arch9wavefront6targetE1EEEvSD_, .Lfunc_end703-_ZN7rocprim17ROCPRIM_400000_NS6detail17trampoline_kernelINS0_14default_configENS1_22reduce_config_selectorIdEEZNS1_11reduce_implILb1ES3_PdS7_d9plus_mod3IdEEE10hipError_tPvRmT1_T2_T3_mT4_P12ihipStream_tbEUlT_E0_NS1_11comp_targetILNS1_3genE8ELNS1_11target_archE1030ELNS1_3gpuE2ELNS1_3repE0EEENS1_30default_config_static_selectorELNS0_4arch9wavefront6targetE1EEEvSD_
                                        ; -- End function
	.set _ZN7rocprim17ROCPRIM_400000_NS6detail17trampoline_kernelINS0_14default_configENS1_22reduce_config_selectorIdEEZNS1_11reduce_implILb1ES3_PdS7_d9plus_mod3IdEEE10hipError_tPvRmT1_T2_T3_mT4_P12ihipStream_tbEUlT_E0_NS1_11comp_targetILNS1_3genE8ELNS1_11target_archE1030ELNS1_3gpuE2ELNS1_3repE0EEENS1_30default_config_static_selectorELNS0_4arch9wavefront6targetE1EEEvSD_.num_vgpr, 0
	.set _ZN7rocprim17ROCPRIM_400000_NS6detail17trampoline_kernelINS0_14default_configENS1_22reduce_config_selectorIdEEZNS1_11reduce_implILb1ES3_PdS7_d9plus_mod3IdEEE10hipError_tPvRmT1_T2_T3_mT4_P12ihipStream_tbEUlT_E0_NS1_11comp_targetILNS1_3genE8ELNS1_11target_archE1030ELNS1_3gpuE2ELNS1_3repE0EEENS1_30default_config_static_selectorELNS0_4arch9wavefront6targetE1EEEvSD_.num_agpr, 0
	.set _ZN7rocprim17ROCPRIM_400000_NS6detail17trampoline_kernelINS0_14default_configENS1_22reduce_config_selectorIdEEZNS1_11reduce_implILb1ES3_PdS7_d9plus_mod3IdEEE10hipError_tPvRmT1_T2_T3_mT4_P12ihipStream_tbEUlT_E0_NS1_11comp_targetILNS1_3genE8ELNS1_11target_archE1030ELNS1_3gpuE2ELNS1_3repE0EEENS1_30default_config_static_selectorELNS0_4arch9wavefront6targetE1EEEvSD_.numbered_sgpr, 0
	.set _ZN7rocprim17ROCPRIM_400000_NS6detail17trampoline_kernelINS0_14default_configENS1_22reduce_config_selectorIdEEZNS1_11reduce_implILb1ES3_PdS7_d9plus_mod3IdEEE10hipError_tPvRmT1_T2_T3_mT4_P12ihipStream_tbEUlT_E0_NS1_11comp_targetILNS1_3genE8ELNS1_11target_archE1030ELNS1_3gpuE2ELNS1_3repE0EEENS1_30default_config_static_selectorELNS0_4arch9wavefront6targetE1EEEvSD_.num_named_barrier, 0
	.set _ZN7rocprim17ROCPRIM_400000_NS6detail17trampoline_kernelINS0_14default_configENS1_22reduce_config_selectorIdEEZNS1_11reduce_implILb1ES3_PdS7_d9plus_mod3IdEEE10hipError_tPvRmT1_T2_T3_mT4_P12ihipStream_tbEUlT_E0_NS1_11comp_targetILNS1_3genE8ELNS1_11target_archE1030ELNS1_3gpuE2ELNS1_3repE0EEENS1_30default_config_static_selectorELNS0_4arch9wavefront6targetE1EEEvSD_.private_seg_size, 0
	.set _ZN7rocprim17ROCPRIM_400000_NS6detail17trampoline_kernelINS0_14default_configENS1_22reduce_config_selectorIdEEZNS1_11reduce_implILb1ES3_PdS7_d9plus_mod3IdEEE10hipError_tPvRmT1_T2_T3_mT4_P12ihipStream_tbEUlT_E0_NS1_11comp_targetILNS1_3genE8ELNS1_11target_archE1030ELNS1_3gpuE2ELNS1_3repE0EEENS1_30default_config_static_selectorELNS0_4arch9wavefront6targetE1EEEvSD_.uses_vcc, 0
	.set _ZN7rocprim17ROCPRIM_400000_NS6detail17trampoline_kernelINS0_14default_configENS1_22reduce_config_selectorIdEEZNS1_11reduce_implILb1ES3_PdS7_d9plus_mod3IdEEE10hipError_tPvRmT1_T2_T3_mT4_P12ihipStream_tbEUlT_E0_NS1_11comp_targetILNS1_3genE8ELNS1_11target_archE1030ELNS1_3gpuE2ELNS1_3repE0EEENS1_30default_config_static_selectorELNS0_4arch9wavefront6targetE1EEEvSD_.uses_flat_scratch, 0
	.set _ZN7rocprim17ROCPRIM_400000_NS6detail17trampoline_kernelINS0_14default_configENS1_22reduce_config_selectorIdEEZNS1_11reduce_implILb1ES3_PdS7_d9plus_mod3IdEEE10hipError_tPvRmT1_T2_T3_mT4_P12ihipStream_tbEUlT_E0_NS1_11comp_targetILNS1_3genE8ELNS1_11target_archE1030ELNS1_3gpuE2ELNS1_3repE0EEENS1_30default_config_static_selectorELNS0_4arch9wavefront6targetE1EEEvSD_.has_dyn_sized_stack, 0
	.set _ZN7rocprim17ROCPRIM_400000_NS6detail17trampoline_kernelINS0_14default_configENS1_22reduce_config_selectorIdEEZNS1_11reduce_implILb1ES3_PdS7_d9plus_mod3IdEEE10hipError_tPvRmT1_T2_T3_mT4_P12ihipStream_tbEUlT_E0_NS1_11comp_targetILNS1_3genE8ELNS1_11target_archE1030ELNS1_3gpuE2ELNS1_3repE0EEENS1_30default_config_static_selectorELNS0_4arch9wavefront6targetE1EEEvSD_.has_recursion, 0
	.set _ZN7rocprim17ROCPRIM_400000_NS6detail17trampoline_kernelINS0_14default_configENS1_22reduce_config_selectorIdEEZNS1_11reduce_implILb1ES3_PdS7_d9plus_mod3IdEEE10hipError_tPvRmT1_T2_T3_mT4_P12ihipStream_tbEUlT_E0_NS1_11comp_targetILNS1_3genE8ELNS1_11target_archE1030ELNS1_3gpuE2ELNS1_3repE0EEENS1_30default_config_static_selectorELNS0_4arch9wavefront6targetE1EEEvSD_.has_indirect_call, 0
	.section	.AMDGPU.csdata,"",@progbits
; Kernel info:
; codeLenInByte = 0
; TotalNumSgprs: 6
; NumVgprs: 0
; NumAgprs: 0
; TotalNumVgprs: 0
; ScratchSize: 0
; MemoryBound: 0
; FloatMode: 240
; IeeeMode: 1
; LDSByteSize: 0 bytes/workgroup (compile time only)
; SGPRBlocks: 0
; VGPRBlocks: 0
; NumSGPRsForWavesPerEU: 6
; NumVGPRsForWavesPerEU: 1
; AccumOffset: 4
; Occupancy: 8
; WaveLimiterHint : 0
; COMPUTE_PGM_RSRC2:SCRATCH_EN: 0
; COMPUTE_PGM_RSRC2:USER_SGPR: 2
; COMPUTE_PGM_RSRC2:TRAP_HANDLER: 0
; COMPUTE_PGM_RSRC2:TGID_X_EN: 1
; COMPUTE_PGM_RSRC2:TGID_Y_EN: 0
; COMPUTE_PGM_RSRC2:TGID_Z_EN: 0
; COMPUTE_PGM_RSRC2:TIDIG_COMP_CNT: 0
; COMPUTE_PGM_RSRC3_GFX90A:ACCUM_OFFSET: 0
; COMPUTE_PGM_RSRC3_GFX90A:TG_SPLIT: 0
	.section	.text._ZN7rocprim17ROCPRIM_400000_NS6detail17trampoline_kernelINS0_14default_configENS1_22reduce_config_selectorIdEEZNS1_11reduce_implILb1ES3_PdS7_d9plus_mod3IdEEE10hipError_tPvRmT1_T2_T3_mT4_P12ihipStream_tbEUlT_E1_NS1_11comp_targetILNS1_3genE0ELNS1_11target_archE4294967295ELNS1_3gpuE0ELNS1_3repE0EEENS1_30default_config_static_selectorELNS0_4arch9wavefront6targetE1EEEvSD_,"axG",@progbits,_ZN7rocprim17ROCPRIM_400000_NS6detail17trampoline_kernelINS0_14default_configENS1_22reduce_config_selectorIdEEZNS1_11reduce_implILb1ES3_PdS7_d9plus_mod3IdEEE10hipError_tPvRmT1_T2_T3_mT4_P12ihipStream_tbEUlT_E1_NS1_11comp_targetILNS1_3genE0ELNS1_11target_archE4294967295ELNS1_3gpuE0ELNS1_3repE0EEENS1_30default_config_static_selectorELNS0_4arch9wavefront6targetE1EEEvSD_,comdat
	.protected	_ZN7rocprim17ROCPRIM_400000_NS6detail17trampoline_kernelINS0_14default_configENS1_22reduce_config_selectorIdEEZNS1_11reduce_implILb1ES3_PdS7_d9plus_mod3IdEEE10hipError_tPvRmT1_T2_T3_mT4_P12ihipStream_tbEUlT_E1_NS1_11comp_targetILNS1_3genE0ELNS1_11target_archE4294967295ELNS1_3gpuE0ELNS1_3repE0EEENS1_30default_config_static_selectorELNS0_4arch9wavefront6targetE1EEEvSD_ ; -- Begin function _ZN7rocprim17ROCPRIM_400000_NS6detail17trampoline_kernelINS0_14default_configENS1_22reduce_config_selectorIdEEZNS1_11reduce_implILb1ES3_PdS7_d9plus_mod3IdEEE10hipError_tPvRmT1_T2_T3_mT4_P12ihipStream_tbEUlT_E1_NS1_11comp_targetILNS1_3genE0ELNS1_11target_archE4294967295ELNS1_3gpuE0ELNS1_3repE0EEENS1_30default_config_static_selectorELNS0_4arch9wavefront6targetE1EEEvSD_
	.globl	_ZN7rocprim17ROCPRIM_400000_NS6detail17trampoline_kernelINS0_14default_configENS1_22reduce_config_selectorIdEEZNS1_11reduce_implILb1ES3_PdS7_d9plus_mod3IdEEE10hipError_tPvRmT1_T2_T3_mT4_P12ihipStream_tbEUlT_E1_NS1_11comp_targetILNS1_3genE0ELNS1_11target_archE4294967295ELNS1_3gpuE0ELNS1_3repE0EEENS1_30default_config_static_selectorELNS0_4arch9wavefront6targetE1EEEvSD_
	.p2align	8
	.type	_ZN7rocprim17ROCPRIM_400000_NS6detail17trampoline_kernelINS0_14default_configENS1_22reduce_config_selectorIdEEZNS1_11reduce_implILb1ES3_PdS7_d9plus_mod3IdEEE10hipError_tPvRmT1_T2_T3_mT4_P12ihipStream_tbEUlT_E1_NS1_11comp_targetILNS1_3genE0ELNS1_11target_archE4294967295ELNS1_3gpuE0ELNS1_3repE0EEENS1_30default_config_static_selectorELNS0_4arch9wavefront6targetE1EEEvSD_,@function
_ZN7rocprim17ROCPRIM_400000_NS6detail17trampoline_kernelINS0_14default_configENS1_22reduce_config_selectorIdEEZNS1_11reduce_implILb1ES3_PdS7_d9plus_mod3IdEEE10hipError_tPvRmT1_T2_T3_mT4_P12ihipStream_tbEUlT_E1_NS1_11comp_targetILNS1_3genE0ELNS1_11target_archE4294967295ELNS1_3gpuE0ELNS1_3repE0EEENS1_30default_config_static_selectorELNS0_4arch9wavefront6targetE1EEEvSD_: ; @_ZN7rocprim17ROCPRIM_400000_NS6detail17trampoline_kernelINS0_14default_configENS1_22reduce_config_selectorIdEEZNS1_11reduce_implILb1ES3_PdS7_d9plus_mod3IdEEE10hipError_tPvRmT1_T2_T3_mT4_P12ihipStream_tbEUlT_E1_NS1_11comp_targetILNS1_3genE0ELNS1_11target_archE4294967295ELNS1_3gpuE0ELNS1_3repE0EEENS1_30default_config_static_selectorELNS0_4arch9wavefront6targetE1EEEvSD_
; %bb.0:
	s_load_dword s33, s[0:1], 0x4
	s_load_dwordx8 s[36:43], s[0:1], 0x8
	s_load_dwordx2 s[30:31], s[0:1], 0x28
	s_waitcnt lgkmcnt(0)
	s_cmp_lt_i32 s33, 4
	s_cbranch_scc1 .LBB704_10
; %bb.1:
	s_cmp_gt_i32 s33, 7
	s_cbranch_scc0 .LBB704_11
; %bb.2:
	s_cmp_gt_i32 s33, 15
	s_cbranch_scc0 .LBB704_12
; %bb.3:
	s_cmp_eq_u32 s33, 16
	s_mov_b64 s[34:35], 0
	s_cbranch_scc0 .LBB704_13
; %bb.4:
	s_mov_b32 s3, 0
	s_lshl_b32 s0, s2, 12
	s_mov_b32 s1, s3
	s_lshr_b64 s[4:5], s[38:39], 12
	s_lshl_b64 s[6:7], s[0:1], 3
	s_add_u32 s46, s36, s6
	s_addc_u32 s47, s37, s7
	s_cmp_lg_u64 s[4:5], s[2:3]
	s_cbranch_scc0 .LBB704_22
; %bb.5:
	v_lshlrev_b32_e32 v2, 3, v0
	global_load_dwordx2 v[4:5], v2, s[46:47]
	global_load_dwordx2 v[6:7], v2, s[46:47] offset:2048
	v_mov_b32_e32 v3, 0
	v_lshl_add_u64 v[2:3], s[46:47], 0, v[2:3]
	v_add_co_u32_e32 v8, vcc, 0x1000, v2
	v_mbcnt_lo_u32_b32 v1, -1, 0
	s_nop 0
	v_addc_co_u32_e32 v9, vcc, 0, v3, vcc
	global_load_dwordx2 v[10:11], v[8:9], off
	s_waitcnt vmcnt(1)
	v_add_f64 v[4:5], v[4:5], v[6:7]
	v_cvt_i32_f64_e32 v4, v[4:5]
	v_ashrrev_i32_e32 v5, 31, v4
	v_lshl_add_u64 v[4:5], v[4:5], 3, s[30:31]
	global_load_dwordx2 v[4:5], v[4:5], off
	v_add_co_u32_e32 v6, vcc, 0x2000, v2
	s_waitcnt vmcnt(0)
	v_add_f64 v[4:5], v[10:11], v[4:5]
	v_cvt_i32_f64_e32 v4, v[4:5]
	v_ashrrev_i32_e32 v5, 31, v4
	v_lshl_add_u64 v[4:5], v[4:5], 3, s[30:31]
	v_addc_co_u32_e32 v7, vcc, 0, v3, vcc
	global_load_dwordx2 v[12:13], v[8:9], off offset:2048
	global_load_dwordx2 v[14:15], v[6:7], off
	global_load_dwordx2 v[16:17], v[6:7], off offset:2048
	v_add_co_u32_e32 v6, vcc, 0x3000, v2
	global_load_dwordx2 v[4:5], v[4:5], off
	s_nop 0
	v_addc_co_u32_e32 v7, vcc, 0, v3, vcc
	global_load_dwordx2 v[8:9], v[6:7], off
	v_add_co_u32_e32 v10, vcc, 0x4000, v2
	s_waitcnt vmcnt(1)
	v_add_f64 v[4:5], v[12:13], v[4:5]
	v_cvt_i32_f64_e32 v4, v[4:5]
	v_ashrrev_i32_e32 v5, 31, v4
	v_lshl_add_u64 v[4:5], v[4:5], 3, s[30:31]
	global_load_dwordx2 v[4:5], v[4:5], off
	v_addc_co_u32_e32 v11, vcc, 0, v3, vcc
	s_waitcnt vmcnt(0)
	v_add_f64 v[4:5], v[14:15], v[4:5]
	v_cvt_i32_f64_e32 v4, v[4:5]
	v_ashrrev_i32_e32 v5, 31, v4
	v_lshl_add_u64 v[4:5], v[4:5], 3, s[30:31]
	global_load_dwordx2 v[4:5], v[4:5], off
	s_waitcnt vmcnt(0)
	v_add_f64 v[4:5], v[16:17], v[4:5]
	v_cvt_i32_f64_e32 v4, v[4:5]
	v_ashrrev_i32_e32 v5, 31, v4
	v_lshl_add_u64 v[4:5], v[4:5], 3, s[30:31]
	global_load_dwordx2 v[4:5], v[4:5], off
	s_nop 0
	global_load_dwordx2 v[12:13], v[6:7], off offset:2048
	global_load_dwordx2 v[14:15], v[10:11], off
	global_load_dwordx2 v[16:17], v[10:11], off offset:2048
	v_add_co_u32_e32 v6, vcc, 0x5000, v2
	s_waitcnt vmcnt(3)
	v_add_f64 v[4:5], v[8:9], v[4:5]
	v_cvt_i32_f64_e32 v4, v[4:5]
	v_ashrrev_i32_e32 v5, 31, v4
	v_lshl_add_u64 v[4:5], v[4:5], 3, s[30:31]
	global_load_dwordx2 v[4:5], v[4:5], off
	v_addc_co_u32_e32 v7, vcc, 0, v3, vcc
	global_load_dwordx2 v[8:9], v[6:7], off
	v_add_co_u32_e32 v10, vcc, 0x6000, v2
	s_waitcnt vmcnt(1)
	v_add_f64 v[4:5], v[12:13], v[4:5]
	v_cvt_i32_f64_e32 v4, v[4:5]
	v_ashrrev_i32_e32 v5, 31, v4
	v_lshl_add_u64 v[4:5], v[4:5], 3, s[30:31]
	global_load_dwordx2 v[4:5], v[4:5], off
	v_addc_co_u32_e32 v11, vcc, 0, v3, vcc
	v_add_co_u32_e32 v2, vcc, 0x7000, v2
	s_waitcnt vmcnt(0)
	v_add_f64 v[4:5], v[14:15], v[4:5]
	v_cvt_i32_f64_e32 v4, v[4:5]
	v_ashrrev_i32_e32 v5, 31, v4
	v_lshl_add_u64 v[4:5], v[4:5], 3, s[30:31]
	global_load_dwordx2 v[4:5], v[4:5], off
	v_addc_co_u32_e32 v3, vcc, 0, v3, vcc
	s_waitcnt vmcnt(0)
	v_add_f64 v[4:5], v[16:17], v[4:5]
	v_cvt_i32_f64_e32 v4, v[4:5]
	v_ashrrev_i32_e32 v5, 31, v4
	v_lshl_add_u64 v[4:5], v[4:5], 3, s[30:31]
	global_load_dwordx2 v[4:5], v[4:5], off
	s_nop 0
	global_load_dwordx2 v[12:13], v[6:7], off offset:2048
	global_load_dwordx2 v[14:15], v[10:11], off
	global_load_dwordx2 v[16:17], v[10:11], off offset:2048
	s_waitcnt vmcnt(3)
	v_add_f64 v[4:5], v[8:9], v[4:5]
	v_cvt_i32_f64_e32 v4, v[4:5]
	v_ashrrev_i32_e32 v5, 31, v4
	v_lshl_add_u64 v[4:5], v[4:5], 3, s[30:31]
	global_load_dwordx2 v[4:5], v[4:5], off
	s_waitcnt vmcnt(0)
	v_add_f64 v[4:5], v[12:13], v[4:5]
	v_cvt_i32_f64_e32 v4, v[4:5]
	v_ashrrev_i32_e32 v5, 31, v4
	v_lshl_add_u64 v[4:5], v[4:5], 3, s[30:31]
	global_load_dwordx2 v[4:5], v[4:5], off
	;; [unrolled: 6-line block ×4, first 2 shown]
	global_load_dwordx2 v[8:9], v[2:3], off
	global_load_dwordx2 v[10:11], v[2:3], off offset:2048
	s_waitcnt vmcnt(1)
	v_add_f64 v[2:3], v[8:9], v[6:7]
	v_cvt_i32_f64_e32 v2, v[2:3]
	v_ashrrev_i32_e32 v3, 31, v2
	v_lshl_add_u64 v[2:3], v[2:3], 3, s[30:31]
	global_load_dwordx2 v[2:3], v[2:3], off
	v_mbcnt_hi_u32_b32 v6, -1, v1
	v_lshlrev_b32_e32 v1, 2, v6
	v_cmp_eq_u32_e32 vcc, 0, v6
	s_waitcnt vmcnt(0)
	v_add_f64 v[2:3], v[10:11], v[2:3]
	v_cvt_i32_f64_e32 v2, v[2:3]
	v_ashrrev_i32_e32 v3, 31, v2
	v_lshl_add_u64 v[2:3], v[2:3], 3, s[30:31]
	global_load_dwordx2 v[2:3], v[2:3], off
	s_waitcnt vmcnt(0)
	s_nop 0
	v_mov_b32_dpp v4, v2 quad_perm:[1,0,3,2] row_mask:0xf bank_mask:0xf bound_ctrl:1
	v_mov_b32_dpp v5, v3 quad_perm:[1,0,3,2] row_mask:0xf bank_mask:0xf bound_ctrl:1
	v_add_f64 v[2:3], v[2:3], v[4:5]
	v_cvt_i32_f64_e32 v2, v[2:3]
	v_ashrrev_i32_e32 v3, 31, v2
	v_lshl_add_u64 v[2:3], v[2:3], 3, s[30:31]
	global_load_dwordx2 v[2:3], v[2:3], off
	s_waitcnt vmcnt(0)
	s_nop 0
	v_mov_b32_dpp v4, v2 quad_perm:[2,3,0,1] row_mask:0xf bank_mask:0xf bound_ctrl:1
	v_mov_b32_dpp v5, v3 quad_perm:[2,3,0,1] row_mask:0xf bank_mask:0xf bound_ctrl:1
	v_add_f64 v[2:3], v[2:3], v[4:5]
	v_cvt_i32_f64_e32 v2, v[2:3]
	v_ashrrev_i32_e32 v3, 31, v2
	v_lshl_add_u64 v[2:3], v[2:3], 3, s[30:31]
	global_load_dwordx2 v[2:3], v[2:3], off
	s_waitcnt vmcnt(0)
	s_nop 0
	v_mov_b32_dpp v4, v2 row_ror:4 row_mask:0xf bank_mask:0xf bound_ctrl:1
	v_mov_b32_dpp v5, v3 row_ror:4 row_mask:0xf bank_mask:0xf bound_ctrl:1
	v_add_f64 v[2:3], v[2:3], v[4:5]
	v_cvt_i32_f64_e32 v2, v[2:3]
	v_ashrrev_i32_e32 v3, 31, v2
	v_lshl_add_u64 v[2:3], v[2:3], 3, s[30:31]
	global_load_dwordx2 v[2:3], v[2:3], off
	s_waitcnt vmcnt(0)
	s_nop 0
	v_mov_b32_dpp v4, v2 row_ror:8 row_mask:0xf bank_mask:0xf bound_ctrl:1
	v_mov_b32_dpp v5, v3 row_ror:8 row_mask:0xf bank_mask:0xf bound_ctrl:1
	v_add_f64 v[2:3], v[2:3], v[4:5]
	v_cvt_i32_f64_e32 v2, v[2:3]
	v_ashrrev_i32_e32 v3, 31, v2
	v_lshl_add_u64 v[2:3], v[2:3], 3, s[30:31]
	global_load_dwordx2 v[2:3], v[2:3], off
	s_waitcnt vmcnt(0)
	s_nop 0
	v_mov_b32_dpp v4, v2 row_bcast:15 row_mask:0xf bank_mask:0xf bound_ctrl:1
	v_mov_b32_dpp v5, v3 row_bcast:15 row_mask:0xf bank_mask:0xf bound_ctrl:1
	v_add_f64 v[2:3], v[2:3], v[4:5]
	v_cvt_i32_f64_e32 v2, v[2:3]
	v_ashrrev_i32_e32 v3, 31, v2
	v_lshl_add_u64 v[2:3], v[2:3], 3, s[30:31]
	global_load_dwordx2 v[2:3], v[2:3], off
	s_waitcnt vmcnt(0)
	s_nop 0
	v_mov_b32_dpp v4, v2 row_bcast:31 row_mask:0xf bank_mask:0xf bound_ctrl:1
	v_mov_b32_dpp v5, v3 row_bcast:31 row_mask:0xf bank_mask:0xf bound_ctrl:1
	v_add_f64 v[2:3], v[2:3], v[4:5]
	v_cvt_i32_f64_e32 v2, v[2:3]
	v_ashrrev_i32_e32 v3, 31, v2
	v_lshl_add_u64 v[2:3], v[2:3], 3, s[30:31]
	global_load_dwordx2 v[2:3], v[2:3], off
	v_or_b32_e32 v4, 0xfc, v1
	s_waitcnt vmcnt(0)
	ds_bpermute_b32 v2, v4, v2
	ds_bpermute_b32 v3, v4, v3
	s_and_saveexec_b64 s[4:5], vcc
	s_cbranch_execz .LBB704_7
; %bb.6:
	v_lshrrev_b32_e32 v4, 3, v0
	v_and_b32_e32 v4, 24, v4
	s_waitcnt lgkmcnt(0)
	ds_write_b64 v4, v[2:3] offset:32
.LBB704_7:
	s_or_b64 exec, exec, s[4:5]
	v_cmp_gt_u32_e32 vcc, 64, v0
	s_mov_b64 s[4:5], 0
	s_mov_b64 s[44:45], 0
	s_waitcnt lgkmcnt(0)
	s_barrier
                                        ; implicit-def: $vgpr4_vgpr5
	s_and_saveexec_b64 s[6:7], vcc
	s_xor_b64 s[6:7], exec, s[6:7]
	s_cbranch_execz .LBB704_9
; %bb.8:
	v_and_b32_e32 v4, 3, v6
	v_lshlrev_b32_e32 v2, 3, v4
	ds_read_b64 v[2:3], v2 offset:32
	v_cmp_ne_u32_e32 vcc, 3, v4
	v_or_b32_e32 v1, 8, v1
	s_mov_b64 s[44:45], exec
	v_addc_co_u32_e32 v4, vcc, 0, v6, vcc
	v_lshlrev_b32_e32 v5, 2, v4
	s_waitcnt lgkmcnt(0)
	ds_bpermute_b32 v4, v5, v2
	ds_bpermute_b32 v5, v5, v3
	s_waitcnt lgkmcnt(0)
	v_add_f64 v[2:3], v[2:3], v[4:5]
	v_cvt_i32_f64_e32 v2, v[2:3]
	v_ashrrev_i32_e32 v3, 31, v2
	v_lshl_add_u64 v[2:3], v[2:3], 3, s[30:31]
	global_load_dwordx2 v[2:3], v[2:3], off
	s_waitcnt vmcnt(0)
	ds_bpermute_b32 v4, v1, v2
	ds_bpermute_b32 v5, v1, v3
.LBB704_9:
	s_or_b64 exec, exec, s[6:7]
	s_branch .LBB704_23
.LBB704_10:
	s_mov_b64 s[16:17], 0
	s_mov_b64 s[14:15], 0
                                        ; implicit-def: $vgpr2_vgpr3
	s_cbranch_execnz .LBB704_196
	s_branch .LBB704_247
.LBB704_11:
	s_mov_b64 s[16:17], 0
	s_mov_b64 s[14:15], 0
                                        ; implicit-def: $vgpr2_vgpr3
	s_cbranch_execnz .LBB704_149
	s_branch .LBB704_157
.LBB704_12:
	s_mov_b64 s[34:35], -1
.LBB704_13:
	s_mov_b64 s[16:17], 0
	s_mov_b64 s[14:15], 0
                                        ; implicit-def: $vgpr2_vgpr3
	s_and_b64 vcc, exec, s[34:35]
	s_cbranch_vccz .LBB704_97
.LBB704_14:
	s_cmp_eq_u32 s33, 8
	s_cbranch_scc0 .LBB704_21
; %bb.15:
	s_mov_b32 s3, 0
	s_lshl_b32 s0, s2, 11
	s_mov_b32 s1, s3
	s_lshr_b64 s[4:5], s[38:39], 11
	s_lshl_b64 s[6:7], s[0:1], 3
	s_add_u32 s20, s36, s6
	s_addc_u32 s21, s37, s7
	s_cmp_lg_u64 s[4:5], s[2:3]
	s_cbranch_scc0 .LBB704_98
; %bb.16:
	s_waitcnt vmcnt(0)
	v_lshlrev_b32_e32 v2, 3, v0
	s_waitcnt lgkmcnt(0)
	global_load_dwordx2 v[4:5], v2, s[20:21]
	global_load_dwordx2 v[6:7], v2, s[20:21] offset:2048
	v_mov_b32_e32 v3, 0
	v_lshl_add_u64 v[2:3], s[20:21], 0, v[2:3]
	v_add_co_u32_e32 v8, vcc, 0x1000, v2
	v_mbcnt_lo_u32_b32 v1, -1, 0
	s_nop 0
	v_addc_co_u32_e32 v9, vcc, 0, v3, vcc
	global_load_dwordx2 v[10:11], v[8:9], off
	s_waitcnt vmcnt(1)
	v_add_f64 v[4:5], v[4:5], v[6:7]
	v_cvt_i32_f64_e32 v4, v[4:5]
	v_ashrrev_i32_e32 v5, 31, v4
	v_lshl_add_u64 v[4:5], v[4:5], 3, s[30:31]
	global_load_dwordx2 v[4:5], v[4:5], off
	v_add_co_u32_e32 v6, vcc, 0x2000, v2
	s_waitcnt vmcnt(0)
	v_add_f64 v[4:5], v[10:11], v[4:5]
	v_cvt_i32_f64_e32 v4, v[4:5]
	v_ashrrev_i32_e32 v5, 31, v4
	v_lshl_add_u64 v[4:5], v[4:5], 3, s[30:31]
	v_addc_co_u32_e32 v7, vcc, 0, v3, vcc
	global_load_dwordx2 v[12:13], v[8:9], off offset:2048
	global_load_dwordx2 v[14:15], v[6:7], off
	global_load_dwordx2 v[16:17], v[6:7], off offset:2048
	v_add_co_u32_e32 v2, vcc, 0x3000, v2
	global_load_dwordx2 v[4:5], v[4:5], off
	s_nop 0
	v_addc_co_u32_e32 v3, vcc, 0, v3, vcc
	s_waitcnt vmcnt(0)
	v_add_f64 v[4:5], v[12:13], v[4:5]
	v_cvt_i32_f64_e32 v4, v[4:5]
	v_ashrrev_i32_e32 v5, 31, v4
	v_lshl_add_u64 v[4:5], v[4:5], 3, s[30:31]
	global_load_dwordx2 v[4:5], v[4:5], off
	s_waitcnt vmcnt(0)
	v_add_f64 v[4:5], v[14:15], v[4:5]
	v_cvt_i32_f64_e32 v4, v[4:5]
	v_ashrrev_i32_e32 v5, 31, v4
	v_lshl_add_u64 v[4:5], v[4:5], 3, s[30:31]
	global_load_dwordx2 v[4:5], v[4:5], off
	;; [unrolled: 6-line block ×3, first 2 shown]
	global_load_dwordx2 v[8:9], v[2:3], off
	global_load_dwordx2 v[10:11], v[2:3], off offset:2048
	s_waitcnt vmcnt(1)
	v_add_f64 v[2:3], v[8:9], v[6:7]
	v_cvt_i32_f64_e32 v2, v[2:3]
	v_ashrrev_i32_e32 v3, 31, v2
	v_lshl_add_u64 v[2:3], v[2:3], 3, s[30:31]
	global_load_dwordx2 v[2:3], v[2:3], off
	v_mbcnt_hi_u32_b32 v6, -1, v1
	v_lshlrev_b32_e32 v1, 2, v6
	v_cmp_eq_u32_e32 vcc, 0, v6
	s_waitcnt vmcnt(0)
	v_add_f64 v[2:3], v[10:11], v[2:3]
	v_cvt_i32_f64_e32 v2, v[2:3]
	v_ashrrev_i32_e32 v3, 31, v2
	v_lshl_add_u64 v[2:3], v[2:3], 3, s[30:31]
	global_load_dwordx2 v[2:3], v[2:3], off
	s_waitcnt vmcnt(0)
	s_nop 0
	v_mov_b32_dpp v4, v2 quad_perm:[1,0,3,2] row_mask:0xf bank_mask:0xf bound_ctrl:1
	v_mov_b32_dpp v5, v3 quad_perm:[1,0,3,2] row_mask:0xf bank_mask:0xf bound_ctrl:1
	v_add_f64 v[2:3], v[2:3], v[4:5]
	v_cvt_i32_f64_e32 v2, v[2:3]
	v_ashrrev_i32_e32 v3, 31, v2
	v_lshl_add_u64 v[2:3], v[2:3], 3, s[30:31]
	global_load_dwordx2 v[2:3], v[2:3], off
	s_waitcnt vmcnt(0)
	s_nop 0
	v_mov_b32_dpp v4, v2 quad_perm:[2,3,0,1] row_mask:0xf bank_mask:0xf bound_ctrl:1
	v_mov_b32_dpp v5, v3 quad_perm:[2,3,0,1] row_mask:0xf bank_mask:0xf bound_ctrl:1
	v_add_f64 v[2:3], v[2:3], v[4:5]
	v_cvt_i32_f64_e32 v2, v[2:3]
	v_ashrrev_i32_e32 v3, 31, v2
	v_lshl_add_u64 v[2:3], v[2:3], 3, s[30:31]
	global_load_dwordx2 v[2:3], v[2:3], off
	s_waitcnt vmcnt(0)
	s_nop 0
	v_mov_b32_dpp v4, v2 row_ror:4 row_mask:0xf bank_mask:0xf bound_ctrl:1
	v_mov_b32_dpp v5, v3 row_ror:4 row_mask:0xf bank_mask:0xf bound_ctrl:1
	v_add_f64 v[2:3], v[2:3], v[4:5]
	v_cvt_i32_f64_e32 v2, v[2:3]
	v_ashrrev_i32_e32 v3, 31, v2
	v_lshl_add_u64 v[2:3], v[2:3], 3, s[30:31]
	global_load_dwordx2 v[2:3], v[2:3], off
	s_waitcnt vmcnt(0)
	s_nop 0
	v_mov_b32_dpp v4, v2 row_ror:8 row_mask:0xf bank_mask:0xf bound_ctrl:1
	v_mov_b32_dpp v5, v3 row_ror:8 row_mask:0xf bank_mask:0xf bound_ctrl:1
	v_add_f64 v[2:3], v[2:3], v[4:5]
	v_cvt_i32_f64_e32 v2, v[2:3]
	v_ashrrev_i32_e32 v3, 31, v2
	v_lshl_add_u64 v[2:3], v[2:3], 3, s[30:31]
	global_load_dwordx2 v[2:3], v[2:3], off
	s_waitcnt vmcnt(0)
	s_nop 0
	v_mov_b32_dpp v4, v2 row_bcast:15 row_mask:0xf bank_mask:0xf bound_ctrl:1
	v_mov_b32_dpp v5, v3 row_bcast:15 row_mask:0xf bank_mask:0xf bound_ctrl:1
	v_add_f64 v[2:3], v[2:3], v[4:5]
	v_cvt_i32_f64_e32 v2, v[2:3]
	v_ashrrev_i32_e32 v3, 31, v2
	v_lshl_add_u64 v[2:3], v[2:3], 3, s[30:31]
	global_load_dwordx2 v[2:3], v[2:3], off
	s_waitcnt vmcnt(0)
	s_nop 0
	v_mov_b32_dpp v4, v2 row_bcast:31 row_mask:0xf bank_mask:0xf bound_ctrl:1
	v_mov_b32_dpp v5, v3 row_bcast:31 row_mask:0xf bank_mask:0xf bound_ctrl:1
	v_add_f64 v[2:3], v[2:3], v[4:5]
	v_cvt_i32_f64_e32 v2, v[2:3]
	v_ashrrev_i32_e32 v3, 31, v2
	v_lshl_add_u64 v[2:3], v[2:3], 3, s[30:31]
	global_load_dwordx2 v[2:3], v[2:3], off
	v_or_b32_e32 v4, 0xfc, v1
	s_waitcnt vmcnt(0)
	ds_bpermute_b32 v2, v4, v2
	ds_bpermute_b32 v3, v4, v3
	s_and_saveexec_b64 s[4:5], vcc
	s_cbranch_execz .LBB704_18
; %bb.17:
	v_lshrrev_b32_e32 v4, 3, v0
	v_and_b32_e32 v4, 24, v4
	s_waitcnt lgkmcnt(0)
	ds_write_b64 v4, v[2:3] offset:160
.LBB704_18:
	s_or_b64 exec, exec, s[4:5]
	v_cmp_gt_u32_e32 vcc, 64, v0
	s_mov_b64 s[4:5], 0
	s_mov_b64 s[18:19], 0
	s_waitcnt lgkmcnt(0)
	s_barrier
                                        ; implicit-def: $vgpr4_vgpr5
	s_and_saveexec_b64 s[6:7], vcc
	s_xor_b64 s[6:7], exec, s[6:7]
	s_cbranch_execz .LBB704_20
; %bb.19:
	v_and_b32_e32 v4, 3, v6
	v_lshlrev_b32_e32 v2, 3, v4
	ds_read_b64 v[2:3], v2 offset:160
	v_cmp_ne_u32_e32 vcc, 3, v4
	v_or_b32_e32 v1, 8, v1
	s_mov_b64 s[18:19], exec
	v_addc_co_u32_e32 v4, vcc, 0, v6, vcc
	v_lshlrev_b32_e32 v5, 2, v4
	s_waitcnt lgkmcnt(0)
	ds_bpermute_b32 v4, v5, v2
	ds_bpermute_b32 v5, v5, v3
	s_waitcnt lgkmcnt(0)
	v_add_f64 v[2:3], v[2:3], v[4:5]
	v_cvt_i32_f64_e32 v2, v[2:3]
	v_ashrrev_i32_e32 v3, 31, v2
	v_lshl_add_u64 v[2:3], v[2:3], 3, s[30:31]
	global_load_dwordx2 v[2:3], v[2:3], off
	s_waitcnt vmcnt(0)
	ds_bpermute_b32 v4, v1, v2
	ds_bpermute_b32 v5, v1, v3
.LBB704_20:
	s_or_b64 exec, exec, s[6:7]
	s_branch .LBB704_99
.LBB704_21:
                                        ; implicit-def: $vgpr2_vgpr3
	s_branch .LBB704_157
.LBB704_22:
	s_mov_b64 s[4:5], -1
	s_mov_b64 s[44:45], 0
                                        ; implicit-def: $vgpr4_vgpr5
                                        ; implicit-def: $vgpr2_vgpr3
.LBB704_23:
	s_and_b64 vcc, exec, s[4:5]
	s_cbranch_vccz .LBB704_92
; %bb.24:
	s_sub_i32 s50, s38, s0
	v_mov_b32_e32 v2, 0
	v_cmp_gt_u32_e32 vcc, s50, v0
	v_mov_b32_e32 v3, v2
	s_waitcnt lgkmcnt(1)
	v_mov_b32_e32 v4, v2
	s_waitcnt lgkmcnt(0)
	v_mov_b32_e32 v5, v2
	v_mov_b32_e32 v6, v2
	v_mov_b32_e32 v7, v2
	v_mov_b32_e32 v8, v2
	v_mov_b32_e32 v9, v2
	v_mov_b32_e32 v10, v2
	v_mov_b32_e32 v11, v2
	v_mov_b32_e32 v12, v2
	v_mov_b32_e32 v13, v2
	v_mov_b32_e32 v14, v2
	v_mov_b32_e32 v15, v2
	v_mov_b32_e32 v16, v2
	v_mov_b32_e32 v17, v2
	v_mov_b32_e32 v18, v2
	v_mov_b32_e32 v19, v2
	v_mov_b32_e32 v20, v2
	v_mov_b32_e32 v21, v2
	v_mov_b32_e32 v22, v2
	v_mov_b32_e32 v23, v2
	v_mov_b32_e32 v24, v2
	v_mov_b32_e32 v25, v2
	v_mov_b32_e32 v26, v2
	v_mov_b32_e32 v27, v2
	v_mov_b32_e32 v28, v2
	v_mov_b32_e32 v29, v2
	v_mov_b32_e32 v30, v2
	v_mov_b32_e32 v31, v2
	v_mov_b32_e32 v32, v2
	v_mov_b32_e32 v33, v2
	s_and_saveexec_b64 s[0:1], vcc
	s_cbranch_execz .LBB704_26
; %bb.25:
	v_lshlrev_b32_e32 v1, 3, v0
	global_load_dwordx2 v[4:5], v1, s[46:47]
	v_mov_b32_e32 v6, v2
	v_mov_b32_e32 v7, v2
	;; [unrolled: 1-line block ×30, first 2 shown]
	s_waitcnt vmcnt(0)
	v_mov_b64_e32 v[2:3], v[4:5]
	v_mov_b64_e32 v[4:5], v[6:7]
	;; [unrolled: 1-line block ×16, first 2 shown]
.LBB704_26:
	s_or_b64 exec, exec, s[0:1]
	v_or_b32_e32 v1, 0x100, v0
	v_cmp_gt_u32_e64 s[28:29], s50, v1
	s_and_saveexec_b64 s[0:1], s[28:29]
	s_cbranch_execz .LBB704_28
; %bb.27:
	v_lshlrev_b32_e32 v1, 3, v0
	global_load_dwordx2 v[4:5], v1, s[46:47] offset:2048
.LBB704_28:
	s_or_b64 exec, exec, s[0:1]
	v_or_b32_e32 v1, 0x200, v0
	v_cmp_gt_u32_e64 s[26:27], s50, v1
	s_and_saveexec_b64 s[0:1], s[26:27]
	s_cbranch_execz .LBB704_30
; %bb.29:
	v_lshlrev_b32_e32 v1, 3, v1
	global_load_dwordx2 v[6:7], v1, s[46:47]
.LBB704_30:
	s_or_b64 exec, exec, s[0:1]
	v_or_b32_e32 v1, 0x300, v0
	v_cmp_gt_u32_e64 s[24:25], s50, v1
	s_and_saveexec_b64 s[0:1], s[24:25]
	s_cbranch_execz .LBB704_32
; %bb.31:
	v_lshlrev_b32_e32 v1, 3, v1
	global_load_dwordx2 v[8:9], v1, s[46:47]
.LBB704_32:
	;; [unrolled: 9-line block ×13, first 2 shown]
	s_or_b64 exec, exec, s[48:49]
	v_or_b32_e32 v1, 0xf00, v0
	v_cmp_gt_u32_e32 vcc, s50, v1
	s_and_saveexec_b64 s[48:49], vcc
	s_cbranch_execnz .LBB704_284
; %bb.55:
	s_or_b64 exec, exec, s[48:49]
	s_and_saveexec_b64 s[46:47], s[28:29]
	s_cbranch_execnz .LBB704_285
.LBB704_56:
	s_or_b64 exec, exec, s[46:47]
	s_and_saveexec_b64 s[28:29], s[26:27]
	s_cbranch_execnz .LBB704_286
.LBB704_57:
	s_or_b64 exec, exec, s[28:29]
	s_and_saveexec_b64 s[26:27], s[24:25]
	s_cbranch_execnz .LBB704_287
.LBB704_58:
	s_or_b64 exec, exec, s[26:27]
	s_and_saveexec_b64 s[24:25], s[22:23]
	s_cbranch_execnz .LBB704_288
.LBB704_59:
	s_or_b64 exec, exec, s[24:25]
	s_and_saveexec_b64 s[22:23], s[20:21]
	s_cbranch_execnz .LBB704_289
.LBB704_60:
	s_or_b64 exec, exec, s[22:23]
	s_and_saveexec_b64 s[20:21], s[18:19]
	s_cbranch_execnz .LBB704_290
.LBB704_61:
	s_or_b64 exec, exec, s[20:21]
	s_and_saveexec_b64 s[18:19], s[16:17]
	s_cbranch_execnz .LBB704_291
.LBB704_62:
	s_or_b64 exec, exec, s[18:19]
	s_and_saveexec_b64 s[16:17], s[14:15]
	s_cbranch_execnz .LBB704_292
.LBB704_63:
	s_or_b64 exec, exec, s[16:17]
	s_and_saveexec_b64 s[14:15], s[12:13]
	s_cbranch_execnz .LBB704_293
.LBB704_64:
	s_or_b64 exec, exec, s[14:15]
	s_and_saveexec_b64 s[12:13], s[10:11]
	s_cbranch_execnz .LBB704_294
.LBB704_65:
	s_or_b64 exec, exec, s[12:13]
	s_and_saveexec_b64 s[10:11], s[8:9]
	s_cbranch_execnz .LBB704_295
.LBB704_66:
	s_or_b64 exec, exec, s[10:11]
	s_and_saveexec_b64 s[8:9], s[6:7]
	s_cbranch_execnz .LBB704_296
.LBB704_67:
	s_or_b64 exec, exec, s[8:9]
	s_and_saveexec_b64 s[6:7], s[4:5]
	s_cbranch_execnz .LBB704_297
.LBB704_68:
	s_or_b64 exec, exec, s[6:7]
	s_and_saveexec_b64 s[4:5], s[0:1]
	s_cbranch_execnz .LBB704_298
.LBB704_69:
	s_or_b64 exec, exec, s[4:5]
	s_and_saveexec_b64 s[0:1], vcc
	s_cbranch_execz .LBB704_71
.LBB704_70:
	s_waitcnt vmcnt(0)
	v_mov_b32_e32 v4, v32
	v_mov_b32_e32 v5, v33
	v_add_f64 v[2:3], v[4:5], v[2:3]
	v_cvt_i32_f64_e32 v2, v[2:3]
	v_ashrrev_i32_e32 v3, 31, v2
	v_lshl_add_u64 v[2:3], v[2:3], 3, s[30:31]
	global_load_dwordx2 v[2:3], v[2:3], off
.LBB704_71:
	s_or_b64 exec, exec, s[0:1]
	v_mbcnt_lo_u32_b32 v1, -1, 0
	v_mbcnt_hi_u32_b32 v1, -1, v1
	s_waitcnt vmcnt(0)
	v_and_b32_e32 v6, 63, v1
	v_cmp_ne_u32_e32 vcc, 63, v6
	s_min_u32 s4, s50, 0x100
	v_and_b32_e32 v7, 0xc0, v0
	v_addc_co_u32_e32 v4, vcc, 0, v1, vcc
	v_lshlrev_b32_e32 v5, 2, v4
	ds_bpermute_b32 v4, v5, v2
	ds_bpermute_b32 v5, v5, v3
	v_sub_u32_e64 v7, s4, v7 clamp
	v_add_u32_e32 v8, 1, v6
	v_cmp_lt_u32_e32 vcc, v8, v7
	s_and_saveexec_b64 s[0:1], vcc
	s_xor_b64 s[0:1], exec, s[0:1]
	s_cbranch_execz .LBB704_73
; %bb.72:
	s_waitcnt lgkmcnt(0)
	v_add_f64 v[2:3], v[2:3], v[4:5]
	v_cvt_i32_f64_e32 v2, v[2:3]
	v_ashrrev_i32_e32 v3, 31, v2
	v_lshl_add_u64 v[2:3], v[2:3], 3, s[30:31]
	global_load_dwordx2 v[2:3], v[2:3], off
.LBB704_73:
	s_or_b64 exec, exec, s[0:1]
	v_cmp_gt_u32_e32 vcc, 62, v6
	v_add_u32_e32 v8, 2, v6
	s_waitcnt lgkmcnt(1)
	v_cndmask_b32_e64 v4, 0, 2, vcc
	s_waitcnt lgkmcnt(0)
	v_add_lshl_u32 v5, v4, v1, 2
	s_waitcnt vmcnt(0)
	ds_bpermute_b32 v4, v5, v2
	ds_bpermute_b32 v5, v5, v3
	v_cmp_lt_u32_e32 vcc, v8, v7
	s_and_saveexec_b64 s[0:1], vcc
	s_cbranch_execz .LBB704_75
; %bb.74:
	s_waitcnt lgkmcnt(0)
	v_add_f64 v[2:3], v[2:3], v[4:5]
	v_cvt_i32_f64_e32 v2, v[2:3]
	v_ashrrev_i32_e32 v3, 31, v2
	v_lshl_add_u64 v[2:3], v[2:3], 3, s[30:31]
	global_load_dwordx2 v[2:3], v[2:3], off
.LBB704_75:
	s_or_b64 exec, exec, s[0:1]
	v_cmp_gt_u32_e32 vcc, 60, v6
	v_add_u32_e32 v8, 4, v6
	s_waitcnt lgkmcnt(1)
	v_cndmask_b32_e64 v4, 0, 4, vcc
	s_waitcnt lgkmcnt(0)
	v_add_lshl_u32 v5, v4, v1, 2
	s_waitcnt vmcnt(0)
	ds_bpermute_b32 v4, v5, v2
	ds_bpermute_b32 v5, v5, v3
	v_cmp_lt_u32_e32 vcc, v8, v7
	s_and_saveexec_b64 s[0:1], vcc
	;; [unrolled: 21-line block ×4, first 2 shown]
	s_cbranch_execz .LBB704_81
; %bb.80:
	s_waitcnt lgkmcnt(0)
	v_add_f64 v[2:3], v[2:3], v[4:5]
	v_cvt_i32_f64_e32 v2, v[2:3]
	v_ashrrev_i32_e32 v3, 31, v2
	v_lshl_add_u64 v[2:3], v[2:3], 3, s[30:31]
	global_load_dwordx2 v[2:3], v[2:3], off
.LBB704_81:
	s_or_b64 exec, exec, s[0:1]
	v_lshlrev_b32_e32 v8, 2, v1
	s_waitcnt lgkmcnt(0)
	v_or_b32_e32 v5, 0x80, v8
	s_waitcnt vmcnt(0)
	ds_bpermute_b32 v4, v5, v2
	ds_bpermute_b32 v5, v5, v3
	v_add_u32_e32 v6, 32, v6
	v_cmp_lt_u32_e32 vcc, v6, v7
	s_and_saveexec_b64 s[0:1], vcc
	s_cbranch_execz .LBB704_83
; %bb.82:
	s_waitcnt lgkmcnt(0)
	v_add_f64 v[2:3], v[2:3], v[4:5]
	v_cvt_i32_f64_e32 v2, v[2:3]
	v_ashrrev_i32_e32 v3, 31, v2
	v_lshl_add_u64 v[2:3], v[2:3], 3, s[30:31]
	global_load_dwordx2 v[2:3], v[2:3], off
.LBB704_83:
	s_or_b64 exec, exec, s[0:1]
	v_cmp_eq_u32_e32 vcc, 0, v1
	s_and_saveexec_b64 s[0:1], vcc
	s_cbranch_execz .LBB704_85
; %bb.84:
	s_waitcnt lgkmcnt(1)
	v_lshrrev_b32_e32 v4, 3, v0
	v_and_b32_e32 v4, 24, v4
	s_waitcnt vmcnt(0)
	ds_write_b64 v4, v[2:3]
.LBB704_85:
	s_or_b64 exec, exec, s[0:1]
	v_cmp_gt_u32_e32 vcc, 4, v0
	s_waitcnt lgkmcnt(0)
	s_barrier
                                        ; implicit-def: $vgpr4_vgpr5
	s_and_saveexec_b64 s[0:1], vcc
	s_cbranch_execz .LBB704_91
; %bb.86:
	s_waitcnt vmcnt(0)
	v_lshlrev_b32_e32 v2, 3, v1
	ds_read_b64 v[2:3], v2
	v_and_b32_e32 v6, 3, v1
	v_cmp_ne_u32_e32 vcc, 3, v6
	s_add_i32 s4, s4, 63
	s_lshr_b32 s6, s4, 6
	v_addc_co_u32_e32 v1, vcc, 0, v1, vcc
	v_lshlrev_b32_e32 v1, 2, v1
	s_waitcnt lgkmcnt(0)
	ds_bpermute_b32 v4, v1, v2
	ds_bpermute_b32 v5, v1, v3
	v_add_u32_e32 v1, 1, v6
	v_cmp_gt_u32_e32 vcc, s6, v1
	s_and_saveexec_b64 s[4:5], vcc
	s_cbranch_execz .LBB704_88
; %bb.87:
	s_waitcnt lgkmcnt(0)
	v_add_f64 v[2:3], v[2:3], v[4:5]
	v_cvt_i32_f64_e32 v2, v[2:3]
	v_ashrrev_i32_e32 v3, 31, v2
	v_lshl_add_u64 v[2:3], v[2:3], 3, s[30:31]
	global_load_dwordx2 v[2:3], v[2:3], off
.LBB704_88:
	s_or_b64 exec, exec, s[4:5]
	v_or_b32_e32 v1, 8, v8
	s_waitcnt vmcnt(0) lgkmcnt(1)
	ds_bpermute_b32 v4, v1, v2
	s_waitcnt lgkmcnt(1)
	ds_bpermute_b32 v5, v1, v3
	v_add_u32_e32 v1, 2, v6
	v_cmp_gt_u32_e32 vcc, s6, v1
	s_mov_b64 s[4:5], s[44:45]
	s_and_saveexec_b64 s[6:7], vcc
; %bb.89:
	s_or_b64 s[4:5], s[44:45], exec
; %bb.90:
	s_or_b64 exec, exec, s[6:7]
	s_andn2_b64 s[6:7], s[44:45], exec
	s_and_b64 s[4:5], s[4:5], exec
	s_or_b64 s[44:45], s[6:7], s[4:5]
.LBB704_91:
	s_or_b64 exec, exec, s[0:1]
.LBB704_92:
	s_and_saveexec_b64 s[0:1], s[44:45]
	s_cbranch_execz .LBB704_94
; %bb.93:
	s_waitcnt vmcnt(0) lgkmcnt(0)
	v_add_f64 v[2:3], v[2:3], v[4:5]
	v_cvt_i32_f64_e32 v2, v[2:3]
	v_ashrrev_i32_e32 v3, 31, v2
	v_lshl_add_u64 v[2:3], v[2:3], 3, s[30:31]
	global_load_dwordx2 v[2:3], v[2:3], off
.LBB704_94:
	s_or_b64 exec, exec, s[0:1]
	v_cmp_eq_u32_e32 vcc, 0, v0
	s_mov_b64 s[16:17], 0
	s_mov_b64 s[14:15], 0
	s_and_saveexec_b64 s[0:1], vcc
	s_xor_b64 s[0:1], exec, s[0:1]
; %bb.95:
	s_cmp_eq_u64 s[38:39], 0
	s_cselect_b64 s[4:5], -1, 0
	s_cmp_lg_u64 s[38:39], 0
	s_cselect_b64 s[6:7], -1, 0
	s_and_b64 s[14:15], s[4:5], exec
	s_and_b64 s[16:17], s[6:7], exec
; %bb.96:
	s_or_b64 exec, exec, s[0:1]
	s_and_b64 vcc, exec, s[34:35]
	s_cbranch_vccnz .LBB704_14
.LBB704_97:
	s_branch .LBB704_157
.LBB704_98:
	s_mov_b64 s[4:5], -1
	s_mov_b64 s[18:19], 0
                                        ; implicit-def: $vgpr4_vgpr5
                                        ; implicit-def: $vgpr2_vgpr3
.LBB704_99:
	s_and_b64 vcc, exec, s[4:5]
	s_cbranch_vccz .LBB704_144
; %bb.100:
	s_sub_i32 s24, s38, s0
	s_waitcnt vmcnt(0)
	v_mov_b32_e32 v2, 0
	v_cmp_gt_u32_e32 vcc, s24, v0
	v_mov_b32_e32 v3, v2
	s_waitcnt lgkmcnt(1)
	v_mov_b32_e32 v4, v2
	s_waitcnt lgkmcnt(0)
	v_mov_b32_e32 v5, v2
	v_mov_b32_e32 v6, v2
	;; [unrolled: 1-line block ×13, first 2 shown]
	s_and_saveexec_b64 s[0:1], vcc
	s_cbranch_execz .LBB704_102
; %bb.101:
	v_lshlrev_b32_e32 v1, 3, v0
	global_load_dwordx2 v[4:5], v1, s[20:21]
	v_mov_b32_e32 v6, v2
	v_mov_b32_e32 v7, v2
	;; [unrolled: 1-line block ×14, first 2 shown]
	s_waitcnt vmcnt(0)
	v_mov_b64_e32 v[2:3], v[4:5]
	v_mov_b64_e32 v[4:5], v[6:7]
	;; [unrolled: 1-line block ×8, first 2 shown]
.LBB704_102:
	s_or_b64 exec, exec, s[0:1]
	v_or_b32_e32 v1, 0x100, v0
	v_cmp_gt_u32_e64 s[12:13], s24, v1
	s_and_saveexec_b64 s[0:1], s[12:13]
	s_cbranch_execz .LBB704_104
; %bb.103:
	v_lshlrev_b32_e32 v1, 3, v0
	global_load_dwordx2 v[4:5], v1, s[20:21] offset:2048
.LBB704_104:
	s_or_b64 exec, exec, s[0:1]
	v_or_b32_e32 v1, 0x200, v0
	v_cmp_gt_u32_e64 s[10:11], s24, v1
	s_and_saveexec_b64 s[0:1], s[10:11]
	s_cbranch_execz .LBB704_106
; %bb.105:
	v_lshlrev_b32_e32 v1, 3, v1
	global_load_dwordx2 v[6:7], v1, s[20:21]
.LBB704_106:
	s_or_b64 exec, exec, s[0:1]
	v_or_b32_e32 v1, 0x300, v0
	v_cmp_gt_u32_e64 s[8:9], s24, v1
	s_and_saveexec_b64 s[0:1], s[8:9]
	s_cbranch_execz .LBB704_108
; %bb.107:
	v_lshlrev_b32_e32 v1, 3, v1
	global_load_dwordx2 v[8:9], v1, s[20:21]
.LBB704_108:
	;; [unrolled: 9-line block ×5, first 2 shown]
	s_or_b64 exec, exec, s[22:23]
	v_or_b32_e32 v1, 0x700, v0
	v_cmp_gt_u32_e32 vcc, s24, v1
	s_and_saveexec_b64 s[22:23], vcc
	s_cbranch_execnz .LBB704_299
; %bb.115:
	s_or_b64 exec, exec, s[22:23]
	s_and_saveexec_b64 s[20:21], s[12:13]
	s_cbranch_execnz .LBB704_300
.LBB704_116:
	s_or_b64 exec, exec, s[20:21]
	s_and_saveexec_b64 s[12:13], s[10:11]
	s_cbranch_execnz .LBB704_301
.LBB704_117:
	s_or_b64 exec, exec, s[12:13]
	s_and_saveexec_b64 s[10:11], s[8:9]
	s_cbranch_execnz .LBB704_302
.LBB704_118:
	s_or_b64 exec, exec, s[10:11]
	s_and_saveexec_b64 s[8:9], s[6:7]
	s_cbranch_execnz .LBB704_303
.LBB704_119:
	s_or_b64 exec, exec, s[8:9]
	s_and_saveexec_b64 s[6:7], s[4:5]
	s_cbranch_execnz .LBB704_304
.LBB704_120:
	s_or_b64 exec, exec, s[6:7]
	s_and_saveexec_b64 s[4:5], s[0:1]
	s_cbranch_execnz .LBB704_305
.LBB704_121:
	s_or_b64 exec, exec, s[4:5]
	s_and_saveexec_b64 s[0:1], vcc
	s_cbranch_execz .LBB704_123
.LBB704_122:
	s_waitcnt vmcnt(0)
	v_add_f64 v[2:3], v[16:17], v[2:3]
	v_cvt_i32_f64_e32 v2, v[2:3]
	v_ashrrev_i32_e32 v3, 31, v2
	v_lshl_add_u64 v[2:3], v[2:3], 3, s[30:31]
	global_load_dwordx2 v[2:3], v[2:3], off
.LBB704_123:
	s_or_b64 exec, exec, s[0:1]
	v_mbcnt_lo_u32_b32 v1, -1, 0
	v_mbcnt_hi_u32_b32 v1, -1, v1
	s_waitcnt vmcnt(0)
	v_and_b32_e32 v6, 63, v1
	v_cmp_ne_u32_e32 vcc, 63, v6
	s_min_u32 s4, s24, 0x100
	v_and_b32_e32 v7, 0xc0, v0
	v_addc_co_u32_e32 v4, vcc, 0, v1, vcc
	v_lshlrev_b32_e32 v5, 2, v4
	ds_bpermute_b32 v4, v5, v2
	ds_bpermute_b32 v5, v5, v3
	v_sub_u32_e64 v7, s4, v7 clamp
	v_add_u32_e32 v8, 1, v6
	v_cmp_lt_u32_e32 vcc, v8, v7
	s_and_saveexec_b64 s[0:1], vcc
	s_xor_b64 s[0:1], exec, s[0:1]
	s_cbranch_execz .LBB704_125
; %bb.124:
	s_waitcnt lgkmcnt(0)
	v_add_f64 v[2:3], v[2:3], v[4:5]
	v_cvt_i32_f64_e32 v2, v[2:3]
	v_ashrrev_i32_e32 v3, 31, v2
	v_lshl_add_u64 v[2:3], v[2:3], 3, s[30:31]
	global_load_dwordx2 v[2:3], v[2:3], off
.LBB704_125:
	s_or_b64 exec, exec, s[0:1]
	v_cmp_gt_u32_e32 vcc, 62, v6
	v_add_u32_e32 v8, 2, v6
	s_waitcnt lgkmcnt(1)
	v_cndmask_b32_e64 v4, 0, 2, vcc
	s_waitcnt lgkmcnt(0)
	v_add_lshl_u32 v5, v4, v1, 2
	s_waitcnt vmcnt(0)
	ds_bpermute_b32 v4, v5, v2
	ds_bpermute_b32 v5, v5, v3
	v_cmp_lt_u32_e32 vcc, v8, v7
	s_and_saveexec_b64 s[0:1], vcc
	s_cbranch_execz .LBB704_127
; %bb.126:
	s_waitcnt lgkmcnt(0)
	v_add_f64 v[2:3], v[2:3], v[4:5]
	v_cvt_i32_f64_e32 v2, v[2:3]
	v_ashrrev_i32_e32 v3, 31, v2
	v_lshl_add_u64 v[2:3], v[2:3], 3, s[30:31]
	global_load_dwordx2 v[2:3], v[2:3], off
.LBB704_127:
	s_or_b64 exec, exec, s[0:1]
	v_cmp_gt_u32_e32 vcc, 60, v6
	v_add_u32_e32 v8, 4, v6
	s_waitcnt lgkmcnt(1)
	v_cndmask_b32_e64 v4, 0, 4, vcc
	s_waitcnt lgkmcnt(0)
	v_add_lshl_u32 v5, v4, v1, 2
	s_waitcnt vmcnt(0)
	ds_bpermute_b32 v4, v5, v2
	ds_bpermute_b32 v5, v5, v3
	v_cmp_lt_u32_e32 vcc, v8, v7
	s_and_saveexec_b64 s[0:1], vcc
	;; [unrolled: 21-line block ×4, first 2 shown]
	s_cbranch_execz .LBB704_133
; %bb.132:
	s_waitcnt lgkmcnt(0)
	v_add_f64 v[2:3], v[2:3], v[4:5]
	v_cvt_i32_f64_e32 v2, v[2:3]
	v_ashrrev_i32_e32 v3, 31, v2
	v_lshl_add_u64 v[2:3], v[2:3], 3, s[30:31]
	global_load_dwordx2 v[2:3], v[2:3], off
.LBB704_133:
	s_or_b64 exec, exec, s[0:1]
	v_lshlrev_b32_e32 v8, 2, v1
	s_waitcnt lgkmcnt(0)
	v_or_b32_e32 v5, 0x80, v8
	s_waitcnt vmcnt(0)
	ds_bpermute_b32 v4, v5, v2
	ds_bpermute_b32 v5, v5, v3
	v_add_u32_e32 v6, 32, v6
	v_cmp_lt_u32_e32 vcc, v6, v7
	s_and_saveexec_b64 s[0:1], vcc
	s_cbranch_execz .LBB704_135
; %bb.134:
	s_waitcnt lgkmcnt(0)
	v_add_f64 v[2:3], v[2:3], v[4:5]
	v_cvt_i32_f64_e32 v2, v[2:3]
	v_ashrrev_i32_e32 v3, 31, v2
	v_lshl_add_u64 v[2:3], v[2:3], 3, s[30:31]
	global_load_dwordx2 v[2:3], v[2:3], off
.LBB704_135:
	s_or_b64 exec, exec, s[0:1]
	v_cmp_eq_u32_e32 vcc, 0, v1
	s_and_saveexec_b64 s[0:1], vcc
	s_cbranch_execz .LBB704_137
; %bb.136:
	s_waitcnt lgkmcnt(1)
	v_lshrrev_b32_e32 v4, 3, v0
	v_and_b32_e32 v4, 24, v4
	s_waitcnt vmcnt(0)
	ds_write_b64 v4, v[2:3]
.LBB704_137:
	s_or_b64 exec, exec, s[0:1]
	v_cmp_gt_u32_e32 vcc, 4, v0
	s_waitcnt lgkmcnt(0)
	s_barrier
                                        ; implicit-def: $vgpr4_vgpr5
	s_and_saveexec_b64 s[0:1], vcc
	s_cbranch_execz .LBB704_143
; %bb.138:
	s_waitcnt vmcnt(0)
	v_lshlrev_b32_e32 v2, 3, v1
	ds_read_b64 v[2:3], v2
	v_and_b32_e32 v6, 3, v1
	v_cmp_ne_u32_e32 vcc, 3, v6
	s_add_i32 s4, s4, 63
	s_lshr_b32 s6, s4, 6
	v_addc_co_u32_e32 v1, vcc, 0, v1, vcc
	v_lshlrev_b32_e32 v1, 2, v1
	s_waitcnt lgkmcnt(0)
	ds_bpermute_b32 v4, v1, v2
	ds_bpermute_b32 v5, v1, v3
	v_add_u32_e32 v1, 1, v6
	v_cmp_gt_u32_e32 vcc, s6, v1
	s_and_saveexec_b64 s[4:5], vcc
	s_cbranch_execz .LBB704_140
; %bb.139:
	s_waitcnt lgkmcnt(0)
	v_add_f64 v[2:3], v[2:3], v[4:5]
	v_cvt_i32_f64_e32 v2, v[2:3]
	v_ashrrev_i32_e32 v3, 31, v2
	v_lshl_add_u64 v[2:3], v[2:3], 3, s[30:31]
	global_load_dwordx2 v[2:3], v[2:3], off
.LBB704_140:
	s_or_b64 exec, exec, s[4:5]
	v_or_b32_e32 v1, 8, v8
	s_waitcnt vmcnt(0) lgkmcnt(1)
	ds_bpermute_b32 v4, v1, v2
	s_waitcnt lgkmcnt(1)
	ds_bpermute_b32 v5, v1, v3
	v_add_u32_e32 v1, 2, v6
	v_cmp_gt_u32_e32 vcc, s6, v1
	s_mov_b64 s[4:5], s[18:19]
	s_and_saveexec_b64 s[6:7], vcc
; %bb.141:
	s_or_b64 s[4:5], s[18:19], exec
; %bb.142:
	s_or_b64 exec, exec, s[6:7]
	s_andn2_b64 s[6:7], s[18:19], exec
	s_and_b64 s[4:5], s[4:5], exec
	s_or_b64 s[18:19], s[6:7], s[4:5]
.LBB704_143:
	s_or_b64 exec, exec, s[0:1]
.LBB704_144:
	s_and_saveexec_b64 s[0:1], s[18:19]
	s_cbranch_execz .LBB704_146
; %bb.145:
	s_waitcnt vmcnt(0) lgkmcnt(0)
	v_add_f64 v[2:3], v[2:3], v[4:5]
	v_cvt_i32_f64_e32 v2, v[2:3]
	v_ashrrev_i32_e32 v3, 31, v2
	v_lshl_add_u64 v[2:3], v[2:3], 3, s[30:31]
	global_load_dwordx2 v[2:3], v[2:3], off
.LBB704_146:
	s_or_b64 exec, exec, s[0:1]
	v_cmp_eq_u32_e32 vcc, 0, v0
	s_and_saveexec_b64 s[0:1], vcc
	s_xor_b64 s[0:1], exec, s[0:1]
	s_cbranch_execz .LBB704_148
; %bb.147:
	s_cmp_eq_u64 s[38:39], 0
	s_cselect_b64 s[4:5], -1, 0
	s_cmp_lg_u64 s[38:39], 0
	s_cselect_b64 s[6:7], -1, 0
	s_andn2_b64 s[8:9], s[14:15], exec
	s_and_b64 s[4:5], s[4:5], exec
	s_or_b64 s[14:15], s[8:9], s[4:5]
	s_andn2_b64 s[4:5], s[16:17], exec
	s_and_b64 s[6:7], s[6:7], exec
	s_or_b64 s[16:17], s[4:5], s[6:7]
.LBB704_148:
	s_or_b64 exec, exec, s[0:1]
	s_branch .LBB704_157
.LBB704_149:
	s_cmp_eq_u32 s33, 4
	s_cbranch_scc0 .LBB704_156
; %bb.150:
	s_mov_b32 s3, 0
	s_lshl_b32 s0, s2, 10
	s_mov_b32 s1, s3
	s_lshr_b64 s[4:5], s[38:39], 10
	s_lshl_b64 s[6:7], s[0:1], 3
	s_add_u32 s8, s36, s6
	s_addc_u32 s9, s37, s7
	s_cmp_lg_u64 s[4:5], s[2:3]
	s_cbranch_scc0 .LBB704_158
; %bb.151:
	s_waitcnt vmcnt(0)
	v_lshlrev_b32_e32 v2, 3, v0
	s_waitcnt lgkmcnt(0)
	global_load_dwordx2 v[4:5], v2, s[8:9]
	global_load_dwordx2 v[6:7], v2, s[8:9] offset:2048
	v_mov_b32_e32 v3, 0
	v_lshl_add_u64 v[2:3], s[8:9], 0, v[2:3]
	v_add_co_u32_e32 v2, vcc, 0x1000, v2
	v_mbcnt_lo_u32_b32 v1, -1, 0
	s_nop 0
	v_addc_co_u32_e32 v3, vcc, 0, v3, vcc
	s_waitcnt vmcnt(0)
	v_add_f64 v[4:5], v[4:5], v[6:7]
	v_cvt_i32_f64_e32 v4, v[4:5]
	v_ashrrev_i32_e32 v5, 31, v4
	v_lshl_add_u64 v[4:5], v[4:5], 3, s[30:31]
	global_load_dwordx2 v[6:7], v[4:5], off
	global_load_dwordx2 v[8:9], v[2:3], off
	global_load_dwordx2 v[10:11], v[2:3], off offset:2048
	s_waitcnt vmcnt(1)
	v_add_f64 v[2:3], v[8:9], v[6:7]
	v_cvt_i32_f64_e32 v2, v[2:3]
	v_ashrrev_i32_e32 v3, 31, v2
	v_lshl_add_u64 v[2:3], v[2:3], 3, s[30:31]
	global_load_dwordx2 v[2:3], v[2:3], off
	v_mbcnt_hi_u32_b32 v6, -1, v1
	v_lshlrev_b32_e32 v1, 2, v6
	v_cmp_eq_u32_e32 vcc, 0, v6
	s_waitcnt vmcnt(0)
	v_add_f64 v[2:3], v[10:11], v[2:3]
	v_cvt_i32_f64_e32 v2, v[2:3]
	v_ashrrev_i32_e32 v3, 31, v2
	v_lshl_add_u64 v[2:3], v[2:3], 3, s[30:31]
	global_load_dwordx2 v[2:3], v[2:3], off
	s_waitcnt vmcnt(0)
	s_nop 0
	v_mov_b32_dpp v4, v2 quad_perm:[1,0,3,2] row_mask:0xf bank_mask:0xf bound_ctrl:1
	v_mov_b32_dpp v5, v3 quad_perm:[1,0,3,2] row_mask:0xf bank_mask:0xf bound_ctrl:1
	v_add_f64 v[2:3], v[2:3], v[4:5]
	v_cvt_i32_f64_e32 v2, v[2:3]
	v_ashrrev_i32_e32 v3, 31, v2
	v_lshl_add_u64 v[2:3], v[2:3], 3, s[30:31]
	global_load_dwordx2 v[2:3], v[2:3], off
	s_waitcnt vmcnt(0)
	s_nop 0
	v_mov_b32_dpp v4, v2 quad_perm:[2,3,0,1] row_mask:0xf bank_mask:0xf bound_ctrl:1
	v_mov_b32_dpp v5, v3 quad_perm:[2,3,0,1] row_mask:0xf bank_mask:0xf bound_ctrl:1
	v_add_f64 v[2:3], v[2:3], v[4:5]
	v_cvt_i32_f64_e32 v2, v[2:3]
	v_ashrrev_i32_e32 v3, 31, v2
	v_lshl_add_u64 v[2:3], v[2:3], 3, s[30:31]
	global_load_dwordx2 v[2:3], v[2:3], off
	s_waitcnt vmcnt(0)
	s_nop 0
	v_mov_b32_dpp v4, v2 row_ror:4 row_mask:0xf bank_mask:0xf bound_ctrl:1
	v_mov_b32_dpp v5, v3 row_ror:4 row_mask:0xf bank_mask:0xf bound_ctrl:1
	v_add_f64 v[2:3], v[2:3], v[4:5]
	v_cvt_i32_f64_e32 v2, v[2:3]
	v_ashrrev_i32_e32 v3, 31, v2
	v_lshl_add_u64 v[2:3], v[2:3], 3, s[30:31]
	global_load_dwordx2 v[2:3], v[2:3], off
	s_waitcnt vmcnt(0)
	s_nop 0
	v_mov_b32_dpp v4, v2 row_ror:8 row_mask:0xf bank_mask:0xf bound_ctrl:1
	v_mov_b32_dpp v5, v3 row_ror:8 row_mask:0xf bank_mask:0xf bound_ctrl:1
	v_add_f64 v[2:3], v[2:3], v[4:5]
	v_cvt_i32_f64_e32 v2, v[2:3]
	v_ashrrev_i32_e32 v3, 31, v2
	v_lshl_add_u64 v[2:3], v[2:3], 3, s[30:31]
	global_load_dwordx2 v[2:3], v[2:3], off
	s_waitcnt vmcnt(0)
	s_nop 0
	v_mov_b32_dpp v4, v2 row_bcast:15 row_mask:0xf bank_mask:0xf bound_ctrl:1
	v_mov_b32_dpp v5, v3 row_bcast:15 row_mask:0xf bank_mask:0xf bound_ctrl:1
	v_add_f64 v[2:3], v[2:3], v[4:5]
	v_cvt_i32_f64_e32 v2, v[2:3]
	v_ashrrev_i32_e32 v3, 31, v2
	v_lshl_add_u64 v[2:3], v[2:3], 3, s[30:31]
	global_load_dwordx2 v[2:3], v[2:3], off
	s_waitcnt vmcnt(0)
	s_nop 0
	v_mov_b32_dpp v4, v2 row_bcast:31 row_mask:0xf bank_mask:0xf bound_ctrl:1
	v_mov_b32_dpp v5, v3 row_bcast:31 row_mask:0xf bank_mask:0xf bound_ctrl:1
	v_add_f64 v[2:3], v[2:3], v[4:5]
	v_cvt_i32_f64_e32 v2, v[2:3]
	v_ashrrev_i32_e32 v3, 31, v2
	v_lshl_add_u64 v[2:3], v[2:3], 3, s[30:31]
	global_load_dwordx2 v[2:3], v[2:3], off
	v_or_b32_e32 v4, 0xfc, v1
	s_waitcnt vmcnt(0)
	ds_bpermute_b32 v2, v4, v2
	ds_bpermute_b32 v3, v4, v3
	s_and_saveexec_b64 s[4:5], vcc
	s_cbranch_execz .LBB704_153
; %bb.152:
	v_lshrrev_b32_e32 v4, 3, v0
	v_and_b32_e32 v4, 24, v4
	s_waitcnt lgkmcnt(0)
	ds_write_b64 v4, v[2:3] offset:128
.LBB704_153:
	s_or_b64 exec, exec, s[4:5]
	v_cmp_gt_u32_e32 vcc, 64, v0
	s_mov_b64 s[4:5], 0
	s_mov_b64 s[6:7], 0
	s_waitcnt lgkmcnt(0)
	s_barrier
                                        ; implicit-def: $vgpr4_vgpr5
	s_and_saveexec_b64 s[10:11], vcc
	s_xor_b64 s[10:11], exec, s[10:11]
	s_cbranch_execz .LBB704_155
; %bb.154:
	v_and_b32_e32 v4, 3, v6
	v_lshlrev_b32_e32 v2, 3, v4
	ds_read_b64 v[2:3], v2 offset:128
	v_cmp_ne_u32_e32 vcc, 3, v4
	v_or_b32_e32 v1, 8, v1
	s_mov_b64 s[6:7], exec
	v_addc_co_u32_e32 v4, vcc, 0, v6, vcc
	v_lshlrev_b32_e32 v5, 2, v4
	s_waitcnt lgkmcnt(0)
	ds_bpermute_b32 v4, v5, v2
	ds_bpermute_b32 v5, v5, v3
	s_waitcnt lgkmcnt(0)
	v_add_f64 v[2:3], v[2:3], v[4:5]
	v_cvt_i32_f64_e32 v2, v[2:3]
	v_ashrrev_i32_e32 v3, 31, v2
	v_lshl_add_u64 v[2:3], v[2:3], 3, s[30:31]
	global_load_dwordx2 v[2:3], v[2:3], off
	s_waitcnt vmcnt(0)
	ds_bpermute_b32 v4, v1, v2
	ds_bpermute_b32 v5, v1, v3
.LBB704_155:
	s_or_b64 exec, exec, s[10:11]
	s_and_b64 vcc, exec, s[4:5]
	s_cbranch_vccnz .LBB704_159
	s_branch .LBB704_191
.LBB704_156:
                                        ; implicit-def: $vgpr2_vgpr3
.LBB704_157:
	s_branch .LBB704_247
.LBB704_158:
	s_mov_b64 s[6:7], 0
                                        ; implicit-def: $vgpr4_vgpr5
                                        ; implicit-def: $vgpr2_vgpr3
	s_cbranch_execz .LBB704_191
.LBB704_159:
	s_sub_i32 s12, s38, s0
	s_waitcnt vmcnt(0)
	v_mov_b32_e32 v2, 0
	v_cmp_gt_u32_e32 vcc, s12, v0
	v_mov_b32_e32 v3, v2
	s_waitcnt lgkmcnt(1)
	v_mov_b32_e32 v4, v2
	s_waitcnt lgkmcnt(0)
	v_mov_b32_e32 v5, v2
	v_mov_b32_e32 v6, v2
	;; [unrolled: 1-line block ×5, first 2 shown]
	s_and_saveexec_b64 s[0:1], vcc
	s_cbranch_execz .LBB704_161
; %bb.160:
	v_lshlrev_b32_e32 v1, 3, v0
	global_load_dwordx2 v[4:5], v1, s[8:9]
	v_mov_b32_e32 v6, v2
	v_mov_b32_e32 v7, v2
	;; [unrolled: 1-line block ×6, first 2 shown]
	s_waitcnt vmcnt(0)
	v_mov_b64_e32 v[2:3], v[4:5]
	v_mov_b64_e32 v[4:5], v[6:7]
	;; [unrolled: 1-line block ×4, first 2 shown]
.LBB704_161:
	s_or_b64 exec, exec, s[0:1]
	v_or_b32_e32 v1, 0x100, v0
	v_cmp_gt_u32_e64 s[4:5], s12, v1
	s_and_saveexec_b64 s[0:1], s[4:5]
	s_cbranch_execz .LBB704_163
; %bb.162:
	v_lshlrev_b32_e32 v1, 3, v0
	global_load_dwordx2 v[4:5], v1, s[8:9] offset:2048
.LBB704_163:
	s_or_b64 exec, exec, s[0:1]
	v_or_b32_e32 v1, 0x200, v0
	v_cmp_gt_u32_e64 s[0:1], s12, v1
	s_and_saveexec_b64 s[10:11], s[0:1]
	s_cbranch_execz .LBB704_165
; %bb.164:
	v_lshlrev_b32_e32 v1, 3, v1
	global_load_dwordx2 v[6:7], v1, s[8:9]
.LBB704_165:
	s_or_b64 exec, exec, s[10:11]
	v_or_b32_e32 v1, 0x300, v0
	v_cmp_gt_u32_e32 vcc, s12, v1
	s_and_saveexec_b64 s[10:11], vcc
	s_cbranch_execnz .LBB704_281
; %bb.166:
	s_or_b64 exec, exec, s[10:11]
	s_and_saveexec_b64 s[8:9], s[4:5]
	s_cbranch_execnz .LBB704_282
.LBB704_167:
	s_or_b64 exec, exec, s[8:9]
	s_and_saveexec_b64 s[4:5], s[0:1]
	s_cbranch_execnz .LBB704_283
.LBB704_168:
	s_or_b64 exec, exec, s[4:5]
	s_and_saveexec_b64 s[0:1], vcc
	s_cbranch_execz .LBB704_170
.LBB704_169:
	s_waitcnt vmcnt(0)
	v_add_f64 v[2:3], v[8:9], v[2:3]
	v_cvt_i32_f64_e32 v2, v[2:3]
	v_ashrrev_i32_e32 v3, 31, v2
	v_lshl_add_u64 v[2:3], v[2:3], 3, s[30:31]
	global_load_dwordx2 v[2:3], v[2:3], off
.LBB704_170:
	s_or_b64 exec, exec, s[0:1]
	v_mbcnt_lo_u32_b32 v1, -1, 0
	v_mbcnt_hi_u32_b32 v1, -1, v1
	s_waitcnt vmcnt(0)
	v_and_b32_e32 v6, 63, v1
	v_cmp_ne_u32_e32 vcc, 63, v6
	s_min_u32 s4, s12, 0x100
	v_and_b32_e32 v7, 0xc0, v0
	v_addc_co_u32_e32 v4, vcc, 0, v1, vcc
	v_lshlrev_b32_e32 v5, 2, v4
	ds_bpermute_b32 v4, v5, v2
	ds_bpermute_b32 v5, v5, v3
	v_sub_u32_e64 v7, s4, v7 clamp
	v_add_u32_e32 v8, 1, v6
	v_cmp_lt_u32_e32 vcc, v8, v7
	s_and_saveexec_b64 s[0:1], vcc
	s_xor_b64 s[0:1], exec, s[0:1]
	s_cbranch_execz .LBB704_172
; %bb.171:
	s_waitcnt lgkmcnt(0)
	v_add_f64 v[2:3], v[2:3], v[4:5]
	v_cvt_i32_f64_e32 v2, v[2:3]
	v_ashrrev_i32_e32 v3, 31, v2
	v_lshl_add_u64 v[2:3], v[2:3], 3, s[30:31]
	global_load_dwordx2 v[2:3], v[2:3], off
.LBB704_172:
	s_or_b64 exec, exec, s[0:1]
	v_cmp_gt_u32_e32 vcc, 62, v6
	v_add_u32_e32 v8, 2, v6
	s_waitcnt lgkmcnt(1)
	v_cndmask_b32_e64 v4, 0, 2, vcc
	s_waitcnt lgkmcnt(0)
	v_add_lshl_u32 v5, v4, v1, 2
	s_waitcnt vmcnt(0)
	ds_bpermute_b32 v4, v5, v2
	ds_bpermute_b32 v5, v5, v3
	v_cmp_lt_u32_e32 vcc, v8, v7
	s_and_saveexec_b64 s[0:1], vcc
	s_cbranch_execz .LBB704_174
; %bb.173:
	s_waitcnt lgkmcnt(0)
	v_add_f64 v[2:3], v[2:3], v[4:5]
	v_cvt_i32_f64_e32 v2, v[2:3]
	v_ashrrev_i32_e32 v3, 31, v2
	v_lshl_add_u64 v[2:3], v[2:3], 3, s[30:31]
	global_load_dwordx2 v[2:3], v[2:3], off
.LBB704_174:
	s_or_b64 exec, exec, s[0:1]
	v_cmp_gt_u32_e32 vcc, 60, v6
	v_add_u32_e32 v8, 4, v6
	s_waitcnt lgkmcnt(1)
	v_cndmask_b32_e64 v4, 0, 4, vcc
	s_waitcnt lgkmcnt(0)
	v_add_lshl_u32 v5, v4, v1, 2
	s_waitcnt vmcnt(0)
	ds_bpermute_b32 v4, v5, v2
	ds_bpermute_b32 v5, v5, v3
	v_cmp_lt_u32_e32 vcc, v8, v7
	s_and_saveexec_b64 s[0:1], vcc
	;; [unrolled: 21-line block ×4, first 2 shown]
	s_cbranch_execz .LBB704_180
; %bb.179:
	s_waitcnt lgkmcnt(0)
	v_add_f64 v[2:3], v[2:3], v[4:5]
	v_cvt_i32_f64_e32 v2, v[2:3]
	v_ashrrev_i32_e32 v3, 31, v2
	v_lshl_add_u64 v[2:3], v[2:3], 3, s[30:31]
	global_load_dwordx2 v[2:3], v[2:3], off
.LBB704_180:
	s_or_b64 exec, exec, s[0:1]
	v_lshlrev_b32_e32 v8, 2, v1
	s_waitcnt lgkmcnt(0)
	v_or_b32_e32 v5, 0x80, v8
	s_waitcnt vmcnt(0)
	ds_bpermute_b32 v4, v5, v2
	ds_bpermute_b32 v5, v5, v3
	v_add_u32_e32 v6, 32, v6
	v_cmp_lt_u32_e32 vcc, v6, v7
	s_and_saveexec_b64 s[0:1], vcc
	s_cbranch_execz .LBB704_182
; %bb.181:
	s_waitcnt lgkmcnt(0)
	v_add_f64 v[2:3], v[2:3], v[4:5]
	v_cvt_i32_f64_e32 v2, v[2:3]
	v_ashrrev_i32_e32 v3, 31, v2
	v_lshl_add_u64 v[2:3], v[2:3], 3, s[30:31]
	global_load_dwordx2 v[2:3], v[2:3], off
.LBB704_182:
	s_or_b64 exec, exec, s[0:1]
	v_cmp_eq_u32_e32 vcc, 0, v1
	s_and_saveexec_b64 s[0:1], vcc
	s_cbranch_execz .LBB704_184
; %bb.183:
	s_waitcnt lgkmcnt(1)
	v_lshrrev_b32_e32 v4, 3, v0
	v_and_b32_e32 v4, 24, v4
	s_waitcnt vmcnt(0)
	ds_write_b64 v4, v[2:3]
.LBB704_184:
	s_or_b64 exec, exec, s[0:1]
	v_cmp_gt_u32_e32 vcc, 4, v0
	s_waitcnt lgkmcnt(0)
	s_barrier
                                        ; implicit-def: $vgpr4_vgpr5
	s_and_saveexec_b64 s[0:1], vcc
	s_cbranch_execz .LBB704_190
; %bb.185:
	s_waitcnt vmcnt(0)
	v_lshlrev_b32_e32 v2, 3, v1
	ds_read_b64 v[2:3], v2
	v_and_b32_e32 v6, 3, v1
	v_cmp_ne_u32_e32 vcc, 3, v6
	s_add_i32 s4, s4, 63
	s_lshr_b32 s8, s4, 6
	v_addc_co_u32_e32 v1, vcc, 0, v1, vcc
	v_lshlrev_b32_e32 v1, 2, v1
	s_waitcnt lgkmcnt(0)
	ds_bpermute_b32 v4, v1, v2
	ds_bpermute_b32 v5, v1, v3
	v_add_u32_e32 v1, 1, v6
	v_cmp_gt_u32_e32 vcc, s8, v1
	s_and_saveexec_b64 s[4:5], vcc
	s_cbranch_execz .LBB704_187
; %bb.186:
	s_waitcnt lgkmcnt(0)
	v_add_f64 v[2:3], v[2:3], v[4:5]
	v_cvt_i32_f64_e32 v2, v[2:3]
	v_ashrrev_i32_e32 v3, 31, v2
	v_lshl_add_u64 v[2:3], v[2:3], 3, s[30:31]
	global_load_dwordx2 v[2:3], v[2:3], off
.LBB704_187:
	s_or_b64 exec, exec, s[4:5]
	v_or_b32_e32 v1, 8, v8
	s_waitcnt vmcnt(0) lgkmcnt(1)
	ds_bpermute_b32 v4, v1, v2
	s_waitcnt lgkmcnt(1)
	ds_bpermute_b32 v5, v1, v3
	v_add_u32_e32 v1, 2, v6
	v_cmp_gt_u32_e32 vcc, s8, v1
	s_mov_b64 s[4:5], s[6:7]
	s_and_saveexec_b64 s[8:9], vcc
; %bb.188:
	s_or_b64 s[4:5], s[6:7], exec
; %bb.189:
	s_or_b64 exec, exec, s[8:9]
	s_andn2_b64 s[6:7], s[6:7], exec
	s_and_b64 s[4:5], s[4:5], exec
	s_or_b64 s[6:7], s[6:7], s[4:5]
.LBB704_190:
	s_or_b64 exec, exec, s[0:1]
.LBB704_191:
	s_and_saveexec_b64 s[0:1], s[6:7]
	s_cbranch_execz .LBB704_193
; %bb.192:
	s_waitcnt vmcnt(0) lgkmcnt(0)
	v_add_f64 v[2:3], v[2:3], v[4:5]
	v_cvt_i32_f64_e32 v2, v[2:3]
	v_ashrrev_i32_e32 v3, 31, v2
	v_lshl_add_u64 v[2:3], v[2:3], 3, s[30:31]
	global_load_dwordx2 v[2:3], v[2:3], off
.LBB704_193:
	s_or_b64 exec, exec, s[0:1]
	v_cmp_eq_u32_e32 vcc, 0, v0
	s_and_saveexec_b64 s[0:1], vcc
	s_xor_b64 s[0:1], exec, s[0:1]
	s_cbranch_execz .LBB704_195
; %bb.194:
	s_cmp_eq_u64 s[38:39], 0
	s_cselect_b64 s[4:5], -1, 0
	s_cmp_lg_u64 s[38:39], 0
	s_cselect_b64 s[6:7], -1, 0
	s_andn2_b64 s[8:9], s[14:15], exec
	s_and_b64 s[4:5], s[4:5], exec
	s_or_b64 s[14:15], s[8:9], s[4:5]
	s_andn2_b64 s[4:5], s[16:17], exec
	s_and_b64 s[6:7], s[6:7], exec
	s_or_b64 s[16:17], s[4:5], s[6:7]
.LBB704_195:
	s_or_b64 exec, exec, s[0:1]
	s_branch .LBB704_247
.LBB704_196:
	s_cmp_gt_i32 s33, 1
	s_cbranch_scc0 .LBB704_204
; %bb.197:
	s_cmp_eq_u32 s33, 2
	s_cbranch_scc0 .LBB704_205
; %bb.198:
	s_mov_b32 s3, 0
	s_lshl_b32 s6, s2, 9
	s_mov_b32 s7, s3
	s_lshr_b64 s[0:1], s[38:39], 9
	s_lshl_b64 s[4:5], s[6:7], 3
	s_add_u32 s4, s36, s4
	s_addc_u32 s5, s37, s5
	s_cmp_lg_u64 s[0:1], s[2:3]
	s_cbranch_scc0 .LBB704_206
; %bb.199:
	v_lshlrev_b32_e32 v1, 3, v0
	global_load_dwordx2 v[2:3], v1, s[4:5]
	s_waitcnt lgkmcnt(0)
	global_load_dwordx2 v[4:5], v1, s[4:5] offset:2048
	v_mbcnt_lo_u32_b32 v1, -1, 0
	v_mbcnt_hi_u32_b32 v6, -1, v1
	v_lshlrev_b32_e32 v1, 2, v6
	v_cmp_eq_u32_e32 vcc, 0, v6
	s_waitcnt vmcnt(0)
	v_add_f64 v[2:3], v[2:3], v[4:5]
	v_cvt_i32_f64_e32 v2, v[2:3]
	v_ashrrev_i32_e32 v3, 31, v2
	v_lshl_add_u64 v[2:3], v[2:3], 3, s[30:31]
	global_load_dwordx2 v[2:3], v[2:3], off
	s_waitcnt vmcnt(0)
	s_nop 0
	v_mov_b32_dpp v4, v2 quad_perm:[1,0,3,2] row_mask:0xf bank_mask:0xf bound_ctrl:1
	v_mov_b32_dpp v5, v3 quad_perm:[1,0,3,2] row_mask:0xf bank_mask:0xf bound_ctrl:1
	v_add_f64 v[2:3], v[2:3], v[4:5]
	v_cvt_i32_f64_e32 v2, v[2:3]
	v_ashrrev_i32_e32 v3, 31, v2
	v_lshl_add_u64 v[2:3], v[2:3], 3, s[30:31]
	global_load_dwordx2 v[2:3], v[2:3], off
	s_waitcnt vmcnt(0)
	s_nop 0
	v_mov_b32_dpp v4, v2 quad_perm:[2,3,0,1] row_mask:0xf bank_mask:0xf bound_ctrl:1
	v_mov_b32_dpp v5, v3 quad_perm:[2,3,0,1] row_mask:0xf bank_mask:0xf bound_ctrl:1
	v_add_f64 v[2:3], v[2:3], v[4:5]
	v_cvt_i32_f64_e32 v2, v[2:3]
	v_ashrrev_i32_e32 v3, 31, v2
	v_lshl_add_u64 v[2:3], v[2:3], 3, s[30:31]
	global_load_dwordx2 v[2:3], v[2:3], off
	s_waitcnt vmcnt(0)
	s_nop 0
	v_mov_b32_dpp v4, v2 row_ror:4 row_mask:0xf bank_mask:0xf bound_ctrl:1
	v_mov_b32_dpp v5, v3 row_ror:4 row_mask:0xf bank_mask:0xf bound_ctrl:1
	v_add_f64 v[2:3], v[2:3], v[4:5]
	v_cvt_i32_f64_e32 v2, v[2:3]
	v_ashrrev_i32_e32 v3, 31, v2
	v_lshl_add_u64 v[2:3], v[2:3], 3, s[30:31]
	global_load_dwordx2 v[2:3], v[2:3], off
	s_waitcnt vmcnt(0)
	s_nop 0
	v_mov_b32_dpp v4, v2 row_ror:8 row_mask:0xf bank_mask:0xf bound_ctrl:1
	v_mov_b32_dpp v5, v3 row_ror:8 row_mask:0xf bank_mask:0xf bound_ctrl:1
	v_add_f64 v[2:3], v[2:3], v[4:5]
	v_cvt_i32_f64_e32 v2, v[2:3]
	v_ashrrev_i32_e32 v3, 31, v2
	v_lshl_add_u64 v[2:3], v[2:3], 3, s[30:31]
	global_load_dwordx2 v[2:3], v[2:3], off
	s_waitcnt vmcnt(0)
	s_nop 0
	v_mov_b32_dpp v4, v2 row_bcast:15 row_mask:0xf bank_mask:0xf bound_ctrl:1
	v_mov_b32_dpp v5, v3 row_bcast:15 row_mask:0xf bank_mask:0xf bound_ctrl:1
	v_add_f64 v[2:3], v[2:3], v[4:5]
	v_cvt_i32_f64_e32 v2, v[2:3]
	v_ashrrev_i32_e32 v3, 31, v2
	v_lshl_add_u64 v[2:3], v[2:3], 3, s[30:31]
	global_load_dwordx2 v[2:3], v[2:3], off
	s_waitcnt vmcnt(0)
	s_nop 0
	v_mov_b32_dpp v4, v2 row_bcast:31 row_mask:0xf bank_mask:0xf bound_ctrl:1
	v_mov_b32_dpp v5, v3 row_bcast:31 row_mask:0xf bank_mask:0xf bound_ctrl:1
	v_add_f64 v[2:3], v[2:3], v[4:5]
	v_cvt_i32_f64_e32 v2, v[2:3]
	v_ashrrev_i32_e32 v3, 31, v2
	v_lshl_add_u64 v[2:3], v[2:3], 3, s[30:31]
	global_load_dwordx2 v[2:3], v[2:3], off
	v_or_b32_e32 v4, 0xfc, v1
	s_waitcnt vmcnt(0)
	ds_bpermute_b32 v2, v4, v2
	ds_bpermute_b32 v3, v4, v3
	s_and_saveexec_b64 s[0:1], vcc
	s_cbranch_execz .LBB704_201
; %bb.200:
	v_lshrrev_b32_e32 v4, 3, v0
	v_and_b32_e32 v4, 24, v4
	s_waitcnt lgkmcnt(0)
	ds_write_b64 v4, v[2:3] offset:96
.LBB704_201:
	s_or_b64 exec, exec, s[0:1]
	v_cmp_gt_u32_e32 vcc, 64, v0
	s_mov_b64 s[8:9], 0
	s_mov_b64 s[0:1], 0
	s_waitcnt lgkmcnt(0)
	s_barrier
                                        ; implicit-def: $vgpr4_vgpr5
	s_and_saveexec_b64 s[10:11], vcc
	s_xor_b64 s[10:11], exec, s[10:11]
	s_cbranch_execz .LBB704_203
; %bb.202:
	v_and_b32_e32 v4, 3, v6
	v_lshlrev_b32_e32 v2, 3, v4
	ds_read_b64 v[2:3], v2 offset:96
	v_cmp_ne_u32_e32 vcc, 3, v4
	v_or_b32_e32 v1, 8, v1
	s_mov_b64 s[0:1], exec
	v_addc_co_u32_e32 v4, vcc, 0, v6, vcc
	v_lshlrev_b32_e32 v5, 2, v4
	s_waitcnt lgkmcnt(0)
	ds_bpermute_b32 v4, v5, v2
	ds_bpermute_b32 v5, v5, v3
	s_waitcnt lgkmcnt(0)
	v_add_f64 v[2:3], v[2:3], v[4:5]
	v_cvt_i32_f64_e32 v2, v[2:3]
	v_ashrrev_i32_e32 v3, 31, v2
	v_lshl_add_u64 v[2:3], v[2:3], 3, s[30:31]
	global_load_dwordx2 v[2:3], v[2:3], off
	s_waitcnt vmcnt(0)
	ds_bpermute_b32 v4, v1, v2
	ds_bpermute_b32 v5, v1, v3
.LBB704_203:
	s_or_b64 exec, exec, s[10:11]
	s_and_b64 vcc, exec, s[8:9]
	s_cbranch_vccnz .LBB704_207
	s_branch .LBB704_234
.LBB704_204:
                                        ; implicit-def: $vgpr2_vgpr3
	s_cbranch_execnz .LBB704_239
	s_branch .LBB704_247
.LBB704_205:
                                        ; implicit-def: $vgpr2_vgpr3
	s_branch .LBB704_247
.LBB704_206:
	s_mov_b64 s[0:1], 0
                                        ; implicit-def: $vgpr4_vgpr5
                                        ; implicit-def: $vgpr2_vgpr3
	s_cbranch_execz .LBB704_234
.LBB704_207:
	s_sub_i32 s8, s38, s6
	s_waitcnt vmcnt(0)
	v_mov_b32_e32 v2, 0
	v_cmp_gt_u32_e32 vcc, s8, v0
	v_mov_b32_e32 v3, v2
	s_waitcnt lgkmcnt(1)
	v_mov_b32_e32 v4, v2
	s_waitcnt lgkmcnt(0)
	v_mov_b32_e32 v5, v2
	s_and_saveexec_b64 s[6:7], vcc
	s_cbranch_execz .LBB704_209
; %bb.208:
	v_lshlrev_b32_e32 v1, 3, v0
	global_load_dwordx2 v[4:5], v1, s[4:5]
	v_mov_b32_e32 v6, v2
	v_mov_b32_e32 v7, v2
	s_waitcnt vmcnt(0)
	v_mov_b64_e32 v[2:3], v[4:5]
	v_mov_b64_e32 v[4:5], v[6:7]
.LBB704_209:
	s_or_b64 exec, exec, s[6:7]
	v_or_b32_e32 v1, 0x100, v0
	v_cmp_gt_u32_e32 vcc, s8, v1
	s_and_saveexec_b64 s[6:7], vcc
	s_cbranch_execz .LBB704_211
; %bb.210:
	v_lshlrev_b32_e32 v1, 3, v0
	global_load_dwordx2 v[4:5], v1, s[4:5] offset:2048
.LBB704_211:
	s_or_b64 exec, exec, s[6:7]
	s_and_saveexec_b64 s[4:5], vcc
	s_cbranch_execz .LBB704_213
; %bb.212:
	s_waitcnt vmcnt(0)
	v_add_f64 v[2:3], v[4:5], v[2:3]
	v_cvt_i32_f64_e32 v2, v[2:3]
	v_ashrrev_i32_e32 v3, 31, v2
	v_lshl_add_u64 v[2:3], v[2:3], 3, s[30:31]
	global_load_dwordx2 v[2:3], v[2:3], off
.LBB704_213:
	s_or_b64 exec, exec, s[4:5]
	v_mbcnt_lo_u32_b32 v1, -1, 0
	v_mbcnt_hi_u32_b32 v1, -1, v1
	v_and_b32_e32 v6, 63, v1
	v_cmp_ne_u32_e32 vcc, 63, v6
	s_min_u32 s6, s8, 0x100
	v_and_b32_e32 v7, 0xc0, v0
	s_waitcnt vmcnt(0)
	v_addc_co_u32_e32 v4, vcc, 0, v1, vcc
	v_lshlrev_b32_e32 v5, 2, v4
	ds_bpermute_b32 v4, v5, v2
	ds_bpermute_b32 v5, v5, v3
	v_sub_u32_e64 v7, s6, v7 clamp
	v_add_u32_e32 v8, 1, v6
	v_cmp_lt_u32_e32 vcc, v8, v7
	s_and_saveexec_b64 s[4:5], vcc
	s_xor_b64 s[4:5], exec, s[4:5]
	s_cbranch_execz .LBB704_215
; %bb.214:
	s_waitcnt lgkmcnt(0)
	v_add_f64 v[2:3], v[2:3], v[4:5]
	v_cvt_i32_f64_e32 v2, v[2:3]
	v_ashrrev_i32_e32 v3, 31, v2
	v_lshl_add_u64 v[2:3], v[2:3], 3, s[30:31]
	global_load_dwordx2 v[2:3], v[2:3], off
.LBB704_215:
	s_or_b64 exec, exec, s[4:5]
	v_cmp_gt_u32_e32 vcc, 62, v6
	v_add_u32_e32 v8, 2, v6
	s_waitcnt lgkmcnt(1)
	v_cndmask_b32_e64 v4, 0, 2, vcc
	s_waitcnt lgkmcnt(0)
	v_add_lshl_u32 v5, v4, v1, 2
	s_waitcnt vmcnt(0)
	ds_bpermute_b32 v4, v5, v2
	ds_bpermute_b32 v5, v5, v3
	v_cmp_lt_u32_e32 vcc, v8, v7
	s_and_saveexec_b64 s[4:5], vcc
	s_cbranch_execz .LBB704_217
; %bb.216:
	s_waitcnt lgkmcnt(0)
	v_add_f64 v[2:3], v[2:3], v[4:5]
	v_cvt_i32_f64_e32 v2, v[2:3]
	v_ashrrev_i32_e32 v3, 31, v2
	v_lshl_add_u64 v[2:3], v[2:3], 3, s[30:31]
	global_load_dwordx2 v[2:3], v[2:3], off
.LBB704_217:
	s_or_b64 exec, exec, s[4:5]
	v_cmp_gt_u32_e32 vcc, 60, v6
	v_add_u32_e32 v8, 4, v6
	s_waitcnt lgkmcnt(1)
	v_cndmask_b32_e64 v4, 0, 4, vcc
	s_waitcnt lgkmcnt(0)
	v_add_lshl_u32 v5, v4, v1, 2
	s_waitcnt vmcnt(0)
	ds_bpermute_b32 v4, v5, v2
	ds_bpermute_b32 v5, v5, v3
	v_cmp_lt_u32_e32 vcc, v8, v7
	s_and_saveexec_b64 s[4:5], vcc
	;; [unrolled: 21-line block ×4, first 2 shown]
	s_cbranch_execz .LBB704_223
; %bb.222:
	s_waitcnt lgkmcnt(0)
	v_add_f64 v[2:3], v[2:3], v[4:5]
	v_cvt_i32_f64_e32 v2, v[2:3]
	v_ashrrev_i32_e32 v3, 31, v2
	v_lshl_add_u64 v[2:3], v[2:3], 3, s[30:31]
	global_load_dwordx2 v[2:3], v[2:3], off
.LBB704_223:
	s_or_b64 exec, exec, s[4:5]
	v_lshlrev_b32_e32 v8, 2, v1
	s_waitcnt lgkmcnt(0)
	v_or_b32_e32 v5, 0x80, v8
	s_waitcnt vmcnt(0)
	ds_bpermute_b32 v4, v5, v2
	ds_bpermute_b32 v5, v5, v3
	v_add_u32_e32 v6, 32, v6
	v_cmp_lt_u32_e32 vcc, v6, v7
	s_and_saveexec_b64 s[4:5], vcc
	s_cbranch_execz .LBB704_225
; %bb.224:
	s_waitcnt lgkmcnt(0)
	v_add_f64 v[2:3], v[2:3], v[4:5]
	v_cvt_i32_f64_e32 v2, v[2:3]
	v_ashrrev_i32_e32 v3, 31, v2
	v_lshl_add_u64 v[2:3], v[2:3], 3, s[30:31]
	global_load_dwordx2 v[2:3], v[2:3], off
.LBB704_225:
	s_or_b64 exec, exec, s[4:5]
	v_cmp_eq_u32_e32 vcc, 0, v1
	s_and_saveexec_b64 s[4:5], vcc
	s_cbranch_execz .LBB704_227
; %bb.226:
	s_waitcnt lgkmcnt(1)
	v_lshrrev_b32_e32 v4, 3, v0
	v_and_b32_e32 v4, 24, v4
	s_waitcnt vmcnt(0)
	ds_write_b64 v4, v[2:3]
.LBB704_227:
	s_or_b64 exec, exec, s[4:5]
	v_cmp_gt_u32_e32 vcc, 4, v0
	s_waitcnt lgkmcnt(0)
	s_barrier
                                        ; implicit-def: $vgpr4_vgpr5
	s_and_saveexec_b64 s[4:5], vcc
	s_cbranch_execz .LBB704_233
; %bb.228:
	s_waitcnt vmcnt(0)
	v_lshlrev_b32_e32 v2, 3, v1
	ds_read_b64 v[2:3], v2
	v_and_b32_e32 v6, 3, v1
	v_cmp_ne_u32_e32 vcc, 3, v6
	s_add_i32 s6, s6, 63
	s_lshr_b32 s8, s6, 6
	v_addc_co_u32_e32 v1, vcc, 0, v1, vcc
	v_lshlrev_b32_e32 v1, 2, v1
	s_waitcnt lgkmcnt(0)
	ds_bpermute_b32 v4, v1, v2
	ds_bpermute_b32 v5, v1, v3
	v_add_u32_e32 v1, 1, v6
	v_cmp_gt_u32_e32 vcc, s8, v1
	s_and_saveexec_b64 s[6:7], vcc
	s_cbranch_execz .LBB704_230
; %bb.229:
	s_waitcnt lgkmcnt(0)
	v_add_f64 v[2:3], v[2:3], v[4:5]
	v_cvt_i32_f64_e32 v2, v[2:3]
	v_ashrrev_i32_e32 v3, 31, v2
	v_lshl_add_u64 v[2:3], v[2:3], 3, s[30:31]
	global_load_dwordx2 v[2:3], v[2:3], off
.LBB704_230:
	s_or_b64 exec, exec, s[6:7]
	v_or_b32_e32 v1, 8, v8
	s_waitcnt vmcnt(0) lgkmcnt(1)
	ds_bpermute_b32 v4, v1, v2
	s_waitcnt lgkmcnt(1)
	ds_bpermute_b32 v5, v1, v3
	v_add_u32_e32 v1, 2, v6
	v_cmp_gt_u32_e32 vcc, s8, v1
	s_mov_b64 s[6:7], s[0:1]
	s_and_saveexec_b64 s[8:9], vcc
; %bb.231:
	s_or_b64 s[6:7], s[0:1], exec
; %bb.232:
	s_or_b64 exec, exec, s[8:9]
	s_andn2_b64 s[0:1], s[0:1], exec
	s_and_b64 s[6:7], s[6:7], exec
	s_or_b64 s[0:1], s[0:1], s[6:7]
.LBB704_233:
	s_or_b64 exec, exec, s[4:5]
.LBB704_234:
	s_and_saveexec_b64 s[4:5], s[0:1]
	s_cbranch_execz .LBB704_236
; %bb.235:
	s_waitcnt vmcnt(0) lgkmcnt(0)
	v_add_f64 v[2:3], v[2:3], v[4:5]
	v_cvt_i32_f64_e32 v2, v[2:3]
	v_ashrrev_i32_e32 v3, 31, v2
	v_lshl_add_u64 v[2:3], v[2:3], 3, s[30:31]
	global_load_dwordx2 v[2:3], v[2:3], off
.LBB704_236:
	s_or_b64 exec, exec, s[4:5]
	v_cmp_eq_u32_e32 vcc, 0, v0
	s_and_saveexec_b64 s[0:1], vcc
	s_xor_b64 s[0:1], exec, s[0:1]
	s_cbranch_execz .LBB704_238
; %bb.237:
	s_cmp_eq_u64 s[38:39], 0
	s_cselect_b64 s[4:5], -1, 0
	s_cmp_lg_u64 s[38:39], 0
	s_cselect_b64 s[6:7], -1, 0
	s_andn2_b64 s[8:9], s[14:15], exec
	s_and_b64 s[4:5], s[4:5], exec
	s_or_b64 s[14:15], s[8:9], s[4:5]
	s_andn2_b64 s[4:5], s[16:17], exec
	s_and_b64 s[6:7], s[6:7], exec
	s_or_b64 s[16:17], s[4:5], s[6:7]
.LBB704_238:
	s_or_b64 exec, exec, s[0:1]
	s_branch .LBB704_247
.LBB704_239:
	s_cmp_eq_u32 s33, 1
	s_cbranch_scc0 .LBB704_246
; %bb.240:
	s_mov_b32 s5, 0
	s_lshl_b32 s4, s2, 8
	s_mov_b32 s3, s5
	s_lshr_b64 s[0:1], s[38:39], 8
	s_cmp_lg_u64 s[0:1], s[2:3]
	v_mbcnt_lo_u32_b32 v1, -1, 0
	s_cbranch_scc0 .LBB704_250
; %bb.241:
	s_lshl_b64 s[0:1], s[4:5], 3
	s_add_u32 s0, s36, s0
	s_addc_u32 s1, s37, s1
	s_waitcnt vmcnt(0)
	v_lshlrev_b32_e32 v2, 3, v0
	global_load_dwordx2 v[2:3], v2, s[0:1]
	v_mbcnt_hi_u32_b32 v7, -1, v1
	v_lshlrev_b32_e32 v6, 2, v7
	v_cmp_eq_u32_e32 vcc, 0, v7
	s_waitcnt vmcnt(0) lgkmcnt(1)
	v_mov_b32_dpp v4, v2 quad_perm:[1,0,3,2] row_mask:0xf bank_mask:0xf bound_ctrl:1
	s_waitcnt lgkmcnt(0)
	v_mov_b32_dpp v5, v3 quad_perm:[1,0,3,2] row_mask:0xf bank_mask:0xf bound_ctrl:1
	v_add_f64 v[2:3], v[2:3], v[4:5]
	v_cvt_i32_f64_e32 v2, v[2:3]
	v_ashrrev_i32_e32 v3, 31, v2
	v_lshl_add_u64 v[2:3], v[2:3], 3, s[30:31]
	global_load_dwordx2 v[2:3], v[2:3], off
	s_waitcnt vmcnt(0)
	s_nop 0
	v_mov_b32_dpp v4, v2 quad_perm:[2,3,0,1] row_mask:0xf bank_mask:0xf bound_ctrl:1
	v_mov_b32_dpp v5, v3 quad_perm:[2,3,0,1] row_mask:0xf bank_mask:0xf bound_ctrl:1
	v_add_f64 v[2:3], v[2:3], v[4:5]
	v_cvt_i32_f64_e32 v2, v[2:3]
	v_ashrrev_i32_e32 v3, 31, v2
	v_lshl_add_u64 v[2:3], v[2:3], 3, s[30:31]
	global_load_dwordx2 v[2:3], v[2:3], off
	s_waitcnt vmcnt(0)
	s_nop 0
	v_mov_b32_dpp v4, v2 row_ror:4 row_mask:0xf bank_mask:0xf bound_ctrl:1
	v_mov_b32_dpp v5, v3 row_ror:4 row_mask:0xf bank_mask:0xf bound_ctrl:1
	v_add_f64 v[2:3], v[2:3], v[4:5]
	v_cvt_i32_f64_e32 v2, v[2:3]
	v_ashrrev_i32_e32 v3, 31, v2
	v_lshl_add_u64 v[2:3], v[2:3], 3, s[30:31]
	global_load_dwordx2 v[2:3], v[2:3], off
	s_waitcnt vmcnt(0)
	s_nop 0
	v_mov_b32_dpp v4, v2 row_ror:8 row_mask:0xf bank_mask:0xf bound_ctrl:1
	v_mov_b32_dpp v5, v3 row_ror:8 row_mask:0xf bank_mask:0xf bound_ctrl:1
	v_add_f64 v[2:3], v[2:3], v[4:5]
	v_cvt_i32_f64_e32 v2, v[2:3]
	v_ashrrev_i32_e32 v3, 31, v2
	v_lshl_add_u64 v[2:3], v[2:3], 3, s[30:31]
	global_load_dwordx2 v[2:3], v[2:3], off
	s_waitcnt vmcnt(0)
	s_nop 0
	v_mov_b32_dpp v4, v2 row_bcast:15 row_mask:0xf bank_mask:0xf bound_ctrl:1
	v_mov_b32_dpp v5, v3 row_bcast:15 row_mask:0xf bank_mask:0xf bound_ctrl:1
	v_add_f64 v[2:3], v[2:3], v[4:5]
	v_cvt_i32_f64_e32 v2, v[2:3]
	v_ashrrev_i32_e32 v3, 31, v2
	v_lshl_add_u64 v[2:3], v[2:3], 3, s[30:31]
	global_load_dwordx2 v[2:3], v[2:3], off
	s_waitcnt vmcnt(0)
	s_nop 0
	v_mov_b32_dpp v4, v2 row_bcast:31 row_mask:0xf bank_mask:0xf bound_ctrl:1
	v_mov_b32_dpp v5, v3 row_bcast:31 row_mask:0xf bank_mask:0xf bound_ctrl:1
	v_add_f64 v[2:3], v[2:3], v[4:5]
	v_cvt_i32_f64_e32 v2, v[2:3]
	v_ashrrev_i32_e32 v3, 31, v2
	v_lshl_add_u64 v[2:3], v[2:3], 3, s[30:31]
	global_load_dwordx2 v[2:3], v[2:3], off
	v_or_b32_e32 v4, 0xfc, v6
	s_waitcnt vmcnt(0)
	ds_bpermute_b32 v2, v4, v2
	ds_bpermute_b32 v3, v4, v3
	s_and_saveexec_b64 s[0:1], vcc
	s_cbranch_execz .LBB704_243
; %bb.242:
	v_lshrrev_b32_e32 v4, 3, v0
	v_and_b32_e32 v4, 24, v4
	s_waitcnt lgkmcnt(0)
	ds_write_b64 v4, v[2:3] offset:64
.LBB704_243:
	s_or_b64 exec, exec, s[0:1]
	v_cmp_gt_u32_e32 vcc, 64, v0
	s_mov_b64 s[6:7], 0
	s_mov_b64 s[0:1], 0
	s_waitcnt lgkmcnt(0)
	s_barrier
                                        ; implicit-def: $vgpr4_vgpr5
	s_and_saveexec_b64 s[8:9], vcc
	s_xor_b64 s[8:9], exec, s[8:9]
	s_cbranch_execz .LBB704_245
; %bb.244:
	v_and_b32_e32 v4, 3, v7
	v_lshlrev_b32_e32 v2, 3, v4
	ds_read_b64 v[2:3], v2 offset:64
	v_cmp_ne_u32_e32 vcc, 3, v4
	s_mov_b64 s[0:1], exec
	s_nop 0
	v_addc_co_u32_e32 v4, vcc, 0, v7, vcc
	v_lshlrev_b32_e32 v5, 2, v4
	s_waitcnt lgkmcnt(0)
	ds_bpermute_b32 v4, v5, v2
	ds_bpermute_b32 v5, v5, v3
	s_waitcnt lgkmcnt(0)
	v_add_f64 v[2:3], v[2:3], v[4:5]
	v_cvt_i32_f64_e32 v2, v[2:3]
	v_ashrrev_i32_e32 v3, 31, v2
	v_lshl_add_u64 v[2:3], v[2:3], 3, s[30:31]
	global_load_dwordx2 v[2:3], v[2:3], off
	v_or_b32_e32 v5, 8, v6
	s_waitcnt vmcnt(0)
	ds_bpermute_b32 v4, v5, v2
	ds_bpermute_b32 v5, v5, v3
.LBB704_245:
	s_or_b64 exec, exec, s[8:9]
	s_and_b64 vcc, exec, s[6:7]
	s_cbranch_vccnz .LBB704_251
	s_branch .LBB704_274
.LBB704_246:
                                        ; implicit-def: $sgpr2_sgpr3
                                        ; implicit-def: $vgpr2_vgpr3
.LBB704_247:
	v_mov_b64_e32 v[0:1], s[42:43]
	s_and_saveexec_b64 s[0:1], s[16:17]
	s_cbranch_execnz .LBB704_279
.LBB704_248:
	s_or_b64 exec, exec, s[0:1]
	s_and_saveexec_b64 s[0:1], s[14:15]
	s_cbranch_execnz .LBB704_280
.LBB704_249:
	s_endpgm
.LBB704_250:
	s_mov_b64 s[0:1], 0
                                        ; implicit-def: $vgpr4_vgpr5
                                        ; implicit-def: $vgpr2_vgpr3
	s_cbranch_execz .LBB704_274
.LBB704_251:
	s_sub_i32 s8, s38, s4
	v_cmp_gt_u32_e32 vcc, s8, v0
                                        ; implicit-def: $vgpr2_vgpr3
	s_and_saveexec_b64 s[6:7], vcc
	s_cbranch_execz .LBB704_253
; %bb.252:
	s_lshl_b64 s[4:5], s[4:5], 3
	s_add_u32 s4, s36, s4
	s_addc_u32 s5, s37, s5
	s_waitcnt vmcnt(0)
	v_lshlrev_b32_e32 v2, 3, v0
	global_load_dwordx2 v[2:3], v2, s[4:5]
.LBB704_253:
	s_or_b64 exec, exec, s[6:7]
	v_mbcnt_hi_u32_b32 v1, -1, v1
	v_and_b32_e32 v6, 63, v1
	v_cmp_ne_u32_e32 vcc, 63, v6
	s_min_u32 s6, s8, 0x100
	v_and_b32_e32 v7, 0xc0, v0
	s_waitcnt lgkmcnt(1)
	v_addc_co_u32_e32 v4, vcc, 0, v1, vcc
	s_waitcnt lgkmcnt(0)
	v_lshlrev_b32_e32 v5, 2, v4
	s_waitcnt vmcnt(0)
	ds_bpermute_b32 v4, v5, v2
	ds_bpermute_b32 v5, v5, v3
	v_sub_u32_e64 v7, s6, v7 clamp
	v_add_u32_e32 v8, 1, v6
	v_cmp_lt_u32_e32 vcc, v8, v7
	s_and_saveexec_b64 s[4:5], vcc
	s_cbranch_execz .LBB704_255
; %bb.254:
	s_waitcnt lgkmcnt(0)
	v_add_f64 v[2:3], v[2:3], v[4:5]
	v_cvt_i32_f64_e32 v2, v[2:3]
	v_ashrrev_i32_e32 v3, 31, v2
	v_lshl_add_u64 v[2:3], v[2:3], 3, s[30:31]
	global_load_dwordx2 v[2:3], v[2:3], off
.LBB704_255:
	s_or_b64 exec, exec, s[4:5]
	v_cmp_gt_u32_e32 vcc, 62, v6
	v_add_u32_e32 v8, 2, v6
	s_waitcnt lgkmcnt(1)
	v_cndmask_b32_e64 v4, 0, 2, vcc
	s_waitcnt lgkmcnt(0)
	v_add_lshl_u32 v5, v4, v1, 2
	s_waitcnt vmcnt(0)
	ds_bpermute_b32 v4, v5, v2
	ds_bpermute_b32 v5, v5, v3
	v_cmp_lt_u32_e32 vcc, v8, v7
	s_and_saveexec_b64 s[4:5], vcc
	s_cbranch_execz .LBB704_257
; %bb.256:
	s_waitcnt lgkmcnt(0)
	v_add_f64 v[2:3], v[2:3], v[4:5]
	v_cvt_i32_f64_e32 v2, v[2:3]
	v_ashrrev_i32_e32 v3, 31, v2
	v_lshl_add_u64 v[2:3], v[2:3], 3, s[30:31]
	global_load_dwordx2 v[2:3], v[2:3], off
.LBB704_257:
	s_or_b64 exec, exec, s[4:5]
	v_cmp_gt_u32_e32 vcc, 60, v6
	v_add_u32_e32 v8, 4, v6
	s_waitcnt lgkmcnt(1)
	v_cndmask_b32_e64 v4, 0, 4, vcc
	s_waitcnt lgkmcnt(0)
	v_add_lshl_u32 v5, v4, v1, 2
	s_waitcnt vmcnt(0)
	ds_bpermute_b32 v4, v5, v2
	ds_bpermute_b32 v5, v5, v3
	;; [unrolled: 21-line block ×4, first 2 shown]
	v_cmp_lt_u32_e32 vcc, v8, v7
	s_and_saveexec_b64 s[4:5], vcc
	s_cbranch_execz .LBB704_263
; %bb.262:
	s_waitcnt lgkmcnt(0)
	v_add_f64 v[2:3], v[2:3], v[4:5]
	v_cvt_i32_f64_e32 v2, v[2:3]
	v_ashrrev_i32_e32 v3, 31, v2
	v_lshl_add_u64 v[2:3], v[2:3], 3, s[30:31]
	global_load_dwordx2 v[2:3], v[2:3], off
.LBB704_263:
	s_or_b64 exec, exec, s[4:5]
	v_lshlrev_b32_e32 v8, 2, v1
	s_waitcnt lgkmcnt(0)
	v_or_b32_e32 v5, 0x80, v8
	s_waitcnt vmcnt(0)
	ds_bpermute_b32 v4, v5, v2
	ds_bpermute_b32 v5, v5, v3
	v_add_u32_e32 v6, 32, v6
	v_cmp_lt_u32_e32 vcc, v6, v7
	s_and_saveexec_b64 s[4:5], vcc
	s_cbranch_execz .LBB704_265
; %bb.264:
	s_waitcnt lgkmcnt(0)
	v_add_f64 v[2:3], v[2:3], v[4:5]
	v_cvt_i32_f64_e32 v2, v[2:3]
	v_ashrrev_i32_e32 v3, 31, v2
	v_lshl_add_u64 v[2:3], v[2:3], 3, s[30:31]
	global_load_dwordx2 v[2:3], v[2:3], off
.LBB704_265:
	s_or_b64 exec, exec, s[4:5]
	v_cmp_eq_u32_e32 vcc, 0, v1
	s_and_saveexec_b64 s[4:5], vcc
	s_cbranch_execz .LBB704_267
; %bb.266:
	s_waitcnt lgkmcnt(1)
	v_lshrrev_b32_e32 v4, 3, v0
	v_and_b32_e32 v4, 24, v4
	s_waitcnt vmcnt(0)
	ds_write_b64 v4, v[2:3]
.LBB704_267:
	s_or_b64 exec, exec, s[4:5]
	v_cmp_gt_u32_e32 vcc, 4, v0
	s_waitcnt lgkmcnt(0)
	s_barrier
                                        ; implicit-def: $vgpr4_vgpr5
	s_and_saveexec_b64 s[4:5], vcc
	s_cbranch_execz .LBB704_273
; %bb.268:
	s_waitcnt vmcnt(0)
	v_lshlrev_b32_e32 v2, 3, v1
	ds_read_b64 v[2:3], v2
	v_and_b32_e32 v6, 3, v1
	v_cmp_ne_u32_e32 vcc, 3, v6
	s_add_i32 s6, s6, 63
	s_lshr_b32 s8, s6, 6
	v_addc_co_u32_e32 v1, vcc, 0, v1, vcc
	v_lshlrev_b32_e32 v1, 2, v1
	s_waitcnt lgkmcnt(0)
	ds_bpermute_b32 v4, v1, v2
	ds_bpermute_b32 v5, v1, v3
	v_add_u32_e32 v1, 1, v6
	v_cmp_gt_u32_e32 vcc, s8, v1
	s_and_saveexec_b64 s[6:7], vcc
	s_cbranch_execz .LBB704_270
; %bb.269:
	s_waitcnt lgkmcnt(0)
	v_add_f64 v[2:3], v[2:3], v[4:5]
	v_cvt_i32_f64_e32 v2, v[2:3]
	v_ashrrev_i32_e32 v3, 31, v2
	v_lshl_add_u64 v[2:3], v[2:3], 3, s[30:31]
	global_load_dwordx2 v[2:3], v[2:3], off
.LBB704_270:
	s_or_b64 exec, exec, s[6:7]
	v_or_b32_e32 v1, 8, v8
	s_waitcnt vmcnt(0) lgkmcnt(1)
	ds_bpermute_b32 v4, v1, v2
	s_waitcnt lgkmcnt(1)
	ds_bpermute_b32 v5, v1, v3
	v_add_u32_e32 v1, 2, v6
	v_cmp_gt_u32_e32 vcc, s8, v1
	s_mov_b64 s[6:7], s[0:1]
	s_and_saveexec_b64 s[8:9], vcc
; %bb.271:
	s_or_b64 s[6:7], s[0:1], exec
; %bb.272:
	s_or_b64 exec, exec, s[8:9]
	s_andn2_b64 s[0:1], s[0:1], exec
	s_and_b64 s[6:7], s[6:7], exec
	s_or_b64 s[0:1], s[0:1], s[6:7]
.LBB704_273:
	s_or_b64 exec, exec, s[4:5]
.LBB704_274:
	s_and_saveexec_b64 s[4:5], s[0:1]
	s_cbranch_execz .LBB704_276
; %bb.275:
	s_waitcnt vmcnt(0) lgkmcnt(0)
	v_add_f64 v[2:3], v[2:3], v[4:5]
	v_cvt_i32_f64_e32 v2, v[2:3]
	v_ashrrev_i32_e32 v3, 31, v2
	v_lshl_add_u64 v[2:3], v[2:3], 3, s[30:31]
	global_load_dwordx2 v[2:3], v[2:3], off
.LBB704_276:
	s_or_b64 exec, exec, s[4:5]
	v_cmp_eq_u32_e32 vcc, 0, v0
	s_and_saveexec_b64 s[0:1], vcc
	s_cbranch_execz .LBB704_278
; %bb.277:
	s_cmp_eq_u64 s[38:39], 0
	s_cselect_b64 s[4:5], -1, 0
	s_cmp_lg_u64 s[38:39], 0
	s_cselect_b64 s[6:7], -1, 0
	s_andn2_b64 s[8:9], s[14:15], exec
	s_and_b64 s[4:5], s[4:5], exec
	s_or_b64 s[14:15], s[8:9], s[4:5]
	s_andn2_b64 s[4:5], s[16:17], exec
	s_and_b64 s[6:7], s[6:7], exec
	s_or_b64 s[16:17], s[4:5], s[6:7]
.LBB704_278:
	s_or_b64 exec, exec, s[0:1]
	v_mov_b64_e32 v[0:1], s[42:43]
	s_and_saveexec_b64 s[0:1], s[16:17]
	s_cbranch_execz .LBB704_248
.LBB704_279:
	s_waitcnt vmcnt(0)
	v_add_f64 v[0:1], s[42:43], v[2:3]
	v_cvt_i32_f64_e32 v0, v[0:1]
	v_ashrrev_i32_e32 v1, 31, v0
	v_lshl_add_u64 v[0:1], v[0:1], 3, s[30:31]
	global_load_dwordx2 v[0:1], v[0:1], off
	s_or_b64 s[14:15], s[14:15], exec
	s_or_b64 exec, exec, s[0:1]
	s_and_saveexec_b64 s[0:1], s[14:15]
	s_cbranch_execz .LBB704_249
.LBB704_280:
	s_lshl_b64 s[0:1], s[2:3], 3
	s_add_u32 s0, s40, s0
	s_addc_u32 s1, s41, s1
	s_waitcnt vmcnt(0)
	v_mov_b32_e32 v2, 0
	global_store_dwordx2 v2, v[0:1], s[0:1]
	s_endpgm
.LBB704_281:
	v_lshlrev_b32_e32 v1, 3, v1
	global_load_dwordx2 v[8:9], v1, s[8:9]
	s_or_b64 exec, exec, s[10:11]
	s_and_saveexec_b64 s[8:9], s[4:5]
	s_cbranch_execz .LBB704_167
.LBB704_282:
	s_waitcnt vmcnt(0)
	v_add_f64 v[2:3], v[2:3], v[4:5]
	v_cvt_i32_f64_e32 v2, v[2:3]
	v_ashrrev_i32_e32 v3, 31, v2
	v_lshl_add_u64 v[2:3], v[2:3], 3, s[30:31]
	global_load_dwordx2 v[2:3], v[2:3], off
	s_or_b64 exec, exec, s[8:9]
	s_and_saveexec_b64 s[4:5], s[0:1]
	s_cbranch_execz .LBB704_168
.LBB704_283:
	s_waitcnt vmcnt(0)
	v_add_f64 v[2:3], v[6:7], v[2:3]
	v_cvt_i32_f64_e32 v2, v[2:3]
	v_ashrrev_i32_e32 v3, 31, v2
	v_lshl_add_u64 v[2:3], v[2:3], 3, s[30:31]
	global_load_dwordx2 v[2:3], v[2:3], off
	s_or_b64 exec, exec, s[4:5]
	s_and_saveexec_b64 s[0:1], vcc
	s_cbranch_execnz .LBB704_169
	s_branch .LBB704_170
.LBB704_284:
	v_lshlrev_b32_e32 v1, 3, v1
	global_load_dwordx2 v[32:33], v1, s[46:47]
	s_or_b64 exec, exec, s[48:49]
	s_and_saveexec_b64 s[46:47], s[28:29]
	s_cbranch_execz .LBB704_56
.LBB704_285:
	s_waitcnt vmcnt(0)
	v_add_f64 v[2:3], v[2:3], v[4:5]
	v_cvt_i32_f64_e32 v2, v[2:3]
	v_ashrrev_i32_e32 v3, 31, v2
	v_lshl_add_u64 v[2:3], v[2:3], 3, s[30:31]
	global_load_dwordx2 v[2:3], v[2:3], off
	s_or_b64 exec, exec, s[46:47]
	s_and_saveexec_b64 s[28:29], s[26:27]
	s_cbranch_execz .LBB704_57
.LBB704_286:
	s_waitcnt vmcnt(0)
	v_add_f64 v[2:3], v[6:7], v[2:3]
	v_cvt_i32_f64_e32 v2, v[2:3]
	v_ashrrev_i32_e32 v3, 31, v2
	v_lshl_add_u64 v[2:3], v[2:3], 3, s[30:31]
	global_load_dwordx2 v[2:3], v[2:3], off
	s_or_b64 exec, exec, s[28:29]
	s_and_saveexec_b64 s[26:27], s[24:25]
	s_cbranch_execz .LBB704_58
.LBB704_287:
	s_waitcnt vmcnt(0)
	v_add_f64 v[2:3], v[8:9], v[2:3]
	v_cvt_i32_f64_e32 v2, v[2:3]
	v_ashrrev_i32_e32 v3, 31, v2
	v_lshl_add_u64 v[2:3], v[2:3], 3, s[30:31]
	global_load_dwordx2 v[2:3], v[2:3], off
	s_or_b64 exec, exec, s[26:27]
	s_and_saveexec_b64 s[24:25], s[22:23]
	s_cbranch_execz .LBB704_59
.LBB704_288:
	s_waitcnt vmcnt(0)
	v_add_f64 v[2:3], v[10:11], v[2:3]
	v_cvt_i32_f64_e32 v2, v[2:3]
	v_ashrrev_i32_e32 v3, 31, v2
	v_lshl_add_u64 v[2:3], v[2:3], 3, s[30:31]
	global_load_dwordx2 v[2:3], v[2:3], off
	s_or_b64 exec, exec, s[24:25]
	s_and_saveexec_b64 s[22:23], s[20:21]
	s_cbranch_execz .LBB704_60
.LBB704_289:
	s_waitcnt vmcnt(0)
	v_add_f64 v[2:3], v[12:13], v[2:3]
	v_cvt_i32_f64_e32 v2, v[2:3]
	v_ashrrev_i32_e32 v3, 31, v2
	v_lshl_add_u64 v[2:3], v[2:3], 3, s[30:31]
	global_load_dwordx2 v[2:3], v[2:3], off
	s_or_b64 exec, exec, s[22:23]
	s_and_saveexec_b64 s[20:21], s[18:19]
	s_cbranch_execz .LBB704_61
.LBB704_290:
	s_waitcnt vmcnt(0)
	v_add_f64 v[2:3], v[14:15], v[2:3]
	v_cvt_i32_f64_e32 v2, v[2:3]
	v_ashrrev_i32_e32 v3, 31, v2
	v_lshl_add_u64 v[2:3], v[2:3], 3, s[30:31]
	global_load_dwordx2 v[2:3], v[2:3], off
	s_or_b64 exec, exec, s[20:21]
	s_and_saveexec_b64 s[18:19], s[16:17]
	s_cbranch_execz .LBB704_62
.LBB704_291:
	s_waitcnt vmcnt(0)
	v_mov_b32_e32 v4, v16
	v_mov_b32_e32 v5, v17
	v_add_f64 v[2:3], v[4:5], v[2:3]
	v_cvt_i32_f64_e32 v2, v[2:3]
	v_ashrrev_i32_e32 v3, 31, v2
	v_lshl_add_u64 v[2:3], v[2:3], 3, s[30:31]
	global_load_dwordx2 v[2:3], v[2:3], off
	s_or_b64 exec, exec, s[18:19]
	s_and_saveexec_b64 s[16:17], s[14:15]
	s_cbranch_execz .LBB704_63
.LBB704_292:
	s_waitcnt vmcnt(0)
	v_mov_b32_e32 v4, v18
	v_mov_b32_e32 v5, v19
	v_add_f64 v[2:3], v[4:5], v[2:3]
	v_cvt_i32_f64_e32 v2, v[2:3]
	v_ashrrev_i32_e32 v3, 31, v2
	v_lshl_add_u64 v[2:3], v[2:3], 3, s[30:31]
	global_load_dwordx2 v[2:3], v[2:3], off
	s_or_b64 exec, exec, s[16:17]
	s_and_saveexec_b64 s[14:15], s[12:13]
	s_cbranch_execz .LBB704_64
.LBB704_293:
	s_waitcnt vmcnt(0)
	v_mov_b32_e32 v4, v20
	v_mov_b32_e32 v5, v21
	v_add_f64 v[2:3], v[4:5], v[2:3]
	v_cvt_i32_f64_e32 v2, v[2:3]
	v_ashrrev_i32_e32 v3, 31, v2
	v_lshl_add_u64 v[2:3], v[2:3], 3, s[30:31]
	global_load_dwordx2 v[2:3], v[2:3], off
	s_or_b64 exec, exec, s[14:15]
	s_and_saveexec_b64 s[12:13], s[10:11]
	s_cbranch_execz .LBB704_65
.LBB704_294:
	s_waitcnt vmcnt(0)
	v_mov_b32_e32 v4, v22
	v_mov_b32_e32 v5, v23
	v_add_f64 v[2:3], v[4:5], v[2:3]
	v_cvt_i32_f64_e32 v2, v[2:3]
	v_ashrrev_i32_e32 v3, 31, v2
	v_lshl_add_u64 v[2:3], v[2:3], 3, s[30:31]
	global_load_dwordx2 v[2:3], v[2:3], off
	s_or_b64 exec, exec, s[12:13]
	s_and_saveexec_b64 s[10:11], s[8:9]
	s_cbranch_execz .LBB704_66
.LBB704_295:
	s_waitcnt vmcnt(0)
	v_mov_b32_e32 v4, v24
	v_mov_b32_e32 v5, v25
	v_add_f64 v[2:3], v[4:5], v[2:3]
	v_cvt_i32_f64_e32 v2, v[2:3]
	v_ashrrev_i32_e32 v3, 31, v2
	v_lshl_add_u64 v[2:3], v[2:3], 3, s[30:31]
	global_load_dwordx2 v[2:3], v[2:3], off
	s_or_b64 exec, exec, s[10:11]
	s_and_saveexec_b64 s[8:9], s[6:7]
	s_cbranch_execz .LBB704_67
.LBB704_296:
	s_waitcnt vmcnt(0)
	v_mov_b32_e32 v4, v26
	v_mov_b32_e32 v5, v27
	v_add_f64 v[2:3], v[4:5], v[2:3]
	v_cvt_i32_f64_e32 v2, v[2:3]
	v_ashrrev_i32_e32 v3, 31, v2
	v_lshl_add_u64 v[2:3], v[2:3], 3, s[30:31]
	global_load_dwordx2 v[2:3], v[2:3], off
	s_or_b64 exec, exec, s[8:9]
	s_and_saveexec_b64 s[6:7], s[4:5]
	s_cbranch_execz .LBB704_68
.LBB704_297:
	s_waitcnt vmcnt(0)
	v_mov_b32_e32 v4, v28
	v_mov_b32_e32 v5, v29
	v_add_f64 v[2:3], v[4:5], v[2:3]
	v_cvt_i32_f64_e32 v2, v[2:3]
	v_ashrrev_i32_e32 v3, 31, v2
	v_lshl_add_u64 v[2:3], v[2:3], 3, s[30:31]
	global_load_dwordx2 v[2:3], v[2:3], off
	s_or_b64 exec, exec, s[6:7]
	s_and_saveexec_b64 s[4:5], s[0:1]
	s_cbranch_execz .LBB704_69
.LBB704_298:
	s_waitcnt vmcnt(0)
	v_mov_b32_e32 v4, v30
	v_mov_b32_e32 v5, v31
	v_add_f64 v[2:3], v[4:5], v[2:3]
	v_cvt_i32_f64_e32 v2, v[2:3]
	v_ashrrev_i32_e32 v3, 31, v2
	v_lshl_add_u64 v[2:3], v[2:3], 3, s[30:31]
	global_load_dwordx2 v[2:3], v[2:3], off
	s_or_b64 exec, exec, s[4:5]
	s_and_saveexec_b64 s[0:1], vcc
	s_cbranch_execnz .LBB704_70
	s_branch .LBB704_71
.LBB704_299:
	v_lshlrev_b32_e32 v1, 3, v1
	global_load_dwordx2 v[16:17], v1, s[20:21]
	s_or_b64 exec, exec, s[22:23]
	s_and_saveexec_b64 s[20:21], s[12:13]
	s_cbranch_execz .LBB704_116
.LBB704_300:
	s_waitcnt vmcnt(0)
	v_add_f64 v[2:3], v[2:3], v[4:5]
	v_cvt_i32_f64_e32 v2, v[2:3]
	v_ashrrev_i32_e32 v3, 31, v2
	v_lshl_add_u64 v[2:3], v[2:3], 3, s[30:31]
	global_load_dwordx2 v[2:3], v[2:3], off
	s_or_b64 exec, exec, s[20:21]
	s_and_saveexec_b64 s[12:13], s[10:11]
	s_cbranch_execz .LBB704_117
.LBB704_301:
	s_waitcnt vmcnt(0)
	v_add_f64 v[2:3], v[6:7], v[2:3]
	v_cvt_i32_f64_e32 v2, v[2:3]
	v_ashrrev_i32_e32 v3, 31, v2
	v_lshl_add_u64 v[2:3], v[2:3], 3, s[30:31]
	global_load_dwordx2 v[2:3], v[2:3], off
	s_or_b64 exec, exec, s[12:13]
	s_and_saveexec_b64 s[10:11], s[8:9]
	s_cbranch_execz .LBB704_118
.LBB704_302:
	s_waitcnt vmcnt(0)
	v_add_f64 v[2:3], v[8:9], v[2:3]
	v_cvt_i32_f64_e32 v2, v[2:3]
	v_ashrrev_i32_e32 v3, 31, v2
	v_lshl_add_u64 v[2:3], v[2:3], 3, s[30:31]
	global_load_dwordx2 v[2:3], v[2:3], off
	s_or_b64 exec, exec, s[10:11]
	s_and_saveexec_b64 s[8:9], s[6:7]
	s_cbranch_execz .LBB704_119
.LBB704_303:
	s_waitcnt vmcnt(0)
	v_add_f64 v[2:3], v[10:11], v[2:3]
	v_cvt_i32_f64_e32 v2, v[2:3]
	v_ashrrev_i32_e32 v3, 31, v2
	v_lshl_add_u64 v[2:3], v[2:3], 3, s[30:31]
	global_load_dwordx2 v[2:3], v[2:3], off
	s_or_b64 exec, exec, s[8:9]
	s_and_saveexec_b64 s[6:7], s[4:5]
	s_cbranch_execz .LBB704_120
.LBB704_304:
	s_waitcnt vmcnt(0)
	v_add_f64 v[2:3], v[12:13], v[2:3]
	v_cvt_i32_f64_e32 v2, v[2:3]
	v_ashrrev_i32_e32 v3, 31, v2
	v_lshl_add_u64 v[2:3], v[2:3], 3, s[30:31]
	global_load_dwordx2 v[2:3], v[2:3], off
	s_or_b64 exec, exec, s[6:7]
	s_and_saveexec_b64 s[4:5], s[0:1]
	s_cbranch_execz .LBB704_121
.LBB704_305:
	s_waitcnt vmcnt(0)
	v_add_f64 v[2:3], v[14:15], v[2:3]
	v_cvt_i32_f64_e32 v2, v[2:3]
	v_ashrrev_i32_e32 v3, 31, v2
	v_lshl_add_u64 v[2:3], v[2:3], 3, s[30:31]
	global_load_dwordx2 v[2:3], v[2:3], off
	s_or_b64 exec, exec, s[4:5]
	s_and_saveexec_b64 s[0:1], vcc
	s_cbranch_execnz .LBB704_122
	s_branch .LBB704_123
	.section	.rodata,"a",@progbits
	.p2align	6, 0x0
	.amdhsa_kernel _ZN7rocprim17ROCPRIM_400000_NS6detail17trampoline_kernelINS0_14default_configENS1_22reduce_config_selectorIdEEZNS1_11reduce_implILb1ES3_PdS7_d9plus_mod3IdEEE10hipError_tPvRmT1_T2_T3_mT4_P12ihipStream_tbEUlT_E1_NS1_11comp_targetILNS1_3genE0ELNS1_11target_archE4294967295ELNS1_3gpuE0ELNS1_3repE0EEENS1_30default_config_static_selectorELNS0_4arch9wavefront6targetE1EEEvSD_
		.amdhsa_group_segment_fixed_size 192
		.amdhsa_private_segment_fixed_size 0
		.amdhsa_kernarg_size 48
		.amdhsa_user_sgpr_count 2
		.amdhsa_user_sgpr_dispatch_ptr 0
		.amdhsa_user_sgpr_queue_ptr 0
		.amdhsa_user_sgpr_kernarg_segment_ptr 1
		.amdhsa_user_sgpr_dispatch_id 0
		.amdhsa_user_sgpr_kernarg_preload_length 0
		.amdhsa_user_sgpr_kernarg_preload_offset 0
		.amdhsa_user_sgpr_private_segment_size 0
		.amdhsa_uses_dynamic_stack 0
		.amdhsa_enable_private_segment 0
		.amdhsa_system_sgpr_workgroup_id_x 1
		.amdhsa_system_sgpr_workgroup_id_y 0
		.amdhsa_system_sgpr_workgroup_id_z 0
		.amdhsa_system_sgpr_workgroup_info 0
		.amdhsa_system_vgpr_workitem_id 0
		.amdhsa_next_free_vgpr 36
		.amdhsa_next_free_sgpr 51
		.amdhsa_accum_offset 36
		.amdhsa_reserve_vcc 1
		.amdhsa_float_round_mode_32 0
		.amdhsa_float_round_mode_16_64 0
		.amdhsa_float_denorm_mode_32 3
		.amdhsa_float_denorm_mode_16_64 3
		.amdhsa_dx10_clamp 1
		.amdhsa_ieee_mode 1
		.amdhsa_fp16_overflow 0
		.amdhsa_tg_split 0
		.amdhsa_exception_fp_ieee_invalid_op 0
		.amdhsa_exception_fp_denorm_src 0
		.amdhsa_exception_fp_ieee_div_zero 0
		.amdhsa_exception_fp_ieee_overflow 0
		.amdhsa_exception_fp_ieee_underflow 0
		.amdhsa_exception_fp_ieee_inexact 0
		.amdhsa_exception_int_div_zero 0
	.end_amdhsa_kernel
	.section	.text._ZN7rocprim17ROCPRIM_400000_NS6detail17trampoline_kernelINS0_14default_configENS1_22reduce_config_selectorIdEEZNS1_11reduce_implILb1ES3_PdS7_d9plus_mod3IdEEE10hipError_tPvRmT1_T2_T3_mT4_P12ihipStream_tbEUlT_E1_NS1_11comp_targetILNS1_3genE0ELNS1_11target_archE4294967295ELNS1_3gpuE0ELNS1_3repE0EEENS1_30default_config_static_selectorELNS0_4arch9wavefront6targetE1EEEvSD_,"axG",@progbits,_ZN7rocprim17ROCPRIM_400000_NS6detail17trampoline_kernelINS0_14default_configENS1_22reduce_config_selectorIdEEZNS1_11reduce_implILb1ES3_PdS7_d9plus_mod3IdEEE10hipError_tPvRmT1_T2_T3_mT4_P12ihipStream_tbEUlT_E1_NS1_11comp_targetILNS1_3genE0ELNS1_11target_archE4294967295ELNS1_3gpuE0ELNS1_3repE0EEENS1_30default_config_static_selectorELNS0_4arch9wavefront6targetE1EEEvSD_,comdat
.Lfunc_end704:
	.size	_ZN7rocprim17ROCPRIM_400000_NS6detail17trampoline_kernelINS0_14default_configENS1_22reduce_config_selectorIdEEZNS1_11reduce_implILb1ES3_PdS7_d9plus_mod3IdEEE10hipError_tPvRmT1_T2_T3_mT4_P12ihipStream_tbEUlT_E1_NS1_11comp_targetILNS1_3genE0ELNS1_11target_archE4294967295ELNS1_3gpuE0ELNS1_3repE0EEENS1_30default_config_static_selectorELNS0_4arch9wavefront6targetE1EEEvSD_, .Lfunc_end704-_ZN7rocprim17ROCPRIM_400000_NS6detail17trampoline_kernelINS0_14default_configENS1_22reduce_config_selectorIdEEZNS1_11reduce_implILb1ES3_PdS7_d9plus_mod3IdEEE10hipError_tPvRmT1_T2_T3_mT4_P12ihipStream_tbEUlT_E1_NS1_11comp_targetILNS1_3genE0ELNS1_11target_archE4294967295ELNS1_3gpuE0ELNS1_3repE0EEENS1_30default_config_static_selectorELNS0_4arch9wavefront6targetE1EEEvSD_
                                        ; -- End function
	.set _ZN7rocprim17ROCPRIM_400000_NS6detail17trampoline_kernelINS0_14default_configENS1_22reduce_config_selectorIdEEZNS1_11reduce_implILb1ES3_PdS7_d9plus_mod3IdEEE10hipError_tPvRmT1_T2_T3_mT4_P12ihipStream_tbEUlT_E1_NS1_11comp_targetILNS1_3genE0ELNS1_11target_archE4294967295ELNS1_3gpuE0ELNS1_3repE0EEENS1_30default_config_static_selectorELNS0_4arch9wavefront6targetE1EEEvSD_.num_vgpr, 36
	.set _ZN7rocprim17ROCPRIM_400000_NS6detail17trampoline_kernelINS0_14default_configENS1_22reduce_config_selectorIdEEZNS1_11reduce_implILb1ES3_PdS7_d9plus_mod3IdEEE10hipError_tPvRmT1_T2_T3_mT4_P12ihipStream_tbEUlT_E1_NS1_11comp_targetILNS1_3genE0ELNS1_11target_archE4294967295ELNS1_3gpuE0ELNS1_3repE0EEENS1_30default_config_static_selectorELNS0_4arch9wavefront6targetE1EEEvSD_.num_agpr, 0
	.set _ZN7rocprim17ROCPRIM_400000_NS6detail17trampoline_kernelINS0_14default_configENS1_22reduce_config_selectorIdEEZNS1_11reduce_implILb1ES3_PdS7_d9plus_mod3IdEEE10hipError_tPvRmT1_T2_T3_mT4_P12ihipStream_tbEUlT_E1_NS1_11comp_targetILNS1_3genE0ELNS1_11target_archE4294967295ELNS1_3gpuE0ELNS1_3repE0EEENS1_30default_config_static_selectorELNS0_4arch9wavefront6targetE1EEEvSD_.numbered_sgpr, 51
	.set _ZN7rocprim17ROCPRIM_400000_NS6detail17trampoline_kernelINS0_14default_configENS1_22reduce_config_selectorIdEEZNS1_11reduce_implILb1ES3_PdS7_d9plus_mod3IdEEE10hipError_tPvRmT1_T2_T3_mT4_P12ihipStream_tbEUlT_E1_NS1_11comp_targetILNS1_3genE0ELNS1_11target_archE4294967295ELNS1_3gpuE0ELNS1_3repE0EEENS1_30default_config_static_selectorELNS0_4arch9wavefront6targetE1EEEvSD_.num_named_barrier, 0
	.set _ZN7rocprim17ROCPRIM_400000_NS6detail17trampoline_kernelINS0_14default_configENS1_22reduce_config_selectorIdEEZNS1_11reduce_implILb1ES3_PdS7_d9plus_mod3IdEEE10hipError_tPvRmT1_T2_T3_mT4_P12ihipStream_tbEUlT_E1_NS1_11comp_targetILNS1_3genE0ELNS1_11target_archE4294967295ELNS1_3gpuE0ELNS1_3repE0EEENS1_30default_config_static_selectorELNS0_4arch9wavefront6targetE1EEEvSD_.private_seg_size, 0
	.set _ZN7rocprim17ROCPRIM_400000_NS6detail17trampoline_kernelINS0_14default_configENS1_22reduce_config_selectorIdEEZNS1_11reduce_implILb1ES3_PdS7_d9plus_mod3IdEEE10hipError_tPvRmT1_T2_T3_mT4_P12ihipStream_tbEUlT_E1_NS1_11comp_targetILNS1_3genE0ELNS1_11target_archE4294967295ELNS1_3gpuE0ELNS1_3repE0EEENS1_30default_config_static_selectorELNS0_4arch9wavefront6targetE1EEEvSD_.uses_vcc, 1
	.set _ZN7rocprim17ROCPRIM_400000_NS6detail17trampoline_kernelINS0_14default_configENS1_22reduce_config_selectorIdEEZNS1_11reduce_implILb1ES3_PdS7_d9plus_mod3IdEEE10hipError_tPvRmT1_T2_T3_mT4_P12ihipStream_tbEUlT_E1_NS1_11comp_targetILNS1_3genE0ELNS1_11target_archE4294967295ELNS1_3gpuE0ELNS1_3repE0EEENS1_30default_config_static_selectorELNS0_4arch9wavefront6targetE1EEEvSD_.uses_flat_scratch, 0
	.set _ZN7rocprim17ROCPRIM_400000_NS6detail17trampoline_kernelINS0_14default_configENS1_22reduce_config_selectorIdEEZNS1_11reduce_implILb1ES3_PdS7_d9plus_mod3IdEEE10hipError_tPvRmT1_T2_T3_mT4_P12ihipStream_tbEUlT_E1_NS1_11comp_targetILNS1_3genE0ELNS1_11target_archE4294967295ELNS1_3gpuE0ELNS1_3repE0EEENS1_30default_config_static_selectorELNS0_4arch9wavefront6targetE1EEEvSD_.has_dyn_sized_stack, 0
	.set _ZN7rocprim17ROCPRIM_400000_NS6detail17trampoline_kernelINS0_14default_configENS1_22reduce_config_selectorIdEEZNS1_11reduce_implILb1ES3_PdS7_d9plus_mod3IdEEE10hipError_tPvRmT1_T2_T3_mT4_P12ihipStream_tbEUlT_E1_NS1_11comp_targetILNS1_3genE0ELNS1_11target_archE4294967295ELNS1_3gpuE0ELNS1_3repE0EEENS1_30default_config_static_selectorELNS0_4arch9wavefront6targetE1EEEvSD_.has_recursion, 0
	.set _ZN7rocprim17ROCPRIM_400000_NS6detail17trampoline_kernelINS0_14default_configENS1_22reduce_config_selectorIdEEZNS1_11reduce_implILb1ES3_PdS7_d9plus_mod3IdEEE10hipError_tPvRmT1_T2_T3_mT4_P12ihipStream_tbEUlT_E1_NS1_11comp_targetILNS1_3genE0ELNS1_11target_archE4294967295ELNS1_3gpuE0ELNS1_3repE0EEENS1_30default_config_static_selectorELNS0_4arch9wavefront6targetE1EEEvSD_.has_indirect_call, 0
	.section	.AMDGPU.csdata,"",@progbits
; Kernel info:
; codeLenInByte = 13292
; TotalNumSgprs: 57
; NumVgprs: 36
; NumAgprs: 0
; TotalNumVgprs: 36
; ScratchSize: 0
; MemoryBound: 0
; FloatMode: 240
; IeeeMode: 1
; LDSByteSize: 192 bytes/workgroup (compile time only)
; SGPRBlocks: 7
; VGPRBlocks: 4
; NumSGPRsForWavesPerEU: 57
; NumVGPRsForWavesPerEU: 36
; AccumOffset: 36
; Occupancy: 8
; WaveLimiterHint : 1
; COMPUTE_PGM_RSRC2:SCRATCH_EN: 0
; COMPUTE_PGM_RSRC2:USER_SGPR: 2
; COMPUTE_PGM_RSRC2:TRAP_HANDLER: 0
; COMPUTE_PGM_RSRC2:TGID_X_EN: 1
; COMPUTE_PGM_RSRC2:TGID_Y_EN: 0
; COMPUTE_PGM_RSRC2:TGID_Z_EN: 0
; COMPUTE_PGM_RSRC2:TIDIG_COMP_CNT: 0
; COMPUTE_PGM_RSRC3_GFX90A:ACCUM_OFFSET: 8
; COMPUTE_PGM_RSRC3_GFX90A:TG_SPLIT: 0
	.section	.text._ZN7rocprim17ROCPRIM_400000_NS6detail17trampoline_kernelINS0_14default_configENS1_22reduce_config_selectorIdEEZNS1_11reduce_implILb1ES3_PdS7_d9plus_mod3IdEEE10hipError_tPvRmT1_T2_T3_mT4_P12ihipStream_tbEUlT_E1_NS1_11comp_targetILNS1_3genE5ELNS1_11target_archE942ELNS1_3gpuE9ELNS1_3repE0EEENS1_30default_config_static_selectorELNS0_4arch9wavefront6targetE1EEEvSD_,"axG",@progbits,_ZN7rocprim17ROCPRIM_400000_NS6detail17trampoline_kernelINS0_14default_configENS1_22reduce_config_selectorIdEEZNS1_11reduce_implILb1ES3_PdS7_d9plus_mod3IdEEE10hipError_tPvRmT1_T2_T3_mT4_P12ihipStream_tbEUlT_E1_NS1_11comp_targetILNS1_3genE5ELNS1_11target_archE942ELNS1_3gpuE9ELNS1_3repE0EEENS1_30default_config_static_selectorELNS0_4arch9wavefront6targetE1EEEvSD_,comdat
	.protected	_ZN7rocprim17ROCPRIM_400000_NS6detail17trampoline_kernelINS0_14default_configENS1_22reduce_config_selectorIdEEZNS1_11reduce_implILb1ES3_PdS7_d9plus_mod3IdEEE10hipError_tPvRmT1_T2_T3_mT4_P12ihipStream_tbEUlT_E1_NS1_11comp_targetILNS1_3genE5ELNS1_11target_archE942ELNS1_3gpuE9ELNS1_3repE0EEENS1_30default_config_static_selectorELNS0_4arch9wavefront6targetE1EEEvSD_ ; -- Begin function _ZN7rocprim17ROCPRIM_400000_NS6detail17trampoline_kernelINS0_14default_configENS1_22reduce_config_selectorIdEEZNS1_11reduce_implILb1ES3_PdS7_d9plus_mod3IdEEE10hipError_tPvRmT1_T2_T3_mT4_P12ihipStream_tbEUlT_E1_NS1_11comp_targetILNS1_3genE5ELNS1_11target_archE942ELNS1_3gpuE9ELNS1_3repE0EEENS1_30default_config_static_selectorELNS0_4arch9wavefront6targetE1EEEvSD_
	.globl	_ZN7rocprim17ROCPRIM_400000_NS6detail17trampoline_kernelINS0_14default_configENS1_22reduce_config_selectorIdEEZNS1_11reduce_implILb1ES3_PdS7_d9plus_mod3IdEEE10hipError_tPvRmT1_T2_T3_mT4_P12ihipStream_tbEUlT_E1_NS1_11comp_targetILNS1_3genE5ELNS1_11target_archE942ELNS1_3gpuE9ELNS1_3repE0EEENS1_30default_config_static_selectorELNS0_4arch9wavefront6targetE1EEEvSD_
	.p2align	8
	.type	_ZN7rocprim17ROCPRIM_400000_NS6detail17trampoline_kernelINS0_14default_configENS1_22reduce_config_selectorIdEEZNS1_11reduce_implILb1ES3_PdS7_d9plus_mod3IdEEE10hipError_tPvRmT1_T2_T3_mT4_P12ihipStream_tbEUlT_E1_NS1_11comp_targetILNS1_3genE5ELNS1_11target_archE942ELNS1_3gpuE9ELNS1_3repE0EEENS1_30default_config_static_selectorELNS0_4arch9wavefront6targetE1EEEvSD_,@function
_ZN7rocprim17ROCPRIM_400000_NS6detail17trampoline_kernelINS0_14default_configENS1_22reduce_config_selectorIdEEZNS1_11reduce_implILb1ES3_PdS7_d9plus_mod3IdEEE10hipError_tPvRmT1_T2_T3_mT4_P12ihipStream_tbEUlT_E1_NS1_11comp_targetILNS1_3genE5ELNS1_11target_archE942ELNS1_3gpuE9ELNS1_3repE0EEENS1_30default_config_static_selectorELNS0_4arch9wavefront6targetE1EEEvSD_: ; @_ZN7rocprim17ROCPRIM_400000_NS6detail17trampoline_kernelINS0_14default_configENS1_22reduce_config_selectorIdEEZNS1_11reduce_implILb1ES3_PdS7_d9plus_mod3IdEEE10hipError_tPvRmT1_T2_T3_mT4_P12ihipStream_tbEUlT_E1_NS1_11comp_targetILNS1_3genE5ELNS1_11target_archE942ELNS1_3gpuE9ELNS1_3repE0EEENS1_30default_config_static_selectorELNS0_4arch9wavefront6targetE1EEEvSD_
; %bb.0:
	.section	.rodata,"a",@progbits
	.p2align	6, 0x0
	.amdhsa_kernel _ZN7rocprim17ROCPRIM_400000_NS6detail17trampoline_kernelINS0_14default_configENS1_22reduce_config_selectorIdEEZNS1_11reduce_implILb1ES3_PdS7_d9plus_mod3IdEEE10hipError_tPvRmT1_T2_T3_mT4_P12ihipStream_tbEUlT_E1_NS1_11comp_targetILNS1_3genE5ELNS1_11target_archE942ELNS1_3gpuE9ELNS1_3repE0EEENS1_30default_config_static_selectorELNS0_4arch9wavefront6targetE1EEEvSD_
		.amdhsa_group_segment_fixed_size 0
		.amdhsa_private_segment_fixed_size 0
		.amdhsa_kernarg_size 48
		.amdhsa_user_sgpr_count 2
		.amdhsa_user_sgpr_dispatch_ptr 0
		.amdhsa_user_sgpr_queue_ptr 0
		.amdhsa_user_sgpr_kernarg_segment_ptr 1
		.amdhsa_user_sgpr_dispatch_id 0
		.amdhsa_user_sgpr_kernarg_preload_length 0
		.amdhsa_user_sgpr_kernarg_preload_offset 0
		.amdhsa_user_sgpr_private_segment_size 0
		.amdhsa_uses_dynamic_stack 0
		.amdhsa_enable_private_segment 0
		.amdhsa_system_sgpr_workgroup_id_x 1
		.amdhsa_system_sgpr_workgroup_id_y 0
		.amdhsa_system_sgpr_workgroup_id_z 0
		.amdhsa_system_sgpr_workgroup_info 0
		.amdhsa_system_vgpr_workitem_id 0
		.amdhsa_next_free_vgpr 1
		.amdhsa_next_free_sgpr 0
		.amdhsa_accum_offset 4
		.amdhsa_reserve_vcc 0
		.amdhsa_float_round_mode_32 0
		.amdhsa_float_round_mode_16_64 0
		.amdhsa_float_denorm_mode_32 3
		.amdhsa_float_denorm_mode_16_64 3
		.amdhsa_dx10_clamp 1
		.amdhsa_ieee_mode 1
		.amdhsa_fp16_overflow 0
		.amdhsa_tg_split 0
		.amdhsa_exception_fp_ieee_invalid_op 0
		.amdhsa_exception_fp_denorm_src 0
		.amdhsa_exception_fp_ieee_div_zero 0
		.amdhsa_exception_fp_ieee_overflow 0
		.amdhsa_exception_fp_ieee_underflow 0
		.amdhsa_exception_fp_ieee_inexact 0
		.amdhsa_exception_int_div_zero 0
	.end_amdhsa_kernel
	.section	.text._ZN7rocprim17ROCPRIM_400000_NS6detail17trampoline_kernelINS0_14default_configENS1_22reduce_config_selectorIdEEZNS1_11reduce_implILb1ES3_PdS7_d9plus_mod3IdEEE10hipError_tPvRmT1_T2_T3_mT4_P12ihipStream_tbEUlT_E1_NS1_11comp_targetILNS1_3genE5ELNS1_11target_archE942ELNS1_3gpuE9ELNS1_3repE0EEENS1_30default_config_static_selectorELNS0_4arch9wavefront6targetE1EEEvSD_,"axG",@progbits,_ZN7rocprim17ROCPRIM_400000_NS6detail17trampoline_kernelINS0_14default_configENS1_22reduce_config_selectorIdEEZNS1_11reduce_implILb1ES3_PdS7_d9plus_mod3IdEEE10hipError_tPvRmT1_T2_T3_mT4_P12ihipStream_tbEUlT_E1_NS1_11comp_targetILNS1_3genE5ELNS1_11target_archE942ELNS1_3gpuE9ELNS1_3repE0EEENS1_30default_config_static_selectorELNS0_4arch9wavefront6targetE1EEEvSD_,comdat
.Lfunc_end705:
	.size	_ZN7rocprim17ROCPRIM_400000_NS6detail17trampoline_kernelINS0_14default_configENS1_22reduce_config_selectorIdEEZNS1_11reduce_implILb1ES3_PdS7_d9plus_mod3IdEEE10hipError_tPvRmT1_T2_T3_mT4_P12ihipStream_tbEUlT_E1_NS1_11comp_targetILNS1_3genE5ELNS1_11target_archE942ELNS1_3gpuE9ELNS1_3repE0EEENS1_30default_config_static_selectorELNS0_4arch9wavefront6targetE1EEEvSD_, .Lfunc_end705-_ZN7rocprim17ROCPRIM_400000_NS6detail17trampoline_kernelINS0_14default_configENS1_22reduce_config_selectorIdEEZNS1_11reduce_implILb1ES3_PdS7_d9plus_mod3IdEEE10hipError_tPvRmT1_T2_T3_mT4_P12ihipStream_tbEUlT_E1_NS1_11comp_targetILNS1_3genE5ELNS1_11target_archE942ELNS1_3gpuE9ELNS1_3repE0EEENS1_30default_config_static_selectorELNS0_4arch9wavefront6targetE1EEEvSD_
                                        ; -- End function
	.set _ZN7rocprim17ROCPRIM_400000_NS6detail17trampoline_kernelINS0_14default_configENS1_22reduce_config_selectorIdEEZNS1_11reduce_implILb1ES3_PdS7_d9plus_mod3IdEEE10hipError_tPvRmT1_T2_T3_mT4_P12ihipStream_tbEUlT_E1_NS1_11comp_targetILNS1_3genE5ELNS1_11target_archE942ELNS1_3gpuE9ELNS1_3repE0EEENS1_30default_config_static_selectorELNS0_4arch9wavefront6targetE1EEEvSD_.num_vgpr, 0
	.set _ZN7rocprim17ROCPRIM_400000_NS6detail17trampoline_kernelINS0_14default_configENS1_22reduce_config_selectorIdEEZNS1_11reduce_implILb1ES3_PdS7_d9plus_mod3IdEEE10hipError_tPvRmT1_T2_T3_mT4_P12ihipStream_tbEUlT_E1_NS1_11comp_targetILNS1_3genE5ELNS1_11target_archE942ELNS1_3gpuE9ELNS1_3repE0EEENS1_30default_config_static_selectorELNS0_4arch9wavefront6targetE1EEEvSD_.num_agpr, 0
	.set _ZN7rocprim17ROCPRIM_400000_NS6detail17trampoline_kernelINS0_14default_configENS1_22reduce_config_selectorIdEEZNS1_11reduce_implILb1ES3_PdS7_d9plus_mod3IdEEE10hipError_tPvRmT1_T2_T3_mT4_P12ihipStream_tbEUlT_E1_NS1_11comp_targetILNS1_3genE5ELNS1_11target_archE942ELNS1_3gpuE9ELNS1_3repE0EEENS1_30default_config_static_selectorELNS0_4arch9wavefront6targetE1EEEvSD_.numbered_sgpr, 0
	.set _ZN7rocprim17ROCPRIM_400000_NS6detail17trampoline_kernelINS0_14default_configENS1_22reduce_config_selectorIdEEZNS1_11reduce_implILb1ES3_PdS7_d9plus_mod3IdEEE10hipError_tPvRmT1_T2_T3_mT4_P12ihipStream_tbEUlT_E1_NS1_11comp_targetILNS1_3genE5ELNS1_11target_archE942ELNS1_3gpuE9ELNS1_3repE0EEENS1_30default_config_static_selectorELNS0_4arch9wavefront6targetE1EEEvSD_.num_named_barrier, 0
	.set _ZN7rocprim17ROCPRIM_400000_NS6detail17trampoline_kernelINS0_14default_configENS1_22reduce_config_selectorIdEEZNS1_11reduce_implILb1ES3_PdS7_d9plus_mod3IdEEE10hipError_tPvRmT1_T2_T3_mT4_P12ihipStream_tbEUlT_E1_NS1_11comp_targetILNS1_3genE5ELNS1_11target_archE942ELNS1_3gpuE9ELNS1_3repE0EEENS1_30default_config_static_selectorELNS0_4arch9wavefront6targetE1EEEvSD_.private_seg_size, 0
	.set _ZN7rocprim17ROCPRIM_400000_NS6detail17trampoline_kernelINS0_14default_configENS1_22reduce_config_selectorIdEEZNS1_11reduce_implILb1ES3_PdS7_d9plus_mod3IdEEE10hipError_tPvRmT1_T2_T3_mT4_P12ihipStream_tbEUlT_E1_NS1_11comp_targetILNS1_3genE5ELNS1_11target_archE942ELNS1_3gpuE9ELNS1_3repE0EEENS1_30default_config_static_selectorELNS0_4arch9wavefront6targetE1EEEvSD_.uses_vcc, 0
	.set _ZN7rocprim17ROCPRIM_400000_NS6detail17trampoline_kernelINS0_14default_configENS1_22reduce_config_selectorIdEEZNS1_11reduce_implILb1ES3_PdS7_d9plus_mod3IdEEE10hipError_tPvRmT1_T2_T3_mT4_P12ihipStream_tbEUlT_E1_NS1_11comp_targetILNS1_3genE5ELNS1_11target_archE942ELNS1_3gpuE9ELNS1_3repE0EEENS1_30default_config_static_selectorELNS0_4arch9wavefront6targetE1EEEvSD_.uses_flat_scratch, 0
	.set _ZN7rocprim17ROCPRIM_400000_NS6detail17trampoline_kernelINS0_14default_configENS1_22reduce_config_selectorIdEEZNS1_11reduce_implILb1ES3_PdS7_d9plus_mod3IdEEE10hipError_tPvRmT1_T2_T3_mT4_P12ihipStream_tbEUlT_E1_NS1_11comp_targetILNS1_3genE5ELNS1_11target_archE942ELNS1_3gpuE9ELNS1_3repE0EEENS1_30default_config_static_selectorELNS0_4arch9wavefront6targetE1EEEvSD_.has_dyn_sized_stack, 0
	.set _ZN7rocprim17ROCPRIM_400000_NS6detail17trampoline_kernelINS0_14default_configENS1_22reduce_config_selectorIdEEZNS1_11reduce_implILb1ES3_PdS7_d9plus_mod3IdEEE10hipError_tPvRmT1_T2_T3_mT4_P12ihipStream_tbEUlT_E1_NS1_11comp_targetILNS1_3genE5ELNS1_11target_archE942ELNS1_3gpuE9ELNS1_3repE0EEENS1_30default_config_static_selectorELNS0_4arch9wavefront6targetE1EEEvSD_.has_recursion, 0
	.set _ZN7rocprim17ROCPRIM_400000_NS6detail17trampoline_kernelINS0_14default_configENS1_22reduce_config_selectorIdEEZNS1_11reduce_implILb1ES3_PdS7_d9plus_mod3IdEEE10hipError_tPvRmT1_T2_T3_mT4_P12ihipStream_tbEUlT_E1_NS1_11comp_targetILNS1_3genE5ELNS1_11target_archE942ELNS1_3gpuE9ELNS1_3repE0EEENS1_30default_config_static_selectorELNS0_4arch9wavefront6targetE1EEEvSD_.has_indirect_call, 0
	.section	.AMDGPU.csdata,"",@progbits
; Kernel info:
; codeLenInByte = 0
; TotalNumSgprs: 6
; NumVgprs: 0
; NumAgprs: 0
; TotalNumVgprs: 0
; ScratchSize: 0
; MemoryBound: 0
; FloatMode: 240
; IeeeMode: 1
; LDSByteSize: 0 bytes/workgroup (compile time only)
; SGPRBlocks: 0
; VGPRBlocks: 0
; NumSGPRsForWavesPerEU: 6
; NumVGPRsForWavesPerEU: 1
; AccumOffset: 4
; Occupancy: 8
; WaveLimiterHint : 0
; COMPUTE_PGM_RSRC2:SCRATCH_EN: 0
; COMPUTE_PGM_RSRC2:USER_SGPR: 2
; COMPUTE_PGM_RSRC2:TRAP_HANDLER: 0
; COMPUTE_PGM_RSRC2:TGID_X_EN: 1
; COMPUTE_PGM_RSRC2:TGID_Y_EN: 0
; COMPUTE_PGM_RSRC2:TGID_Z_EN: 0
; COMPUTE_PGM_RSRC2:TIDIG_COMP_CNT: 0
; COMPUTE_PGM_RSRC3_GFX90A:ACCUM_OFFSET: 0
; COMPUTE_PGM_RSRC3_GFX90A:TG_SPLIT: 0
	.section	.text._ZN7rocprim17ROCPRIM_400000_NS6detail17trampoline_kernelINS0_14default_configENS1_22reduce_config_selectorIdEEZNS1_11reduce_implILb1ES3_PdS7_d9plus_mod3IdEEE10hipError_tPvRmT1_T2_T3_mT4_P12ihipStream_tbEUlT_E1_NS1_11comp_targetILNS1_3genE4ELNS1_11target_archE910ELNS1_3gpuE8ELNS1_3repE0EEENS1_30default_config_static_selectorELNS0_4arch9wavefront6targetE1EEEvSD_,"axG",@progbits,_ZN7rocprim17ROCPRIM_400000_NS6detail17trampoline_kernelINS0_14default_configENS1_22reduce_config_selectorIdEEZNS1_11reduce_implILb1ES3_PdS7_d9plus_mod3IdEEE10hipError_tPvRmT1_T2_T3_mT4_P12ihipStream_tbEUlT_E1_NS1_11comp_targetILNS1_3genE4ELNS1_11target_archE910ELNS1_3gpuE8ELNS1_3repE0EEENS1_30default_config_static_selectorELNS0_4arch9wavefront6targetE1EEEvSD_,comdat
	.protected	_ZN7rocprim17ROCPRIM_400000_NS6detail17trampoline_kernelINS0_14default_configENS1_22reduce_config_selectorIdEEZNS1_11reduce_implILb1ES3_PdS7_d9plus_mod3IdEEE10hipError_tPvRmT1_T2_T3_mT4_P12ihipStream_tbEUlT_E1_NS1_11comp_targetILNS1_3genE4ELNS1_11target_archE910ELNS1_3gpuE8ELNS1_3repE0EEENS1_30default_config_static_selectorELNS0_4arch9wavefront6targetE1EEEvSD_ ; -- Begin function _ZN7rocprim17ROCPRIM_400000_NS6detail17trampoline_kernelINS0_14default_configENS1_22reduce_config_selectorIdEEZNS1_11reduce_implILb1ES3_PdS7_d9plus_mod3IdEEE10hipError_tPvRmT1_T2_T3_mT4_P12ihipStream_tbEUlT_E1_NS1_11comp_targetILNS1_3genE4ELNS1_11target_archE910ELNS1_3gpuE8ELNS1_3repE0EEENS1_30default_config_static_selectorELNS0_4arch9wavefront6targetE1EEEvSD_
	.globl	_ZN7rocprim17ROCPRIM_400000_NS6detail17trampoline_kernelINS0_14default_configENS1_22reduce_config_selectorIdEEZNS1_11reduce_implILb1ES3_PdS7_d9plus_mod3IdEEE10hipError_tPvRmT1_T2_T3_mT4_P12ihipStream_tbEUlT_E1_NS1_11comp_targetILNS1_3genE4ELNS1_11target_archE910ELNS1_3gpuE8ELNS1_3repE0EEENS1_30default_config_static_selectorELNS0_4arch9wavefront6targetE1EEEvSD_
	.p2align	8
	.type	_ZN7rocprim17ROCPRIM_400000_NS6detail17trampoline_kernelINS0_14default_configENS1_22reduce_config_selectorIdEEZNS1_11reduce_implILb1ES3_PdS7_d9plus_mod3IdEEE10hipError_tPvRmT1_T2_T3_mT4_P12ihipStream_tbEUlT_E1_NS1_11comp_targetILNS1_3genE4ELNS1_11target_archE910ELNS1_3gpuE8ELNS1_3repE0EEENS1_30default_config_static_selectorELNS0_4arch9wavefront6targetE1EEEvSD_,@function
_ZN7rocprim17ROCPRIM_400000_NS6detail17trampoline_kernelINS0_14default_configENS1_22reduce_config_selectorIdEEZNS1_11reduce_implILb1ES3_PdS7_d9plus_mod3IdEEE10hipError_tPvRmT1_T2_T3_mT4_P12ihipStream_tbEUlT_E1_NS1_11comp_targetILNS1_3genE4ELNS1_11target_archE910ELNS1_3gpuE8ELNS1_3repE0EEENS1_30default_config_static_selectorELNS0_4arch9wavefront6targetE1EEEvSD_: ; @_ZN7rocprim17ROCPRIM_400000_NS6detail17trampoline_kernelINS0_14default_configENS1_22reduce_config_selectorIdEEZNS1_11reduce_implILb1ES3_PdS7_d9plus_mod3IdEEE10hipError_tPvRmT1_T2_T3_mT4_P12ihipStream_tbEUlT_E1_NS1_11comp_targetILNS1_3genE4ELNS1_11target_archE910ELNS1_3gpuE8ELNS1_3repE0EEENS1_30default_config_static_selectorELNS0_4arch9wavefront6targetE1EEEvSD_
; %bb.0:
	.section	.rodata,"a",@progbits
	.p2align	6, 0x0
	.amdhsa_kernel _ZN7rocprim17ROCPRIM_400000_NS6detail17trampoline_kernelINS0_14default_configENS1_22reduce_config_selectorIdEEZNS1_11reduce_implILb1ES3_PdS7_d9plus_mod3IdEEE10hipError_tPvRmT1_T2_T3_mT4_P12ihipStream_tbEUlT_E1_NS1_11comp_targetILNS1_3genE4ELNS1_11target_archE910ELNS1_3gpuE8ELNS1_3repE0EEENS1_30default_config_static_selectorELNS0_4arch9wavefront6targetE1EEEvSD_
		.amdhsa_group_segment_fixed_size 0
		.amdhsa_private_segment_fixed_size 0
		.amdhsa_kernarg_size 48
		.amdhsa_user_sgpr_count 2
		.amdhsa_user_sgpr_dispatch_ptr 0
		.amdhsa_user_sgpr_queue_ptr 0
		.amdhsa_user_sgpr_kernarg_segment_ptr 1
		.amdhsa_user_sgpr_dispatch_id 0
		.amdhsa_user_sgpr_kernarg_preload_length 0
		.amdhsa_user_sgpr_kernarg_preload_offset 0
		.amdhsa_user_sgpr_private_segment_size 0
		.amdhsa_uses_dynamic_stack 0
		.amdhsa_enable_private_segment 0
		.amdhsa_system_sgpr_workgroup_id_x 1
		.amdhsa_system_sgpr_workgroup_id_y 0
		.amdhsa_system_sgpr_workgroup_id_z 0
		.amdhsa_system_sgpr_workgroup_info 0
		.amdhsa_system_vgpr_workitem_id 0
		.amdhsa_next_free_vgpr 1
		.amdhsa_next_free_sgpr 0
		.amdhsa_accum_offset 4
		.amdhsa_reserve_vcc 0
		.amdhsa_float_round_mode_32 0
		.amdhsa_float_round_mode_16_64 0
		.amdhsa_float_denorm_mode_32 3
		.amdhsa_float_denorm_mode_16_64 3
		.amdhsa_dx10_clamp 1
		.amdhsa_ieee_mode 1
		.amdhsa_fp16_overflow 0
		.amdhsa_tg_split 0
		.amdhsa_exception_fp_ieee_invalid_op 0
		.amdhsa_exception_fp_denorm_src 0
		.amdhsa_exception_fp_ieee_div_zero 0
		.amdhsa_exception_fp_ieee_overflow 0
		.amdhsa_exception_fp_ieee_underflow 0
		.amdhsa_exception_fp_ieee_inexact 0
		.amdhsa_exception_int_div_zero 0
	.end_amdhsa_kernel
	.section	.text._ZN7rocprim17ROCPRIM_400000_NS6detail17trampoline_kernelINS0_14default_configENS1_22reduce_config_selectorIdEEZNS1_11reduce_implILb1ES3_PdS7_d9plus_mod3IdEEE10hipError_tPvRmT1_T2_T3_mT4_P12ihipStream_tbEUlT_E1_NS1_11comp_targetILNS1_3genE4ELNS1_11target_archE910ELNS1_3gpuE8ELNS1_3repE0EEENS1_30default_config_static_selectorELNS0_4arch9wavefront6targetE1EEEvSD_,"axG",@progbits,_ZN7rocprim17ROCPRIM_400000_NS6detail17trampoline_kernelINS0_14default_configENS1_22reduce_config_selectorIdEEZNS1_11reduce_implILb1ES3_PdS7_d9plus_mod3IdEEE10hipError_tPvRmT1_T2_T3_mT4_P12ihipStream_tbEUlT_E1_NS1_11comp_targetILNS1_3genE4ELNS1_11target_archE910ELNS1_3gpuE8ELNS1_3repE0EEENS1_30default_config_static_selectorELNS0_4arch9wavefront6targetE1EEEvSD_,comdat
.Lfunc_end706:
	.size	_ZN7rocprim17ROCPRIM_400000_NS6detail17trampoline_kernelINS0_14default_configENS1_22reduce_config_selectorIdEEZNS1_11reduce_implILb1ES3_PdS7_d9plus_mod3IdEEE10hipError_tPvRmT1_T2_T3_mT4_P12ihipStream_tbEUlT_E1_NS1_11comp_targetILNS1_3genE4ELNS1_11target_archE910ELNS1_3gpuE8ELNS1_3repE0EEENS1_30default_config_static_selectorELNS0_4arch9wavefront6targetE1EEEvSD_, .Lfunc_end706-_ZN7rocprim17ROCPRIM_400000_NS6detail17trampoline_kernelINS0_14default_configENS1_22reduce_config_selectorIdEEZNS1_11reduce_implILb1ES3_PdS7_d9plus_mod3IdEEE10hipError_tPvRmT1_T2_T3_mT4_P12ihipStream_tbEUlT_E1_NS1_11comp_targetILNS1_3genE4ELNS1_11target_archE910ELNS1_3gpuE8ELNS1_3repE0EEENS1_30default_config_static_selectorELNS0_4arch9wavefront6targetE1EEEvSD_
                                        ; -- End function
	.set _ZN7rocprim17ROCPRIM_400000_NS6detail17trampoline_kernelINS0_14default_configENS1_22reduce_config_selectorIdEEZNS1_11reduce_implILb1ES3_PdS7_d9plus_mod3IdEEE10hipError_tPvRmT1_T2_T3_mT4_P12ihipStream_tbEUlT_E1_NS1_11comp_targetILNS1_3genE4ELNS1_11target_archE910ELNS1_3gpuE8ELNS1_3repE0EEENS1_30default_config_static_selectorELNS0_4arch9wavefront6targetE1EEEvSD_.num_vgpr, 0
	.set _ZN7rocprim17ROCPRIM_400000_NS6detail17trampoline_kernelINS0_14default_configENS1_22reduce_config_selectorIdEEZNS1_11reduce_implILb1ES3_PdS7_d9plus_mod3IdEEE10hipError_tPvRmT1_T2_T3_mT4_P12ihipStream_tbEUlT_E1_NS1_11comp_targetILNS1_3genE4ELNS1_11target_archE910ELNS1_3gpuE8ELNS1_3repE0EEENS1_30default_config_static_selectorELNS0_4arch9wavefront6targetE1EEEvSD_.num_agpr, 0
	.set _ZN7rocprim17ROCPRIM_400000_NS6detail17trampoline_kernelINS0_14default_configENS1_22reduce_config_selectorIdEEZNS1_11reduce_implILb1ES3_PdS7_d9plus_mod3IdEEE10hipError_tPvRmT1_T2_T3_mT4_P12ihipStream_tbEUlT_E1_NS1_11comp_targetILNS1_3genE4ELNS1_11target_archE910ELNS1_3gpuE8ELNS1_3repE0EEENS1_30default_config_static_selectorELNS0_4arch9wavefront6targetE1EEEvSD_.numbered_sgpr, 0
	.set _ZN7rocprim17ROCPRIM_400000_NS6detail17trampoline_kernelINS0_14default_configENS1_22reduce_config_selectorIdEEZNS1_11reduce_implILb1ES3_PdS7_d9plus_mod3IdEEE10hipError_tPvRmT1_T2_T3_mT4_P12ihipStream_tbEUlT_E1_NS1_11comp_targetILNS1_3genE4ELNS1_11target_archE910ELNS1_3gpuE8ELNS1_3repE0EEENS1_30default_config_static_selectorELNS0_4arch9wavefront6targetE1EEEvSD_.num_named_barrier, 0
	.set _ZN7rocprim17ROCPRIM_400000_NS6detail17trampoline_kernelINS0_14default_configENS1_22reduce_config_selectorIdEEZNS1_11reduce_implILb1ES3_PdS7_d9plus_mod3IdEEE10hipError_tPvRmT1_T2_T3_mT4_P12ihipStream_tbEUlT_E1_NS1_11comp_targetILNS1_3genE4ELNS1_11target_archE910ELNS1_3gpuE8ELNS1_3repE0EEENS1_30default_config_static_selectorELNS0_4arch9wavefront6targetE1EEEvSD_.private_seg_size, 0
	.set _ZN7rocprim17ROCPRIM_400000_NS6detail17trampoline_kernelINS0_14default_configENS1_22reduce_config_selectorIdEEZNS1_11reduce_implILb1ES3_PdS7_d9plus_mod3IdEEE10hipError_tPvRmT1_T2_T3_mT4_P12ihipStream_tbEUlT_E1_NS1_11comp_targetILNS1_3genE4ELNS1_11target_archE910ELNS1_3gpuE8ELNS1_3repE0EEENS1_30default_config_static_selectorELNS0_4arch9wavefront6targetE1EEEvSD_.uses_vcc, 0
	.set _ZN7rocprim17ROCPRIM_400000_NS6detail17trampoline_kernelINS0_14default_configENS1_22reduce_config_selectorIdEEZNS1_11reduce_implILb1ES3_PdS7_d9plus_mod3IdEEE10hipError_tPvRmT1_T2_T3_mT4_P12ihipStream_tbEUlT_E1_NS1_11comp_targetILNS1_3genE4ELNS1_11target_archE910ELNS1_3gpuE8ELNS1_3repE0EEENS1_30default_config_static_selectorELNS0_4arch9wavefront6targetE1EEEvSD_.uses_flat_scratch, 0
	.set _ZN7rocprim17ROCPRIM_400000_NS6detail17trampoline_kernelINS0_14default_configENS1_22reduce_config_selectorIdEEZNS1_11reduce_implILb1ES3_PdS7_d9plus_mod3IdEEE10hipError_tPvRmT1_T2_T3_mT4_P12ihipStream_tbEUlT_E1_NS1_11comp_targetILNS1_3genE4ELNS1_11target_archE910ELNS1_3gpuE8ELNS1_3repE0EEENS1_30default_config_static_selectorELNS0_4arch9wavefront6targetE1EEEvSD_.has_dyn_sized_stack, 0
	.set _ZN7rocprim17ROCPRIM_400000_NS6detail17trampoline_kernelINS0_14default_configENS1_22reduce_config_selectorIdEEZNS1_11reduce_implILb1ES3_PdS7_d9plus_mod3IdEEE10hipError_tPvRmT1_T2_T3_mT4_P12ihipStream_tbEUlT_E1_NS1_11comp_targetILNS1_3genE4ELNS1_11target_archE910ELNS1_3gpuE8ELNS1_3repE0EEENS1_30default_config_static_selectorELNS0_4arch9wavefront6targetE1EEEvSD_.has_recursion, 0
	.set _ZN7rocprim17ROCPRIM_400000_NS6detail17trampoline_kernelINS0_14default_configENS1_22reduce_config_selectorIdEEZNS1_11reduce_implILb1ES3_PdS7_d9plus_mod3IdEEE10hipError_tPvRmT1_T2_T3_mT4_P12ihipStream_tbEUlT_E1_NS1_11comp_targetILNS1_3genE4ELNS1_11target_archE910ELNS1_3gpuE8ELNS1_3repE0EEENS1_30default_config_static_selectorELNS0_4arch9wavefront6targetE1EEEvSD_.has_indirect_call, 0
	.section	.AMDGPU.csdata,"",@progbits
; Kernel info:
; codeLenInByte = 0
; TotalNumSgprs: 6
; NumVgprs: 0
; NumAgprs: 0
; TotalNumVgprs: 0
; ScratchSize: 0
; MemoryBound: 0
; FloatMode: 240
; IeeeMode: 1
; LDSByteSize: 0 bytes/workgroup (compile time only)
; SGPRBlocks: 0
; VGPRBlocks: 0
; NumSGPRsForWavesPerEU: 6
; NumVGPRsForWavesPerEU: 1
; AccumOffset: 4
; Occupancy: 8
; WaveLimiterHint : 0
; COMPUTE_PGM_RSRC2:SCRATCH_EN: 0
; COMPUTE_PGM_RSRC2:USER_SGPR: 2
; COMPUTE_PGM_RSRC2:TRAP_HANDLER: 0
; COMPUTE_PGM_RSRC2:TGID_X_EN: 1
; COMPUTE_PGM_RSRC2:TGID_Y_EN: 0
; COMPUTE_PGM_RSRC2:TGID_Z_EN: 0
; COMPUTE_PGM_RSRC2:TIDIG_COMP_CNT: 0
; COMPUTE_PGM_RSRC3_GFX90A:ACCUM_OFFSET: 0
; COMPUTE_PGM_RSRC3_GFX90A:TG_SPLIT: 0
	.section	.text._ZN7rocprim17ROCPRIM_400000_NS6detail17trampoline_kernelINS0_14default_configENS1_22reduce_config_selectorIdEEZNS1_11reduce_implILb1ES3_PdS7_d9plus_mod3IdEEE10hipError_tPvRmT1_T2_T3_mT4_P12ihipStream_tbEUlT_E1_NS1_11comp_targetILNS1_3genE3ELNS1_11target_archE908ELNS1_3gpuE7ELNS1_3repE0EEENS1_30default_config_static_selectorELNS0_4arch9wavefront6targetE1EEEvSD_,"axG",@progbits,_ZN7rocprim17ROCPRIM_400000_NS6detail17trampoline_kernelINS0_14default_configENS1_22reduce_config_selectorIdEEZNS1_11reduce_implILb1ES3_PdS7_d9plus_mod3IdEEE10hipError_tPvRmT1_T2_T3_mT4_P12ihipStream_tbEUlT_E1_NS1_11comp_targetILNS1_3genE3ELNS1_11target_archE908ELNS1_3gpuE7ELNS1_3repE0EEENS1_30default_config_static_selectorELNS0_4arch9wavefront6targetE1EEEvSD_,comdat
	.protected	_ZN7rocprim17ROCPRIM_400000_NS6detail17trampoline_kernelINS0_14default_configENS1_22reduce_config_selectorIdEEZNS1_11reduce_implILb1ES3_PdS7_d9plus_mod3IdEEE10hipError_tPvRmT1_T2_T3_mT4_P12ihipStream_tbEUlT_E1_NS1_11comp_targetILNS1_3genE3ELNS1_11target_archE908ELNS1_3gpuE7ELNS1_3repE0EEENS1_30default_config_static_selectorELNS0_4arch9wavefront6targetE1EEEvSD_ ; -- Begin function _ZN7rocprim17ROCPRIM_400000_NS6detail17trampoline_kernelINS0_14default_configENS1_22reduce_config_selectorIdEEZNS1_11reduce_implILb1ES3_PdS7_d9plus_mod3IdEEE10hipError_tPvRmT1_T2_T3_mT4_P12ihipStream_tbEUlT_E1_NS1_11comp_targetILNS1_3genE3ELNS1_11target_archE908ELNS1_3gpuE7ELNS1_3repE0EEENS1_30default_config_static_selectorELNS0_4arch9wavefront6targetE1EEEvSD_
	.globl	_ZN7rocprim17ROCPRIM_400000_NS6detail17trampoline_kernelINS0_14default_configENS1_22reduce_config_selectorIdEEZNS1_11reduce_implILb1ES3_PdS7_d9plus_mod3IdEEE10hipError_tPvRmT1_T2_T3_mT4_P12ihipStream_tbEUlT_E1_NS1_11comp_targetILNS1_3genE3ELNS1_11target_archE908ELNS1_3gpuE7ELNS1_3repE0EEENS1_30default_config_static_selectorELNS0_4arch9wavefront6targetE1EEEvSD_
	.p2align	8
	.type	_ZN7rocprim17ROCPRIM_400000_NS6detail17trampoline_kernelINS0_14default_configENS1_22reduce_config_selectorIdEEZNS1_11reduce_implILb1ES3_PdS7_d9plus_mod3IdEEE10hipError_tPvRmT1_T2_T3_mT4_P12ihipStream_tbEUlT_E1_NS1_11comp_targetILNS1_3genE3ELNS1_11target_archE908ELNS1_3gpuE7ELNS1_3repE0EEENS1_30default_config_static_selectorELNS0_4arch9wavefront6targetE1EEEvSD_,@function
_ZN7rocprim17ROCPRIM_400000_NS6detail17trampoline_kernelINS0_14default_configENS1_22reduce_config_selectorIdEEZNS1_11reduce_implILb1ES3_PdS7_d9plus_mod3IdEEE10hipError_tPvRmT1_T2_T3_mT4_P12ihipStream_tbEUlT_E1_NS1_11comp_targetILNS1_3genE3ELNS1_11target_archE908ELNS1_3gpuE7ELNS1_3repE0EEENS1_30default_config_static_selectorELNS0_4arch9wavefront6targetE1EEEvSD_: ; @_ZN7rocprim17ROCPRIM_400000_NS6detail17trampoline_kernelINS0_14default_configENS1_22reduce_config_selectorIdEEZNS1_11reduce_implILb1ES3_PdS7_d9plus_mod3IdEEE10hipError_tPvRmT1_T2_T3_mT4_P12ihipStream_tbEUlT_E1_NS1_11comp_targetILNS1_3genE3ELNS1_11target_archE908ELNS1_3gpuE7ELNS1_3repE0EEENS1_30default_config_static_selectorELNS0_4arch9wavefront6targetE1EEEvSD_
; %bb.0:
	.section	.rodata,"a",@progbits
	.p2align	6, 0x0
	.amdhsa_kernel _ZN7rocprim17ROCPRIM_400000_NS6detail17trampoline_kernelINS0_14default_configENS1_22reduce_config_selectorIdEEZNS1_11reduce_implILb1ES3_PdS7_d9plus_mod3IdEEE10hipError_tPvRmT1_T2_T3_mT4_P12ihipStream_tbEUlT_E1_NS1_11comp_targetILNS1_3genE3ELNS1_11target_archE908ELNS1_3gpuE7ELNS1_3repE0EEENS1_30default_config_static_selectorELNS0_4arch9wavefront6targetE1EEEvSD_
		.amdhsa_group_segment_fixed_size 0
		.amdhsa_private_segment_fixed_size 0
		.amdhsa_kernarg_size 48
		.amdhsa_user_sgpr_count 2
		.amdhsa_user_sgpr_dispatch_ptr 0
		.amdhsa_user_sgpr_queue_ptr 0
		.amdhsa_user_sgpr_kernarg_segment_ptr 1
		.amdhsa_user_sgpr_dispatch_id 0
		.amdhsa_user_sgpr_kernarg_preload_length 0
		.amdhsa_user_sgpr_kernarg_preload_offset 0
		.amdhsa_user_sgpr_private_segment_size 0
		.amdhsa_uses_dynamic_stack 0
		.amdhsa_enable_private_segment 0
		.amdhsa_system_sgpr_workgroup_id_x 1
		.amdhsa_system_sgpr_workgroup_id_y 0
		.amdhsa_system_sgpr_workgroup_id_z 0
		.amdhsa_system_sgpr_workgroup_info 0
		.amdhsa_system_vgpr_workitem_id 0
		.amdhsa_next_free_vgpr 1
		.amdhsa_next_free_sgpr 0
		.amdhsa_accum_offset 4
		.amdhsa_reserve_vcc 0
		.amdhsa_float_round_mode_32 0
		.amdhsa_float_round_mode_16_64 0
		.amdhsa_float_denorm_mode_32 3
		.amdhsa_float_denorm_mode_16_64 3
		.amdhsa_dx10_clamp 1
		.amdhsa_ieee_mode 1
		.amdhsa_fp16_overflow 0
		.amdhsa_tg_split 0
		.amdhsa_exception_fp_ieee_invalid_op 0
		.amdhsa_exception_fp_denorm_src 0
		.amdhsa_exception_fp_ieee_div_zero 0
		.amdhsa_exception_fp_ieee_overflow 0
		.amdhsa_exception_fp_ieee_underflow 0
		.amdhsa_exception_fp_ieee_inexact 0
		.amdhsa_exception_int_div_zero 0
	.end_amdhsa_kernel
	.section	.text._ZN7rocprim17ROCPRIM_400000_NS6detail17trampoline_kernelINS0_14default_configENS1_22reduce_config_selectorIdEEZNS1_11reduce_implILb1ES3_PdS7_d9plus_mod3IdEEE10hipError_tPvRmT1_T2_T3_mT4_P12ihipStream_tbEUlT_E1_NS1_11comp_targetILNS1_3genE3ELNS1_11target_archE908ELNS1_3gpuE7ELNS1_3repE0EEENS1_30default_config_static_selectorELNS0_4arch9wavefront6targetE1EEEvSD_,"axG",@progbits,_ZN7rocprim17ROCPRIM_400000_NS6detail17trampoline_kernelINS0_14default_configENS1_22reduce_config_selectorIdEEZNS1_11reduce_implILb1ES3_PdS7_d9plus_mod3IdEEE10hipError_tPvRmT1_T2_T3_mT4_P12ihipStream_tbEUlT_E1_NS1_11comp_targetILNS1_3genE3ELNS1_11target_archE908ELNS1_3gpuE7ELNS1_3repE0EEENS1_30default_config_static_selectorELNS0_4arch9wavefront6targetE1EEEvSD_,comdat
.Lfunc_end707:
	.size	_ZN7rocprim17ROCPRIM_400000_NS6detail17trampoline_kernelINS0_14default_configENS1_22reduce_config_selectorIdEEZNS1_11reduce_implILb1ES3_PdS7_d9plus_mod3IdEEE10hipError_tPvRmT1_T2_T3_mT4_P12ihipStream_tbEUlT_E1_NS1_11comp_targetILNS1_3genE3ELNS1_11target_archE908ELNS1_3gpuE7ELNS1_3repE0EEENS1_30default_config_static_selectorELNS0_4arch9wavefront6targetE1EEEvSD_, .Lfunc_end707-_ZN7rocprim17ROCPRIM_400000_NS6detail17trampoline_kernelINS0_14default_configENS1_22reduce_config_selectorIdEEZNS1_11reduce_implILb1ES3_PdS7_d9plus_mod3IdEEE10hipError_tPvRmT1_T2_T3_mT4_P12ihipStream_tbEUlT_E1_NS1_11comp_targetILNS1_3genE3ELNS1_11target_archE908ELNS1_3gpuE7ELNS1_3repE0EEENS1_30default_config_static_selectorELNS0_4arch9wavefront6targetE1EEEvSD_
                                        ; -- End function
	.set _ZN7rocprim17ROCPRIM_400000_NS6detail17trampoline_kernelINS0_14default_configENS1_22reduce_config_selectorIdEEZNS1_11reduce_implILb1ES3_PdS7_d9plus_mod3IdEEE10hipError_tPvRmT1_T2_T3_mT4_P12ihipStream_tbEUlT_E1_NS1_11comp_targetILNS1_3genE3ELNS1_11target_archE908ELNS1_3gpuE7ELNS1_3repE0EEENS1_30default_config_static_selectorELNS0_4arch9wavefront6targetE1EEEvSD_.num_vgpr, 0
	.set _ZN7rocprim17ROCPRIM_400000_NS6detail17trampoline_kernelINS0_14default_configENS1_22reduce_config_selectorIdEEZNS1_11reduce_implILb1ES3_PdS7_d9plus_mod3IdEEE10hipError_tPvRmT1_T2_T3_mT4_P12ihipStream_tbEUlT_E1_NS1_11comp_targetILNS1_3genE3ELNS1_11target_archE908ELNS1_3gpuE7ELNS1_3repE0EEENS1_30default_config_static_selectorELNS0_4arch9wavefront6targetE1EEEvSD_.num_agpr, 0
	.set _ZN7rocprim17ROCPRIM_400000_NS6detail17trampoline_kernelINS0_14default_configENS1_22reduce_config_selectorIdEEZNS1_11reduce_implILb1ES3_PdS7_d9plus_mod3IdEEE10hipError_tPvRmT1_T2_T3_mT4_P12ihipStream_tbEUlT_E1_NS1_11comp_targetILNS1_3genE3ELNS1_11target_archE908ELNS1_3gpuE7ELNS1_3repE0EEENS1_30default_config_static_selectorELNS0_4arch9wavefront6targetE1EEEvSD_.numbered_sgpr, 0
	.set _ZN7rocprim17ROCPRIM_400000_NS6detail17trampoline_kernelINS0_14default_configENS1_22reduce_config_selectorIdEEZNS1_11reduce_implILb1ES3_PdS7_d9plus_mod3IdEEE10hipError_tPvRmT1_T2_T3_mT4_P12ihipStream_tbEUlT_E1_NS1_11comp_targetILNS1_3genE3ELNS1_11target_archE908ELNS1_3gpuE7ELNS1_3repE0EEENS1_30default_config_static_selectorELNS0_4arch9wavefront6targetE1EEEvSD_.num_named_barrier, 0
	.set _ZN7rocprim17ROCPRIM_400000_NS6detail17trampoline_kernelINS0_14default_configENS1_22reduce_config_selectorIdEEZNS1_11reduce_implILb1ES3_PdS7_d9plus_mod3IdEEE10hipError_tPvRmT1_T2_T3_mT4_P12ihipStream_tbEUlT_E1_NS1_11comp_targetILNS1_3genE3ELNS1_11target_archE908ELNS1_3gpuE7ELNS1_3repE0EEENS1_30default_config_static_selectorELNS0_4arch9wavefront6targetE1EEEvSD_.private_seg_size, 0
	.set _ZN7rocprim17ROCPRIM_400000_NS6detail17trampoline_kernelINS0_14default_configENS1_22reduce_config_selectorIdEEZNS1_11reduce_implILb1ES3_PdS7_d9plus_mod3IdEEE10hipError_tPvRmT1_T2_T3_mT4_P12ihipStream_tbEUlT_E1_NS1_11comp_targetILNS1_3genE3ELNS1_11target_archE908ELNS1_3gpuE7ELNS1_3repE0EEENS1_30default_config_static_selectorELNS0_4arch9wavefront6targetE1EEEvSD_.uses_vcc, 0
	.set _ZN7rocprim17ROCPRIM_400000_NS6detail17trampoline_kernelINS0_14default_configENS1_22reduce_config_selectorIdEEZNS1_11reduce_implILb1ES3_PdS7_d9plus_mod3IdEEE10hipError_tPvRmT1_T2_T3_mT4_P12ihipStream_tbEUlT_E1_NS1_11comp_targetILNS1_3genE3ELNS1_11target_archE908ELNS1_3gpuE7ELNS1_3repE0EEENS1_30default_config_static_selectorELNS0_4arch9wavefront6targetE1EEEvSD_.uses_flat_scratch, 0
	.set _ZN7rocprim17ROCPRIM_400000_NS6detail17trampoline_kernelINS0_14default_configENS1_22reduce_config_selectorIdEEZNS1_11reduce_implILb1ES3_PdS7_d9plus_mod3IdEEE10hipError_tPvRmT1_T2_T3_mT4_P12ihipStream_tbEUlT_E1_NS1_11comp_targetILNS1_3genE3ELNS1_11target_archE908ELNS1_3gpuE7ELNS1_3repE0EEENS1_30default_config_static_selectorELNS0_4arch9wavefront6targetE1EEEvSD_.has_dyn_sized_stack, 0
	.set _ZN7rocprim17ROCPRIM_400000_NS6detail17trampoline_kernelINS0_14default_configENS1_22reduce_config_selectorIdEEZNS1_11reduce_implILb1ES3_PdS7_d9plus_mod3IdEEE10hipError_tPvRmT1_T2_T3_mT4_P12ihipStream_tbEUlT_E1_NS1_11comp_targetILNS1_3genE3ELNS1_11target_archE908ELNS1_3gpuE7ELNS1_3repE0EEENS1_30default_config_static_selectorELNS0_4arch9wavefront6targetE1EEEvSD_.has_recursion, 0
	.set _ZN7rocprim17ROCPRIM_400000_NS6detail17trampoline_kernelINS0_14default_configENS1_22reduce_config_selectorIdEEZNS1_11reduce_implILb1ES3_PdS7_d9plus_mod3IdEEE10hipError_tPvRmT1_T2_T3_mT4_P12ihipStream_tbEUlT_E1_NS1_11comp_targetILNS1_3genE3ELNS1_11target_archE908ELNS1_3gpuE7ELNS1_3repE0EEENS1_30default_config_static_selectorELNS0_4arch9wavefront6targetE1EEEvSD_.has_indirect_call, 0
	.section	.AMDGPU.csdata,"",@progbits
; Kernel info:
; codeLenInByte = 0
; TotalNumSgprs: 6
; NumVgprs: 0
; NumAgprs: 0
; TotalNumVgprs: 0
; ScratchSize: 0
; MemoryBound: 0
; FloatMode: 240
; IeeeMode: 1
; LDSByteSize: 0 bytes/workgroup (compile time only)
; SGPRBlocks: 0
; VGPRBlocks: 0
; NumSGPRsForWavesPerEU: 6
; NumVGPRsForWavesPerEU: 1
; AccumOffset: 4
; Occupancy: 8
; WaveLimiterHint : 0
; COMPUTE_PGM_RSRC2:SCRATCH_EN: 0
; COMPUTE_PGM_RSRC2:USER_SGPR: 2
; COMPUTE_PGM_RSRC2:TRAP_HANDLER: 0
; COMPUTE_PGM_RSRC2:TGID_X_EN: 1
; COMPUTE_PGM_RSRC2:TGID_Y_EN: 0
; COMPUTE_PGM_RSRC2:TGID_Z_EN: 0
; COMPUTE_PGM_RSRC2:TIDIG_COMP_CNT: 0
; COMPUTE_PGM_RSRC3_GFX90A:ACCUM_OFFSET: 0
; COMPUTE_PGM_RSRC3_GFX90A:TG_SPLIT: 0
	.section	.text._ZN7rocprim17ROCPRIM_400000_NS6detail17trampoline_kernelINS0_14default_configENS1_22reduce_config_selectorIdEEZNS1_11reduce_implILb1ES3_PdS7_d9plus_mod3IdEEE10hipError_tPvRmT1_T2_T3_mT4_P12ihipStream_tbEUlT_E1_NS1_11comp_targetILNS1_3genE2ELNS1_11target_archE906ELNS1_3gpuE6ELNS1_3repE0EEENS1_30default_config_static_selectorELNS0_4arch9wavefront6targetE1EEEvSD_,"axG",@progbits,_ZN7rocprim17ROCPRIM_400000_NS6detail17trampoline_kernelINS0_14default_configENS1_22reduce_config_selectorIdEEZNS1_11reduce_implILb1ES3_PdS7_d9plus_mod3IdEEE10hipError_tPvRmT1_T2_T3_mT4_P12ihipStream_tbEUlT_E1_NS1_11comp_targetILNS1_3genE2ELNS1_11target_archE906ELNS1_3gpuE6ELNS1_3repE0EEENS1_30default_config_static_selectorELNS0_4arch9wavefront6targetE1EEEvSD_,comdat
	.protected	_ZN7rocprim17ROCPRIM_400000_NS6detail17trampoline_kernelINS0_14default_configENS1_22reduce_config_selectorIdEEZNS1_11reduce_implILb1ES3_PdS7_d9plus_mod3IdEEE10hipError_tPvRmT1_T2_T3_mT4_P12ihipStream_tbEUlT_E1_NS1_11comp_targetILNS1_3genE2ELNS1_11target_archE906ELNS1_3gpuE6ELNS1_3repE0EEENS1_30default_config_static_selectorELNS0_4arch9wavefront6targetE1EEEvSD_ ; -- Begin function _ZN7rocprim17ROCPRIM_400000_NS6detail17trampoline_kernelINS0_14default_configENS1_22reduce_config_selectorIdEEZNS1_11reduce_implILb1ES3_PdS7_d9plus_mod3IdEEE10hipError_tPvRmT1_T2_T3_mT4_P12ihipStream_tbEUlT_E1_NS1_11comp_targetILNS1_3genE2ELNS1_11target_archE906ELNS1_3gpuE6ELNS1_3repE0EEENS1_30default_config_static_selectorELNS0_4arch9wavefront6targetE1EEEvSD_
	.globl	_ZN7rocprim17ROCPRIM_400000_NS6detail17trampoline_kernelINS0_14default_configENS1_22reduce_config_selectorIdEEZNS1_11reduce_implILb1ES3_PdS7_d9plus_mod3IdEEE10hipError_tPvRmT1_T2_T3_mT4_P12ihipStream_tbEUlT_E1_NS1_11comp_targetILNS1_3genE2ELNS1_11target_archE906ELNS1_3gpuE6ELNS1_3repE0EEENS1_30default_config_static_selectorELNS0_4arch9wavefront6targetE1EEEvSD_
	.p2align	8
	.type	_ZN7rocprim17ROCPRIM_400000_NS6detail17trampoline_kernelINS0_14default_configENS1_22reduce_config_selectorIdEEZNS1_11reduce_implILb1ES3_PdS7_d9plus_mod3IdEEE10hipError_tPvRmT1_T2_T3_mT4_P12ihipStream_tbEUlT_E1_NS1_11comp_targetILNS1_3genE2ELNS1_11target_archE906ELNS1_3gpuE6ELNS1_3repE0EEENS1_30default_config_static_selectorELNS0_4arch9wavefront6targetE1EEEvSD_,@function
_ZN7rocprim17ROCPRIM_400000_NS6detail17trampoline_kernelINS0_14default_configENS1_22reduce_config_selectorIdEEZNS1_11reduce_implILb1ES3_PdS7_d9plus_mod3IdEEE10hipError_tPvRmT1_T2_T3_mT4_P12ihipStream_tbEUlT_E1_NS1_11comp_targetILNS1_3genE2ELNS1_11target_archE906ELNS1_3gpuE6ELNS1_3repE0EEENS1_30default_config_static_selectorELNS0_4arch9wavefront6targetE1EEEvSD_: ; @_ZN7rocprim17ROCPRIM_400000_NS6detail17trampoline_kernelINS0_14default_configENS1_22reduce_config_selectorIdEEZNS1_11reduce_implILb1ES3_PdS7_d9plus_mod3IdEEE10hipError_tPvRmT1_T2_T3_mT4_P12ihipStream_tbEUlT_E1_NS1_11comp_targetILNS1_3genE2ELNS1_11target_archE906ELNS1_3gpuE6ELNS1_3repE0EEENS1_30default_config_static_selectorELNS0_4arch9wavefront6targetE1EEEvSD_
; %bb.0:
	.section	.rodata,"a",@progbits
	.p2align	6, 0x0
	.amdhsa_kernel _ZN7rocprim17ROCPRIM_400000_NS6detail17trampoline_kernelINS0_14default_configENS1_22reduce_config_selectorIdEEZNS1_11reduce_implILb1ES3_PdS7_d9plus_mod3IdEEE10hipError_tPvRmT1_T2_T3_mT4_P12ihipStream_tbEUlT_E1_NS1_11comp_targetILNS1_3genE2ELNS1_11target_archE906ELNS1_3gpuE6ELNS1_3repE0EEENS1_30default_config_static_selectorELNS0_4arch9wavefront6targetE1EEEvSD_
		.amdhsa_group_segment_fixed_size 0
		.amdhsa_private_segment_fixed_size 0
		.amdhsa_kernarg_size 48
		.amdhsa_user_sgpr_count 2
		.amdhsa_user_sgpr_dispatch_ptr 0
		.amdhsa_user_sgpr_queue_ptr 0
		.amdhsa_user_sgpr_kernarg_segment_ptr 1
		.amdhsa_user_sgpr_dispatch_id 0
		.amdhsa_user_sgpr_kernarg_preload_length 0
		.amdhsa_user_sgpr_kernarg_preload_offset 0
		.amdhsa_user_sgpr_private_segment_size 0
		.amdhsa_uses_dynamic_stack 0
		.amdhsa_enable_private_segment 0
		.amdhsa_system_sgpr_workgroup_id_x 1
		.amdhsa_system_sgpr_workgroup_id_y 0
		.amdhsa_system_sgpr_workgroup_id_z 0
		.amdhsa_system_sgpr_workgroup_info 0
		.amdhsa_system_vgpr_workitem_id 0
		.amdhsa_next_free_vgpr 1
		.amdhsa_next_free_sgpr 0
		.amdhsa_accum_offset 4
		.amdhsa_reserve_vcc 0
		.amdhsa_float_round_mode_32 0
		.amdhsa_float_round_mode_16_64 0
		.amdhsa_float_denorm_mode_32 3
		.amdhsa_float_denorm_mode_16_64 3
		.amdhsa_dx10_clamp 1
		.amdhsa_ieee_mode 1
		.amdhsa_fp16_overflow 0
		.amdhsa_tg_split 0
		.amdhsa_exception_fp_ieee_invalid_op 0
		.amdhsa_exception_fp_denorm_src 0
		.amdhsa_exception_fp_ieee_div_zero 0
		.amdhsa_exception_fp_ieee_overflow 0
		.amdhsa_exception_fp_ieee_underflow 0
		.amdhsa_exception_fp_ieee_inexact 0
		.amdhsa_exception_int_div_zero 0
	.end_amdhsa_kernel
	.section	.text._ZN7rocprim17ROCPRIM_400000_NS6detail17trampoline_kernelINS0_14default_configENS1_22reduce_config_selectorIdEEZNS1_11reduce_implILb1ES3_PdS7_d9plus_mod3IdEEE10hipError_tPvRmT1_T2_T3_mT4_P12ihipStream_tbEUlT_E1_NS1_11comp_targetILNS1_3genE2ELNS1_11target_archE906ELNS1_3gpuE6ELNS1_3repE0EEENS1_30default_config_static_selectorELNS0_4arch9wavefront6targetE1EEEvSD_,"axG",@progbits,_ZN7rocprim17ROCPRIM_400000_NS6detail17trampoline_kernelINS0_14default_configENS1_22reduce_config_selectorIdEEZNS1_11reduce_implILb1ES3_PdS7_d9plus_mod3IdEEE10hipError_tPvRmT1_T2_T3_mT4_P12ihipStream_tbEUlT_E1_NS1_11comp_targetILNS1_3genE2ELNS1_11target_archE906ELNS1_3gpuE6ELNS1_3repE0EEENS1_30default_config_static_selectorELNS0_4arch9wavefront6targetE1EEEvSD_,comdat
.Lfunc_end708:
	.size	_ZN7rocprim17ROCPRIM_400000_NS6detail17trampoline_kernelINS0_14default_configENS1_22reduce_config_selectorIdEEZNS1_11reduce_implILb1ES3_PdS7_d9plus_mod3IdEEE10hipError_tPvRmT1_T2_T3_mT4_P12ihipStream_tbEUlT_E1_NS1_11comp_targetILNS1_3genE2ELNS1_11target_archE906ELNS1_3gpuE6ELNS1_3repE0EEENS1_30default_config_static_selectorELNS0_4arch9wavefront6targetE1EEEvSD_, .Lfunc_end708-_ZN7rocprim17ROCPRIM_400000_NS6detail17trampoline_kernelINS0_14default_configENS1_22reduce_config_selectorIdEEZNS1_11reduce_implILb1ES3_PdS7_d9plus_mod3IdEEE10hipError_tPvRmT1_T2_T3_mT4_P12ihipStream_tbEUlT_E1_NS1_11comp_targetILNS1_3genE2ELNS1_11target_archE906ELNS1_3gpuE6ELNS1_3repE0EEENS1_30default_config_static_selectorELNS0_4arch9wavefront6targetE1EEEvSD_
                                        ; -- End function
	.set _ZN7rocprim17ROCPRIM_400000_NS6detail17trampoline_kernelINS0_14default_configENS1_22reduce_config_selectorIdEEZNS1_11reduce_implILb1ES3_PdS7_d9plus_mod3IdEEE10hipError_tPvRmT1_T2_T3_mT4_P12ihipStream_tbEUlT_E1_NS1_11comp_targetILNS1_3genE2ELNS1_11target_archE906ELNS1_3gpuE6ELNS1_3repE0EEENS1_30default_config_static_selectorELNS0_4arch9wavefront6targetE1EEEvSD_.num_vgpr, 0
	.set _ZN7rocprim17ROCPRIM_400000_NS6detail17trampoline_kernelINS0_14default_configENS1_22reduce_config_selectorIdEEZNS1_11reduce_implILb1ES3_PdS7_d9plus_mod3IdEEE10hipError_tPvRmT1_T2_T3_mT4_P12ihipStream_tbEUlT_E1_NS1_11comp_targetILNS1_3genE2ELNS1_11target_archE906ELNS1_3gpuE6ELNS1_3repE0EEENS1_30default_config_static_selectorELNS0_4arch9wavefront6targetE1EEEvSD_.num_agpr, 0
	.set _ZN7rocprim17ROCPRIM_400000_NS6detail17trampoline_kernelINS0_14default_configENS1_22reduce_config_selectorIdEEZNS1_11reduce_implILb1ES3_PdS7_d9plus_mod3IdEEE10hipError_tPvRmT1_T2_T3_mT4_P12ihipStream_tbEUlT_E1_NS1_11comp_targetILNS1_3genE2ELNS1_11target_archE906ELNS1_3gpuE6ELNS1_3repE0EEENS1_30default_config_static_selectorELNS0_4arch9wavefront6targetE1EEEvSD_.numbered_sgpr, 0
	.set _ZN7rocprim17ROCPRIM_400000_NS6detail17trampoline_kernelINS0_14default_configENS1_22reduce_config_selectorIdEEZNS1_11reduce_implILb1ES3_PdS7_d9plus_mod3IdEEE10hipError_tPvRmT1_T2_T3_mT4_P12ihipStream_tbEUlT_E1_NS1_11comp_targetILNS1_3genE2ELNS1_11target_archE906ELNS1_3gpuE6ELNS1_3repE0EEENS1_30default_config_static_selectorELNS0_4arch9wavefront6targetE1EEEvSD_.num_named_barrier, 0
	.set _ZN7rocprim17ROCPRIM_400000_NS6detail17trampoline_kernelINS0_14default_configENS1_22reduce_config_selectorIdEEZNS1_11reduce_implILb1ES3_PdS7_d9plus_mod3IdEEE10hipError_tPvRmT1_T2_T3_mT4_P12ihipStream_tbEUlT_E1_NS1_11comp_targetILNS1_3genE2ELNS1_11target_archE906ELNS1_3gpuE6ELNS1_3repE0EEENS1_30default_config_static_selectorELNS0_4arch9wavefront6targetE1EEEvSD_.private_seg_size, 0
	.set _ZN7rocprim17ROCPRIM_400000_NS6detail17trampoline_kernelINS0_14default_configENS1_22reduce_config_selectorIdEEZNS1_11reduce_implILb1ES3_PdS7_d9plus_mod3IdEEE10hipError_tPvRmT1_T2_T3_mT4_P12ihipStream_tbEUlT_E1_NS1_11comp_targetILNS1_3genE2ELNS1_11target_archE906ELNS1_3gpuE6ELNS1_3repE0EEENS1_30default_config_static_selectorELNS0_4arch9wavefront6targetE1EEEvSD_.uses_vcc, 0
	.set _ZN7rocprim17ROCPRIM_400000_NS6detail17trampoline_kernelINS0_14default_configENS1_22reduce_config_selectorIdEEZNS1_11reduce_implILb1ES3_PdS7_d9plus_mod3IdEEE10hipError_tPvRmT1_T2_T3_mT4_P12ihipStream_tbEUlT_E1_NS1_11comp_targetILNS1_3genE2ELNS1_11target_archE906ELNS1_3gpuE6ELNS1_3repE0EEENS1_30default_config_static_selectorELNS0_4arch9wavefront6targetE1EEEvSD_.uses_flat_scratch, 0
	.set _ZN7rocprim17ROCPRIM_400000_NS6detail17trampoline_kernelINS0_14default_configENS1_22reduce_config_selectorIdEEZNS1_11reduce_implILb1ES3_PdS7_d9plus_mod3IdEEE10hipError_tPvRmT1_T2_T3_mT4_P12ihipStream_tbEUlT_E1_NS1_11comp_targetILNS1_3genE2ELNS1_11target_archE906ELNS1_3gpuE6ELNS1_3repE0EEENS1_30default_config_static_selectorELNS0_4arch9wavefront6targetE1EEEvSD_.has_dyn_sized_stack, 0
	.set _ZN7rocprim17ROCPRIM_400000_NS6detail17trampoline_kernelINS0_14default_configENS1_22reduce_config_selectorIdEEZNS1_11reduce_implILb1ES3_PdS7_d9plus_mod3IdEEE10hipError_tPvRmT1_T2_T3_mT4_P12ihipStream_tbEUlT_E1_NS1_11comp_targetILNS1_3genE2ELNS1_11target_archE906ELNS1_3gpuE6ELNS1_3repE0EEENS1_30default_config_static_selectorELNS0_4arch9wavefront6targetE1EEEvSD_.has_recursion, 0
	.set _ZN7rocprim17ROCPRIM_400000_NS6detail17trampoline_kernelINS0_14default_configENS1_22reduce_config_selectorIdEEZNS1_11reduce_implILb1ES3_PdS7_d9plus_mod3IdEEE10hipError_tPvRmT1_T2_T3_mT4_P12ihipStream_tbEUlT_E1_NS1_11comp_targetILNS1_3genE2ELNS1_11target_archE906ELNS1_3gpuE6ELNS1_3repE0EEENS1_30default_config_static_selectorELNS0_4arch9wavefront6targetE1EEEvSD_.has_indirect_call, 0
	.section	.AMDGPU.csdata,"",@progbits
; Kernel info:
; codeLenInByte = 0
; TotalNumSgprs: 6
; NumVgprs: 0
; NumAgprs: 0
; TotalNumVgprs: 0
; ScratchSize: 0
; MemoryBound: 0
; FloatMode: 240
; IeeeMode: 1
; LDSByteSize: 0 bytes/workgroup (compile time only)
; SGPRBlocks: 0
; VGPRBlocks: 0
; NumSGPRsForWavesPerEU: 6
; NumVGPRsForWavesPerEU: 1
; AccumOffset: 4
; Occupancy: 8
; WaveLimiterHint : 0
; COMPUTE_PGM_RSRC2:SCRATCH_EN: 0
; COMPUTE_PGM_RSRC2:USER_SGPR: 2
; COMPUTE_PGM_RSRC2:TRAP_HANDLER: 0
; COMPUTE_PGM_RSRC2:TGID_X_EN: 1
; COMPUTE_PGM_RSRC2:TGID_Y_EN: 0
; COMPUTE_PGM_RSRC2:TGID_Z_EN: 0
; COMPUTE_PGM_RSRC2:TIDIG_COMP_CNT: 0
; COMPUTE_PGM_RSRC3_GFX90A:ACCUM_OFFSET: 0
; COMPUTE_PGM_RSRC3_GFX90A:TG_SPLIT: 0
	.section	.text._ZN7rocprim17ROCPRIM_400000_NS6detail17trampoline_kernelINS0_14default_configENS1_22reduce_config_selectorIdEEZNS1_11reduce_implILb1ES3_PdS7_d9plus_mod3IdEEE10hipError_tPvRmT1_T2_T3_mT4_P12ihipStream_tbEUlT_E1_NS1_11comp_targetILNS1_3genE10ELNS1_11target_archE1201ELNS1_3gpuE5ELNS1_3repE0EEENS1_30default_config_static_selectorELNS0_4arch9wavefront6targetE1EEEvSD_,"axG",@progbits,_ZN7rocprim17ROCPRIM_400000_NS6detail17trampoline_kernelINS0_14default_configENS1_22reduce_config_selectorIdEEZNS1_11reduce_implILb1ES3_PdS7_d9plus_mod3IdEEE10hipError_tPvRmT1_T2_T3_mT4_P12ihipStream_tbEUlT_E1_NS1_11comp_targetILNS1_3genE10ELNS1_11target_archE1201ELNS1_3gpuE5ELNS1_3repE0EEENS1_30default_config_static_selectorELNS0_4arch9wavefront6targetE1EEEvSD_,comdat
	.protected	_ZN7rocprim17ROCPRIM_400000_NS6detail17trampoline_kernelINS0_14default_configENS1_22reduce_config_selectorIdEEZNS1_11reduce_implILb1ES3_PdS7_d9plus_mod3IdEEE10hipError_tPvRmT1_T2_T3_mT4_P12ihipStream_tbEUlT_E1_NS1_11comp_targetILNS1_3genE10ELNS1_11target_archE1201ELNS1_3gpuE5ELNS1_3repE0EEENS1_30default_config_static_selectorELNS0_4arch9wavefront6targetE1EEEvSD_ ; -- Begin function _ZN7rocprim17ROCPRIM_400000_NS6detail17trampoline_kernelINS0_14default_configENS1_22reduce_config_selectorIdEEZNS1_11reduce_implILb1ES3_PdS7_d9plus_mod3IdEEE10hipError_tPvRmT1_T2_T3_mT4_P12ihipStream_tbEUlT_E1_NS1_11comp_targetILNS1_3genE10ELNS1_11target_archE1201ELNS1_3gpuE5ELNS1_3repE0EEENS1_30default_config_static_selectorELNS0_4arch9wavefront6targetE1EEEvSD_
	.globl	_ZN7rocprim17ROCPRIM_400000_NS6detail17trampoline_kernelINS0_14default_configENS1_22reduce_config_selectorIdEEZNS1_11reduce_implILb1ES3_PdS7_d9plus_mod3IdEEE10hipError_tPvRmT1_T2_T3_mT4_P12ihipStream_tbEUlT_E1_NS1_11comp_targetILNS1_3genE10ELNS1_11target_archE1201ELNS1_3gpuE5ELNS1_3repE0EEENS1_30default_config_static_selectorELNS0_4arch9wavefront6targetE1EEEvSD_
	.p2align	8
	.type	_ZN7rocprim17ROCPRIM_400000_NS6detail17trampoline_kernelINS0_14default_configENS1_22reduce_config_selectorIdEEZNS1_11reduce_implILb1ES3_PdS7_d9plus_mod3IdEEE10hipError_tPvRmT1_T2_T3_mT4_P12ihipStream_tbEUlT_E1_NS1_11comp_targetILNS1_3genE10ELNS1_11target_archE1201ELNS1_3gpuE5ELNS1_3repE0EEENS1_30default_config_static_selectorELNS0_4arch9wavefront6targetE1EEEvSD_,@function
_ZN7rocprim17ROCPRIM_400000_NS6detail17trampoline_kernelINS0_14default_configENS1_22reduce_config_selectorIdEEZNS1_11reduce_implILb1ES3_PdS7_d9plus_mod3IdEEE10hipError_tPvRmT1_T2_T3_mT4_P12ihipStream_tbEUlT_E1_NS1_11comp_targetILNS1_3genE10ELNS1_11target_archE1201ELNS1_3gpuE5ELNS1_3repE0EEENS1_30default_config_static_selectorELNS0_4arch9wavefront6targetE1EEEvSD_: ; @_ZN7rocprim17ROCPRIM_400000_NS6detail17trampoline_kernelINS0_14default_configENS1_22reduce_config_selectorIdEEZNS1_11reduce_implILb1ES3_PdS7_d9plus_mod3IdEEE10hipError_tPvRmT1_T2_T3_mT4_P12ihipStream_tbEUlT_E1_NS1_11comp_targetILNS1_3genE10ELNS1_11target_archE1201ELNS1_3gpuE5ELNS1_3repE0EEENS1_30default_config_static_selectorELNS0_4arch9wavefront6targetE1EEEvSD_
; %bb.0:
	.section	.rodata,"a",@progbits
	.p2align	6, 0x0
	.amdhsa_kernel _ZN7rocprim17ROCPRIM_400000_NS6detail17trampoline_kernelINS0_14default_configENS1_22reduce_config_selectorIdEEZNS1_11reduce_implILb1ES3_PdS7_d9plus_mod3IdEEE10hipError_tPvRmT1_T2_T3_mT4_P12ihipStream_tbEUlT_E1_NS1_11comp_targetILNS1_3genE10ELNS1_11target_archE1201ELNS1_3gpuE5ELNS1_3repE0EEENS1_30default_config_static_selectorELNS0_4arch9wavefront6targetE1EEEvSD_
		.amdhsa_group_segment_fixed_size 0
		.amdhsa_private_segment_fixed_size 0
		.amdhsa_kernarg_size 48
		.amdhsa_user_sgpr_count 2
		.amdhsa_user_sgpr_dispatch_ptr 0
		.amdhsa_user_sgpr_queue_ptr 0
		.amdhsa_user_sgpr_kernarg_segment_ptr 1
		.amdhsa_user_sgpr_dispatch_id 0
		.amdhsa_user_sgpr_kernarg_preload_length 0
		.amdhsa_user_sgpr_kernarg_preload_offset 0
		.amdhsa_user_sgpr_private_segment_size 0
		.amdhsa_uses_dynamic_stack 0
		.amdhsa_enable_private_segment 0
		.amdhsa_system_sgpr_workgroup_id_x 1
		.amdhsa_system_sgpr_workgroup_id_y 0
		.amdhsa_system_sgpr_workgroup_id_z 0
		.amdhsa_system_sgpr_workgroup_info 0
		.amdhsa_system_vgpr_workitem_id 0
		.amdhsa_next_free_vgpr 1
		.amdhsa_next_free_sgpr 0
		.amdhsa_accum_offset 4
		.amdhsa_reserve_vcc 0
		.amdhsa_float_round_mode_32 0
		.amdhsa_float_round_mode_16_64 0
		.amdhsa_float_denorm_mode_32 3
		.amdhsa_float_denorm_mode_16_64 3
		.amdhsa_dx10_clamp 1
		.amdhsa_ieee_mode 1
		.amdhsa_fp16_overflow 0
		.amdhsa_tg_split 0
		.amdhsa_exception_fp_ieee_invalid_op 0
		.amdhsa_exception_fp_denorm_src 0
		.amdhsa_exception_fp_ieee_div_zero 0
		.amdhsa_exception_fp_ieee_overflow 0
		.amdhsa_exception_fp_ieee_underflow 0
		.amdhsa_exception_fp_ieee_inexact 0
		.amdhsa_exception_int_div_zero 0
	.end_amdhsa_kernel
	.section	.text._ZN7rocprim17ROCPRIM_400000_NS6detail17trampoline_kernelINS0_14default_configENS1_22reduce_config_selectorIdEEZNS1_11reduce_implILb1ES3_PdS7_d9plus_mod3IdEEE10hipError_tPvRmT1_T2_T3_mT4_P12ihipStream_tbEUlT_E1_NS1_11comp_targetILNS1_3genE10ELNS1_11target_archE1201ELNS1_3gpuE5ELNS1_3repE0EEENS1_30default_config_static_selectorELNS0_4arch9wavefront6targetE1EEEvSD_,"axG",@progbits,_ZN7rocprim17ROCPRIM_400000_NS6detail17trampoline_kernelINS0_14default_configENS1_22reduce_config_selectorIdEEZNS1_11reduce_implILb1ES3_PdS7_d9plus_mod3IdEEE10hipError_tPvRmT1_T2_T3_mT4_P12ihipStream_tbEUlT_E1_NS1_11comp_targetILNS1_3genE10ELNS1_11target_archE1201ELNS1_3gpuE5ELNS1_3repE0EEENS1_30default_config_static_selectorELNS0_4arch9wavefront6targetE1EEEvSD_,comdat
.Lfunc_end709:
	.size	_ZN7rocprim17ROCPRIM_400000_NS6detail17trampoline_kernelINS0_14default_configENS1_22reduce_config_selectorIdEEZNS1_11reduce_implILb1ES3_PdS7_d9plus_mod3IdEEE10hipError_tPvRmT1_T2_T3_mT4_P12ihipStream_tbEUlT_E1_NS1_11comp_targetILNS1_3genE10ELNS1_11target_archE1201ELNS1_3gpuE5ELNS1_3repE0EEENS1_30default_config_static_selectorELNS0_4arch9wavefront6targetE1EEEvSD_, .Lfunc_end709-_ZN7rocprim17ROCPRIM_400000_NS6detail17trampoline_kernelINS0_14default_configENS1_22reduce_config_selectorIdEEZNS1_11reduce_implILb1ES3_PdS7_d9plus_mod3IdEEE10hipError_tPvRmT1_T2_T3_mT4_P12ihipStream_tbEUlT_E1_NS1_11comp_targetILNS1_3genE10ELNS1_11target_archE1201ELNS1_3gpuE5ELNS1_3repE0EEENS1_30default_config_static_selectorELNS0_4arch9wavefront6targetE1EEEvSD_
                                        ; -- End function
	.set _ZN7rocprim17ROCPRIM_400000_NS6detail17trampoline_kernelINS0_14default_configENS1_22reduce_config_selectorIdEEZNS1_11reduce_implILb1ES3_PdS7_d9plus_mod3IdEEE10hipError_tPvRmT1_T2_T3_mT4_P12ihipStream_tbEUlT_E1_NS1_11comp_targetILNS1_3genE10ELNS1_11target_archE1201ELNS1_3gpuE5ELNS1_3repE0EEENS1_30default_config_static_selectorELNS0_4arch9wavefront6targetE1EEEvSD_.num_vgpr, 0
	.set _ZN7rocprim17ROCPRIM_400000_NS6detail17trampoline_kernelINS0_14default_configENS1_22reduce_config_selectorIdEEZNS1_11reduce_implILb1ES3_PdS7_d9plus_mod3IdEEE10hipError_tPvRmT1_T2_T3_mT4_P12ihipStream_tbEUlT_E1_NS1_11comp_targetILNS1_3genE10ELNS1_11target_archE1201ELNS1_3gpuE5ELNS1_3repE0EEENS1_30default_config_static_selectorELNS0_4arch9wavefront6targetE1EEEvSD_.num_agpr, 0
	.set _ZN7rocprim17ROCPRIM_400000_NS6detail17trampoline_kernelINS0_14default_configENS1_22reduce_config_selectorIdEEZNS1_11reduce_implILb1ES3_PdS7_d9plus_mod3IdEEE10hipError_tPvRmT1_T2_T3_mT4_P12ihipStream_tbEUlT_E1_NS1_11comp_targetILNS1_3genE10ELNS1_11target_archE1201ELNS1_3gpuE5ELNS1_3repE0EEENS1_30default_config_static_selectorELNS0_4arch9wavefront6targetE1EEEvSD_.numbered_sgpr, 0
	.set _ZN7rocprim17ROCPRIM_400000_NS6detail17trampoline_kernelINS0_14default_configENS1_22reduce_config_selectorIdEEZNS1_11reduce_implILb1ES3_PdS7_d9plus_mod3IdEEE10hipError_tPvRmT1_T2_T3_mT4_P12ihipStream_tbEUlT_E1_NS1_11comp_targetILNS1_3genE10ELNS1_11target_archE1201ELNS1_3gpuE5ELNS1_3repE0EEENS1_30default_config_static_selectorELNS0_4arch9wavefront6targetE1EEEvSD_.num_named_barrier, 0
	.set _ZN7rocprim17ROCPRIM_400000_NS6detail17trampoline_kernelINS0_14default_configENS1_22reduce_config_selectorIdEEZNS1_11reduce_implILb1ES3_PdS7_d9plus_mod3IdEEE10hipError_tPvRmT1_T2_T3_mT4_P12ihipStream_tbEUlT_E1_NS1_11comp_targetILNS1_3genE10ELNS1_11target_archE1201ELNS1_3gpuE5ELNS1_3repE0EEENS1_30default_config_static_selectorELNS0_4arch9wavefront6targetE1EEEvSD_.private_seg_size, 0
	.set _ZN7rocprim17ROCPRIM_400000_NS6detail17trampoline_kernelINS0_14default_configENS1_22reduce_config_selectorIdEEZNS1_11reduce_implILb1ES3_PdS7_d9plus_mod3IdEEE10hipError_tPvRmT1_T2_T3_mT4_P12ihipStream_tbEUlT_E1_NS1_11comp_targetILNS1_3genE10ELNS1_11target_archE1201ELNS1_3gpuE5ELNS1_3repE0EEENS1_30default_config_static_selectorELNS0_4arch9wavefront6targetE1EEEvSD_.uses_vcc, 0
	.set _ZN7rocprim17ROCPRIM_400000_NS6detail17trampoline_kernelINS0_14default_configENS1_22reduce_config_selectorIdEEZNS1_11reduce_implILb1ES3_PdS7_d9plus_mod3IdEEE10hipError_tPvRmT1_T2_T3_mT4_P12ihipStream_tbEUlT_E1_NS1_11comp_targetILNS1_3genE10ELNS1_11target_archE1201ELNS1_3gpuE5ELNS1_3repE0EEENS1_30default_config_static_selectorELNS0_4arch9wavefront6targetE1EEEvSD_.uses_flat_scratch, 0
	.set _ZN7rocprim17ROCPRIM_400000_NS6detail17trampoline_kernelINS0_14default_configENS1_22reduce_config_selectorIdEEZNS1_11reduce_implILb1ES3_PdS7_d9plus_mod3IdEEE10hipError_tPvRmT1_T2_T3_mT4_P12ihipStream_tbEUlT_E1_NS1_11comp_targetILNS1_3genE10ELNS1_11target_archE1201ELNS1_3gpuE5ELNS1_3repE0EEENS1_30default_config_static_selectorELNS0_4arch9wavefront6targetE1EEEvSD_.has_dyn_sized_stack, 0
	.set _ZN7rocprim17ROCPRIM_400000_NS6detail17trampoline_kernelINS0_14default_configENS1_22reduce_config_selectorIdEEZNS1_11reduce_implILb1ES3_PdS7_d9plus_mod3IdEEE10hipError_tPvRmT1_T2_T3_mT4_P12ihipStream_tbEUlT_E1_NS1_11comp_targetILNS1_3genE10ELNS1_11target_archE1201ELNS1_3gpuE5ELNS1_3repE0EEENS1_30default_config_static_selectorELNS0_4arch9wavefront6targetE1EEEvSD_.has_recursion, 0
	.set _ZN7rocprim17ROCPRIM_400000_NS6detail17trampoline_kernelINS0_14default_configENS1_22reduce_config_selectorIdEEZNS1_11reduce_implILb1ES3_PdS7_d9plus_mod3IdEEE10hipError_tPvRmT1_T2_T3_mT4_P12ihipStream_tbEUlT_E1_NS1_11comp_targetILNS1_3genE10ELNS1_11target_archE1201ELNS1_3gpuE5ELNS1_3repE0EEENS1_30default_config_static_selectorELNS0_4arch9wavefront6targetE1EEEvSD_.has_indirect_call, 0
	.section	.AMDGPU.csdata,"",@progbits
; Kernel info:
; codeLenInByte = 0
; TotalNumSgprs: 6
; NumVgprs: 0
; NumAgprs: 0
; TotalNumVgprs: 0
; ScratchSize: 0
; MemoryBound: 0
; FloatMode: 240
; IeeeMode: 1
; LDSByteSize: 0 bytes/workgroup (compile time only)
; SGPRBlocks: 0
; VGPRBlocks: 0
; NumSGPRsForWavesPerEU: 6
; NumVGPRsForWavesPerEU: 1
; AccumOffset: 4
; Occupancy: 8
; WaveLimiterHint : 0
; COMPUTE_PGM_RSRC2:SCRATCH_EN: 0
; COMPUTE_PGM_RSRC2:USER_SGPR: 2
; COMPUTE_PGM_RSRC2:TRAP_HANDLER: 0
; COMPUTE_PGM_RSRC2:TGID_X_EN: 1
; COMPUTE_PGM_RSRC2:TGID_Y_EN: 0
; COMPUTE_PGM_RSRC2:TGID_Z_EN: 0
; COMPUTE_PGM_RSRC2:TIDIG_COMP_CNT: 0
; COMPUTE_PGM_RSRC3_GFX90A:ACCUM_OFFSET: 0
; COMPUTE_PGM_RSRC3_GFX90A:TG_SPLIT: 0
	.section	.text._ZN7rocprim17ROCPRIM_400000_NS6detail17trampoline_kernelINS0_14default_configENS1_22reduce_config_selectorIdEEZNS1_11reduce_implILb1ES3_PdS7_d9plus_mod3IdEEE10hipError_tPvRmT1_T2_T3_mT4_P12ihipStream_tbEUlT_E1_NS1_11comp_targetILNS1_3genE10ELNS1_11target_archE1200ELNS1_3gpuE4ELNS1_3repE0EEENS1_30default_config_static_selectorELNS0_4arch9wavefront6targetE1EEEvSD_,"axG",@progbits,_ZN7rocprim17ROCPRIM_400000_NS6detail17trampoline_kernelINS0_14default_configENS1_22reduce_config_selectorIdEEZNS1_11reduce_implILb1ES3_PdS7_d9plus_mod3IdEEE10hipError_tPvRmT1_T2_T3_mT4_P12ihipStream_tbEUlT_E1_NS1_11comp_targetILNS1_3genE10ELNS1_11target_archE1200ELNS1_3gpuE4ELNS1_3repE0EEENS1_30default_config_static_selectorELNS0_4arch9wavefront6targetE1EEEvSD_,comdat
	.protected	_ZN7rocprim17ROCPRIM_400000_NS6detail17trampoline_kernelINS0_14default_configENS1_22reduce_config_selectorIdEEZNS1_11reduce_implILb1ES3_PdS7_d9plus_mod3IdEEE10hipError_tPvRmT1_T2_T3_mT4_P12ihipStream_tbEUlT_E1_NS1_11comp_targetILNS1_3genE10ELNS1_11target_archE1200ELNS1_3gpuE4ELNS1_3repE0EEENS1_30default_config_static_selectorELNS0_4arch9wavefront6targetE1EEEvSD_ ; -- Begin function _ZN7rocprim17ROCPRIM_400000_NS6detail17trampoline_kernelINS0_14default_configENS1_22reduce_config_selectorIdEEZNS1_11reduce_implILb1ES3_PdS7_d9plus_mod3IdEEE10hipError_tPvRmT1_T2_T3_mT4_P12ihipStream_tbEUlT_E1_NS1_11comp_targetILNS1_3genE10ELNS1_11target_archE1200ELNS1_3gpuE4ELNS1_3repE0EEENS1_30default_config_static_selectorELNS0_4arch9wavefront6targetE1EEEvSD_
	.globl	_ZN7rocprim17ROCPRIM_400000_NS6detail17trampoline_kernelINS0_14default_configENS1_22reduce_config_selectorIdEEZNS1_11reduce_implILb1ES3_PdS7_d9plus_mod3IdEEE10hipError_tPvRmT1_T2_T3_mT4_P12ihipStream_tbEUlT_E1_NS1_11comp_targetILNS1_3genE10ELNS1_11target_archE1200ELNS1_3gpuE4ELNS1_3repE0EEENS1_30default_config_static_selectorELNS0_4arch9wavefront6targetE1EEEvSD_
	.p2align	8
	.type	_ZN7rocprim17ROCPRIM_400000_NS6detail17trampoline_kernelINS0_14default_configENS1_22reduce_config_selectorIdEEZNS1_11reduce_implILb1ES3_PdS7_d9plus_mod3IdEEE10hipError_tPvRmT1_T2_T3_mT4_P12ihipStream_tbEUlT_E1_NS1_11comp_targetILNS1_3genE10ELNS1_11target_archE1200ELNS1_3gpuE4ELNS1_3repE0EEENS1_30default_config_static_selectorELNS0_4arch9wavefront6targetE1EEEvSD_,@function
_ZN7rocprim17ROCPRIM_400000_NS6detail17trampoline_kernelINS0_14default_configENS1_22reduce_config_selectorIdEEZNS1_11reduce_implILb1ES3_PdS7_d9plus_mod3IdEEE10hipError_tPvRmT1_T2_T3_mT4_P12ihipStream_tbEUlT_E1_NS1_11comp_targetILNS1_3genE10ELNS1_11target_archE1200ELNS1_3gpuE4ELNS1_3repE0EEENS1_30default_config_static_selectorELNS0_4arch9wavefront6targetE1EEEvSD_: ; @_ZN7rocprim17ROCPRIM_400000_NS6detail17trampoline_kernelINS0_14default_configENS1_22reduce_config_selectorIdEEZNS1_11reduce_implILb1ES3_PdS7_d9plus_mod3IdEEE10hipError_tPvRmT1_T2_T3_mT4_P12ihipStream_tbEUlT_E1_NS1_11comp_targetILNS1_3genE10ELNS1_11target_archE1200ELNS1_3gpuE4ELNS1_3repE0EEENS1_30default_config_static_selectorELNS0_4arch9wavefront6targetE1EEEvSD_
; %bb.0:
	.section	.rodata,"a",@progbits
	.p2align	6, 0x0
	.amdhsa_kernel _ZN7rocprim17ROCPRIM_400000_NS6detail17trampoline_kernelINS0_14default_configENS1_22reduce_config_selectorIdEEZNS1_11reduce_implILb1ES3_PdS7_d9plus_mod3IdEEE10hipError_tPvRmT1_T2_T3_mT4_P12ihipStream_tbEUlT_E1_NS1_11comp_targetILNS1_3genE10ELNS1_11target_archE1200ELNS1_3gpuE4ELNS1_3repE0EEENS1_30default_config_static_selectorELNS0_4arch9wavefront6targetE1EEEvSD_
		.amdhsa_group_segment_fixed_size 0
		.amdhsa_private_segment_fixed_size 0
		.amdhsa_kernarg_size 48
		.amdhsa_user_sgpr_count 2
		.amdhsa_user_sgpr_dispatch_ptr 0
		.amdhsa_user_sgpr_queue_ptr 0
		.amdhsa_user_sgpr_kernarg_segment_ptr 1
		.amdhsa_user_sgpr_dispatch_id 0
		.amdhsa_user_sgpr_kernarg_preload_length 0
		.amdhsa_user_sgpr_kernarg_preload_offset 0
		.amdhsa_user_sgpr_private_segment_size 0
		.amdhsa_uses_dynamic_stack 0
		.amdhsa_enable_private_segment 0
		.amdhsa_system_sgpr_workgroup_id_x 1
		.amdhsa_system_sgpr_workgroup_id_y 0
		.amdhsa_system_sgpr_workgroup_id_z 0
		.amdhsa_system_sgpr_workgroup_info 0
		.amdhsa_system_vgpr_workitem_id 0
		.amdhsa_next_free_vgpr 1
		.amdhsa_next_free_sgpr 0
		.amdhsa_accum_offset 4
		.amdhsa_reserve_vcc 0
		.amdhsa_float_round_mode_32 0
		.amdhsa_float_round_mode_16_64 0
		.amdhsa_float_denorm_mode_32 3
		.amdhsa_float_denorm_mode_16_64 3
		.amdhsa_dx10_clamp 1
		.amdhsa_ieee_mode 1
		.amdhsa_fp16_overflow 0
		.amdhsa_tg_split 0
		.amdhsa_exception_fp_ieee_invalid_op 0
		.amdhsa_exception_fp_denorm_src 0
		.amdhsa_exception_fp_ieee_div_zero 0
		.amdhsa_exception_fp_ieee_overflow 0
		.amdhsa_exception_fp_ieee_underflow 0
		.amdhsa_exception_fp_ieee_inexact 0
		.amdhsa_exception_int_div_zero 0
	.end_amdhsa_kernel
	.section	.text._ZN7rocprim17ROCPRIM_400000_NS6detail17trampoline_kernelINS0_14default_configENS1_22reduce_config_selectorIdEEZNS1_11reduce_implILb1ES3_PdS7_d9plus_mod3IdEEE10hipError_tPvRmT1_T2_T3_mT4_P12ihipStream_tbEUlT_E1_NS1_11comp_targetILNS1_3genE10ELNS1_11target_archE1200ELNS1_3gpuE4ELNS1_3repE0EEENS1_30default_config_static_selectorELNS0_4arch9wavefront6targetE1EEEvSD_,"axG",@progbits,_ZN7rocprim17ROCPRIM_400000_NS6detail17trampoline_kernelINS0_14default_configENS1_22reduce_config_selectorIdEEZNS1_11reduce_implILb1ES3_PdS7_d9plus_mod3IdEEE10hipError_tPvRmT1_T2_T3_mT4_P12ihipStream_tbEUlT_E1_NS1_11comp_targetILNS1_3genE10ELNS1_11target_archE1200ELNS1_3gpuE4ELNS1_3repE0EEENS1_30default_config_static_selectorELNS0_4arch9wavefront6targetE1EEEvSD_,comdat
.Lfunc_end710:
	.size	_ZN7rocprim17ROCPRIM_400000_NS6detail17trampoline_kernelINS0_14default_configENS1_22reduce_config_selectorIdEEZNS1_11reduce_implILb1ES3_PdS7_d9plus_mod3IdEEE10hipError_tPvRmT1_T2_T3_mT4_P12ihipStream_tbEUlT_E1_NS1_11comp_targetILNS1_3genE10ELNS1_11target_archE1200ELNS1_3gpuE4ELNS1_3repE0EEENS1_30default_config_static_selectorELNS0_4arch9wavefront6targetE1EEEvSD_, .Lfunc_end710-_ZN7rocprim17ROCPRIM_400000_NS6detail17trampoline_kernelINS0_14default_configENS1_22reduce_config_selectorIdEEZNS1_11reduce_implILb1ES3_PdS7_d9plus_mod3IdEEE10hipError_tPvRmT1_T2_T3_mT4_P12ihipStream_tbEUlT_E1_NS1_11comp_targetILNS1_3genE10ELNS1_11target_archE1200ELNS1_3gpuE4ELNS1_3repE0EEENS1_30default_config_static_selectorELNS0_4arch9wavefront6targetE1EEEvSD_
                                        ; -- End function
	.set _ZN7rocprim17ROCPRIM_400000_NS6detail17trampoline_kernelINS0_14default_configENS1_22reduce_config_selectorIdEEZNS1_11reduce_implILb1ES3_PdS7_d9plus_mod3IdEEE10hipError_tPvRmT1_T2_T3_mT4_P12ihipStream_tbEUlT_E1_NS1_11comp_targetILNS1_3genE10ELNS1_11target_archE1200ELNS1_3gpuE4ELNS1_3repE0EEENS1_30default_config_static_selectorELNS0_4arch9wavefront6targetE1EEEvSD_.num_vgpr, 0
	.set _ZN7rocprim17ROCPRIM_400000_NS6detail17trampoline_kernelINS0_14default_configENS1_22reduce_config_selectorIdEEZNS1_11reduce_implILb1ES3_PdS7_d9plus_mod3IdEEE10hipError_tPvRmT1_T2_T3_mT4_P12ihipStream_tbEUlT_E1_NS1_11comp_targetILNS1_3genE10ELNS1_11target_archE1200ELNS1_3gpuE4ELNS1_3repE0EEENS1_30default_config_static_selectorELNS0_4arch9wavefront6targetE1EEEvSD_.num_agpr, 0
	.set _ZN7rocprim17ROCPRIM_400000_NS6detail17trampoline_kernelINS0_14default_configENS1_22reduce_config_selectorIdEEZNS1_11reduce_implILb1ES3_PdS7_d9plus_mod3IdEEE10hipError_tPvRmT1_T2_T3_mT4_P12ihipStream_tbEUlT_E1_NS1_11comp_targetILNS1_3genE10ELNS1_11target_archE1200ELNS1_3gpuE4ELNS1_3repE0EEENS1_30default_config_static_selectorELNS0_4arch9wavefront6targetE1EEEvSD_.numbered_sgpr, 0
	.set _ZN7rocprim17ROCPRIM_400000_NS6detail17trampoline_kernelINS0_14default_configENS1_22reduce_config_selectorIdEEZNS1_11reduce_implILb1ES3_PdS7_d9plus_mod3IdEEE10hipError_tPvRmT1_T2_T3_mT4_P12ihipStream_tbEUlT_E1_NS1_11comp_targetILNS1_3genE10ELNS1_11target_archE1200ELNS1_3gpuE4ELNS1_3repE0EEENS1_30default_config_static_selectorELNS0_4arch9wavefront6targetE1EEEvSD_.num_named_barrier, 0
	.set _ZN7rocprim17ROCPRIM_400000_NS6detail17trampoline_kernelINS0_14default_configENS1_22reduce_config_selectorIdEEZNS1_11reduce_implILb1ES3_PdS7_d9plus_mod3IdEEE10hipError_tPvRmT1_T2_T3_mT4_P12ihipStream_tbEUlT_E1_NS1_11comp_targetILNS1_3genE10ELNS1_11target_archE1200ELNS1_3gpuE4ELNS1_3repE0EEENS1_30default_config_static_selectorELNS0_4arch9wavefront6targetE1EEEvSD_.private_seg_size, 0
	.set _ZN7rocprim17ROCPRIM_400000_NS6detail17trampoline_kernelINS0_14default_configENS1_22reduce_config_selectorIdEEZNS1_11reduce_implILb1ES3_PdS7_d9plus_mod3IdEEE10hipError_tPvRmT1_T2_T3_mT4_P12ihipStream_tbEUlT_E1_NS1_11comp_targetILNS1_3genE10ELNS1_11target_archE1200ELNS1_3gpuE4ELNS1_3repE0EEENS1_30default_config_static_selectorELNS0_4arch9wavefront6targetE1EEEvSD_.uses_vcc, 0
	.set _ZN7rocprim17ROCPRIM_400000_NS6detail17trampoline_kernelINS0_14default_configENS1_22reduce_config_selectorIdEEZNS1_11reduce_implILb1ES3_PdS7_d9plus_mod3IdEEE10hipError_tPvRmT1_T2_T3_mT4_P12ihipStream_tbEUlT_E1_NS1_11comp_targetILNS1_3genE10ELNS1_11target_archE1200ELNS1_3gpuE4ELNS1_3repE0EEENS1_30default_config_static_selectorELNS0_4arch9wavefront6targetE1EEEvSD_.uses_flat_scratch, 0
	.set _ZN7rocprim17ROCPRIM_400000_NS6detail17trampoline_kernelINS0_14default_configENS1_22reduce_config_selectorIdEEZNS1_11reduce_implILb1ES3_PdS7_d9plus_mod3IdEEE10hipError_tPvRmT1_T2_T3_mT4_P12ihipStream_tbEUlT_E1_NS1_11comp_targetILNS1_3genE10ELNS1_11target_archE1200ELNS1_3gpuE4ELNS1_3repE0EEENS1_30default_config_static_selectorELNS0_4arch9wavefront6targetE1EEEvSD_.has_dyn_sized_stack, 0
	.set _ZN7rocprim17ROCPRIM_400000_NS6detail17trampoline_kernelINS0_14default_configENS1_22reduce_config_selectorIdEEZNS1_11reduce_implILb1ES3_PdS7_d9plus_mod3IdEEE10hipError_tPvRmT1_T2_T3_mT4_P12ihipStream_tbEUlT_E1_NS1_11comp_targetILNS1_3genE10ELNS1_11target_archE1200ELNS1_3gpuE4ELNS1_3repE0EEENS1_30default_config_static_selectorELNS0_4arch9wavefront6targetE1EEEvSD_.has_recursion, 0
	.set _ZN7rocprim17ROCPRIM_400000_NS6detail17trampoline_kernelINS0_14default_configENS1_22reduce_config_selectorIdEEZNS1_11reduce_implILb1ES3_PdS7_d9plus_mod3IdEEE10hipError_tPvRmT1_T2_T3_mT4_P12ihipStream_tbEUlT_E1_NS1_11comp_targetILNS1_3genE10ELNS1_11target_archE1200ELNS1_3gpuE4ELNS1_3repE0EEENS1_30default_config_static_selectorELNS0_4arch9wavefront6targetE1EEEvSD_.has_indirect_call, 0
	.section	.AMDGPU.csdata,"",@progbits
; Kernel info:
; codeLenInByte = 0
; TotalNumSgprs: 6
; NumVgprs: 0
; NumAgprs: 0
; TotalNumVgprs: 0
; ScratchSize: 0
; MemoryBound: 0
; FloatMode: 240
; IeeeMode: 1
; LDSByteSize: 0 bytes/workgroup (compile time only)
; SGPRBlocks: 0
; VGPRBlocks: 0
; NumSGPRsForWavesPerEU: 6
; NumVGPRsForWavesPerEU: 1
; AccumOffset: 4
; Occupancy: 8
; WaveLimiterHint : 0
; COMPUTE_PGM_RSRC2:SCRATCH_EN: 0
; COMPUTE_PGM_RSRC2:USER_SGPR: 2
; COMPUTE_PGM_RSRC2:TRAP_HANDLER: 0
; COMPUTE_PGM_RSRC2:TGID_X_EN: 1
; COMPUTE_PGM_RSRC2:TGID_Y_EN: 0
; COMPUTE_PGM_RSRC2:TGID_Z_EN: 0
; COMPUTE_PGM_RSRC2:TIDIG_COMP_CNT: 0
; COMPUTE_PGM_RSRC3_GFX90A:ACCUM_OFFSET: 0
; COMPUTE_PGM_RSRC3_GFX90A:TG_SPLIT: 0
	.section	.text._ZN7rocprim17ROCPRIM_400000_NS6detail17trampoline_kernelINS0_14default_configENS1_22reduce_config_selectorIdEEZNS1_11reduce_implILb1ES3_PdS7_d9plus_mod3IdEEE10hipError_tPvRmT1_T2_T3_mT4_P12ihipStream_tbEUlT_E1_NS1_11comp_targetILNS1_3genE9ELNS1_11target_archE1100ELNS1_3gpuE3ELNS1_3repE0EEENS1_30default_config_static_selectorELNS0_4arch9wavefront6targetE1EEEvSD_,"axG",@progbits,_ZN7rocprim17ROCPRIM_400000_NS6detail17trampoline_kernelINS0_14default_configENS1_22reduce_config_selectorIdEEZNS1_11reduce_implILb1ES3_PdS7_d9plus_mod3IdEEE10hipError_tPvRmT1_T2_T3_mT4_P12ihipStream_tbEUlT_E1_NS1_11comp_targetILNS1_3genE9ELNS1_11target_archE1100ELNS1_3gpuE3ELNS1_3repE0EEENS1_30default_config_static_selectorELNS0_4arch9wavefront6targetE1EEEvSD_,comdat
	.protected	_ZN7rocprim17ROCPRIM_400000_NS6detail17trampoline_kernelINS0_14default_configENS1_22reduce_config_selectorIdEEZNS1_11reduce_implILb1ES3_PdS7_d9plus_mod3IdEEE10hipError_tPvRmT1_T2_T3_mT4_P12ihipStream_tbEUlT_E1_NS1_11comp_targetILNS1_3genE9ELNS1_11target_archE1100ELNS1_3gpuE3ELNS1_3repE0EEENS1_30default_config_static_selectorELNS0_4arch9wavefront6targetE1EEEvSD_ ; -- Begin function _ZN7rocprim17ROCPRIM_400000_NS6detail17trampoline_kernelINS0_14default_configENS1_22reduce_config_selectorIdEEZNS1_11reduce_implILb1ES3_PdS7_d9plus_mod3IdEEE10hipError_tPvRmT1_T2_T3_mT4_P12ihipStream_tbEUlT_E1_NS1_11comp_targetILNS1_3genE9ELNS1_11target_archE1100ELNS1_3gpuE3ELNS1_3repE0EEENS1_30default_config_static_selectorELNS0_4arch9wavefront6targetE1EEEvSD_
	.globl	_ZN7rocprim17ROCPRIM_400000_NS6detail17trampoline_kernelINS0_14default_configENS1_22reduce_config_selectorIdEEZNS1_11reduce_implILb1ES3_PdS7_d9plus_mod3IdEEE10hipError_tPvRmT1_T2_T3_mT4_P12ihipStream_tbEUlT_E1_NS1_11comp_targetILNS1_3genE9ELNS1_11target_archE1100ELNS1_3gpuE3ELNS1_3repE0EEENS1_30default_config_static_selectorELNS0_4arch9wavefront6targetE1EEEvSD_
	.p2align	8
	.type	_ZN7rocprim17ROCPRIM_400000_NS6detail17trampoline_kernelINS0_14default_configENS1_22reduce_config_selectorIdEEZNS1_11reduce_implILb1ES3_PdS7_d9plus_mod3IdEEE10hipError_tPvRmT1_T2_T3_mT4_P12ihipStream_tbEUlT_E1_NS1_11comp_targetILNS1_3genE9ELNS1_11target_archE1100ELNS1_3gpuE3ELNS1_3repE0EEENS1_30default_config_static_selectorELNS0_4arch9wavefront6targetE1EEEvSD_,@function
_ZN7rocprim17ROCPRIM_400000_NS6detail17trampoline_kernelINS0_14default_configENS1_22reduce_config_selectorIdEEZNS1_11reduce_implILb1ES3_PdS7_d9plus_mod3IdEEE10hipError_tPvRmT1_T2_T3_mT4_P12ihipStream_tbEUlT_E1_NS1_11comp_targetILNS1_3genE9ELNS1_11target_archE1100ELNS1_3gpuE3ELNS1_3repE0EEENS1_30default_config_static_selectorELNS0_4arch9wavefront6targetE1EEEvSD_: ; @_ZN7rocprim17ROCPRIM_400000_NS6detail17trampoline_kernelINS0_14default_configENS1_22reduce_config_selectorIdEEZNS1_11reduce_implILb1ES3_PdS7_d9plus_mod3IdEEE10hipError_tPvRmT1_T2_T3_mT4_P12ihipStream_tbEUlT_E1_NS1_11comp_targetILNS1_3genE9ELNS1_11target_archE1100ELNS1_3gpuE3ELNS1_3repE0EEENS1_30default_config_static_selectorELNS0_4arch9wavefront6targetE1EEEvSD_
; %bb.0:
	.section	.rodata,"a",@progbits
	.p2align	6, 0x0
	.amdhsa_kernel _ZN7rocprim17ROCPRIM_400000_NS6detail17trampoline_kernelINS0_14default_configENS1_22reduce_config_selectorIdEEZNS1_11reduce_implILb1ES3_PdS7_d9plus_mod3IdEEE10hipError_tPvRmT1_T2_T3_mT4_P12ihipStream_tbEUlT_E1_NS1_11comp_targetILNS1_3genE9ELNS1_11target_archE1100ELNS1_3gpuE3ELNS1_3repE0EEENS1_30default_config_static_selectorELNS0_4arch9wavefront6targetE1EEEvSD_
		.amdhsa_group_segment_fixed_size 0
		.amdhsa_private_segment_fixed_size 0
		.amdhsa_kernarg_size 48
		.amdhsa_user_sgpr_count 2
		.amdhsa_user_sgpr_dispatch_ptr 0
		.amdhsa_user_sgpr_queue_ptr 0
		.amdhsa_user_sgpr_kernarg_segment_ptr 1
		.amdhsa_user_sgpr_dispatch_id 0
		.amdhsa_user_sgpr_kernarg_preload_length 0
		.amdhsa_user_sgpr_kernarg_preload_offset 0
		.amdhsa_user_sgpr_private_segment_size 0
		.amdhsa_uses_dynamic_stack 0
		.amdhsa_enable_private_segment 0
		.amdhsa_system_sgpr_workgroup_id_x 1
		.amdhsa_system_sgpr_workgroup_id_y 0
		.amdhsa_system_sgpr_workgroup_id_z 0
		.amdhsa_system_sgpr_workgroup_info 0
		.amdhsa_system_vgpr_workitem_id 0
		.amdhsa_next_free_vgpr 1
		.amdhsa_next_free_sgpr 0
		.amdhsa_accum_offset 4
		.amdhsa_reserve_vcc 0
		.amdhsa_float_round_mode_32 0
		.amdhsa_float_round_mode_16_64 0
		.amdhsa_float_denorm_mode_32 3
		.amdhsa_float_denorm_mode_16_64 3
		.amdhsa_dx10_clamp 1
		.amdhsa_ieee_mode 1
		.amdhsa_fp16_overflow 0
		.amdhsa_tg_split 0
		.amdhsa_exception_fp_ieee_invalid_op 0
		.amdhsa_exception_fp_denorm_src 0
		.amdhsa_exception_fp_ieee_div_zero 0
		.amdhsa_exception_fp_ieee_overflow 0
		.amdhsa_exception_fp_ieee_underflow 0
		.amdhsa_exception_fp_ieee_inexact 0
		.amdhsa_exception_int_div_zero 0
	.end_amdhsa_kernel
	.section	.text._ZN7rocprim17ROCPRIM_400000_NS6detail17trampoline_kernelINS0_14default_configENS1_22reduce_config_selectorIdEEZNS1_11reduce_implILb1ES3_PdS7_d9plus_mod3IdEEE10hipError_tPvRmT1_T2_T3_mT4_P12ihipStream_tbEUlT_E1_NS1_11comp_targetILNS1_3genE9ELNS1_11target_archE1100ELNS1_3gpuE3ELNS1_3repE0EEENS1_30default_config_static_selectorELNS0_4arch9wavefront6targetE1EEEvSD_,"axG",@progbits,_ZN7rocprim17ROCPRIM_400000_NS6detail17trampoline_kernelINS0_14default_configENS1_22reduce_config_selectorIdEEZNS1_11reduce_implILb1ES3_PdS7_d9plus_mod3IdEEE10hipError_tPvRmT1_T2_T3_mT4_P12ihipStream_tbEUlT_E1_NS1_11comp_targetILNS1_3genE9ELNS1_11target_archE1100ELNS1_3gpuE3ELNS1_3repE0EEENS1_30default_config_static_selectorELNS0_4arch9wavefront6targetE1EEEvSD_,comdat
.Lfunc_end711:
	.size	_ZN7rocprim17ROCPRIM_400000_NS6detail17trampoline_kernelINS0_14default_configENS1_22reduce_config_selectorIdEEZNS1_11reduce_implILb1ES3_PdS7_d9plus_mod3IdEEE10hipError_tPvRmT1_T2_T3_mT4_P12ihipStream_tbEUlT_E1_NS1_11comp_targetILNS1_3genE9ELNS1_11target_archE1100ELNS1_3gpuE3ELNS1_3repE0EEENS1_30default_config_static_selectorELNS0_4arch9wavefront6targetE1EEEvSD_, .Lfunc_end711-_ZN7rocprim17ROCPRIM_400000_NS6detail17trampoline_kernelINS0_14default_configENS1_22reduce_config_selectorIdEEZNS1_11reduce_implILb1ES3_PdS7_d9plus_mod3IdEEE10hipError_tPvRmT1_T2_T3_mT4_P12ihipStream_tbEUlT_E1_NS1_11comp_targetILNS1_3genE9ELNS1_11target_archE1100ELNS1_3gpuE3ELNS1_3repE0EEENS1_30default_config_static_selectorELNS0_4arch9wavefront6targetE1EEEvSD_
                                        ; -- End function
	.set _ZN7rocprim17ROCPRIM_400000_NS6detail17trampoline_kernelINS0_14default_configENS1_22reduce_config_selectorIdEEZNS1_11reduce_implILb1ES3_PdS7_d9plus_mod3IdEEE10hipError_tPvRmT1_T2_T3_mT4_P12ihipStream_tbEUlT_E1_NS1_11comp_targetILNS1_3genE9ELNS1_11target_archE1100ELNS1_3gpuE3ELNS1_3repE0EEENS1_30default_config_static_selectorELNS0_4arch9wavefront6targetE1EEEvSD_.num_vgpr, 0
	.set _ZN7rocprim17ROCPRIM_400000_NS6detail17trampoline_kernelINS0_14default_configENS1_22reduce_config_selectorIdEEZNS1_11reduce_implILb1ES3_PdS7_d9plus_mod3IdEEE10hipError_tPvRmT1_T2_T3_mT4_P12ihipStream_tbEUlT_E1_NS1_11comp_targetILNS1_3genE9ELNS1_11target_archE1100ELNS1_3gpuE3ELNS1_3repE0EEENS1_30default_config_static_selectorELNS0_4arch9wavefront6targetE1EEEvSD_.num_agpr, 0
	.set _ZN7rocprim17ROCPRIM_400000_NS6detail17trampoline_kernelINS0_14default_configENS1_22reduce_config_selectorIdEEZNS1_11reduce_implILb1ES3_PdS7_d9plus_mod3IdEEE10hipError_tPvRmT1_T2_T3_mT4_P12ihipStream_tbEUlT_E1_NS1_11comp_targetILNS1_3genE9ELNS1_11target_archE1100ELNS1_3gpuE3ELNS1_3repE0EEENS1_30default_config_static_selectorELNS0_4arch9wavefront6targetE1EEEvSD_.numbered_sgpr, 0
	.set _ZN7rocprim17ROCPRIM_400000_NS6detail17trampoline_kernelINS0_14default_configENS1_22reduce_config_selectorIdEEZNS1_11reduce_implILb1ES3_PdS7_d9plus_mod3IdEEE10hipError_tPvRmT1_T2_T3_mT4_P12ihipStream_tbEUlT_E1_NS1_11comp_targetILNS1_3genE9ELNS1_11target_archE1100ELNS1_3gpuE3ELNS1_3repE0EEENS1_30default_config_static_selectorELNS0_4arch9wavefront6targetE1EEEvSD_.num_named_barrier, 0
	.set _ZN7rocprim17ROCPRIM_400000_NS6detail17trampoline_kernelINS0_14default_configENS1_22reduce_config_selectorIdEEZNS1_11reduce_implILb1ES3_PdS7_d9plus_mod3IdEEE10hipError_tPvRmT1_T2_T3_mT4_P12ihipStream_tbEUlT_E1_NS1_11comp_targetILNS1_3genE9ELNS1_11target_archE1100ELNS1_3gpuE3ELNS1_3repE0EEENS1_30default_config_static_selectorELNS0_4arch9wavefront6targetE1EEEvSD_.private_seg_size, 0
	.set _ZN7rocprim17ROCPRIM_400000_NS6detail17trampoline_kernelINS0_14default_configENS1_22reduce_config_selectorIdEEZNS1_11reduce_implILb1ES3_PdS7_d9plus_mod3IdEEE10hipError_tPvRmT1_T2_T3_mT4_P12ihipStream_tbEUlT_E1_NS1_11comp_targetILNS1_3genE9ELNS1_11target_archE1100ELNS1_3gpuE3ELNS1_3repE0EEENS1_30default_config_static_selectorELNS0_4arch9wavefront6targetE1EEEvSD_.uses_vcc, 0
	.set _ZN7rocprim17ROCPRIM_400000_NS6detail17trampoline_kernelINS0_14default_configENS1_22reduce_config_selectorIdEEZNS1_11reduce_implILb1ES3_PdS7_d9plus_mod3IdEEE10hipError_tPvRmT1_T2_T3_mT4_P12ihipStream_tbEUlT_E1_NS1_11comp_targetILNS1_3genE9ELNS1_11target_archE1100ELNS1_3gpuE3ELNS1_3repE0EEENS1_30default_config_static_selectorELNS0_4arch9wavefront6targetE1EEEvSD_.uses_flat_scratch, 0
	.set _ZN7rocprim17ROCPRIM_400000_NS6detail17trampoline_kernelINS0_14default_configENS1_22reduce_config_selectorIdEEZNS1_11reduce_implILb1ES3_PdS7_d9plus_mod3IdEEE10hipError_tPvRmT1_T2_T3_mT4_P12ihipStream_tbEUlT_E1_NS1_11comp_targetILNS1_3genE9ELNS1_11target_archE1100ELNS1_3gpuE3ELNS1_3repE0EEENS1_30default_config_static_selectorELNS0_4arch9wavefront6targetE1EEEvSD_.has_dyn_sized_stack, 0
	.set _ZN7rocprim17ROCPRIM_400000_NS6detail17trampoline_kernelINS0_14default_configENS1_22reduce_config_selectorIdEEZNS1_11reduce_implILb1ES3_PdS7_d9plus_mod3IdEEE10hipError_tPvRmT1_T2_T3_mT4_P12ihipStream_tbEUlT_E1_NS1_11comp_targetILNS1_3genE9ELNS1_11target_archE1100ELNS1_3gpuE3ELNS1_3repE0EEENS1_30default_config_static_selectorELNS0_4arch9wavefront6targetE1EEEvSD_.has_recursion, 0
	.set _ZN7rocprim17ROCPRIM_400000_NS6detail17trampoline_kernelINS0_14default_configENS1_22reduce_config_selectorIdEEZNS1_11reduce_implILb1ES3_PdS7_d9plus_mod3IdEEE10hipError_tPvRmT1_T2_T3_mT4_P12ihipStream_tbEUlT_E1_NS1_11comp_targetILNS1_3genE9ELNS1_11target_archE1100ELNS1_3gpuE3ELNS1_3repE0EEENS1_30default_config_static_selectorELNS0_4arch9wavefront6targetE1EEEvSD_.has_indirect_call, 0
	.section	.AMDGPU.csdata,"",@progbits
; Kernel info:
; codeLenInByte = 0
; TotalNumSgprs: 6
; NumVgprs: 0
; NumAgprs: 0
; TotalNumVgprs: 0
; ScratchSize: 0
; MemoryBound: 0
; FloatMode: 240
; IeeeMode: 1
; LDSByteSize: 0 bytes/workgroup (compile time only)
; SGPRBlocks: 0
; VGPRBlocks: 0
; NumSGPRsForWavesPerEU: 6
; NumVGPRsForWavesPerEU: 1
; AccumOffset: 4
; Occupancy: 8
; WaveLimiterHint : 0
; COMPUTE_PGM_RSRC2:SCRATCH_EN: 0
; COMPUTE_PGM_RSRC2:USER_SGPR: 2
; COMPUTE_PGM_RSRC2:TRAP_HANDLER: 0
; COMPUTE_PGM_RSRC2:TGID_X_EN: 1
; COMPUTE_PGM_RSRC2:TGID_Y_EN: 0
; COMPUTE_PGM_RSRC2:TGID_Z_EN: 0
; COMPUTE_PGM_RSRC2:TIDIG_COMP_CNT: 0
; COMPUTE_PGM_RSRC3_GFX90A:ACCUM_OFFSET: 0
; COMPUTE_PGM_RSRC3_GFX90A:TG_SPLIT: 0
	.section	.text._ZN7rocprim17ROCPRIM_400000_NS6detail17trampoline_kernelINS0_14default_configENS1_22reduce_config_selectorIdEEZNS1_11reduce_implILb1ES3_PdS7_d9plus_mod3IdEEE10hipError_tPvRmT1_T2_T3_mT4_P12ihipStream_tbEUlT_E1_NS1_11comp_targetILNS1_3genE8ELNS1_11target_archE1030ELNS1_3gpuE2ELNS1_3repE0EEENS1_30default_config_static_selectorELNS0_4arch9wavefront6targetE1EEEvSD_,"axG",@progbits,_ZN7rocprim17ROCPRIM_400000_NS6detail17trampoline_kernelINS0_14default_configENS1_22reduce_config_selectorIdEEZNS1_11reduce_implILb1ES3_PdS7_d9plus_mod3IdEEE10hipError_tPvRmT1_T2_T3_mT4_P12ihipStream_tbEUlT_E1_NS1_11comp_targetILNS1_3genE8ELNS1_11target_archE1030ELNS1_3gpuE2ELNS1_3repE0EEENS1_30default_config_static_selectorELNS0_4arch9wavefront6targetE1EEEvSD_,comdat
	.protected	_ZN7rocprim17ROCPRIM_400000_NS6detail17trampoline_kernelINS0_14default_configENS1_22reduce_config_selectorIdEEZNS1_11reduce_implILb1ES3_PdS7_d9plus_mod3IdEEE10hipError_tPvRmT1_T2_T3_mT4_P12ihipStream_tbEUlT_E1_NS1_11comp_targetILNS1_3genE8ELNS1_11target_archE1030ELNS1_3gpuE2ELNS1_3repE0EEENS1_30default_config_static_selectorELNS0_4arch9wavefront6targetE1EEEvSD_ ; -- Begin function _ZN7rocprim17ROCPRIM_400000_NS6detail17trampoline_kernelINS0_14default_configENS1_22reduce_config_selectorIdEEZNS1_11reduce_implILb1ES3_PdS7_d9plus_mod3IdEEE10hipError_tPvRmT1_T2_T3_mT4_P12ihipStream_tbEUlT_E1_NS1_11comp_targetILNS1_3genE8ELNS1_11target_archE1030ELNS1_3gpuE2ELNS1_3repE0EEENS1_30default_config_static_selectorELNS0_4arch9wavefront6targetE1EEEvSD_
	.globl	_ZN7rocprim17ROCPRIM_400000_NS6detail17trampoline_kernelINS0_14default_configENS1_22reduce_config_selectorIdEEZNS1_11reduce_implILb1ES3_PdS7_d9plus_mod3IdEEE10hipError_tPvRmT1_T2_T3_mT4_P12ihipStream_tbEUlT_E1_NS1_11comp_targetILNS1_3genE8ELNS1_11target_archE1030ELNS1_3gpuE2ELNS1_3repE0EEENS1_30default_config_static_selectorELNS0_4arch9wavefront6targetE1EEEvSD_
	.p2align	8
	.type	_ZN7rocprim17ROCPRIM_400000_NS6detail17trampoline_kernelINS0_14default_configENS1_22reduce_config_selectorIdEEZNS1_11reduce_implILb1ES3_PdS7_d9plus_mod3IdEEE10hipError_tPvRmT1_T2_T3_mT4_P12ihipStream_tbEUlT_E1_NS1_11comp_targetILNS1_3genE8ELNS1_11target_archE1030ELNS1_3gpuE2ELNS1_3repE0EEENS1_30default_config_static_selectorELNS0_4arch9wavefront6targetE1EEEvSD_,@function
_ZN7rocprim17ROCPRIM_400000_NS6detail17trampoline_kernelINS0_14default_configENS1_22reduce_config_selectorIdEEZNS1_11reduce_implILb1ES3_PdS7_d9plus_mod3IdEEE10hipError_tPvRmT1_T2_T3_mT4_P12ihipStream_tbEUlT_E1_NS1_11comp_targetILNS1_3genE8ELNS1_11target_archE1030ELNS1_3gpuE2ELNS1_3repE0EEENS1_30default_config_static_selectorELNS0_4arch9wavefront6targetE1EEEvSD_: ; @_ZN7rocprim17ROCPRIM_400000_NS6detail17trampoline_kernelINS0_14default_configENS1_22reduce_config_selectorIdEEZNS1_11reduce_implILb1ES3_PdS7_d9plus_mod3IdEEE10hipError_tPvRmT1_T2_T3_mT4_P12ihipStream_tbEUlT_E1_NS1_11comp_targetILNS1_3genE8ELNS1_11target_archE1030ELNS1_3gpuE2ELNS1_3repE0EEENS1_30default_config_static_selectorELNS0_4arch9wavefront6targetE1EEEvSD_
; %bb.0:
	.section	.rodata,"a",@progbits
	.p2align	6, 0x0
	.amdhsa_kernel _ZN7rocprim17ROCPRIM_400000_NS6detail17trampoline_kernelINS0_14default_configENS1_22reduce_config_selectorIdEEZNS1_11reduce_implILb1ES3_PdS7_d9plus_mod3IdEEE10hipError_tPvRmT1_T2_T3_mT4_P12ihipStream_tbEUlT_E1_NS1_11comp_targetILNS1_3genE8ELNS1_11target_archE1030ELNS1_3gpuE2ELNS1_3repE0EEENS1_30default_config_static_selectorELNS0_4arch9wavefront6targetE1EEEvSD_
		.amdhsa_group_segment_fixed_size 0
		.amdhsa_private_segment_fixed_size 0
		.amdhsa_kernarg_size 48
		.amdhsa_user_sgpr_count 2
		.amdhsa_user_sgpr_dispatch_ptr 0
		.amdhsa_user_sgpr_queue_ptr 0
		.amdhsa_user_sgpr_kernarg_segment_ptr 1
		.amdhsa_user_sgpr_dispatch_id 0
		.amdhsa_user_sgpr_kernarg_preload_length 0
		.amdhsa_user_sgpr_kernarg_preload_offset 0
		.amdhsa_user_sgpr_private_segment_size 0
		.amdhsa_uses_dynamic_stack 0
		.amdhsa_enable_private_segment 0
		.amdhsa_system_sgpr_workgroup_id_x 1
		.amdhsa_system_sgpr_workgroup_id_y 0
		.amdhsa_system_sgpr_workgroup_id_z 0
		.amdhsa_system_sgpr_workgroup_info 0
		.amdhsa_system_vgpr_workitem_id 0
		.amdhsa_next_free_vgpr 1
		.amdhsa_next_free_sgpr 0
		.amdhsa_accum_offset 4
		.amdhsa_reserve_vcc 0
		.amdhsa_float_round_mode_32 0
		.amdhsa_float_round_mode_16_64 0
		.amdhsa_float_denorm_mode_32 3
		.amdhsa_float_denorm_mode_16_64 3
		.amdhsa_dx10_clamp 1
		.amdhsa_ieee_mode 1
		.amdhsa_fp16_overflow 0
		.amdhsa_tg_split 0
		.amdhsa_exception_fp_ieee_invalid_op 0
		.amdhsa_exception_fp_denorm_src 0
		.amdhsa_exception_fp_ieee_div_zero 0
		.amdhsa_exception_fp_ieee_overflow 0
		.amdhsa_exception_fp_ieee_underflow 0
		.amdhsa_exception_fp_ieee_inexact 0
		.amdhsa_exception_int_div_zero 0
	.end_amdhsa_kernel
	.section	.text._ZN7rocprim17ROCPRIM_400000_NS6detail17trampoline_kernelINS0_14default_configENS1_22reduce_config_selectorIdEEZNS1_11reduce_implILb1ES3_PdS7_d9plus_mod3IdEEE10hipError_tPvRmT1_T2_T3_mT4_P12ihipStream_tbEUlT_E1_NS1_11comp_targetILNS1_3genE8ELNS1_11target_archE1030ELNS1_3gpuE2ELNS1_3repE0EEENS1_30default_config_static_selectorELNS0_4arch9wavefront6targetE1EEEvSD_,"axG",@progbits,_ZN7rocprim17ROCPRIM_400000_NS6detail17trampoline_kernelINS0_14default_configENS1_22reduce_config_selectorIdEEZNS1_11reduce_implILb1ES3_PdS7_d9plus_mod3IdEEE10hipError_tPvRmT1_T2_T3_mT4_P12ihipStream_tbEUlT_E1_NS1_11comp_targetILNS1_3genE8ELNS1_11target_archE1030ELNS1_3gpuE2ELNS1_3repE0EEENS1_30default_config_static_selectorELNS0_4arch9wavefront6targetE1EEEvSD_,comdat
.Lfunc_end712:
	.size	_ZN7rocprim17ROCPRIM_400000_NS6detail17trampoline_kernelINS0_14default_configENS1_22reduce_config_selectorIdEEZNS1_11reduce_implILb1ES3_PdS7_d9plus_mod3IdEEE10hipError_tPvRmT1_T2_T3_mT4_P12ihipStream_tbEUlT_E1_NS1_11comp_targetILNS1_3genE8ELNS1_11target_archE1030ELNS1_3gpuE2ELNS1_3repE0EEENS1_30default_config_static_selectorELNS0_4arch9wavefront6targetE1EEEvSD_, .Lfunc_end712-_ZN7rocprim17ROCPRIM_400000_NS6detail17trampoline_kernelINS0_14default_configENS1_22reduce_config_selectorIdEEZNS1_11reduce_implILb1ES3_PdS7_d9plus_mod3IdEEE10hipError_tPvRmT1_T2_T3_mT4_P12ihipStream_tbEUlT_E1_NS1_11comp_targetILNS1_3genE8ELNS1_11target_archE1030ELNS1_3gpuE2ELNS1_3repE0EEENS1_30default_config_static_selectorELNS0_4arch9wavefront6targetE1EEEvSD_
                                        ; -- End function
	.set _ZN7rocprim17ROCPRIM_400000_NS6detail17trampoline_kernelINS0_14default_configENS1_22reduce_config_selectorIdEEZNS1_11reduce_implILb1ES3_PdS7_d9plus_mod3IdEEE10hipError_tPvRmT1_T2_T3_mT4_P12ihipStream_tbEUlT_E1_NS1_11comp_targetILNS1_3genE8ELNS1_11target_archE1030ELNS1_3gpuE2ELNS1_3repE0EEENS1_30default_config_static_selectorELNS0_4arch9wavefront6targetE1EEEvSD_.num_vgpr, 0
	.set _ZN7rocprim17ROCPRIM_400000_NS6detail17trampoline_kernelINS0_14default_configENS1_22reduce_config_selectorIdEEZNS1_11reduce_implILb1ES3_PdS7_d9plus_mod3IdEEE10hipError_tPvRmT1_T2_T3_mT4_P12ihipStream_tbEUlT_E1_NS1_11comp_targetILNS1_3genE8ELNS1_11target_archE1030ELNS1_3gpuE2ELNS1_3repE0EEENS1_30default_config_static_selectorELNS0_4arch9wavefront6targetE1EEEvSD_.num_agpr, 0
	.set _ZN7rocprim17ROCPRIM_400000_NS6detail17trampoline_kernelINS0_14default_configENS1_22reduce_config_selectorIdEEZNS1_11reduce_implILb1ES3_PdS7_d9plus_mod3IdEEE10hipError_tPvRmT1_T2_T3_mT4_P12ihipStream_tbEUlT_E1_NS1_11comp_targetILNS1_3genE8ELNS1_11target_archE1030ELNS1_3gpuE2ELNS1_3repE0EEENS1_30default_config_static_selectorELNS0_4arch9wavefront6targetE1EEEvSD_.numbered_sgpr, 0
	.set _ZN7rocprim17ROCPRIM_400000_NS6detail17trampoline_kernelINS0_14default_configENS1_22reduce_config_selectorIdEEZNS1_11reduce_implILb1ES3_PdS7_d9plus_mod3IdEEE10hipError_tPvRmT1_T2_T3_mT4_P12ihipStream_tbEUlT_E1_NS1_11comp_targetILNS1_3genE8ELNS1_11target_archE1030ELNS1_3gpuE2ELNS1_3repE0EEENS1_30default_config_static_selectorELNS0_4arch9wavefront6targetE1EEEvSD_.num_named_barrier, 0
	.set _ZN7rocprim17ROCPRIM_400000_NS6detail17trampoline_kernelINS0_14default_configENS1_22reduce_config_selectorIdEEZNS1_11reduce_implILb1ES3_PdS7_d9plus_mod3IdEEE10hipError_tPvRmT1_T2_T3_mT4_P12ihipStream_tbEUlT_E1_NS1_11comp_targetILNS1_3genE8ELNS1_11target_archE1030ELNS1_3gpuE2ELNS1_3repE0EEENS1_30default_config_static_selectorELNS0_4arch9wavefront6targetE1EEEvSD_.private_seg_size, 0
	.set _ZN7rocprim17ROCPRIM_400000_NS6detail17trampoline_kernelINS0_14default_configENS1_22reduce_config_selectorIdEEZNS1_11reduce_implILb1ES3_PdS7_d9plus_mod3IdEEE10hipError_tPvRmT1_T2_T3_mT4_P12ihipStream_tbEUlT_E1_NS1_11comp_targetILNS1_3genE8ELNS1_11target_archE1030ELNS1_3gpuE2ELNS1_3repE0EEENS1_30default_config_static_selectorELNS0_4arch9wavefront6targetE1EEEvSD_.uses_vcc, 0
	.set _ZN7rocprim17ROCPRIM_400000_NS6detail17trampoline_kernelINS0_14default_configENS1_22reduce_config_selectorIdEEZNS1_11reduce_implILb1ES3_PdS7_d9plus_mod3IdEEE10hipError_tPvRmT1_T2_T3_mT4_P12ihipStream_tbEUlT_E1_NS1_11comp_targetILNS1_3genE8ELNS1_11target_archE1030ELNS1_3gpuE2ELNS1_3repE0EEENS1_30default_config_static_selectorELNS0_4arch9wavefront6targetE1EEEvSD_.uses_flat_scratch, 0
	.set _ZN7rocprim17ROCPRIM_400000_NS6detail17trampoline_kernelINS0_14default_configENS1_22reduce_config_selectorIdEEZNS1_11reduce_implILb1ES3_PdS7_d9plus_mod3IdEEE10hipError_tPvRmT1_T2_T3_mT4_P12ihipStream_tbEUlT_E1_NS1_11comp_targetILNS1_3genE8ELNS1_11target_archE1030ELNS1_3gpuE2ELNS1_3repE0EEENS1_30default_config_static_selectorELNS0_4arch9wavefront6targetE1EEEvSD_.has_dyn_sized_stack, 0
	.set _ZN7rocprim17ROCPRIM_400000_NS6detail17trampoline_kernelINS0_14default_configENS1_22reduce_config_selectorIdEEZNS1_11reduce_implILb1ES3_PdS7_d9plus_mod3IdEEE10hipError_tPvRmT1_T2_T3_mT4_P12ihipStream_tbEUlT_E1_NS1_11comp_targetILNS1_3genE8ELNS1_11target_archE1030ELNS1_3gpuE2ELNS1_3repE0EEENS1_30default_config_static_selectorELNS0_4arch9wavefront6targetE1EEEvSD_.has_recursion, 0
	.set _ZN7rocprim17ROCPRIM_400000_NS6detail17trampoline_kernelINS0_14default_configENS1_22reduce_config_selectorIdEEZNS1_11reduce_implILb1ES3_PdS7_d9plus_mod3IdEEE10hipError_tPvRmT1_T2_T3_mT4_P12ihipStream_tbEUlT_E1_NS1_11comp_targetILNS1_3genE8ELNS1_11target_archE1030ELNS1_3gpuE2ELNS1_3repE0EEENS1_30default_config_static_selectorELNS0_4arch9wavefront6targetE1EEEvSD_.has_indirect_call, 0
	.section	.AMDGPU.csdata,"",@progbits
; Kernel info:
; codeLenInByte = 0
; TotalNumSgprs: 6
; NumVgprs: 0
; NumAgprs: 0
; TotalNumVgprs: 0
; ScratchSize: 0
; MemoryBound: 0
; FloatMode: 240
; IeeeMode: 1
; LDSByteSize: 0 bytes/workgroup (compile time only)
; SGPRBlocks: 0
; VGPRBlocks: 0
; NumSGPRsForWavesPerEU: 6
; NumVGPRsForWavesPerEU: 1
; AccumOffset: 4
; Occupancy: 8
; WaveLimiterHint : 0
; COMPUTE_PGM_RSRC2:SCRATCH_EN: 0
; COMPUTE_PGM_RSRC2:USER_SGPR: 2
; COMPUTE_PGM_RSRC2:TRAP_HANDLER: 0
; COMPUTE_PGM_RSRC2:TGID_X_EN: 1
; COMPUTE_PGM_RSRC2:TGID_Y_EN: 0
; COMPUTE_PGM_RSRC2:TGID_Z_EN: 0
; COMPUTE_PGM_RSRC2:TIDIG_COMP_CNT: 0
; COMPUTE_PGM_RSRC3_GFX90A:ACCUM_OFFSET: 0
; COMPUTE_PGM_RSRC3_GFX90A:TG_SPLIT: 0
	.section	.text._ZN7rocprim17ROCPRIM_400000_NS6detail17trampoline_kernelINS0_14default_configENS1_22reduce_config_selectorIdEEZNS1_11reduce_implILb1ES3_N6thrust23THRUST_200600_302600_NS6detail15normal_iteratorINS8_10device_ptrIdEEEEPdd9plus_mod3IdEEE10hipError_tPvRmT1_T2_T3_mT4_P12ihipStream_tbEUlT_E0_NS1_11comp_targetILNS1_3genE0ELNS1_11target_archE4294967295ELNS1_3gpuE0ELNS1_3repE0EEENS1_30default_config_static_selectorELNS0_4arch9wavefront6targetE1EEEvSK_,"axG",@progbits,_ZN7rocprim17ROCPRIM_400000_NS6detail17trampoline_kernelINS0_14default_configENS1_22reduce_config_selectorIdEEZNS1_11reduce_implILb1ES3_N6thrust23THRUST_200600_302600_NS6detail15normal_iteratorINS8_10device_ptrIdEEEEPdd9plus_mod3IdEEE10hipError_tPvRmT1_T2_T3_mT4_P12ihipStream_tbEUlT_E0_NS1_11comp_targetILNS1_3genE0ELNS1_11target_archE4294967295ELNS1_3gpuE0ELNS1_3repE0EEENS1_30default_config_static_selectorELNS0_4arch9wavefront6targetE1EEEvSK_,comdat
	.protected	_ZN7rocprim17ROCPRIM_400000_NS6detail17trampoline_kernelINS0_14default_configENS1_22reduce_config_selectorIdEEZNS1_11reduce_implILb1ES3_N6thrust23THRUST_200600_302600_NS6detail15normal_iteratorINS8_10device_ptrIdEEEEPdd9plus_mod3IdEEE10hipError_tPvRmT1_T2_T3_mT4_P12ihipStream_tbEUlT_E0_NS1_11comp_targetILNS1_3genE0ELNS1_11target_archE4294967295ELNS1_3gpuE0ELNS1_3repE0EEENS1_30default_config_static_selectorELNS0_4arch9wavefront6targetE1EEEvSK_ ; -- Begin function _ZN7rocprim17ROCPRIM_400000_NS6detail17trampoline_kernelINS0_14default_configENS1_22reduce_config_selectorIdEEZNS1_11reduce_implILb1ES3_N6thrust23THRUST_200600_302600_NS6detail15normal_iteratorINS8_10device_ptrIdEEEEPdd9plus_mod3IdEEE10hipError_tPvRmT1_T2_T3_mT4_P12ihipStream_tbEUlT_E0_NS1_11comp_targetILNS1_3genE0ELNS1_11target_archE4294967295ELNS1_3gpuE0ELNS1_3repE0EEENS1_30default_config_static_selectorELNS0_4arch9wavefront6targetE1EEEvSK_
	.globl	_ZN7rocprim17ROCPRIM_400000_NS6detail17trampoline_kernelINS0_14default_configENS1_22reduce_config_selectorIdEEZNS1_11reduce_implILb1ES3_N6thrust23THRUST_200600_302600_NS6detail15normal_iteratorINS8_10device_ptrIdEEEEPdd9plus_mod3IdEEE10hipError_tPvRmT1_T2_T3_mT4_P12ihipStream_tbEUlT_E0_NS1_11comp_targetILNS1_3genE0ELNS1_11target_archE4294967295ELNS1_3gpuE0ELNS1_3repE0EEENS1_30default_config_static_selectorELNS0_4arch9wavefront6targetE1EEEvSK_
	.p2align	8
	.type	_ZN7rocprim17ROCPRIM_400000_NS6detail17trampoline_kernelINS0_14default_configENS1_22reduce_config_selectorIdEEZNS1_11reduce_implILb1ES3_N6thrust23THRUST_200600_302600_NS6detail15normal_iteratorINS8_10device_ptrIdEEEEPdd9plus_mod3IdEEE10hipError_tPvRmT1_T2_T3_mT4_P12ihipStream_tbEUlT_E0_NS1_11comp_targetILNS1_3genE0ELNS1_11target_archE4294967295ELNS1_3gpuE0ELNS1_3repE0EEENS1_30default_config_static_selectorELNS0_4arch9wavefront6targetE1EEEvSK_,@function
_ZN7rocprim17ROCPRIM_400000_NS6detail17trampoline_kernelINS0_14default_configENS1_22reduce_config_selectorIdEEZNS1_11reduce_implILb1ES3_N6thrust23THRUST_200600_302600_NS6detail15normal_iteratorINS8_10device_ptrIdEEEEPdd9plus_mod3IdEEE10hipError_tPvRmT1_T2_T3_mT4_P12ihipStream_tbEUlT_E0_NS1_11comp_targetILNS1_3genE0ELNS1_11target_archE4294967295ELNS1_3gpuE0ELNS1_3repE0EEENS1_30default_config_static_selectorELNS0_4arch9wavefront6targetE1EEEvSK_: ; @_ZN7rocprim17ROCPRIM_400000_NS6detail17trampoline_kernelINS0_14default_configENS1_22reduce_config_selectorIdEEZNS1_11reduce_implILb1ES3_N6thrust23THRUST_200600_302600_NS6detail15normal_iteratorINS8_10device_ptrIdEEEEPdd9plus_mod3IdEEE10hipError_tPvRmT1_T2_T3_mT4_P12ihipStream_tbEUlT_E0_NS1_11comp_targetILNS1_3genE0ELNS1_11target_archE4294967295ELNS1_3gpuE0ELNS1_3repE0EEENS1_30default_config_static_selectorELNS0_4arch9wavefront6targetE1EEEvSK_
; %bb.0:
	s_load_dwordx16 s[36:51], s[0:1], 0x0
	s_mov_b32 s1, 0
	s_mov_b32 s3, s1
	v_lshlrev_b32_e32 v34, 3, v0
	v_mbcnt_lo_u32_b32 v1, -1, 0
	s_waitcnt lgkmcnt(0)
	s_lshl_b64 s[4:5], s[38:39], 3
	s_add_u32 s8, s36, s4
	s_addc_u32 s9, s37, s5
	s_lshl_b32 s0, s2, 12
	s_lshr_b64 s[4:5], s[40:41], 12
	s_lshl_b64 s[6:7], s[0:1], 3
	s_add_u32 s34, s8, s6
	s_addc_u32 s35, s9, s7
	s_cmp_lg_u64 s[4:5], s[2:3]
	s_cbranch_scc0 .LBB713_6
; %bb.1:
	v_mov_b32_e32 v35, 0
	v_lshl_add_u64 v[2:3], s[34:35], 0, v[34:35]
	flat_load_dwordx2 v[4:5], v[2:3]
	flat_load_dwordx2 v[6:7], v[2:3] offset:2048
	v_add_co_u32_e32 v8, vcc, 0x1000, v2
	s_waitcnt vmcnt(0) lgkmcnt(0)
	v_add_f64 v[4:5], v[4:5], v[6:7]
	v_cvt_i32_f64_e32 v4, v[4:5]
	v_ashrrev_i32_e32 v5, 31, v4
	v_addc_co_u32_e32 v9, vcc, 0, v3, vcc
	v_lshl_add_u64 v[4:5], v[4:5], 3, s[50:51]
	flat_load_dwordx2 v[10:11], v[8:9]
	flat_load_dwordx2 v[12:13], v[8:9] offset:2048
	v_add_co_u32_e32 v6, vcc, 0x2000, v2
	global_load_dwordx2 v[4:5], v[4:5], off
	s_nop 0
	v_addc_co_u32_e32 v7, vcc, 0, v3, vcc
	flat_load_dwordx2 v[8:9], v[6:7]
	s_waitcnt vmcnt(0) lgkmcnt(0)
	v_add_f64 v[4:5], v[10:11], v[4:5]
	v_cvt_i32_f64_e32 v4, v[4:5]
	v_ashrrev_i32_e32 v5, 31, v4
	v_lshl_add_u64 v[4:5], v[4:5], 3, s[50:51]
	global_load_dwordx2 v[4:5], v[4:5], off
	v_add_co_u32_e32 v10, vcc, 0x3000, v2
	s_waitcnt vmcnt(0)
	v_add_f64 v[4:5], v[12:13], v[4:5]
	v_cvt_i32_f64_e32 v4, v[4:5]
	v_ashrrev_i32_e32 v5, 31, v4
	v_lshl_add_u64 v[4:5], v[4:5], 3, s[50:51]
	global_load_dwordx2 v[4:5], v[4:5], off
	v_addc_co_u32_e32 v11, vcc, 0, v3, vcc
	flat_load_dwordx2 v[12:13], v[6:7] offset:2048
	flat_load_dwordx2 v[14:15], v[10:11]
	flat_load_dwordx2 v[16:17], v[10:11] offset:2048
	v_add_co_u32_e32 v6, vcc, 0x4000, v2
	s_waitcnt vmcnt(0)
	v_add_f64 v[4:5], v[8:9], v[4:5]
	v_cvt_i32_f64_e32 v4, v[4:5]
	v_ashrrev_i32_e32 v5, 31, v4
	v_lshl_add_u64 v[4:5], v[4:5], 3, s[50:51]
	global_load_dwordx2 v[4:5], v[4:5], off
	v_addc_co_u32_e32 v7, vcc, 0, v3, vcc
	flat_load_dwordx2 v[8:9], v[6:7]
	v_add_co_u32_e32 v10, vcc, 0x5000, v2
	s_waitcnt vmcnt(0) lgkmcnt(0)
	v_add_f64 v[4:5], v[12:13], v[4:5]
	v_cvt_i32_f64_e32 v4, v[4:5]
	v_ashrrev_i32_e32 v5, 31, v4
	v_lshl_add_u64 v[4:5], v[4:5], 3, s[50:51]
	global_load_dwordx2 v[4:5], v[4:5], off
	v_addc_co_u32_e32 v11, vcc, 0, v3, vcc
	s_waitcnt vmcnt(0)
	v_add_f64 v[4:5], v[14:15], v[4:5]
	v_cvt_i32_f64_e32 v4, v[4:5]
	v_ashrrev_i32_e32 v5, 31, v4
	v_lshl_add_u64 v[4:5], v[4:5], 3, s[50:51]
	global_load_dwordx2 v[4:5], v[4:5], off
	s_waitcnt vmcnt(0)
	v_add_f64 v[4:5], v[16:17], v[4:5]
	v_cvt_i32_f64_e32 v4, v[4:5]
	v_ashrrev_i32_e32 v5, 31, v4
	v_lshl_add_u64 v[4:5], v[4:5], 3, s[50:51]
	global_load_dwordx2 v[4:5], v[4:5], off
	s_nop 0
	flat_load_dwordx2 v[12:13], v[6:7] offset:2048
	flat_load_dwordx2 v[14:15], v[10:11]
	flat_load_dwordx2 v[16:17], v[10:11] offset:2048
	v_add_co_u32_e32 v6, vcc, 0x6000, v2
	s_waitcnt vmcnt(0)
	v_add_f64 v[4:5], v[8:9], v[4:5]
	v_cvt_i32_f64_e32 v4, v[4:5]
	v_ashrrev_i32_e32 v5, 31, v4
	v_lshl_add_u64 v[4:5], v[4:5], 3, s[50:51]
	global_load_dwordx2 v[4:5], v[4:5], off
	v_addc_co_u32_e32 v7, vcc, 0, v3, vcc
	flat_load_dwordx2 v[8:9], v[6:7]
	v_add_co_u32_e32 v2, vcc, 0x7000, v2
	s_waitcnt vmcnt(0) lgkmcnt(0)
	v_add_f64 v[4:5], v[12:13], v[4:5]
	v_cvt_i32_f64_e32 v4, v[4:5]
	v_ashrrev_i32_e32 v5, 31, v4
	v_lshl_add_u64 v[4:5], v[4:5], 3, s[50:51]
	global_load_dwordx2 v[4:5], v[4:5], off
	v_addc_co_u32_e32 v3, vcc, 0, v3, vcc
	s_waitcnt vmcnt(0)
	v_add_f64 v[4:5], v[14:15], v[4:5]
	v_cvt_i32_f64_e32 v4, v[4:5]
	v_ashrrev_i32_e32 v5, 31, v4
	v_lshl_add_u64 v[4:5], v[4:5], 3, s[50:51]
	global_load_dwordx2 v[4:5], v[4:5], off
	s_waitcnt vmcnt(0)
	v_add_f64 v[4:5], v[16:17], v[4:5]
	v_cvt_i32_f64_e32 v4, v[4:5]
	v_ashrrev_i32_e32 v5, 31, v4
	v_lshl_add_u64 v[4:5], v[4:5], 3, s[50:51]
	global_load_dwordx2 v[4:5], v[4:5], off
	s_nop 0
	flat_load_dwordx2 v[10:11], v[6:7] offset:2048
	flat_load_dwordx2 v[12:13], v[2:3]
	flat_load_dwordx2 v[14:15], v[2:3] offset:2048
	v_mbcnt_hi_u32_b32 v7, -1, v1
	v_lshlrev_b32_e32 v6, 2, v7
	v_cmp_eq_u32_e32 vcc, 0, v7
	s_waitcnt vmcnt(0)
	v_add_f64 v[2:3], v[8:9], v[4:5]
	v_cvt_i32_f64_e32 v2, v[2:3]
	v_ashrrev_i32_e32 v3, 31, v2
	v_lshl_add_u64 v[2:3], v[2:3], 3, s[50:51]
	global_load_dwordx2 v[2:3], v[2:3], off
	s_waitcnt vmcnt(0) lgkmcnt(0)
	v_add_f64 v[2:3], v[10:11], v[2:3]
	v_cvt_i32_f64_e32 v2, v[2:3]
	v_ashrrev_i32_e32 v3, 31, v2
	v_lshl_add_u64 v[2:3], v[2:3], 3, s[50:51]
	global_load_dwordx2 v[2:3], v[2:3], off
	s_waitcnt vmcnt(0)
	v_add_f64 v[2:3], v[12:13], v[2:3]
	v_cvt_i32_f64_e32 v2, v[2:3]
	v_ashrrev_i32_e32 v3, 31, v2
	v_lshl_add_u64 v[2:3], v[2:3], 3, s[50:51]
	global_load_dwordx2 v[2:3], v[2:3], off
	s_waitcnt vmcnt(0)
	;; [unrolled: 6-line block ×3, first 2 shown]
	s_nop 0
	v_mov_b32_dpp v4, v2 quad_perm:[1,0,3,2] row_mask:0xf bank_mask:0xf bound_ctrl:1
	v_mov_b32_dpp v5, v3 quad_perm:[1,0,3,2] row_mask:0xf bank_mask:0xf bound_ctrl:1
	v_add_f64 v[2:3], v[2:3], v[4:5]
	v_cvt_i32_f64_e32 v2, v[2:3]
	v_ashrrev_i32_e32 v3, 31, v2
	v_lshl_add_u64 v[2:3], v[2:3], 3, s[50:51]
	global_load_dwordx2 v[2:3], v[2:3], off
	s_waitcnt vmcnt(0)
	s_nop 0
	v_mov_b32_dpp v4, v2 quad_perm:[2,3,0,1] row_mask:0xf bank_mask:0xf bound_ctrl:1
	v_mov_b32_dpp v5, v3 quad_perm:[2,3,0,1] row_mask:0xf bank_mask:0xf bound_ctrl:1
	v_add_f64 v[2:3], v[2:3], v[4:5]
	v_cvt_i32_f64_e32 v2, v[2:3]
	v_ashrrev_i32_e32 v3, 31, v2
	v_lshl_add_u64 v[2:3], v[2:3], 3, s[50:51]
	global_load_dwordx2 v[2:3], v[2:3], off
	s_waitcnt vmcnt(0)
	s_nop 0
	v_mov_b32_dpp v4, v2 row_ror:4 row_mask:0xf bank_mask:0xf bound_ctrl:1
	v_mov_b32_dpp v5, v3 row_ror:4 row_mask:0xf bank_mask:0xf bound_ctrl:1
	v_add_f64 v[2:3], v[2:3], v[4:5]
	v_cvt_i32_f64_e32 v2, v[2:3]
	v_ashrrev_i32_e32 v3, 31, v2
	v_lshl_add_u64 v[2:3], v[2:3], 3, s[50:51]
	global_load_dwordx2 v[2:3], v[2:3], off
	s_waitcnt vmcnt(0)
	s_nop 0
	v_mov_b32_dpp v4, v2 row_ror:8 row_mask:0xf bank_mask:0xf bound_ctrl:1
	v_mov_b32_dpp v5, v3 row_ror:8 row_mask:0xf bank_mask:0xf bound_ctrl:1
	v_add_f64 v[2:3], v[2:3], v[4:5]
	v_cvt_i32_f64_e32 v2, v[2:3]
	v_ashrrev_i32_e32 v3, 31, v2
	v_lshl_add_u64 v[2:3], v[2:3], 3, s[50:51]
	global_load_dwordx2 v[2:3], v[2:3], off
	s_waitcnt vmcnt(0)
	s_nop 0
	v_mov_b32_dpp v4, v2 row_bcast:15 row_mask:0xf bank_mask:0xf bound_ctrl:1
	v_mov_b32_dpp v5, v3 row_bcast:15 row_mask:0xf bank_mask:0xf bound_ctrl:1
	v_add_f64 v[2:3], v[2:3], v[4:5]
	v_cvt_i32_f64_e32 v2, v[2:3]
	v_ashrrev_i32_e32 v3, 31, v2
	v_lshl_add_u64 v[2:3], v[2:3], 3, s[50:51]
	global_load_dwordx2 v[2:3], v[2:3], off
	s_waitcnt vmcnt(0)
	s_nop 0
	v_mov_b32_dpp v4, v2 row_bcast:31 row_mask:0xf bank_mask:0xf bound_ctrl:1
	v_mov_b32_dpp v5, v3 row_bcast:31 row_mask:0xf bank_mask:0xf bound_ctrl:1
	v_add_f64 v[2:3], v[2:3], v[4:5]
	v_cvt_i32_f64_e32 v2, v[2:3]
	v_ashrrev_i32_e32 v3, 31, v2
	v_lshl_add_u64 v[2:3], v[2:3], 3, s[50:51]
	global_load_dwordx2 v[2:3], v[2:3], off
	v_or_b32_e32 v4, 0xfc, v6
	s_waitcnt vmcnt(0)
	ds_bpermute_b32 v2, v4, v2
	ds_bpermute_b32 v3, v4, v3
	s_and_saveexec_b64 s[4:5], vcc
	s_cbranch_execz .LBB713_3
; %bb.2:
	v_lshrrev_b32_e32 v4, 3, v0
	v_and_b32_e32 v4, 24, v4
	s_waitcnt lgkmcnt(0)
	ds_write_b64 v4, v[2:3] offset:32
.LBB713_3:
	s_or_b64 exec, exec, s[4:5]
	v_cmp_gt_u32_e32 vcc, 64, v0
	s_mov_b64 s[4:5], 0
	s_mov_b64 s[30:31], 0
	s_waitcnt lgkmcnt(0)
	s_barrier
                                        ; implicit-def: $vgpr4_vgpr5
	s_and_saveexec_b64 s[6:7], vcc
	s_xor_b64 s[6:7], exec, s[6:7]
	s_cbranch_execz .LBB713_5
; %bb.4:
	v_and_b32_e32 v4, 3, v7
	v_lshlrev_b32_e32 v2, 3, v4
	ds_read_b64 v[2:3], v2 offset:32
	v_cmp_ne_u32_e32 vcc, 3, v4
	s_mov_b64 s[30:31], exec
	s_nop 0
	v_addc_co_u32_e32 v4, vcc, 0, v7, vcc
	v_lshlrev_b32_e32 v5, 2, v4
	s_waitcnt lgkmcnt(0)
	ds_bpermute_b32 v4, v5, v2
	ds_bpermute_b32 v5, v5, v3
	s_waitcnt lgkmcnt(0)
	v_add_f64 v[2:3], v[2:3], v[4:5]
	v_cvt_i32_f64_e32 v2, v[2:3]
	v_ashrrev_i32_e32 v3, 31, v2
	v_lshl_add_u64 v[2:3], v[2:3], 3, s[50:51]
	global_load_dwordx2 v[2:3], v[2:3], off
	v_or_b32_e32 v5, 8, v6
	s_waitcnt vmcnt(0)
	ds_bpermute_b32 v4, v5, v2
	ds_bpermute_b32 v5, v5, v3
.LBB713_5:
	s_or_b64 exec, exec, s[6:7]
	s_and_b64 vcc, exec, s[4:5]
	s_cbranch_vccnz .LBB713_7
	s_branch .LBB713_75
.LBB713_6:
	s_mov_b64 s[30:31], 0
                                        ; implicit-def: $vgpr4_vgpr5
                                        ; implicit-def: $vgpr2_vgpr3
	s_cbranch_execz .LBB713_75
.LBB713_7:
	s_sub_i32 s33, s40, s0
	v_mov_b32_e32 v2, 0
	v_cmp_gt_u32_e32 vcc, s33, v0
	v_mov_b32_e32 v3, v2
	s_waitcnt lgkmcnt(1)
	v_mov_b32_e32 v4, v2
	s_waitcnt lgkmcnt(0)
	v_mov_b32_e32 v5, v2
	v_mov_b32_e32 v6, v2
	;; [unrolled: 1-line block ×29, first 2 shown]
	s_and_saveexec_b64 s[0:1], vcc
	s_cbranch_execz .LBB713_9
; %bb.8:
	v_mov_b32_e32 v35, v2
	v_lshl_add_u64 v[4:5], s[34:35], 0, v[34:35]
	flat_load_dwordx2 v[36:37], v[4:5]
	v_mov_b32_e32 v38, v2
	v_mov_b32_e32 v39, v2
	;; [unrolled: 1-line block ×30, first 2 shown]
	s_waitcnt vmcnt(0) lgkmcnt(0)
	v_mov_b64_e32 v[2:3], v[36:37]
	v_mov_b64_e32 v[4:5], v[38:39]
	;; [unrolled: 1-line block ×16, first 2 shown]
.LBB713_9:
	s_or_b64 exec, exec, s[0:1]
	v_or_b32_e32 v35, 0x100, v0
	v_cmp_gt_u32_e32 vcc, s33, v35
	s_and_saveexec_b64 s[0:1], vcc
	s_cbranch_execz .LBB713_11
; %bb.10:
	v_mov_b32_e32 v35, 0
	v_lshl_add_u64 v[4:5], s[34:35], 0, v[34:35]
	flat_load_dwordx2 v[4:5], v[4:5] offset:2048
.LBB713_11:
	s_or_b64 exec, exec, s[0:1]
	v_or_b32_e32 v34, 0x200, v0
	v_cmp_gt_u32_e64 s[0:1], s33, v34
	s_and_saveexec_b64 s[4:5], s[0:1]
	s_cbranch_execz .LBB713_13
; %bb.12:
	v_lshlrev_b32_e32 v6, 3, v34
	v_mov_b32_e32 v7, 0
	v_lshl_add_u64 v[6:7], s[34:35], 0, v[6:7]
	flat_load_dwordx2 v[6:7], v[6:7]
.LBB713_13:
	s_or_b64 exec, exec, s[4:5]
	v_or_b32_e32 v34, 0x300, v0
	v_cmp_gt_u32_e64 s[4:5], s33, v34
	s_and_saveexec_b64 s[6:7], s[4:5]
	s_cbranch_execz .LBB713_15
; %bb.14:
	v_lshlrev_b32_e32 v8, 3, v34
	v_mov_b32_e32 v9, 0
	v_lshl_add_u64 v[8:9], s[34:35], 0, v[8:9]
	flat_load_dwordx2 v[8:9], v[8:9]
.LBB713_15:
	;; [unrolled: 11-line block ×13, first 2 shown]
	s_or_b64 exec, exec, s[28:29]
	v_or_b32_e32 v34, 0xf00, v0
	v_cmp_gt_u32_e64 s[28:29], s33, v34
	s_and_saveexec_b64 s[36:37], s[28:29]
	s_cbranch_execnz .LBB713_80
; %bb.38:
	s_or_b64 exec, exec, s[36:37]
	s_and_saveexec_b64 s[34:35], vcc
	s_cbranch_execnz .LBB713_81
.LBB713_39:
	s_or_b64 exec, exec, s[34:35]
	s_and_saveexec_b64 s[34:35], s[0:1]
	s_cbranch_execnz .LBB713_82
.LBB713_40:
	s_or_b64 exec, exec, s[34:35]
	s_and_saveexec_b64 s[0:1], s[4:5]
	s_cbranch_execnz .LBB713_83
.LBB713_41:
	s_or_b64 exec, exec, s[0:1]
	s_and_saveexec_b64 s[0:1], s[6:7]
	s_cbranch_execnz .LBB713_84
.LBB713_42:
	s_or_b64 exec, exec, s[0:1]
	s_and_saveexec_b64 s[0:1], s[8:9]
	s_cbranch_execnz .LBB713_85
.LBB713_43:
	s_or_b64 exec, exec, s[0:1]
	s_and_saveexec_b64 s[0:1], s[10:11]
	s_cbranch_execnz .LBB713_86
.LBB713_44:
	s_or_b64 exec, exec, s[0:1]
	s_and_saveexec_b64 s[0:1], s[12:13]
	s_cbranch_execnz .LBB713_87
.LBB713_45:
	s_or_b64 exec, exec, s[0:1]
	s_and_saveexec_b64 s[0:1], s[14:15]
	s_cbranch_execnz .LBB713_88
.LBB713_46:
	s_or_b64 exec, exec, s[0:1]
	s_and_saveexec_b64 s[0:1], s[16:17]
	s_cbranch_execnz .LBB713_89
.LBB713_47:
	s_or_b64 exec, exec, s[0:1]
	s_and_saveexec_b64 s[0:1], s[18:19]
	s_cbranch_execnz .LBB713_90
.LBB713_48:
	s_or_b64 exec, exec, s[0:1]
	s_and_saveexec_b64 s[0:1], s[20:21]
	s_cbranch_execnz .LBB713_91
.LBB713_49:
	s_or_b64 exec, exec, s[0:1]
	s_and_saveexec_b64 s[0:1], s[22:23]
	s_cbranch_execnz .LBB713_92
.LBB713_50:
	s_or_b64 exec, exec, s[0:1]
	s_and_saveexec_b64 s[0:1], s[24:25]
	s_cbranch_execnz .LBB713_93
.LBB713_51:
	s_or_b64 exec, exec, s[0:1]
	s_and_saveexec_b64 s[0:1], s[26:27]
	s_cbranch_execnz .LBB713_94
.LBB713_52:
	s_or_b64 exec, exec, s[0:1]
	s_and_saveexec_b64 s[0:1], s[28:29]
	s_cbranch_execz .LBB713_54
.LBB713_53:
	s_waitcnt vmcnt(0) lgkmcnt(0)
	v_add_f64 v[2:3], v[32:33], v[2:3]
	v_cvt_i32_f64_e32 v2, v[2:3]
	v_ashrrev_i32_e32 v3, 31, v2
	v_lshl_add_u64 v[2:3], v[2:3], 3, s[50:51]
	global_load_dwordx2 v[2:3], v[2:3], off
.LBB713_54:
	s_or_b64 exec, exec, s[0:1]
	v_mbcnt_hi_u32_b32 v1, -1, v1
	s_waitcnt vmcnt(0) lgkmcnt(0)
	v_and_b32_e32 v6, 63, v1
	v_cmp_ne_u32_e32 vcc, 63, v6
	s_min_u32 s4, s33, 0x100
	v_and_b32_e32 v7, 0xc0, v0
	v_addc_co_u32_e32 v4, vcc, 0, v1, vcc
	v_lshlrev_b32_e32 v5, 2, v4
	ds_bpermute_b32 v4, v5, v2
	ds_bpermute_b32 v5, v5, v3
	v_sub_u32_e64 v7, s4, v7 clamp
	v_add_u32_e32 v8, 1, v6
	v_cmp_lt_u32_e32 vcc, v8, v7
	s_and_saveexec_b64 s[0:1], vcc
	s_xor_b64 s[0:1], exec, s[0:1]
	s_cbranch_execz .LBB713_56
; %bb.55:
	s_waitcnt lgkmcnt(0)
	v_add_f64 v[2:3], v[2:3], v[4:5]
	v_cvt_i32_f64_e32 v2, v[2:3]
	v_ashrrev_i32_e32 v3, 31, v2
	v_lshl_add_u64 v[2:3], v[2:3], 3, s[50:51]
	global_load_dwordx2 v[2:3], v[2:3], off
.LBB713_56:
	s_or_b64 exec, exec, s[0:1]
	v_cmp_gt_u32_e32 vcc, 62, v6
	v_add_u32_e32 v8, 2, v6
	s_waitcnt lgkmcnt(1)
	v_cndmask_b32_e64 v4, 0, 2, vcc
	s_waitcnt lgkmcnt(0)
	v_add_lshl_u32 v5, v4, v1, 2
	s_waitcnt vmcnt(0)
	ds_bpermute_b32 v4, v5, v2
	ds_bpermute_b32 v5, v5, v3
	v_cmp_lt_u32_e32 vcc, v8, v7
	s_and_saveexec_b64 s[0:1], vcc
	s_cbranch_execz .LBB713_58
; %bb.57:
	s_waitcnt lgkmcnt(0)
	v_add_f64 v[2:3], v[2:3], v[4:5]
	v_cvt_i32_f64_e32 v2, v[2:3]
	v_ashrrev_i32_e32 v3, 31, v2
	v_lshl_add_u64 v[2:3], v[2:3], 3, s[50:51]
	global_load_dwordx2 v[2:3], v[2:3], off
.LBB713_58:
	s_or_b64 exec, exec, s[0:1]
	v_cmp_gt_u32_e32 vcc, 60, v6
	v_add_u32_e32 v8, 4, v6
	s_waitcnt lgkmcnt(1)
	v_cndmask_b32_e64 v4, 0, 4, vcc
	s_waitcnt lgkmcnt(0)
	v_add_lshl_u32 v5, v4, v1, 2
	s_waitcnt vmcnt(0)
	ds_bpermute_b32 v4, v5, v2
	ds_bpermute_b32 v5, v5, v3
	v_cmp_lt_u32_e32 vcc, v8, v7
	s_and_saveexec_b64 s[0:1], vcc
	;; [unrolled: 21-line block ×4, first 2 shown]
	s_cbranch_execz .LBB713_64
; %bb.63:
	s_waitcnt lgkmcnt(0)
	v_add_f64 v[2:3], v[2:3], v[4:5]
	v_cvt_i32_f64_e32 v2, v[2:3]
	v_ashrrev_i32_e32 v3, 31, v2
	v_lshl_add_u64 v[2:3], v[2:3], 3, s[50:51]
	global_load_dwordx2 v[2:3], v[2:3], off
.LBB713_64:
	s_or_b64 exec, exec, s[0:1]
	v_lshlrev_b32_e32 v8, 2, v1
	s_waitcnt lgkmcnt(0)
	v_or_b32_e32 v5, 0x80, v8
	s_waitcnt vmcnt(0)
	ds_bpermute_b32 v4, v5, v2
	ds_bpermute_b32 v5, v5, v3
	v_add_u32_e32 v6, 32, v6
	v_cmp_lt_u32_e32 vcc, v6, v7
	s_and_saveexec_b64 s[0:1], vcc
	s_cbranch_execz .LBB713_66
; %bb.65:
	s_waitcnt lgkmcnt(0)
	v_add_f64 v[2:3], v[2:3], v[4:5]
	v_cvt_i32_f64_e32 v2, v[2:3]
	v_ashrrev_i32_e32 v3, 31, v2
	v_lshl_add_u64 v[2:3], v[2:3], 3, s[50:51]
	global_load_dwordx2 v[2:3], v[2:3], off
.LBB713_66:
	s_or_b64 exec, exec, s[0:1]
	v_cmp_eq_u32_e32 vcc, 0, v1
	s_and_saveexec_b64 s[0:1], vcc
	s_cbranch_execz .LBB713_68
; %bb.67:
	s_waitcnt lgkmcnt(1)
	v_lshrrev_b32_e32 v4, 3, v0
	v_and_b32_e32 v4, 24, v4
	s_waitcnt vmcnt(0)
	ds_write_b64 v4, v[2:3]
.LBB713_68:
	s_or_b64 exec, exec, s[0:1]
	v_cmp_gt_u32_e32 vcc, 4, v0
	s_waitcnt lgkmcnt(0)
	s_barrier
                                        ; implicit-def: $vgpr4_vgpr5
	s_and_saveexec_b64 s[0:1], vcc
	s_cbranch_execz .LBB713_74
; %bb.69:
	s_waitcnt vmcnt(0)
	v_lshlrev_b32_e32 v2, 3, v1
	ds_read_b64 v[2:3], v2
	v_and_b32_e32 v6, 3, v1
	v_cmp_ne_u32_e32 vcc, 3, v6
	s_add_i32 s4, s4, 63
	s_lshr_b32 s6, s4, 6
	v_addc_co_u32_e32 v1, vcc, 0, v1, vcc
	v_lshlrev_b32_e32 v1, 2, v1
	s_waitcnt lgkmcnt(0)
	ds_bpermute_b32 v4, v1, v2
	ds_bpermute_b32 v5, v1, v3
	v_add_u32_e32 v1, 1, v6
	v_cmp_gt_u32_e32 vcc, s6, v1
	s_and_saveexec_b64 s[4:5], vcc
	s_cbranch_execz .LBB713_71
; %bb.70:
	s_waitcnt lgkmcnt(0)
	v_add_f64 v[2:3], v[2:3], v[4:5]
	v_cvt_i32_f64_e32 v2, v[2:3]
	v_ashrrev_i32_e32 v3, 31, v2
	v_lshl_add_u64 v[2:3], v[2:3], 3, s[50:51]
	global_load_dwordx2 v[2:3], v[2:3], off
.LBB713_71:
	s_or_b64 exec, exec, s[4:5]
	v_or_b32_e32 v1, 8, v8
	s_waitcnt vmcnt(0) lgkmcnt(1)
	ds_bpermute_b32 v4, v1, v2
	s_waitcnt lgkmcnt(1)
	ds_bpermute_b32 v5, v1, v3
	v_add_u32_e32 v1, 2, v6
	v_cmp_gt_u32_e32 vcc, s6, v1
	s_mov_b64 s[4:5], s[30:31]
	s_and_saveexec_b64 s[6:7], vcc
; %bb.72:
	s_or_b64 s[4:5], s[30:31], exec
; %bb.73:
	s_or_b64 exec, exec, s[6:7]
	s_andn2_b64 s[6:7], s[30:31], exec
	s_and_b64 s[4:5], s[4:5], exec
	s_or_b64 s[30:31], s[6:7], s[4:5]
.LBB713_74:
	s_or_b64 exec, exec, s[0:1]
.LBB713_75:
	s_and_saveexec_b64 s[0:1], s[30:31]
	s_cbranch_execnz .LBB713_78
; %bb.76:
	s_or_b64 exec, exec, s[0:1]
	v_cmp_eq_u32_e32 vcc, 0, v0
	s_and_saveexec_b64 s[0:1], vcc
	s_cbranch_execnz .LBB713_79
.LBB713_77:
	s_endpgm
.LBB713_78:
	s_waitcnt vmcnt(0) lgkmcnt(0)
	v_add_f64 v[2:3], v[2:3], v[4:5]
	v_cvt_i32_f64_e32 v2, v[2:3]
	v_ashrrev_i32_e32 v3, 31, v2
	v_lshl_add_u64 v[2:3], v[2:3], 3, s[50:51]
	global_load_dwordx2 v[2:3], v[2:3], off
	s_or_b64 exec, exec, s[0:1]
	v_cmp_eq_u32_e32 vcc, 0, v0
	s_and_saveexec_b64 s[0:1], vcc
	s_cbranch_execz .LBB713_77
.LBB713_79:
	s_mul_i32 s0, s46, s45
	s_mul_hi_u32 s1, s46, s44
	s_add_i32 s0, s1, s0
	s_mul_i32 s1, s47, s44
	s_add_i32 s1, s0, s1
	s_mul_i32 s0, s46, s44
	s_lshl_b64 s[0:1], s[0:1], 3
	s_add_u32 s4, s42, s0
	s_addc_u32 s5, s43, s1
	s_cmp_eq_u64 s[40:41], 0
	v_mov_b32_e32 v0, s49
	s_cselect_b64 vcc, -1, 0
	s_lshl_b64 s[0:1], s[2:3], 3
	s_waitcnt vmcnt(0)
	v_cndmask_b32_e32 v1, v3, v0, vcc
	v_mov_b32_e32 v0, s48
	s_add_u32 s0, s4, s0
	v_cndmask_b32_e32 v0, v2, v0, vcc
	s_addc_u32 s1, s5, s1
	v_mov_b32_e32 v2, 0
	global_store_dwordx2 v2, v[0:1], s[0:1]
	s_endpgm
.LBB713_80:
	v_lshlrev_b32_e32 v32, 3, v34
	v_mov_b32_e32 v33, 0
	v_lshl_add_u64 v[32:33], s[34:35], 0, v[32:33]
	flat_load_dwordx2 v[32:33], v[32:33]
	s_or_b64 exec, exec, s[36:37]
	s_and_saveexec_b64 s[34:35], vcc
	s_cbranch_execz .LBB713_39
.LBB713_81:
	s_waitcnt vmcnt(0) lgkmcnt(0)
	v_add_f64 v[2:3], v[2:3], v[4:5]
	v_cvt_i32_f64_e32 v2, v[2:3]
	v_ashrrev_i32_e32 v3, 31, v2
	v_lshl_add_u64 v[2:3], v[2:3], 3, s[50:51]
	global_load_dwordx2 v[2:3], v[2:3], off
	s_or_b64 exec, exec, s[34:35]
	s_and_saveexec_b64 s[34:35], s[0:1]
	s_cbranch_execz .LBB713_40
.LBB713_82:
	s_waitcnt vmcnt(0) lgkmcnt(0)
	v_add_f64 v[2:3], v[6:7], v[2:3]
	v_cvt_i32_f64_e32 v2, v[2:3]
	v_ashrrev_i32_e32 v3, 31, v2
	v_lshl_add_u64 v[2:3], v[2:3], 3, s[50:51]
	global_load_dwordx2 v[2:3], v[2:3], off
	s_or_b64 exec, exec, s[34:35]
	s_and_saveexec_b64 s[0:1], s[4:5]
	s_cbranch_execz .LBB713_41
.LBB713_83:
	s_waitcnt vmcnt(0) lgkmcnt(0)
	v_add_f64 v[2:3], v[8:9], v[2:3]
	v_cvt_i32_f64_e32 v2, v[2:3]
	v_ashrrev_i32_e32 v3, 31, v2
	v_lshl_add_u64 v[2:3], v[2:3], 3, s[50:51]
	global_load_dwordx2 v[2:3], v[2:3], off
	s_or_b64 exec, exec, s[0:1]
	s_and_saveexec_b64 s[0:1], s[6:7]
	s_cbranch_execz .LBB713_42
.LBB713_84:
	s_waitcnt vmcnt(0) lgkmcnt(0)
	v_add_f64 v[2:3], v[10:11], v[2:3]
	v_cvt_i32_f64_e32 v2, v[2:3]
	v_ashrrev_i32_e32 v3, 31, v2
	v_lshl_add_u64 v[2:3], v[2:3], 3, s[50:51]
	global_load_dwordx2 v[2:3], v[2:3], off
	s_or_b64 exec, exec, s[0:1]
	s_and_saveexec_b64 s[0:1], s[8:9]
	s_cbranch_execz .LBB713_43
.LBB713_85:
	s_waitcnt vmcnt(0) lgkmcnt(0)
	v_add_f64 v[2:3], v[12:13], v[2:3]
	v_cvt_i32_f64_e32 v2, v[2:3]
	v_ashrrev_i32_e32 v3, 31, v2
	v_lshl_add_u64 v[2:3], v[2:3], 3, s[50:51]
	global_load_dwordx2 v[2:3], v[2:3], off
	s_or_b64 exec, exec, s[0:1]
	s_and_saveexec_b64 s[0:1], s[10:11]
	s_cbranch_execz .LBB713_44
.LBB713_86:
	s_waitcnt vmcnt(0) lgkmcnt(0)
	v_add_f64 v[2:3], v[14:15], v[2:3]
	v_cvt_i32_f64_e32 v2, v[2:3]
	v_ashrrev_i32_e32 v3, 31, v2
	v_lshl_add_u64 v[2:3], v[2:3], 3, s[50:51]
	global_load_dwordx2 v[2:3], v[2:3], off
	s_or_b64 exec, exec, s[0:1]
	s_and_saveexec_b64 s[0:1], s[12:13]
	s_cbranch_execz .LBB713_45
.LBB713_87:
	s_waitcnt vmcnt(0) lgkmcnt(0)
	v_add_f64 v[2:3], v[16:17], v[2:3]
	v_cvt_i32_f64_e32 v2, v[2:3]
	v_ashrrev_i32_e32 v3, 31, v2
	v_lshl_add_u64 v[2:3], v[2:3], 3, s[50:51]
	global_load_dwordx2 v[2:3], v[2:3], off
	s_or_b64 exec, exec, s[0:1]
	s_and_saveexec_b64 s[0:1], s[14:15]
	s_cbranch_execz .LBB713_46
.LBB713_88:
	s_waitcnt vmcnt(0) lgkmcnt(0)
	v_add_f64 v[2:3], v[18:19], v[2:3]
	v_cvt_i32_f64_e32 v2, v[2:3]
	v_ashrrev_i32_e32 v3, 31, v2
	v_lshl_add_u64 v[2:3], v[2:3], 3, s[50:51]
	global_load_dwordx2 v[2:3], v[2:3], off
	s_or_b64 exec, exec, s[0:1]
	s_and_saveexec_b64 s[0:1], s[16:17]
	s_cbranch_execz .LBB713_47
.LBB713_89:
	s_waitcnt vmcnt(0) lgkmcnt(0)
	v_add_f64 v[2:3], v[20:21], v[2:3]
	v_cvt_i32_f64_e32 v2, v[2:3]
	v_ashrrev_i32_e32 v3, 31, v2
	v_lshl_add_u64 v[2:3], v[2:3], 3, s[50:51]
	global_load_dwordx2 v[2:3], v[2:3], off
	s_or_b64 exec, exec, s[0:1]
	s_and_saveexec_b64 s[0:1], s[18:19]
	s_cbranch_execz .LBB713_48
.LBB713_90:
	s_waitcnt vmcnt(0) lgkmcnt(0)
	v_add_f64 v[2:3], v[22:23], v[2:3]
	v_cvt_i32_f64_e32 v2, v[2:3]
	v_ashrrev_i32_e32 v3, 31, v2
	v_lshl_add_u64 v[2:3], v[2:3], 3, s[50:51]
	global_load_dwordx2 v[2:3], v[2:3], off
	s_or_b64 exec, exec, s[0:1]
	s_and_saveexec_b64 s[0:1], s[20:21]
	s_cbranch_execz .LBB713_49
.LBB713_91:
	s_waitcnt vmcnt(0) lgkmcnt(0)
	v_add_f64 v[2:3], v[24:25], v[2:3]
	v_cvt_i32_f64_e32 v2, v[2:3]
	v_ashrrev_i32_e32 v3, 31, v2
	v_lshl_add_u64 v[2:3], v[2:3], 3, s[50:51]
	global_load_dwordx2 v[2:3], v[2:3], off
	s_or_b64 exec, exec, s[0:1]
	s_and_saveexec_b64 s[0:1], s[22:23]
	s_cbranch_execz .LBB713_50
.LBB713_92:
	s_waitcnt vmcnt(0) lgkmcnt(0)
	v_add_f64 v[2:3], v[26:27], v[2:3]
	v_cvt_i32_f64_e32 v2, v[2:3]
	v_ashrrev_i32_e32 v3, 31, v2
	v_lshl_add_u64 v[2:3], v[2:3], 3, s[50:51]
	global_load_dwordx2 v[2:3], v[2:3], off
	s_or_b64 exec, exec, s[0:1]
	s_and_saveexec_b64 s[0:1], s[24:25]
	s_cbranch_execz .LBB713_51
.LBB713_93:
	s_waitcnt vmcnt(0) lgkmcnt(0)
	v_add_f64 v[2:3], v[28:29], v[2:3]
	v_cvt_i32_f64_e32 v2, v[2:3]
	v_ashrrev_i32_e32 v3, 31, v2
	v_lshl_add_u64 v[2:3], v[2:3], 3, s[50:51]
	global_load_dwordx2 v[2:3], v[2:3], off
	s_or_b64 exec, exec, s[0:1]
	s_and_saveexec_b64 s[0:1], s[26:27]
	s_cbranch_execz .LBB713_52
.LBB713_94:
	s_waitcnt vmcnt(0) lgkmcnt(0)
	v_add_f64 v[2:3], v[30:31], v[2:3]
	v_cvt_i32_f64_e32 v2, v[2:3]
	v_ashrrev_i32_e32 v3, 31, v2
	v_lshl_add_u64 v[2:3], v[2:3], 3, s[50:51]
	global_load_dwordx2 v[2:3], v[2:3], off
	s_or_b64 exec, exec, s[0:1]
	s_and_saveexec_b64 s[0:1], s[28:29]
	s_cbranch_execnz .LBB713_53
	s_branch .LBB713_54
	.section	.rodata,"a",@progbits
	.p2align	6, 0x0
	.amdhsa_kernel _ZN7rocprim17ROCPRIM_400000_NS6detail17trampoline_kernelINS0_14default_configENS1_22reduce_config_selectorIdEEZNS1_11reduce_implILb1ES3_N6thrust23THRUST_200600_302600_NS6detail15normal_iteratorINS8_10device_ptrIdEEEEPdd9plus_mod3IdEEE10hipError_tPvRmT1_T2_T3_mT4_P12ihipStream_tbEUlT_E0_NS1_11comp_targetILNS1_3genE0ELNS1_11target_archE4294967295ELNS1_3gpuE0ELNS1_3repE0EEENS1_30default_config_static_selectorELNS0_4arch9wavefront6targetE1EEEvSK_
		.amdhsa_group_segment_fixed_size 64
		.amdhsa_private_segment_fixed_size 0
		.amdhsa_kernarg_size 64
		.amdhsa_user_sgpr_count 2
		.amdhsa_user_sgpr_dispatch_ptr 0
		.amdhsa_user_sgpr_queue_ptr 0
		.amdhsa_user_sgpr_kernarg_segment_ptr 1
		.amdhsa_user_sgpr_dispatch_id 0
		.amdhsa_user_sgpr_kernarg_preload_length 0
		.amdhsa_user_sgpr_kernarg_preload_offset 0
		.amdhsa_user_sgpr_private_segment_size 0
		.amdhsa_uses_dynamic_stack 0
		.amdhsa_enable_private_segment 0
		.amdhsa_system_sgpr_workgroup_id_x 1
		.amdhsa_system_sgpr_workgroup_id_y 0
		.amdhsa_system_sgpr_workgroup_id_z 0
		.amdhsa_system_sgpr_workgroup_info 0
		.amdhsa_system_vgpr_workitem_id 0
		.amdhsa_next_free_vgpr 68
		.amdhsa_next_free_sgpr 52
		.amdhsa_accum_offset 68
		.amdhsa_reserve_vcc 1
		.amdhsa_float_round_mode_32 0
		.amdhsa_float_round_mode_16_64 0
		.amdhsa_float_denorm_mode_32 3
		.amdhsa_float_denorm_mode_16_64 3
		.amdhsa_dx10_clamp 1
		.amdhsa_ieee_mode 1
		.amdhsa_fp16_overflow 0
		.amdhsa_tg_split 0
		.amdhsa_exception_fp_ieee_invalid_op 0
		.amdhsa_exception_fp_denorm_src 0
		.amdhsa_exception_fp_ieee_div_zero 0
		.amdhsa_exception_fp_ieee_overflow 0
		.amdhsa_exception_fp_ieee_underflow 0
		.amdhsa_exception_fp_ieee_inexact 0
		.amdhsa_exception_int_div_zero 0
	.end_amdhsa_kernel
	.section	.text._ZN7rocprim17ROCPRIM_400000_NS6detail17trampoline_kernelINS0_14default_configENS1_22reduce_config_selectorIdEEZNS1_11reduce_implILb1ES3_N6thrust23THRUST_200600_302600_NS6detail15normal_iteratorINS8_10device_ptrIdEEEEPdd9plus_mod3IdEEE10hipError_tPvRmT1_T2_T3_mT4_P12ihipStream_tbEUlT_E0_NS1_11comp_targetILNS1_3genE0ELNS1_11target_archE4294967295ELNS1_3gpuE0ELNS1_3repE0EEENS1_30default_config_static_selectorELNS0_4arch9wavefront6targetE1EEEvSK_,"axG",@progbits,_ZN7rocprim17ROCPRIM_400000_NS6detail17trampoline_kernelINS0_14default_configENS1_22reduce_config_selectorIdEEZNS1_11reduce_implILb1ES3_N6thrust23THRUST_200600_302600_NS6detail15normal_iteratorINS8_10device_ptrIdEEEEPdd9plus_mod3IdEEE10hipError_tPvRmT1_T2_T3_mT4_P12ihipStream_tbEUlT_E0_NS1_11comp_targetILNS1_3genE0ELNS1_11target_archE4294967295ELNS1_3gpuE0ELNS1_3repE0EEENS1_30default_config_static_selectorELNS0_4arch9wavefront6targetE1EEEvSK_,comdat
.Lfunc_end713:
	.size	_ZN7rocprim17ROCPRIM_400000_NS6detail17trampoline_kernelINS0_14default_configENS1_22reduce_config_selectorIdEEZNS1_11reduce_implILb1ES3_N6thrust23THRUST_200600_302600_NS6detail15normal_iteratorINS8_10device_ptrIdEEEEPdd9plus_mod3IdEEE10hipError_tPvRmT1_T2_T3_mT4_P12ihipStream_tbEUlT_E0_NS1_11comp_targetILNS1_3genE0ELNS1_11target_archE4294967295ELNS1_3gpuE0ELNS1_3repE0EEENS1_30default_config_static_selectorELNS0_4arch9wavefront6targetE1EEEvSK_, .Lfunc_end713-_ZN7rocprim17ROCPRIM_400000_NS6detail17trampoline_kernelINS0_14default_configENS1_22reduce_config_selectorIdEEZNS1_11reduce_implILb1ES3_N6thrust23THRUST_200600_302600_NS6detail15normal_iteratorINS8_10device_ptrIdEEEEPdd9plus_mod3IdEEE10hipError_tPvRmT1_T2_T3_mT4_P12ihipStream_tbEUlT_E0_NS1_11comp_targetILNS1_3genE0ELNS1_11target_archE4294967295ELNS1_3gpuE0ELNS1_3repE0EEENS1_30default_config_static_selectorELNS0_4arch9wavefront6targetE1EEEvSK_
                                        ; -- End function
	.set _ZN7rocprim17ROCPRIM_400000_NS6detail17trampoline_kernelINS0_14default_configENS1_22reduce_config_selectorIdEEZNS1_11reduce_implILb1ES3_N6thrust23THRUST_200600_302600_NS6detail15normal_iteratorINS8_10device_ptrIdEEEEPdd9plus_mod3IdEEE10hipError_tPvRmT1_T2_T3_mT4_P12ihipStream_tbEUlT_E0_NS1_11comp_targetILNS1_3genE0ELNS1_11target_archE4294967295ELNS1_3gpuE0ELNS1_3repE0EEENS1_30default_config_static_selectorELNS0_4arch9wavefront6targetE1EEEvSK_.num_vgpr, 68
	.set _ZN7rocprim17ROCPRIM_400000_NS6detail17trampoline_kernelINS0_14default_configENS1_22reduce_config_selectorIdEEZNS1_11reduce_implILb1ES3_N6thrust23THRUST_200600_302600_NS6detail15normal_iteratorINS8_10device_ptrIdEEEEPdd9plus_mod3IdEEE10hipError_tPvRmT1_T2_T3_mT4_P12ihipStream_tbEUlT_E0_NS1_11comp_targetILNS1_3genE0ELNS1_11target_archE4294967295ELNS1_3gpuE0ELNS1_3repE0EEENS1_30default_config_static_selectorELNS0_4arch9wavefront6targetE1EEEvSK_.num_agpr, 0
	.set _ZN7rocprim17ROCPRIM_400000_NS6detail17trampoline_kernelINS0_14default_configENS1_22reduce_config_selectorIdEEZNS1_11reduce_implILb1ES3_N6thrust23THRUST_200600_302600_NS6detail15normal_iteratorINS8_10device_ptrIdEEEEPdd9plus_mod3IdEEE10hipError_tPvRmT1_T2_T3_mT4_P12ihipStream_tbEUlT_E0_NS1_11comp_targetILNS1_3genE0ELNS1_11target_archE4294967295ELNS1_3gpuE0ELNS1_3repE0EEENS1_30default_config_static_selectorELNS0_4arch9wavefront6targetE1EEEvSK_.numbered_sgpr, 52
	.set _ZN7rocprim17ROCPRIM_400000_NS6detail17trampoline_kernelINS0_14default_configENS1_22reduce_config_selectorIdEEZNS1_11reduce_implILb1ES3_N6thrust23THRUST_200600_302600_NS6detail15normal_iteratorINS8_10device_ptrIdEEEEPdd9plus_mod3IdEEE10hipError_tPvRmT1_T2_T3_mT4_P12ihipStream_tbEUlT_E0_NS1_11comp_targetILNS1_3genE0ELNS1_11target_archE4294967295ELNS1_3gpuE0ELNS1_3repE0EEENS1_30default_config_static_selectorELNS0_4arch9wavefront6targetE1EEEvSK_.num_named_barrier, 0
	.set _ZN7rocprim17ROCPRIM_400000_NS6detail17trampoline_kernelINS0_14default_configENS1_22reduce_config_selectorIdEEZNS1_11reduce_implILb1ES3_N6thrust23THRUST_200600_302600_NS6detail15normal_iteratorINS8_10device_ptrIdEEEEPdd9plus_mod3IdEEE10hipError_tPvRmT1_T2_T3_mT4_P12ihipStream_tbEUlT_E0_NS1_11comp_targetILNS1_3genE0ELNS1_11target_archE4294967295ELNS1_3gpuE0ELNS1_3repE0EEENS1_30default_config_static_selectorELNS0_4arch9wavefront6targetE1EEEvSK_.private_seg_size, 0
	.set _ZN7rocprim17ROCPRIM_400000_NS6detail17trampoline_kernelINS0_14default_configENS1_22reduce_config_selectorIdEEZNS1_11reduce_implILb1ES3_N6thrust23THRUST_200600_302600_NS6detail15normal_iteratorINS8_10device_ptrIdEEEEPdd9plus_mod3IdEEE10hipError_tPvRmT1_T2_T3_mT4_P12ihipStream_tbEUlT_E0_NS1_11comp_targetILNS1_3genE0ELNS1_11target_archE4294967295ELNS1_3gpuE0ELNS1_3repE0EEENS1_30default_config_static_selectorELNS0_4arch9wavefront6targetE1EEEvSK_.uses_vcc, 1
	.set _ZN7rocprim17ROCPRIM_400000_NS6detail17trampoline_kernelINS0_14default_configENS1_22reduce_config_selectorIdEEZNS1_11reduce_implILb1ES3_N6thrust23THRUST_200600_302600_NS6detail15normal_iteratorINS8_10device_ptrIdEEEEPdd9plus_mod3IdEEE10hipError_tPvRmT1_T2_T3_mT4_P12ihipStream_tbEUlT_E0_NS1_11comp_targetILNS1_3genE0ELNS1_11target_archE4294967295ELNS1_3gpuE0ELNS1_3repE0EEENS1_30default_config_static_selectorELNS0_4arch9wavefront6targetE1EEEvSK_.uses_flat_scratch, 0
	.set _ZN7rocprim17ROCPRIM_400000_NS6detail17trampoline_kernelINS0_14default_configENS1_22reduce_config_selectorIdEEZNS1_11reduce_implILb1ES3_N6thrust23THRUST_200600_302600_NS6detail15normal_iteratorINS8_10device_ptrIdEEEEPdd9plus_mod3IdEEE10hipError_tPvRmT1_T2_T3_mT4_P12ihipStream_tbEUlT_E0_NS1_11comp_targetILNS1_3genE0ELNS1_11target_archE4294967295ELNS1_3gpuE0ELNS1_3repE0EEENS1_30default_config_static_selectorELNS0_4arch9wavefront6targetE1EEEvSK_.has_dyn_sized_stack, 0
	.set _ZN7rocprim17ROCPRIM_400000_NS6detail17trampoline_kernelINS0_14default_configENS1_22reduce_config_selectorIdEEZNS1_11reduce_implILb1ES3_N6thrust23THRUST_200600_302600_NS6detail15normal_iteratorINS8_10device_ptrIdEEEEPdd9plus_mod3IdEEE10hipError_tPvRmT1_T2_T3_mT4_P12ihipStream_tbEUlT_E0_NS1_11comp_targetILNS1_3genE0ELNS1_11target_archE4294967295ELNS1_3gpuE0ELNS1_3repE0EEENS1_30default_config_static_selectorELNS0_4arch9wavefront6targetE1EEEvSK_.has_recursion, 0
	.set _ZN7rocprim17ROCPRIM_400000_NS6detail17trampoline_kernelINS0_14default_configENS1_22reduce_config_selectorIdEEZNS1_11reduce_implILb1ES3_N6thrust23THRUST_200600_302600_NS6detail15normal_iteratorINS8_10device_ptrIdEEEEPdd9plus_mod3IdEEE10hipError_tPvRmT1_T2_T3_mT4_P12ihipStream_tbEUlT_E0_NS1_11comp_targetILNS1_3genE0ELNS1_11target_archE4294967295ELNS1_3gpuE0ELNS1_3repE0EEENS1_30default_config_static_selectorELNS0_4arch9wavefront6targetE1EEEvSK_.has_indirect_call, 0
	.section	.AMDGPU.csdata,"",@progbits
; Kernel info:
; codeLenInByte = 4524
; TotalNumSgprs: 58
; NumVgprs: 68
; NumAgprs: 0
; TotalNumVgprs: 68
; ScratchSize: 0
; MemoryBound: 0
; FloatMode: 240
; IeeeMode: 1
; LDSByteSize: 64 bytes/workgroup (compile time only)
; SGPRBlocks: 7
; VGPRBlocks: 8
; NumSGPRsForWavesPerEU: 58
; NumVGPRsForWavesPerEU: 68
; AccumOffset: 68
; Occupancy: 7
; WaveLimiterHint : 1
; COMPUTE_PGM_RSRC2:SCRATCH_EN: 0
; COMPUTE_PGM_RSRC2:USER_SGPR: 2
; COMPUTE_PGM_RSRC2:TRAP_HANDLER: 0
; COMPUTE_PGM_RSRC2:TGID_X_EN: 1
; COMPUTE_PGM_RSRC2:TGID_Y_EN: 0
; COMPUTE_PGM_RSRC2:TGID_Z_EN: 0
; COMPUTE_PGM_RSRC2:TIDIG_COMP_CNT: 0
; COMPUTE_PGM_RSRC3_GFX90A:ACCUM_OFFSET: 16
; COMPUTE_PGM_RSRC3_GFX90A:TG_SPLIT: 0
	.section	.text._ZN7rocprim17ROCPRIM_400000_NS6detail17trampoline_kernelINS0_14default_configENS1_22reduce_config_selectorIdEEZNS1_11reduce_implILb1ES3_N6thrust23THRUST_200600_302600_NS6detail15normal_iteratorINS8_10device_ptrIdEEEEPdd9plus_mod3IdEEE10hipError_tPvRmT1_T2_T3_mT4_P12ihipStream_tbEUlT_E0_NS1_11comp_targetILNS1_3genE5ELNS1_11target_archE942ELNS1_3gpuE9ELNS1_3repE0EEENS1_30default_config_static_selectorELNS0_4arch9wavefront6targetE1EEEvSK_,"axG",@progbits,_ZN7rocprim17ROCPRIM_400000_NS6detail17trampoline_kernelINS0_14default_configENS1_22reduce_config_selectorIdEEZNS1_11reduce_implILb1ES3_N6thrust23THRUST_200600_302600_NS6detail15normal_iteratorINS8_10device_ptrIdEEEEPdd9plus_mod3IdEEE10hipError_tPvRmT1_T2_T3_mT4_P12ihipStream_tbEUlT_E0_NS1_11comp_targetILNS1_3genE5ELNS1_11target_archE942ELNS1_3gpuE9ELNS1_3repE0EEENS1_30default_config_static_selectorELNS0_4arch9wavefront6targetE1EEEvSK_,comdat
	.protected	_ZN7rocprim17ROCPRIM_400000_NS6detail17trampoline_kernelINS0_14default_configENS1_22reduce_config_selectorIdEEZNS1_11reduce_implILb1ES3_N6thrust23THRUST_200600_302600_NS6detail15normal_iteratorINS8_10device_ptrIdEEEEPdd9plus_mod3IdEEE10hipError_tPvRmT1_T2_T3_mT4_P12ihipStream_tbEUlT_E0_NS1_11comp_targetILNS1_3genE5ELNS1_11target_archE942ELNS1_3gpuE9ELNS1_3repE0EEENS1_30default_config_static_selectorELNS0_4arch9wavefront6targetE1EEEvSK_ ; -- Begin function _ZN7rocprim17ROCPRIM_400000_NS6detail17trampoline_kernelINS0_14default_configENS1_22reduce_config_selectorIdEEZNS1_11reduce_implILb1ES3_N6thrust23THRUST_200600_302600_NS6detail15normal_iteratorINS8_10device_ptrIdEEEEPdd9plus_mod3IdEEE10hipError_tPvRmT1_T2_T3_mT4_P12ihipStream_tbEUlT_E0_NS1_11comp_targetILNS1_3genE5ELNS1_11target_archE942ELNS1_3gpuE9ELNS1_3repE0EEENS1_30default_config_static_selectorELNS0_4arch9wavefront6targetE1EEEvSK_
	.globl	_ZN7rocprim17ROCPRIM_400000_NS6detail17trampoline_kernelINS0_14default_configENS1_22reduce_config_selectorIdEEZNS1_11reduce_implILb1ES3_N6thrust23THRUST_200600_302600_NS6detail15normal_iteratorINS8_10device_ptrIdEEEEPdd9plus_mod3IdEEE10hipError_tPvRmT1_T2_T3_mT4_P12ihipStream_tbEUlT_E0_NS1_11comp_targetILNS1_3genE5ELNS1_11target_archE942ELNS1_3gpuE9ELNS1_3repE0EEENS1_30default_config_static_selectorELNS0_4arch9wavefront6targetE1EEEvSK_
	.p2align	8
	.type	_ZN7rocprim17ROCPRIM_400000_NS6detail17trampoline_kernelINS0_14default_configENS1_22reduce_config_selectorIdEEZNS1_11reduce_implILb1ES3_N6thrust23THRUST_200600_302600_NS6detail15normal_iteratorINS8_10device_ptrIdEEEEPdd9plus_mod3IdEEE10hipError_tPvRmT1_T2_T3_mT4_P12ihipStream_tbEUlT_E0_NS1_11comp_targetILNS1_3genE5ELNS1_11target_archE942ELNS1_3gpuE9ELNS1_3repE0EEENS1_30default_config_static_selectorELNS0_4arch9wavefront6targetE1EEEvSK_,@function
_ZN7rocprim17ROCPRIM_400000_NS6detail17trampoline_kernelINS0_14default_configENS1_22reduce_config_selectorIdEEZNS1_11reduce_implILb1ES3_N6thrust23THRUST_200600_302600_NS6detail15normal_iteratorINS8_10device_ptrIdEEEEPdd9plus_mod3IdEEE10hipError_tPvRmT1_T2_T3_mT4_P12ihipStream_tbEUlT_E0_NS1_11comp_targetILNS1_3genE5ELNS1_11target_archE942ELNS1_3gpuE9ELNS1_3repE0EEENS1_30default_config_static_selectorELNS0_4arch9wavefront6targetE1EEEvSK_: ; @_ZN7rocprim17ROCPRIM_400000_NS6detail17trampoline_kernelINS0_14default_configENS1_22reduce_config_selectorIdEEZNS1_11reduce_implILb1ES3_N6thrust23THRUST_200600_302600_NS6detail15normal_iteratorINS8_10device_ptrIdEEEEPdd9plus_mod3IdEEE10hipError_tPvRmT1_T2_T3_mT4_P12ihipStream_tbEUlT_E0_NS1_11comp_targetILNS1_3genE5ELNS1_11target_archE942ELNS1_3gpuE9ELNS1_3repE0EEENS1_30default_config_static_selectorELNS0_4arch9wavefront6targetE1EEEvSK_
; %bb.0:
	.section	.rodata,"a",@progbits
	.p2align	6, 0x0
	.amdhsa_kernel _ZN7rocprim17ROCPRIM_400000_NS6detail17trampoline_kernelINS0_14default_configENS1_22reduce_config_selectorIdEEZNS1_11reduce_implILb1ES3_N6thrust23THRUST_200600_302600_NS6detail15normal_iteratorINS8_10device_ptrIdEEEEPdd9plus_mod3IdEEE10hipError_tPvRmT1_T2_T3_mT4_P12ihipStream_tbEUlT_E0_NS1_11comp_targetILNS1_3genE5ELNS1_11target_archE942ELNS1_3gpuE9ELNS1_3repE0EEENS1_30default_config_static_selectorELNS0_4arch9wavefront6targetE1EEEvSK_
		.amdhsa_group_segment_fixed_size 0
		.amdhsa_private_segment_fixed_size 0
		.amdhsa_kernarg_size 64
		.amdhsa_user_sgpr_count 2
		.amdhsa_user_sgpr_dispatch_ptr 0
		.amdhsa_user_sgpr_queue_ptr 0
		.amdhsa_user_sgpr_kernarg_segment_ptr 1
		.amdhsa_user_sgpr_dispatch_id 0
		.amdhsa_user_sgpr_kernarg_preload_length 0
		.amdhsa_user_sgpr_kernarg_preload_offset 0
		.amdhsa_user_sgpr_private_segment_size 0
		.amdhsa_uses_dynamic_stack 0
		.amdhsa_enable_private_segment 0
		.amdhsa_system_sgpr_workgroup_id_x 1
		.amdhsa_system_sgpr_workgroup_id_y 0
		.amdhsa_system_sgpr_workgroup_id_z 0
		.amdhsa_system_sgpr_workgroup_info 0
		.amdhsa_system_vgpr_workitem_id 0
		.amdhsa_next_free_vgpr 1
		.amdhsa_next_free_sgpr 0
		.amdhsa_accum_offset 4
		.amdhsa_reserve_vcc 0
		.amdhsa_float_round_mode_32 0
		.amdhsa_float_round_mode_16_64 0
		.amdhsa_float_denorm_mode_32 3
		.amdhsa_float_denorm_mode_16_64 3
		.amdhsa_dx10_clamp 1
		.amdhsa_ieee_mode 1
		.amdhsa_fp16_overflow 0
		.amdhsa_tg_split 0
		.amdhsa_exception_fp_ieee_invalid_op 0
		.amdhsa_exception_fp_denorm_src 0
		.amdhsa_exception_fp_ieee_div_zero 0
		.amdhsa_exception_fp_ieee_overflow 0
		.amdhsa_exception_fp_ieee_underflow 0
		.amdhsa_exception_fp_ieee_inexact 0
		.amdhsa_exception_int_div_zero 0
	.end_amdhsa_kernel
	.section	.text._ZN7rocprim17ROCPRIM_400000_NS6detail17trampoline_kernelINS0_14default_configENS1_22reduce_config_selectorIdEEZNS1_11reduce_implILb1ES3_N6thrust23THRUST_200600_302600_NS6detail15normal_iteratorINS8_10device_ptrIdEEEEPdd9plus_mod3IdEEE10hipError_tPvRmT1_T2_T3_mT4_P12ihipStream_tbEUlT_E0_NS1_11comp_targetILNS1_3genE5ELNS1_11target_archE942ELNS1_3gpuE9ELNS1_3repE0EEENS1_30default_config_static_selectorELNS0_4arch9wavefront6targetE1EEEvSK_,"axG",@progbits,_ZN7rocprim17ROCPRIM_400000_NS6detail17trampoline_kernelINS0_14default_configENS1_22reduce_config_selectorIdEEZNS1_11reduce_implILb1ES3_N6thrust23THRUST_200600_302600_NS6detail15normal_iteratorINS8_10device_ptrIdEEEEPdd9plus_mod3IdEEE10hipError_tPvRmT1_T2_T3_mT4_P12ihipStream_tbEUlT_E0_NS1_11comp_targetILNS1_3genE5ELNS1_11target_archE942ELNS1_3gpuE9ELNS1_3repE0EEENS1_30default_config_static_selectorELNS0_4arch9wavefront6targetE1EEEvSK_,comdat
.Lfunc_end714:
	.size	_ZN7rocprim17ROCPRIM_400000_NS6detail17trampoline_kernelINS0_14default_configENS1_22reduce_config_selectorIdEEZNS1_11reduce_implILb1ES3_N6thrust23THRUST_200600_302600_NS6detail15normal_iteratorINS8_10device_ptrIdEEEEPdd9plus_mod3IdEEE10hipError_tPvRmT1_T2_T3_mT4_P12ihipStream_tbEUlT_E0_NS1_11comp_targetILNS1_3genE5ELNS1_11target_archE942ELNS1_3gpuE9ELNS1_3repE0EEENS1_30default_config_static_selectorELNS0_4arch9wavefront6targetE1EEEvSK_, .Lfunc_end714-_ZN7rocprim17ROCPRIM_400000_NS6detail17trampoline_kernelINS0_14default_configENS1_22reduce_config_selectorIdEEZNS1_11reduce_implILb1ES3_N6thrust23THRUST_200600_302600_NS6detail15normal_iteratorINS8_10device_ptrIdEEEEPdd9plus_mod3IdEEE10hipError_tPvRmT1_T2_T3_mT4_P12ihipStream_tbEUlT_E0_NS1_11comp_targetILNS1_3genE5ELNS1_11target_archE942ELNS1_3gpuE9ELNS1_3repE0EEENS1_30default_config_static_selectorELNS0_4arch9wavefront6targetE1EEEvSK_
                                        ; -- End function
	.set _ZN7rocprim17ROCPRIM_400000_NS6detail17trampoline_kernelINS0_14default_configENS1_22reduce_config_selectorIdEEZNS1_11reduce_implILb1ES3_N6thrust23THRUST_200600_302600_NS6detail15normal_iteratorINS8_10device_ptrIdEEEEPdd9plus_mod3IdEEE10hipError_tPvRmT1_T2_T3_mT4_P12ihipStream_tbEUlT_E0_NS1_11comp_targetILNS1_3genE5ELNS1_11target_archE942ELNS1_3gpuE9ELNS1_3repE0EEENS1_30default_config_static_selectorELNS0_4arch9wavefront6targetE1EEEvSK_.num_vgpr, 0
	.set _ZN7rocprim17ROCPRIM_400000_NS6detail17trampoline_kernelINS0_14default_configENS1_22reduce_config_selectorIdEEZNS1_11reduce_implILb1ES3_N6thrust23THRUST_200600_302600_NS6detail15normal_iteratorINS8_10device_ptrIdEEEEPdd9plus_mod3IdEEE10hipError_tPvRmT1_T2_T3_mT4_P12ihipStream_tbEUlT_E0_NS1_11comp_targetILNS1_3genE5ELNS1_11target_archE942ELNS1_3gpuE9ELNS1_3repE0EEENS1_30default_config_static_selectorELNS0_4arch9wavefront6targetE1EEEvSK_.num_agpr, 0
	.set _ZN7rocprim17ROCPRIM_400000_NS6detail17trampoline_kernelINS0_14default_configENS1_22reduce_config_selectorIdEEZNS1_11reduce_implILb1ES3_N6thrust23THRUST_200600_302600_NS6detail15normal_iteratorINS8_10device_ptrIdEEEEPdd9plus_mod3IdEEE10hipError_tPvRmT1_T2_T3_mT4_P12ihipStream_tbEUlT_E0_NS1_11comp_targetILNS1_3genE5ELNS1_11target_archE942ELNS1_3gpuE9ELNS1_3repE0EEENS1_30default_config_static_selectorELNS0_4arch9wavefront6targetE1EEEvSK_.numbered_sgpr, 0
	.set _ZN7rocprim17ROCPRIM_400000_NS6detail17trampoline_kernelINS0_14default_configENS1_22reduce_config_selectorIdEEZNS1_11reduce_implILb1ES3_N6thrust23THRUST_200600_302600_NS6detail15normal_iteratorINS8_10device_ptrIdEEEEPdd9plus_mod3IdEEE10hipError_tPvRmT1_T2_T3_mT4_P12ihipStream_tbEUlT_E0_NS1_11comp_targetILNS1_3genE5ELNS1_11target_archE942ELNS1_3gpuE9ELNS1_3repE0EEENS1_30default_config_static_selectorELNS0_4arch9wavefront6targetE1EEEvSK_.num_named_barrier, 0
	.set _ZN7rocprim17ROCPRIM_400000_NS6detail17trampoline_kernelINS0_14default_configENS1_22reduce_config_selectorIdEEZNS1_11reduce_implILb1ES3_N6thrust23THRUST_200600_302600_NS6detail15normal_iteratorINS8_10device_ptrIdEEEEPdd9plus_mod3IdEEE10hipError_tPvRmT1_T2_T3_mT4_P12ihipStream_tbEUlT_E0_NS1_11comp_targetILNS1_3genE5ELNS1_11target_archE942ELNS1_3gpuE9ELNS1_3repE0EEENS1_30default_config_static_selectorELNS0_4arch9wavefront6targetE1EEEvSK_.private_seg_size, 0
	.set _ZN7rocprim17ROCPRIM_400000_NS6detail17trampoline_kernelINS0_14default_configENS1_22reduce_config_selectorIdEEZNS1_11reduce_implILb1ES3_N6thrust23THRUST_200600_302600_NS6detail15normal_iteratorINS8_10device_ptrIdEEEEPdd9plus_mod3IdEEE10hipError_tPvRmT1_T2_T3_mT4_P12ihipStream_tbEUlT_E0_NS1_11comp_targetILNS1_3genE5ELNS1_11target_archE942ELNS1_3gpuE9ELNS1_3repE0EEENS1_30default_config_static_selectorELNS0_4arch9wavefront6targetE1EEEvSK_.uses_vcc, 0
	.set _ZN7rocprim17ROCPRIM_400000_NS6detail17trampoline_kernelINS0_14default_configENS1_22reduce_config_selectorIdEEZNS1_11reduce_implILb1ES3_N6thrust23THRUST_200600_302600_NS6detail15normal_iteratorINS8_10device_ptrIdEEEEPdd9plus_mod3IdEEE10hipError_tPvRmT1_T2_T3_mT4_P12ihipStream_tbEUlT_E0_NS1_11comp_targetILNS1_3genE5ELNS1_11target_archE942ELNS1_3gpuE9ELNS1_3repE0EEENS1_30default_config_static_selectorELNS0_4arch9wavefront6targetE1EEEvSK_.uses_flat_scratch, 0
	.set _ZN7rocprim17ROCPRIM_400000_NS6detail17trampoline_kernelINS0_14default_configENS1_22reduce_config_selectorIdEEZNS1_11reduce_implILb1ES3_N6thrust23THRUST_200600_302600_NS6detail15normal_iteratorINS8_10device_ptrIdEEEEPdd9plus_mod3IdEEE10hipError_tPvRmT1_T2_T3_mT4_P12ihipStream_tbEUlT_E0_NS1_11comp_targetILNS1_3genE5ELNS1_11target_archE942ELNS1_3gpuE9ELNS1_3repE0EEENS1_30default_config_static_selectorELNS0_4arch9wavefront6targetE1EEEvSK_.has_dyn_sized_stack, 0
	.set _ZN7rocprim17ROCPRIM_400000_NS6detail17trampoline_kernelINS0_14default_configENS1_22reduce_config_selectorIdEEZNS1_11reduce_implILb1ES3_N6thrust23THRUST_200600_302600_NS6detail15normal_iteratorINS8_10device_ptrIdEEEEPdd9plus_mod3IdEEE10hipError_tPvRmT1_T2_T3_mT4_P12ihipStream_tbEUlT_E0_NS1_11comp_targetILNS1_3genE5ELNS1_11target_archE942ELNS1_3gpuE9ELNS1_3repE0EEENS1_30default_config_static_selectorELNS0_4arch9wavefront6targetE1EEEvSK_.has_recursion, 0
	.set _ZN7rocprim17ROCPRIM_400000_NS6detail17trampoline_kernelINS0_14default_configENS1_22reduce_config_selectorIdEEZNS1_11reduce_implILb1ES3_N6thrust23THRUST_200600_302600_NS6detail15normal_iteratorINS8_10device_ptrIdEEEEPdd9plus_mod3IdEEE10hipError_tPvRmT1_T2_T3_mT4_P12ihipStream_tbEUlT_E0_NS1_11comp_targetILNS1_3genE5ELNS1_11target_archE942ELNS1_3gpuE9ELNS1_3repE0EEENS1_30default_config_static_selectorELNS0_4arch9wavefront6targetE1EEEvSK_.has_indirect_call, 0
	.section	.AMDGPU.csdata,"",@progbits
; Kernel info:
; codeLenInByte = 0
; TotalNumSgprs: 6
; NumVgprs: 0
; NumAgprs: 0
; TotalNumVgprs: 0
; ScratchSize: 0
; MemoryBound: 0
; FloatMode: 240
; IeeeMode: 1
; LDSByteSize: 0 bytes/workgroup (compile time only)
; SGPRBlocks: 0
; VGPRBlocks: 0
; NumSGPRsForWavesPerEU: 6
; NumVGPRsForWavesPerEU: 1
; AccumOffset: 4
; Occupancy: 8
; WaveLimiterHint : 0
; COMPUTE_PGM_RSRC2:SCRATCH_EN: 0
; COMPUTE_PGM_RSRC2:USER_SGPR: 2
; COMPUTE_PGM_RSRC2:TRAP_HANDLER: 0
; COMPUTE_PGM_RSRC2:TGID_X_EN: 1
; COMPUTE_PGM_RSRC2:TGID_Y_EN: 0
; COMPUTE_PGM_RSRC2:TGID_Z_EN: 0
; COMPUTE_PGM_RSRC2:TIDIG_COMP_CNT: 0
; COMPUTE_PGM_RSRC3_GFX90A:ACCUM_OFFSET: 0
; COMPUTE_PGM_RSRC3_GFX90A:TG_SPLIT: 0
	.section	.text._ZN7rocprim17ROCPRIM_400000_NS6detail17trampoline_kernelINS0_14default_configENS1_22reduce_config_selectorIdEEZNS1_11reduce_implILb1ES3_N6thrust23THRUST_200600_302600_NS6detail15normal_iteratorINS8_10device_ptrIdEEEEPdd9plus_mod3IdEEE10hipError_tPvRmT1_T2_T3_mT4_P12ihipStream_tbEUlT_E0_NS1_11comp_targetILNS1_3genE4ELNS1_11target_archE910ELNS1_3gpuE8ELNS1_3repE0EEENS1_30default_config_static_selectorELNS0_4arch9wavefront6targetE1EEEvSK_,"axG",@progbits,_ZN7rocprim17ROCPRIM_400000_NS6detail17trampoline_kernelINS0_14default_configENS1_22reduce_config_selectorIdEEZNS1_11reduce_implILb1ES3_N6thrust23THRUST_200600_302600_NS6detail15normal_iteratorINS8_10device_ptrIdEEEEPdd9plus_mod3IdEEE10hipError_tPvRmT1_T2_T3_mT4_P12ihipStream_tbEUlT_E0_NS1_11comp_targetILNS1_3genE4ELNS1_11target_archE910ELNS1_3gpuE8ELNS1_3repE0EEENS1_30default_config_static_selectorELNS0_4arch9wavefront6targetE1EEEvSK_,comdat
	.protected	_ZN7rocprim17ROCPRIM_400000_NS6detail17trampoline_kernelINS0_14default_configENS1_22reduce_config_selectorIdEEZNS1_11reduce_implILb1ES3_N6thrust23THRUST_200600_302600_NS6detail15normal_iteratorINS8_10device_ptrIdEEEEPdd9plus_mod3IdEEE10hipError_tPvRmT1_T2_T3_mT4_P12ihipStream_tbEUlT_E0_NS1_11comp_targetILNS1_3genE4ELNS1_11target_archE910ELNS1_3gpuE8ELNS1_3repE0EEENS1_30default_config_static_selectorELNS0_4arch9wavefront6targetE1EEEvSK_ ; -- Begin function _ZN7rocprim17ROCPRIM_400000_NS6detail17trampoline_kernelINS0_14default_configENS1_22reduce_config_selectorIdEEZNS1_11reduce_implILb1ES3_N6thrust23THRUST_200600_302600_NS6detail15normal_iteratorINS8_10device_ptrIdEEEEPdd9plus_mod3IdEEE10hipError_tPvRmT1_T2_T3_mT4_P12ihipStream_tbEUlT_E0_NS1_11comp_targetILNS1_3genE4ELNS1_11target_archE910ELNS1_3gpuE8ELNS1_3repE0EEENS1_30default_config_static_selectorELNS0_4arch9wavefront6targetE1EEEvSK_
	.globl	_ZN7rocprim17ROCPRIM_400000_NS6detail17trampoline_kernelINS0_14default_configENS1_22reduce_config_selectorIdEEZNS1_11reduce_implILb1ES3_N6thrust23THRUST_200600_302600_NS6detail15normal_iteratorINS8_10device_ptrIdEEEEPdd9plus_mod3IdEEE10hipError_tPvRmT1_T2_T3_mT4_P12ihipStream_tbEUlT_E0_NS1_11comp_targetILNS1_3genE4ELNS1_11target_archE910ELNS1_3gpuE8ELNS1_3repE0EEENS1_30default_config_static_selectorELNS0_4arch9wavefront6targetE1EEEvSK_
	.p2align	8
	.type	_ZN7rocprim17ROCPRIM_400000_NS6detail17trampoline_kernelINS0_14default_configENS1_22reduce_config_selectorIdEEZNS1_11reduce_implILb1ES3_N6thrust23THRUST_200600_302600_NS6detail15normal_iteratorINS8_10device_ptrIdEEEEPdd9plus_mod3IdEEE10hipError_tPvRmT1_T2_T3_mT4_P12ihipStream_tbEUlT_E0_NS1_11comp_targetILNS1_3genE4ELNS1_11target_archE910ELNS1_3gpuE8ELNS1_3repE0EEENS1_30default_config_static_selectorELNS0_4arch9wavefront6targetE1EEEvSK_,@function
_ZN7rocprim17ROCPRIM_400000_NS6detail17trampoline_kernelINS0_14default_configENS1_22reduce_config_selectorIdEEZNS1_11reduce_implILb1ES3_N6thrust23THRUST_200600_302600_NS6detail15normal_iteratorINS8_10device_ptrIdEEEEPdd9plus_mod3IdEEE10hipError_tPvRmT1_T2_T3_mT4_P12ihipStream_tbEUlT_E0_NS1_11comp_targetILNS1_3genE4ELNS1_11target_archE910ELNS1_3gpuE8ELNS1_3repE0EEENS1_30default_config_static_selectorELNS0_4arch9wavefront6targetE1EEEvSK_: ; @_ZN7rocprim17ROCPRIM_400000_NS6detail17trampoline_kernelINS0_14default_configENS1_22reduce_config_selectorIdEEZNS1_11reduce_implILb1ES3_N6thrust23THRUST_200600_302600_NS6detail15normal_iteratorINS8_10device_ptrIdEEEEPdd9plus_mod3IdEEE10hipError_tPvRmT1_T2_T3_mT4_P12ihipStream_tbEUlT_E0_NS1_11comp_targetILNS1_3genE4ELNS1_11target_archE910ELNS1_3gpuE8ELNS1_3repE0EEENS1_30default_config_static_selectorELNS0_4arch9wavefront6targetE1EEEvSK_
; %bb.0:
	.section	.rodata,"a",@progbits
	.p2align	6, 0x0
	.amdhsa_kernel _ZN7rocprim17ROCPRIM_400000_NS6detail17trampoline_kernelINS0_14default_configENS1_22reduce_config_selectorIdEEZNS1_11reduce_implILb1ES3_N6thrust23THRUST_200600_302600_NS6detail15normal_iteratorINS8_10device_ptrIdEEEEPdd9plus_mod3IdEEE10hipError_tPvRmT1_T2_T3_mT4_P12ihipStream_tbEUlT_E0_NS1_11comp_targetILNS1_3genE4ELNS1_11target_archE910ELNS1_3gpuE8ELNS1_3repE0EEENS1_30default_config_static_selectorELNS0_4arch9wavefront6targetE1EEEvSK_
		.amdhsa_group_segment_fixed_size 0
		.amdhsa_private_segment_fixed_size 0
		.amdhsa_kernarg_size 64
		.amdhsa_user_sgpr_count 2
		.amdhsa_user_sgpr_dispatch_ptr 0
		.amdhsa_user_sgpr_queue_ptr 0
		.amdhsa_user_sgpr_kernarg_segment_ptr 1
		.amdhsa_user_sgpr_dispatch_id 0
		.amdhsa_user_sgpr_kernarg_preload_length 0
		.amdhsa_user_sgpr_kernarg_preload_offset 0
		.amdhsa_user_sgpr_private_segment_size 0
		.amdhsa_uses_dynamic_stack 0
		.amdhsa_enable_private_segment 0
		.amdhsa_system_sgpr_workgroup_id_x 1
		.amdhsa_system_sgpr_workgroup_id_y 0
		.amdhsa_system_sgpr_workgroup_id_z 0
		.amdhsa_system_sgpr_workgroup_info 0
		.amdhsa_system_vgpr_workitem_id 0
		.amdhsa_next_free_vgpr 1
		.amdhsa_next_free_sgpr 0
		.amdhsa_accum_offset 4
		.amdhsa_reserve_vcc 0
		.amdhsa_float_round_mode_32 0
		.amdhsa_float_round_mode_16_64 0
		.amdhsa_float_denorm_mode_32 3
		.amdhsa_float_denorm_mode_16_64 3
		.amdhsa_dx10_clamp 1
		.amdhsa_ieee_mode 1
		.amdhsa_fp16_overflow 0
		.amdhsa_tg_split 0
		.amdhsa_exception_fp_ieee_invalid_op 0
		.amdhsa_exception_fp_denorm_src 0
		.amdhsa_exception_fp_ieee_div_zero 0
		.amdhsa_exception_fp_ieee_overflow 0
		.amdhsa_exception_fp_ieee_underflow 0
		.amdhsa_exception_fp_ieee_inexact 0
		.amdhsa_exception_int_div_zero 0
	.end_amdhsa_kernel
	.section	.text._ZN7rocprim17ROCPRIM_400000_NS6detail17trampoline_kernelINS0_14default_configENS1_22reduce_config_selectorIdEEZNS1_11reduce_implILb1ES3_N6thrust23THRUST_200600_302600_NS6detail15normal_iteratorINS8_10device_ptrIdEEEEPdd9plus_mod3IdEEE10hipError_tPvRmT1_T2_T3_mT4_P12ihipStream_tbEUlT_E0_NS1_11comp_targetILNS1_3genE4ELNS1_11target_archE910ELNS1_3gpuE8ELNS1_3repE0EEENS1_30default_config_static_selectorELNS0_4arch9wavefront6targetE1EEEvSK_,"axG",@progbits,_ZN7rocprim17ROCPRIM_400000_NS6detail17trampoline_kernelINS0_14default_configENS1_22reduce_config_selectorIdEEZNS1_11reduce_implILb1ES3_N6thrust23THRUST_200600_302600_NS6detail15normal_iteratorINS8_10device_ptrIdEEEEPdd9plus_mod3IdEEE10hipError_tPvRmT1_T2_T3_mT4_P12ihipStream_tbEUlT_E0_NS1_11comp_targetILNS1_3genE4ELNS1_11target_archE910ELNS1_3gpuE8ELNS1_3repE0EEENS1_30default_config_static_selectorELNS0_4arch9wavefront6targetE1EEEvSK_,comdat
.Lfunc_end715:
	.size	_ZN7rocprim17ROCPRIM_400000_NS6detail17trampoline_kernelINS0_14default_configENS1_22reduce_config_selectorIdEEZNS1_11reduce_implILb1ES3_N6thrust23THRUST_200600_302600_NS6detail15normal_iteratorINS8_10device_ptrIdEEEEPdd9plus_mod3IdEEE10hipError_tPvRmT1_T2_T3_mT4_P12ihipStream_tbEUlT_E0_NS1_11comp_targetILNS1_3genE4ELNS1_11target_archE910ELNS1_3gpuE8ELNS1_3repE0EEENS1_30default_config_static_selectorELNS0_4arch9wavefront6targetE1EEEvSK_, .Lfunc_end715-_ZN7rocprim17ROCPRIM_400000_NS6detail17trampoline_kernelINS0_14default_configENS1_22reduce_config_selectorIdEEZNS1_11reduce_implILb1ES3_N6thrust23THRUST_200600_302600_NS6detail15normal_iteratorINS8_10device_ptrIdEEEEPdd9plus_mod3IdEEE10hipError_tPvRmT1_T2_T3_mT4_P12ihipStream_tbEUlT_E0_NS1_11comp_targetILNS1_3genE4ELNS1_11target_archE910ELNS1_3gpuE8ELNS1_3repE0EEENS1_30default_config_static_selectorELNS0_4arch9wavefront6targetE1EEEvSK_
                                        ; -- End function
	.set _ZN7rocprim17ROCPRIM_400000_NS6detail17trampoline_kernelINS0_14default_configENS1_22reduce_config_selectorIdEEZNS1_11reduce_implILb1ES3_N6thrust23THRUST_200600_302600_NS6detail15normal_iteratorINS8_10device_ptrIdEEEEPdd9plus_mod3IdEEE10hipError_tPvRmT1_T2_T3_mT4_P12ihipStream_tbEUlT_E0_NS1_11comp_targetILNS1_3genE4ELNS1_11target_archE910ELNS1_3gpuE8ELNS1_3repE0EEENS1_30default_config_static_selectorELNS0_4arch9wavefront6targetE1EEEvSK_.num_vgpr, 0
	.set _ZN7rocprim17ROCPRIM_400000_NS6detail17trampoline_kernelINS0_14default_configENS1_22reduce_config_selectorIdEEZNS1_11reduce_implILb1ES3_N6thrust23THRUST_200600_302600_NS6detail15normal_iteratorINS8_10device_ptrIdEEEEPdd9plus_mod3IdEEE10hipError_tPvRmT1_T2_T3_mT4_P12ihipStream_tbEUlT_E0_NS1_11comp_targetILNS1_3genE4ELNS1_11target_archE910ELNS1_3gpuE8ELNS1_3repE0EEENS1_30default_config_static_selectorELNS0_4arch9wavefront6targetE1EEEvSK_.num_agpr, 0
	.set _ZN7rocprim17ROCPRIM_400000_NS6detail17trampoline_kernelINS0_14default_configENS1_22reduce_config_selectorIdEEZNS1_11reduce_implILb1ES3_N6thrust23THRUST_200600_302600_NS6detail15normal_iteratorINS8_10device_ptrIdEEEEPdd9plus_mod3IdEEE10hipError_tPvRmT1_T2_T3_mT4_P12ihipStream_tbEUlT_E0_NS1_11comp_targetILNS1_3genE4ELNS1_11target_archE910ELNS1_3gpuE8ELNS1_3repE0EEENS1_30default_config_static_selectorELNS0_4arch9wavefront6targetE1EEEvSK_.numbered_sgpr, 0
	.set _ZN7rocprim17ROCPRIM_400000_NS6detail17trampoline_kernelINS0_14default_configENS1_22reduce_config_selectorIdEEZNS1_11reduce_implILb1ES3_N6thrust23THRUST_200600_302600_NS6detail15normal_iteratorINS8_10device_ptrIdEEEEPdd9plus_mod3IdEEE10hipError_tPvRmT1_T2_T3_mT4_P12ihipStream_tbEUlT_E0_NS1_11comp_targetILNS1_3genE4ELNS1_11target_archE910ELNS1_3gpuE8ELNS1_3repE0EEENS1_30default_config_static_selectorELNS0_4arch9wavefront6targetE1EEEvSK_.num_named_barrier, 0
	.set _ZN7rocprim17ROCPRIM_400000_NS6detail17trampoline_kernelINS0_14default_configENS1_22reduce_config_selectorIdEEZNS1_11reduce_implILb1ES3_N6thrust23THRUST_200600_302600_NS6detail15normal_iteratorINS8_10device_ptrIdEEEEPdd9plus_mod3IdEEE10hipError_tPvRmT1_T2_T3_mT4_P12ihipStream_tbEUlT_E0_NS1_11comp_targetILNS1_3genE4ELNS1_11target_archE910ELNS1_3gpuE8ELNS1_3repE0EEENS1_30default_config_static_selectorELNS0_4arch9wavefront6targetE1EEEvSK_.private_seg_size, 0
	.set _ZN7rocprim17ROCPRIM_400000_NS6detail17trampoline_kernelINS0_14default_configENS1_22reduce_config_selectorIdEEZNS1_11reduce_implILb1ES3_N6thrust23THRUST_200600_302600_NS6detail15normal_iteratorINS8_10device_ptrIdEEEEPdd9plus_mod3IdEEE10hipError_tPvRmT1_T2_T3_mT4_P12ihipStream_tbEUlT_E0_NS1_11comp_targetILNS1_3genE4ELNS1_11target_archE910ELNS1_3gpuE8ELNS1_3repE0EEENS1_30default_config_static_selectorELNS0_4arch9wavefront6targetE1EEEvSK_.uses_vcc, 0
	.set _ZN7rocprim17ROCPRIM_400000_NS6detail17trampoline_kernelINS0_14default_configENS1_22reduce_config_selectorIdEEZNS1_11reduce_implILb1ES3_N6thrust23THRUST_200600_302600_NS6detail15normal_iteratorINS8_10device_ptrIdEEEEPdd9plus_mod3IdEEE10hipError_tPvRmT1_T2_T3_mT4_P12ihipStream_tbEUlT_E0_NS1_11comp_targetILNS1_3genE4ELNS1_11target_archE910ELNS1_3gpuE8ELNS1_3repE0EEENS1_30default_config_static_selectorELNS0_4arch9wavefront6targetE1EEEvSK_.uses_flat_scratch, 0
	.set _ZN7rocprim17ROCPRIM_400000_NS6detail17trampoline_kernelINS0_14default_configENS1_22reduce_config_selectorIdEEZNS1_11reduce_implILb1ES3_N6thrust23THRUST_200600_302600_NS6detail15normal_iteratorINS8_10device_ptrIdEEEEPdd9plus_mod3IdEEE10hipError_tPvRmT1_T2_T3_mT4_P12ihipStream_tbEUlT_E0_NS1_11comp_targetILNS1_3genE4ELNS1_11target_archE910ELNS1_3gpuE8ELNS1_3repE0EEENS1_30default_config_static_selectorELNS0_4arch9wavefront6targetE1EEEvSK_.has_dyn_sized_stack, 0
	.set _ZN7rocprim17ROCPRIM_400000_NS6detail17trampoline_kernelINS0_14default_configENS1_22reduce_config_selectorIdEEZNS1_11reduce_implILb1ES3_N6thrust23THRUST_200600_302600_NS6detail15normal_iteratorINS8_10device_ptrIdEEEEPdd9plus_mod3IdEEE10hipError_tPvRmT1_T2_T3_mT4_P12ihipStream_tbEUlT_E0_NS1_11comp_targetILNS1_3genE4ELNS1_11target_archE910ELNS1_3gpuE8ELNS1_3repE0EEENS1_30default_config_static_selectorELNS0_4arch9wavefront6targetE1EEEvSK_.has_recursion, 0
	.set _ZN7rocprim17ROCPRIM_400000_NS6detail17trampoline_kernelINS0_14default_configENS1_22reduce_config_selectorIdEEZNS1_11reduce_implILb1ES3_N6thrust23THRUST_200600_302600_NS6detail15normal_iteratorINS8_10device_ptrIdEEEEPdd9plus_mod3IdEEE10hipError_tPvRmT1_T2_T3_mT4_P12ihipStream_tbEUlT_E0_NS1_11comp_targetILNS1_3genE4ELNS1_11target_archE910ELNS1_3gpuE8ELNS1_3repE0EEENS1_30default_config_static_selectorELNS0_4arch9wavefront6targetE1EEEvSK_.has_indirect_call, 0
	.section	.AMDGPU.csdata,"",@progbits
; Kernel info:
; codeLenInByte = 0
; TotalNumSgprs: 6
; NumVgprs: 0
; NumAgprs: 0
; TotalNumVgprs: 0
; ScratchSize: 0
; MemoryBound: 0
; FloatMode: 240
; IeeeMode: 1
; LDSByteSize: 0 bytes/workgroup (compile time only)
; SGPRBlocks: 0
; VGPRBlocks: 0
; NumSGPRsForWavesPerEU: 6
; NumVGPRsForWavesPerEU: 1
; AccumOffset: 4
; Occupancy: 8
; WaveLimiterHint : 0
; COMPUTE_PGM_RSRC2:SCRATCH_EN: 0
; COMPUTE_PGM_RSRC2:USER_SGPR: 2
; COMPUTE_PGM_RSRC2:TRAP_HANDLER: 0
; COMPUTE_PGM_RSRC2:TGID_X_EN: 1
; COMPUTE_PGM_RSRC2:TGID_Y_EN: 0
; COMPUTE_PGM_RSRC2:TGID_Z_EN: 0
; COMPUTE_PGM_RSRC2:TIDIG_COMP_CNT: 0
; COMPUTE_PGM_RSRC3_GFX90A:ACCUM_OFFSET: 0
; COMPUTE_PGM_RSRC3_GFX90A:TG_SPLIT: 0
	.section	.text._ZN7rocprim17ROCPRIM_400000_NS6detail17trampoline_kernelINS0_14default_configENS1_22reduce_config_selectorIdEEZNS1_11reduce_implILb1ES3_N6thrust23THRUST_200600_302600_NS6detail15normal_iteratorINS8_10device_ptrIdEEEEPdd9plus_mod3IdEEE10hipError_tPvRmT1_T2_T3_mT4_P12ihipStream_tbEUlT_E0_NS1_11comp_targetILNS1_3genE3ELNS1_11target_archE908ELNS1_3gpuE7ELNS1_3repE0EEENS1_30default_config_static_selectorELNS0_4arch9wavefront6targetE1EEEvSK_,"axG",@progbits,_ZN7rocprim17ROCPRIM_400000_NS6detail17trampoline_kernelINS0_14default_configENS1_22reduce_config_selectorIdEEZNS1_11reduce_implILb1ES3_N6thrust23THRUST_200600_302600_NS6detail15normal_iteratorINS8_10device_ptrIdEEEEPdd9plus_mod3IdEEE10hipError_tPvRmT1_T2_T3_mT4_P12ihipStream_tbEUlT_E0_NS1_11comp_targetILNS1_3genE3ELNS1_11target_archE908ELNS1_3gpuE7ELNS1_3repE0EEENS1_30default_config_static_selectorELNS0_4arch9wavefront6targetE1EEEvSK_,comdat
	.protected	_ZN7rocprim17ROCPRIM_400000_NS6detail17trampoline_kernelINS0_14default_configENS1_22reduce_config_selectorIdEEZNS1_11reduce_implILb1ES3_N6thrust23THRUST_200600_302600_NS6detail15normal_iteratorINS8_10device_ptrIdEEEEPdd9plus_mod3IdEEE10hipError_tPvRmT1_T2_T3_mT4_P12ihipStream_tbEUlT_E0_NS1_11comp_targetILNS1_3genE3ELNS1_11target_archE908ELNS1_3gpuE7ELNS1_3repE0EEENS1_30default_config_static_selectorELNS0_4arch9wavefront6targetE1EEEvSK_ ; -- Begin function _ZN7rocprim17ROCPRIM_400000_NS6detail17trampoline_kernelINS0_14default_configENS1_22reduce_config_selectorIdEEZNS1_11reduce_implILb1ES3_N6thrust23THRUST_200600_302600_NS6detail15normal_iteratorINS8_10device_ptrIdEEEEPdd9plus_mod3IdEEE10hipError_tPvRmT1_T2_T3_mT4_P12ihipStream_tbEUlT_E0_NS1_11comp_targetILNS1_3genE3ELNS1_11target_archE908ELNS1_3gpuE7ELNS1_3repE0EEENS1_30default_config_static_selectorELNS0_4arch9wavefront6targetE1EEEvSK_
	.globl	_ZN7rocprim17ROCPRIM_400000_NS6detail17trampoline_kernelINS0_14default_configENS1_22reduce_config_selectorIdEEZNS1_11reduce_implILb1ES3_N6thrust23THRUST_200600_302600_NS6detail15normal_iteratorINS8_10device_ptrIdEEEEPdd9plus_mod3IdEEE10hipError_tPvRmT1_T2_T3_mT4_P12ihipStream_tbEUlT_E0_NS1_11comp_targetILNS1_3genE3ELNS1_11target_archE908ELNS1_3gpuE7ELNS1_3repE0EEENS1_30default_config_static_selectorELNS0_4arch9wavefront6targetE1EEEvSK_
	.p2align	8
	.type	_ZN7rocprim17ROCPRIM_400000_NS6detail17trampoline_kernelINS0_14default_configENS1_22reduce_config_selectorIdEEZNS1_11reduce_implILb1ES3_N6thrust23THRUST_200600_302600_NS6detail15normal_iteratorINS8_10device_ptrIdEEEEPdd9plus_mod3IdEEE10hipError_tPvRmT1_T2_T3_mT4_P12ihipStream_tbEUlT_E0_NS1_11comp_targetILNS1_3genE3ELNS1_11target_archE908ELNS1_3gpuE7ELNS1_3repE0EEENS1_30default_config_static_selectorELNS0_4arch9wavefront6targetE1EEEvSK_,@function
_ZN7rocprim17ROCPRIM_400000_NS6detail17trampoline_kernelINS0_14default_configENS1_22reduce_config_selectorIdEEZNS1_11reduce_implILb1ES3_N6thrust23THRUST_200600_302600_NS6detail15normal_iteratorINS8_10device_ptrIdEEEEPdd9plus_mod3IdEEE10hipError_tPvRmT1_T2_T3_mT4_P12ihipStream_tbEUlT_E0_NS1_11comp_targetILNS1_3genE3ELNS1_11target_archE908ELNS1_3gpuE7ELNS1_3repE0EEENS1_30default_config_static_selectorELNS0_4arch9wavefront6targetE1EEEvSK_: ; @_ZN7rocprim17ROCPRIM_400000_NS6detail17trampoline_kernelINS0_14default_configENS1_22reduce_config_selectorIdEEZNS1_11reduce_implILb1ES3_N6thrust23THRUST_200600_302600_NS6detail15normal_iteratorINS8_10device_ptrIdEEEEPdd9plus_mod3IdEEE10hipError_tPvRmT1_T2_T3_mT4_P12ihipStream_tbEUlT_E0_NS1_11comp_targetILNS1_3genE3ELNS1_11target_archE908ELNS1_3gpuE7ELNS1_3repE0EEENS1_30default_config_static_selectorELNS0_4arch9wavefront6targetE1EEEvSK_
; %bb.0:
	.section	.rodata,"a",@progbits
	.p2align	6, 0x0
	.amdhsa_kernel _ZN7rocprim17ROCPRIM_400000_NS6detail17trampoline_kernelINS0_14default_configENS1_22reduce_config_selectorIdEEZNS1_11reduce_implILb1ES3_N6thrust23THRUST_200600_302600_NS6detail15normal_iteratorINS8_10device_ptrIdEEEEPdd9plus_mod3IdEEE10hipError_tPvRmT1_T2_T3_mT4_P12ihipStream_tbEUlT_E0_NS1_11comp_targetILNS1_3genE3ELNS1_11target_archE908ELNS1_3gpuE7ELNS1_3repE0EEENS1_30default_config_static_selectorELNS0_4arch9wavefront6targetE1EEEvSK_
		.amdhsa_group_segment_fixed_size 0
		.amdhsa_private_segment_fixed_size 0
		.amdhsa_kernarg_size 64
		.amdhsa_user_sgpr_count 2
		.amdhsa_user_sgpr_dispatch_ptr 0
		.amdhsa_user_sgpr_queue_ptr 0
		.amdhsa_user_sgpr_kernarg_segment_ptr 1
		.amdhsa_user_sgpr_dispatch_id 0
		.amdhsa_user_sgpr_kernarg_preload_length 0
		.amdhsa_user_sgpr_kernarg_preload_offset 0
		.amdhsa_user_sgpr_private_segment_size 0
		.amdhsa_uses_dynamic_stack 0
		.amdhsa_enable_private_segment 0
		.amdhsa_system_sgpr_workgroup_id_x 1
		.amdhsa_system_sgpr_workgroup_id_y 0
		.amdhsa_system_sgpr_workgroup_id_z 0
		.amdhsa_system_sgpr_workgroup_info 0
		.amdhsa_system_vgpr_workitem_id 0
		.amdhsa_next_free_vgpr 1
		.amdhsa_next_free_sgpr 0
		.amdhsa_accum_offset 4
		.amdhsa_reserve_vcc 0
		.amdhsa_float_round_mode_32 0
		.amdhsa_float_round_mode_16_64 0
		.amdhsa_float_denorm_mode_32 3
		.amdhsa_float_denorm_mode_16_64 3
		.amdhsa_dx10_clamp 1
		.amdhsa_ieee_mode 1
		.amdhsa_fp16_overflow 0
		.amdhsa_tg_split 0
		.amdhsa_exception_fp_ieee_invalid_op 0
		.amdhsa_exception_fp_denorm_src 0
		.amdhsa_exception_fp_ieee_div_zero 0
		.amdhsa_exception_fp_ieee_overflow 0
		.amdhsa_exception_fp_ieee_underflow 0
		.amdhsa_exception_fp_ieee_inexact 0
		.amdhsa_exception_int_div_zero 0
	.end_amdhsa_kernel
	.section	.text._ZN7rocprim17ROCPRIM_400000_NS6detail17trampoline_kernelINS0_14default_configENS1_22reduce_config_selectorIdEEZNS1_11reduce_implILb1ES3_N6thrust23THRUST_200600_302600_NS6detail15normal_iteratorINS8_10device_ptrIdEEEEPdd9plus_mod3IdEEE10hipError_tPvRmT1_T2_T3_mT4_P12ihipStream_tbEUlT_E0_NS1_11comp_targetILNS1_3genE3ELNS1_11target_archE908ELNS1_3gpuE7ELNS1_3repE0EEENS1_30default_config_static_selectorELNS0_4arch9wavefront6targetE1EEEvSK_,"axG",@progbits,_ZN7rocprim17ROCPRIM_400000_NS6detail17trampoline_kernelINS0_14default_configENS1_22reduce_config_selectorIdEEZNS1_11reduce_implILb1ES3_N6thrust23THRUST_200600_302600_NS6detail15normal_iteratorINS8_10device_ptrIdEEEEPdd9plus_mod3IdEEE10hipError_tPvRmT1_T2_T3_mT4_P12ihipStream_tbEUlT_E0_NS1_11comp_targetILNS1_3genE3ELNS1_11target_archE908ELNS1_3gpuE7ELNS1_3repE0EEENS1_30default_config_static_selectorELNS0_4arch9wavefront6targetE1EEEvSK_,comdat
.Lfunc_end716:
	.size	_ZN7rocprim17ROCPRIM_400000_NS6detail17trampoline_kernelINS0_14default_configENS1_22reduce_config_selectorIdEEZNS1_11reduce_implILb1ES3_N6thrust23THRUST_200600_302600_NS6detail15normal_iteratorINS8_10device_ptrIdEEEEPdd9plus_mod3IdEEE10hipError_tPvRmT1_T2_T3_mT4_P12ihipStream_tbEUlT_E0_NS1_11comp_targetILNS1_3genE3ELNS1_11target_archE908ELNS1_3gpuE7ELNS1_3repE0EEENS1_30default_config_static_selectorELNS0_4arch9wavefront6targetE1EEEvSK_, .Lfunc_end716-_ZN7rocprim17ROCPRIM_400000_NS6detail17trampoline_kernelINS0_14default_configENS1_22reduce_config_selectorIdEEZNS1_11reduce_implILb1ES3_N6thrust23THRUST_200600_302600_NS6detail15normal_iteratorINS8_10device_ptrIdEEEEPdd9plus_mod3IdEEE10hipError_tPvRmT1_T2_T3_mT4_P12ihipStream_tbEUlT_E0_NS1_11comp_targetILNS1_3genE3ELNS1_11target_archE908ELNS1_3gpuE7ELNS1_3repE0EEENS1_30default_config_static_selectorELNS0_4arch9wavefront6targetE1EEEvSK_
                                        ; -- End function
	.set _ZN7rocprim17ROCPRIM_400000_NS6detail17trampoline_kernelINS0_14default_configENS1_22reduce_config_selectorIdEEZNS1_11reduce_implILb1ES3_N6thrust23THRUST_200600_302600_NS6detail15normal_iteratorINS8_10device_ptrIdEEEEPdd9plus_mod3IdEEE10hipError_tPvRmT1_T2_T3_mT4_P12ihipStream_tbEUlT_E0_NS1_11comp_targetILNS1_3genE3ELNS1_11target_archE908ELNS1_3gpuE7ELNS1_3repE0EEENS1_30default_config_static_selectorELNS0_4arch9wavefront6targetE1EEEvSK_.num_vgpr, 0
	.set _ZN7rocprim17ROCPRIM_400000_NS6detail17trampoline_kernelINS0_14default_configENS1_22reduce_config_selectorIdEEZNS1_11reduce_implILb1ES3_N6thrust23THRUST_200600_302600_NS6detail15normal_iteratorINS8_10device_ptrIdEEEEPdd9plus_mod3IdEEE10hipError_tPvRmT1_T2_T3_mT4_P12ihipStream_tbEUlT_E0_NS1_11comp_targetILNS1_3genE3ELNS1_11target_archE908ELNS1_3gpuE7ELNS1_3repE0EEENS1_30default_config_static_selectorELNS0_4arch9wavefront6targetE1EEEvSK_.num_agpr, 0
	.set _ZN7rocprim17ROCPRIM_400000_NS6detail17trampoline_kernelINS0_14default_configENS1_22reduce_config_selectorIdEEZNS1_11reduce_implILb1ES3_N6thrust23THRUST_200600_302600_NS6detail15normal_iteratorINS8_10device_ptrIdEEEEPdd9plus_mod3IdEEE10hipError_tPvRmT1_T2_T3_mT4_P12ihipStream_tbEUlT_E0_NS1_11comp_targetILNS1_3genE3ELNS1_11target_archE908ELNS1_3gpuE7ELNS1_3repE0EEENS1_30default_config_static_selectorELNS0_4arch9wavefront6targetE1EEEvSK_.numbered_sgpr, 0
	.set _ZN7rocprim17ROCPRIM_400000_NS6detail17trampoline_kernelINS0_14default_configENS1_22reduce_config_selectorIdEEZNS1_11reduce_implILb1ES3_N6thrust23THRUST_200600_302600_NS6detail15normal_iteratorINS8_10device_ptrIdEEEEPdd9plus_mod3IdEEE10hipError_tPvRmT1_T2_T3_mT4_P12ihipStream_tbEUlT_E0_NS1_11comp_targetILNS1_3genE3ELNS1_11target_archE908ELNS1_3gpuE7ELNS1_3repE0EEENS1_30default_config_static_selectorELNS0_4arch9wavefront6targetE1EEEvSK_.num_named_barrier, 0
	.set _ZN7rocprim17ROCPRIM_400000_NS6detail17trampoline_kernelINS0_14default_configENS1_22reduce_config_selectorIdEEZNS1_11reduce_implILb1ES3_N6thrust23THRUST_200600_302600_NS6detail15normal_iteratorINS8_10device_ptrIdEEEEPdd9plus_mod3IdEEE10hipError_tPvRmT1_T2_T3_mT4_P12ihipStream_tbEUlT_E0_NS1_11comp_targetILNS1_3genE3ELNS1_11target_archE908ELNS1_3gpuE7ELNS1_3repE0EEENS1_30default_config_static_selectorELNS0_4arch9wavefront6targetE1EEEvSK_.private_seg_size, 0
	.set _ZN7rocprim17ROCPRIM_400000_NS6detail17trampoline_kernelINS0_14default_configENS1_22reduce_config_selectorIdEEZNS1_11reduce_implILb1ES3_N6thrust23THRUST_200600_302600_NS6detail15normal_iteratorINS8_10device_ptrIdEEEEPdd9plus_mod3IdEEE10hipError_tPvRmT1_T2_T3_mT4_P12ihipStream_tbEUlT_E0_NS1_11comp_targetILNS1_3genE3ELNS1_11target_archE908ELNS1_3gpuE7ELNS1_3repE0EEENS1_30default_config_static_selectorELNS0_4arch9wavefront6targetE1EEEvSK_.uses_vcc, 0
	.set _ZN7rocprim17ROCPRIM_400000_NS6detail17trampoline_kernelINS0_14default_configENS1_22reduce_config_selectorIdEEZNS1_11reduce_implILb1ES3_N6thrust23THRUST_200600_302600_NS6detail15normal_iteratorINS8_10device_ptrIdEEEEPdd9plus_mod3IdEEE10hipError_tPvRmT1_T2_T3_mT4_P12ihipStream_tbEUlT_E0_NS1_11comp_targetILNS1_3genE3ELNS1_11target_archE908ELNS1_3gpuE7ELNS1_3repE0EEENS1_30default_config_static_selectorELNS0_4arch9wavefront6targetE1EEEvSK_.uses_flat_scratch, 0
	.set _ZN7rocprim17ROCPRIM_400000_NS6detail17trampoline_kernelINS0_14default_configENS1_22reduce_config_selectorIdEEZNS1_11reduce_implILb1ES3_N6thrust23THRUST_200600_302600_NS6detail15normal_iteratorINS8_10device_ptrIdEEEEPdd9plus_mod3IdEEE10hipError_tPvRmT1_T2_T3_mT4_P12ihipStream_tbEUlT_E0_NS1_11comp_targetILNS1_3genE3ELNS1_11target_archE908ELNS1_3gpuE7ELNS1_3repE0EEENS1_30default_config_static_selectorELNS0_4arch9wavefront6targetE1EEEvSK_.has_dyn_sized_stack, 0
	.set _ZN7rocprim17ROCPRIM_400000_NS6detail17trampoline_kernelINS0_14default_configENS1_22reduce_config_selectorIdEEZNS1_11reduce_implILb1ES3_N6thrust23THRUST_200600_302600_NS6detail15normal_iteratorINS8_10device_ptrIdEEEEPdd9plus_mod3IdEEE10hipError_tPvRmT1_T2_T3_mT4_P12ihipStream_tbEUlT_E0_NS1_11comp_targetILNS1_3genE3ELNS1_11target_archE908ELNS1_3gpuE7ELNS1_3repE0EEENS1_30default_config_static_selectorELNS0_4arch9wavefront6targetE1EEEvSK_.has_recursion, 0
	.set _ZN7rocprim17ROCPRIM_400000_NS6detail17trampoline_kernelINS0_14default_configENS1_22reduce_config_selectorIdEEZNS1_11reduce_implILb1ES3_N6thrust23THRUST_200600_302600_NS6detail15normal_iteratorINS8_10device_ptrIdEEEEPdd9plus_mod3IdEEE10hipError_tPvRmT1_T2_T3_mT4_P12ihipStream_tbEUlT_E0_NS1_11comp_targetILNS1_3genE3ELNS1_11target_archE908ELNS1_3gpuE7ELNS1_3repE0EEENS1_30default_config_static_selectorELNS0_4arch9wavefront6targetE1EEEvSK_.has_indirect_call, 0
	.section	.AMDGPU.csdata,"",@progbits
; Kernel info:
; codeLenInByte = 0
; TotalNumSgprs: 6
; NumVgprs: 0
; NumAgprs: 0
; TotalNumVgprs: 0
; ScratchSize: 0
; MemoryBound: 0
; FloatMode: 240
; IeeeMode: 1
; LDSByteSize: 0 bytes/workgroup (compile time only)
; SGPRBlocks: 0
; VGPRBlocks: 0
; NumSGPRsForWavesPerEU: 6
; NumVGPRsForWavesPerEU: 1
; AccumOffset: 4
; Occupancy: 8
; WaveLimiterHint : 0
; COMPUTE_PGM_RSRC2:SCRATCH_EN: 0
; COMPUTE_PGM_RSRC2:USER_SGPR: 2
; COMPUTE_PGM_RSRC2:TRAP_HANDLER: 0
; COMPUTE_PGM_RSRC2:TGID_X_EN: 1
; COMPUTE_PGM_RSRC2:TGID_Y_EN: 0
; COMPUTE_PGM_RSRC2:TGID_Z_EN: 0
; COMPUTE_PGM_RSRC2:TIDIG_COMP_CNT: 0
; COMPUTE_PGM_RSRC3_GFX90A:ACCUM_OFFSET: 0
; COMPUTE_PGM_RSRC3_GFX90A:TG_SPLIT: 0
	.section	.text._ZN7rocprim17ROCPRIM_400000_NS6detail17trampoline_kernelINS0_14default_configENS1_22reduce_config_selectorIdEEZNS1_11reduce_implILb1ES3_N6thrust23THRUST_200600_302600_NS6detail15normal_iteratorINS8_10device_ptrIdEEEEPdd9plus_mod3IdEEE10hipError_tPvRmT1_T2_T3_mT4_P12ihipStream_tbEUlT_E0_NS1_11comp_targetILNS1_3genE2ELNS1_11target_archE906ELNS1_3gpuE6ELNS1_3repE0EEENS1_30default_config_static_selectorELNS0_4arch9wavefront6targetE1EEEvSK_,"axG",@progbits,_ZN7rocprim17ROCPRIM_400000_NS6detail17trampoline_kernelINS0_14default_configENS1_22reduce_config_selectorIdEEZNS1_11reduce_implILb1ES3_N6thrust23THRUST_200600_302600_NS6detail15normal_iteratorINS8_10device_ptrIdEEEEPdd9plus_mod3IdEEE10hipError_tPvRmT1_T2_T3_mT4_P12ihipStream_tbEUlT_E0_NS1_11comp_targetILNS1_3genE2ELNS1_11target_archE906ELNS1_3gpuE6ELNS1_3repE0EEENS1_30default_config_static_selectorELNS0_4arch9wavefront6targetE1EEEvSK_,comdat
	.protected	_ZN7rocprim17ROCPRIM_400000_NS6detail17trampoline_kernelINS0_14default_configENS1_22reduce_config_selectorIdEEZNS1_11reduce_implILb1ES3_N6thrust23THRUST_200600_302600_NS6detail15normal_iteratorINS8_10device_ptrIdEEEEPdd9plus_mod3IdEEE10hipError_tPvRmT1_T2_T3_mT4_P12ihipStream_tbEUlT_E0_NS1_11comp_targetILNS1_3genE2ELNS1_11target_archE906ELNS1_3gpuE6ELNS1_3repE0EEENS1_30default_config_static_selectorELNS0_4arch9wavefront6targetE1EEEvSK_ ; -- Begin function _ZN7rocprim17ROCPRIM_400000_NS6detail17trampoline_kernelINS0_14default_configENS1_22reduce_config_selectorIdEEZNS1_11reduce_implILb1ES3_N6thrust23THRUST_200600_302600_NS6detail15normal_iteratorINS8_10device_ptrIdEEEEPdd9plus_mod3IdEEE10hipError_tPvRmT1_T2_T3_mT4_P12ihipStream_tbEUlT_E0_NS1_11comp_targetILNS1_3genE2ELNS1_11target_archE906ELNS1_3gpuE6ELNS1_3repE0EEENS1_30default_config_static_selectorELNS0_4arch9wavefront6targetE1EEEvSK_
	.globl	_ZN7rocprim17ROCPRIM_400000_NS6detail17trampoline_kernelINS0_14default_configENS1_22reduce_config_selectorIdEEZNS1_11reduce_implILb1ES3_N6thrust23THRUST_200600_302600_NS6detail15normal_iteratorINS8_10device_ptrIdEEEEPdd9plus_mod3IdEEE10hipError_tPvRmT1_T2_T3_mT4_P12ihipStream_tbEUlT_E0_NS1_11comp_targetILNS1_3genE2ELNS1_11target_archE906ELNS1_3gpuE6ELNS1_3repE0EEENS1_30default_config_static_selectorELNS0_4arch9wavefront6targetE1EEEvSK_
	.p2align	8
	.type	_ZN7rocprim17ROCPRIM_400000_NS6detail17trampoline_kernelINS0_14default_configENS1_22reduce_config_selectorIdEEZNS1_11reduce_implILb1ES3_N6thrust23THRUST_200600_302600_NS6detail15normal_iteratorINS8_10device_ptrIdEEEEPdd9plus_mod3IdEEE10hipError_tPvRmT1_T2_T3_mT4_P12ihipStream_tbEUlT_E0_NS1_11comp_targetILNS1_3genE2ELNS1_11target_archE906ELNS1_3gpuE6ELNS1_3repE0EEENS1_30default_config_static_selectorELNS0_4arch9wavefront6targetE1EEEvSK_,@function
_ZN7rocprim17ROCPRIM_400000_NS6detail17trampoline_kernelINS0_14default_configENS1_22reduce_config_selectorIdEEZNS1_11reduce_implILb1ES3_N6thrust23THRUST_200600_302600_NS6detail15normal_iteratorINS8_10device_ptrIdEEEEPdd9plus_mod3IdEEE10hipError_tPvRmT1_T2_T3_mT4_P12ihipStream_tbEUlT_E0_NS1_11comp_targetILNS1_3genE2ELNS1_11target_archE906ELNS1_3gpuE6ELNS1_3repE0EEENS1_30default_config_static_selectorELNS0_4arch9wavefront6targetE1EEEvSK_: ; @_ZN7rocprim17ROCPRIM_400000_NS6detail17trampoline_kernelINS0_14default_configENS1_22reduce_config_selectorIdEEZNS1_11reduce_implILb1ES3_N6thrust23THRUST_200600_302600_NS6detail15normal_iteratorINS8_10device_ptrIdEEEEPdd9plus_mod3IdEEE10hipError_tPvRmT1_T2_T3_mT4_P12ihipStream_tbEUlT_E0_NS1_11comp_targetILNS1_3genE2ELNS1_11target_archE906ELNS1_3gpuE6ELNS1_3repE0EEENS1_30default_config_static_selectorELNS0_4arch9wavefront6targetE1EEEvSK_
; %bb.0:
	.section	.rodata,"a",@progbits
	.p2align	6, 0x0
	.amdhsa_kernel _ZN7rocprim17ROCPRIM_400000_NS6detail17trampoline_kernelINS0_14default_configENS1_22reduce_config_selectorIdEEZNS1_11reduce_implILb1ES3_N6thrust23THRUST_200600_302600_NS6detail15normal_iteratorINS8_10device_ptrIdEEEEPdd9plus_mod3IdEEE10hipError_tPvRmT1_T2_T3_mT4_P12ihipStream_tbEUlT_E0_NS1_11comp_targetILNS1_3genE2ELNS1_11target_archE906ELNS1_3gpuE6ELNS1_3repE0EEENS1_30default_config_static_selectorELNS0_4arch9wavefront6targetE1EEEvSK_
		.amdhsa_group_segment_fixed_size 0
		.amdhsa_private_segment_fixed_size 0
		.amdhsa_kernarg_size 64
		.amdhsa_user_sgpr_count 2
		.amdhsa_user_sgpr_dispatch_ptr 0
		.amdhsa_user_sgpr_queue_ptr 0
		.amdhsa_user_sgpr_kernarg_segment_ptr 1
		.amdhsa_user_sgpr_dispatch_id 0
		.amdhsa_user_sgpr_kernarg_preload_length 0
		.amdhsa_user_sgpr_kernarg_preload_offset 0
		.amdhsa_user_sgpr_private_segment_size 0
		.amdhsa_uses_dynamic_stack 0
		.amdhsa_enable_private_segment 0
		.amdhsa_system_sgpr_workgroup_id_x 1
		.amdhsa_system_sgpr_workgroup_id_y 0
		.amdhsa_system_sgpr_workgroup_id_z 0
		.amdhsa_system_sgpr_workgroup_info 0
		.amdhsa_system_vgpr_workitem_id 0
		.amdhsa_next_free_vgpr 1
		.amdhsa_next_free_sgpr 0
		.amdhsa_accum_offset 4
		.amdhsa_reserve_vcc 0
		.amdhsa_float_round_mode_32 0
		.amdhsa_float_round_mode_16_64 0
		.amdhsa_float_denorm_mode_32 3
		.amdhsa_float_denorm_mode_16_64 3
		.amdhsa_dx10_clamp 1
		.amdhsa_ieee_mode 1
		.amdhsa_fp16_overflow 0
		.amdhsa_tg_split 0
		.amdhsa_exception_fp_ieee_invalid_op 0
		.amdhsa_exception_fp_denorm_src 0
		.amdhsa_exception_fp_ieee_div_zero 0
		.amdhsa_exception_fp_ieee_overflow 0
		.amdhsa_exception_fp_ieee_underflow 0
		.amdhsa_exception_fp_ieee_inexact 0
		.amdhsa_exception_int_div_zero 0
	.end_amdhsa_kernel
	.section	.text._ZN7rocprim17ROCPRIM_400000_NS6detail17trampoline_kernelINS0_14default_configENS1_22reduce_config_selectorIdEEZNS1_11reduce_implILb1ES3_N6thrust23THRUST_200600_302600_NS6detail15normal_iteratorINS8_10device_ptrIdEEEEPdd9plus_mod3IdEEE10hipError_tPvRmT1_T2_T3_mT4_P12ihipStream_tbEUlT_E0_NS1_11comp_targetILNS1_3genE2ELNS1_11target_archE906ELNS1_3gpuE6ELNS1_3repE0EEENS1_30default_config_static_selectorELNS0_4arch9wavefront6targetE1EEEvSK_,"axG",@progbits,_ZN7rocprim17ROCPRIM_400000_NS6detail17trampoline_kernelINS0_14default_configENS1_22reduce_config_selectorIdEEZNS1_11reduce_implILb1ES3_N6thrust23THRUST_200600_302600_NS6detail15normal_iteratorINS8_10device_ptrIdEEEEPdd9plus_mod3IdEEE10hipError_tPvRmT1_T2_T3_mT4_P12ihipStream_tbEUlT_E0_NS1_11comp_targetILNS1_3genE2ELNS1_11target_archE906ELNS1_3gpuE6ELNS1_3repE0EEENS1_30default_config_static_selectorELNS0_4arch9wavefront6targetE1EEEvSK_,comdat
.Lfunc_end717:
	.size	_ZN7rocprim17ROCPRIM_400000_NS6detail17trampoline_kernelINS0_14default_configENS1_22reduce_config_selectorIdEEZNS1_11reduce_implILb1ES3_N6thrust23THRUST_200600_302600_NS6detail15normal_iteratorINS8_10device_ptrIdEEEEPdd9plus_mod3IdEEE10hipError_tPvRmT1_T2_T3_mT4_P12ihipStream_tbEUlT_E0_NS1_11comp_targetILNS1_3genE2ELNS1_11target_archE906ELNS1_3gpuE6ELNS1_3repE0EEENS1_30default_config_static_selectorELNS0_4arch9wavefront6targetE1EEEvSK_, .Lfunc_end717-_ZN7rocprim17ROCPRIM_400000_NS6detail17trampoline_kernelINS0_14default_configENS1_22reduce_config_selectorIdEEZNS1_11reduce_implILb1ES3_N6thrust23THRUST_200600_302600_NS6detail15normal_iteratorINS8_10device_ptrIdEEEEPdd9plus_mod3IdEEE10hipError_tPvRmT1_T2_T3_mT4_P12ihipStream_tbEUlT_E0_NS1_11comp_targetILNS1_3genE2ELNS1_11target_archE906ELNS1_3gpuE6ELNS1_3repE0EEENS1_30default_config_static_selectorELNS0_4arch9wavefront6targetE1EEEvSK_
                                        ; -- End function
	.set _ZN7rocprim17ROCPRIM_400000_NS6detail17trampoline_kernelINS0_14default_configENS1_22reduce_config_selectorIdEEZNS1_11reduce_implILb1ES3_N6thrust23THRUST_200600_302600_NS6detail15normal_iteratorINS8_10device_ptrIdEEEEPdd9plus_mod3IdEEE10hipError_tPvRmT1_T2_T3_mT4_P12ihipStream_tbEUlT_E0_NS1_11comp_targetILNS1_3genE2ELNS1_11target_archE906ELNS1_3gpuE6ELNS1_3repE0EEENS1_30default_config_static_selectorELNS0_4arch9wavefront6targetE1EEEvSK_.num_vgpr, 0
	.set _ZN7rocprim17ROCPRIM_400000_NS6detail17trampoline_kernelINS0_14default_configENS1_22reduce_config_selectorIdEEZNS1_11reduce_implILb1ES3_N6thrust23THRUST_200600_302600_NS6detail15normal_iteratorINS8_10device_ptrIdEEEEPdd9plus_mod3IdEEE10hipError_tPvRmT1_T2_T3_mT4_P12ihipStream_tbEUlT_E0_NS1_11comp_targetILNS1_3genE2ELNS1_11target_archE906ELNS1_3gpuE6ELNS1_3repE0EEENS1_30default_config_static_selectorELNS0_4arch9wavefront6targetE1EEEvSK_.num_agpr, 0
	.set _ZN7rocprim17ROCPRIM_400000_NS6detail17trampoline_kernelINS0_14default_configENS1_22reduce_config_selectorIdEEZNS1_11reduce_implILb1ES3_N6thrust23THRUST_200600_302600_NS6detail15normal_iteratorINS8_10device_ptrIdEEEEPdd9plus_mod3IdEEE10hipError_tPvRmT1_T2_T3_mT4_P12ihipStream_tbEUlT_E0_NS1_11comp_targetILNS1_3genE2ELNS1_11target_archE906ELNS1_3gpuE6ELNS1_3repE0EEENS1_30default_config_static_selectorELNS0_4arch9wavefront6targetE1EEEvSK_.numbered_sgpr, 0
	.set _ZN7rocprim17ROCPRIM_400000_NS6detail17trampoline_kernelINS0_14default_configENS1_22reduce_config_selectorIdEEZNS1_11reduce_implILb1ES3_N6thrust23THRUST_200600_302600_NS6detail15normal_iteratorINS8_10device_ptrIdEEEEPdd9plus_mod3IdEEE10hipError_tPvRmT1_T2_T3_mT4_P12ihipStream_tbEUlT_E0_NS1_11comp_targetILNS1_3genE2ELNS1_11target_archE906ELNS1_3gpuE6ELNS1_3repE0EEENS1_30default_config_static_selectorELNS0_4arch9wavefront6targetE1EEEvSK_.num_named_barrier, 0
	.set _ZN7rocprim17ROCPRIM_400000_NS6detail17trampoline_kernelINS0_14default_configENS1_22reduce_config_selectorIdEEZNS1_11reduce_implILb1ES3_N6thrust23THRUST_200600_302600_NS6detail15normal_iteratorINS8_10device_ptrIdEEEEPdd9plus_mod3IdEEE10hipError_tPvRmT1_T2_T3_mT4_P12ihipStream_tbEUlT_E0_NS1_11comp_targetILNS1_3genE2ELNS1_11target_archE906ELNS1_3gpuE6ELNS1_3repE0EEENS1_30default_config_static_selectorELNS0_4arch9wavefront6targetE1EEEvSK_.private_seg_size, 0
	.set _ZN7rocprim17ROCPRIM_400000_NS6detail17trampoline_kernelINS0_14default_configENS1_22reduce_config_selectorIdEEZNS1_11reduce_implILb1ES3_N6thrust23THRUST_200600_302600_NS6detail15normal_iteratorINS8_10device_ptrIdEEEEPdd9plus_mod3IdEEE10hipError_tPvRmT1_T2_T3_mT4_P12ihipStream_tbEUlT_E0_NS1_11comp_targetILNS1_3genE2ELNS1_11target_archE906ELNS1_3gpuE6ELNS1_3repE0EEENS1_30default_config_static_selectorELNS0_4arch9wavefront6targetE1EEEvSK_.uses_vcc, 0
	.set _ZN7rocprim17ROCPRIM_400000_NS6detail17trampoline_kernelINS0_14default_configENS1_22reduce_config_selectorIdEEZNS1_11reduce_implILb1ES3_N6thrust23THRUST_200600_302600_NS6detail15normal_iteratorINS8_10device_ptrIdEEEEPdd9plus_mod3IdEEE10hipError_tPvRmT1_T2_T3_mT4_P12ihipStream_tbEUlT_E0_NS1_11comp_targetILNS1_3genE2ELNS1_11target_archE906ELNS1_3gpuE6ELNS1_3repE0EEENS1_30default_config_static_selectorELNS0_4arch9wavefront6targetE1EEEvSK_.uses_flat_scratch, 0
	.set _ZN7rocprim17ROCPRIM_400000_NS6detail17trampoline_kernelINS0_14default_configENS1_22reduce_config_selectorIdEEZNS1_11reduce_implILb1ES3_N6thrust23THRUST_200600_302600_NS6detail15normal_iteratorINS8_10device_ptrIdEEEEPdd9plus_mod3IdEEE10hipError_tPvRmT1_T2_T3_mT4_P12ihipStream_tbEUlT_E0_NS1_11comp_targetILNS1_3genE2ELNS1_11target_archE906ELNS1_3gpuE6ELNS1_3repE0EEENS1_30default_config_static_selectorELNS0_4arch9wavefront6targetE1EEEvSK_.has_dyn_sized_stack, 0
	.set _ZN7rocprim17ROCPRIM_400000_NS6detail17trampoline_kernelINS0_14default_configENS1_22reduce_config_selectorIdEEZNS1_11reduce_implILb1ES3_N6thrust23THRUST_200600_302600_NS6detail15normal_iteratorINS8_10device_ptrIdEEEEPdd9plus_mod3IdEEE10hipError_tPvRmT1_T2_T3_mT4_P12ihipStream_tbEUlT_E0_NS1_11comp_targetILNS1_3genE2ELNS1_11target_archE906ELNS1_3gpuE6ELNS1_3repE0EEENS1_30default_config_static_selectorELNS0_4arch9wavefront6targetE1EEEvSK_.has_recursion, 0
	.set _ZN7rocprim17ROCPRIM_400000_NS6detail17trampoline_kernelINS0_14default_configENS1_22reduce_config_selectorIdEEZNS1_11reduce_implILb1ES3_N6thrust23THRUST_200600_302600_NS6detail15normal_iteratorINS8_10device_ptrIdEEEEPdd9plus_mod3IdEEE10hipError_tPvRmT1_T2_T3_mT4_P12ihipStream_tbEUlT_E0_NS1_11comp_targetILNS1_3genE2ELNS1_11target_archE906ELNS1_3gpuE6ELNS1_3repE0EEENS1_30default_config_static_selectorELNS0_4arch9wavefront6targetE1EEEvSK_.has_indirect_call, 0
	.section	.AMDGPU.csdata,"",@progbits
; Kernel info:
; codeLenInByte = 0
; TotalNumSgprs: 6
; NumVgprs: 0
; NumAgprs: 0
; TotalNumVgprs: 0
; ScratchSize: 0
; MemoryBound: 0
; FloatMode: 240
; IeeeMode: 1
; LDSByteSize: 0 bytes/workgroup (compile time only)
; SGPRBlocks: 0
; VGPRBlocks: 0
; NumSGPRsForWavesPerEU: 6
; NumVGPRsForWavesPerEU: 1
; AccumOffset: 4
; Occupancy: 8
; WaveLimiterHint : 0
; COMPUTE_PGM_RSRC2:SCRATCH_EN: 0
; COMPUTE_PGM_RSRC2:USER_SGPR: 2
; COMPUTE_PGM_RSRC2:TRAP_HANDLER: 0
; COMPUTE_PGM_RSRC2:TGID_X_EN: 1
; COMPUTE_PGM_RSRC2:TGID_Y_EN: 0
; COMPUTE_PGM_RSRC2:TGID_Z_EN: 0
; COMPUTE_PGM_RSRC2:TIDIG_COMP_CNT: 0
; COMPUTE_PGM_RSRC3_GFX90A:ACCUM_OFFSET: 0
; COMPUTE_PGM_RSRC3_GFX90A:TG_SPLIT: 0
	.section	.text._ZN7rocprim17ROCPRIM_400000_NS6detail17trampoline_kernelINS0_14default_configENS1_22reduce_config_selectorIdEEZNS1_11reduce_implILb1ES3_N6thrust23THRUST_200600_302600_NS6detail15normal_iteratorINS8_10device_ptrIdEEEEPdd9plus_mod3IdEEE10hipError_tPvRmT1_T2_T3_mT4_P12ihipStream_tbEUlT_E0_NS1_11comp_targetILNS1_3genE10ELNS1_11target_archE1201ELNS1_3gpuE5ELNS1_3repE0EEENS1_30default_config_static_selectorELNS0_4arch9wavefront6targetE1EEEvSK_,"axG",@progbits,_ZN7rocprim17ROCPRIM_400000_NS6detail17trampoline_kernelINS0_14default_configENS1_22reduce_config_selectorIdEEZNS1_11reduce_implILb1ES3_N6thrust23THRUST_200600_302600_NS6detail15normal_iteratorINS8_10device_ptrIdEEEEPdd9plus_mod3IdEEE10hipError_tPvRmT1_T2_T3_mT4_P12ihipStream_tbEUlT_E0_NS1_11comp_targetILNS1_3genE10ELNS1_11target_archE1201ELNS1_3gpuE5ELNS1_3repE0EEENS1_30default_config_static_selectorELNS0_4arch9wavefront6targetE1EEEvSK_,comdat
	.protected	_ZN7rocprim17ROCPRIM_400000_NS6detail17trampoline_kernelINS0_14default_configENS1_22reduce_config_selectorIdEEZNS1_11reduce_implILb1ES3_N6thrust23THRUST_200600_302600_NS6detail15normal_iteratorINS8_10device_ptrIdEEEEPdd9plus_mod3IdEEE10hipError_tPvRmT1_T2_T3_mT4_P12ihipStream_tbEUlT_E0_NS1_11comp_targetILNS1_3genE10ELNS1_11target_archE1201ELNS1_3gpuE5ELNS1_3repE0EEENS1_30default_config_static_selectorELNS0_4arch9wavefront6targetE1EEEvSK_ ; -- Begin function _ZN7rocprim17ROCPRIM_400000_NS6detail17trampoline_kernelINS0_14default_configENS1_22reduce_config_selectorIdEEZNS1_11reduce_implILb1ES3_N6thrust23THRUST_200600_302600_NS6detail15normal_iteratorINS8_10device_ptrIdEEEEPdd9plus_mod3IdEEE10hipError_tPvRmT1_T2_T3_mT4_P12ihipStream_tbEUlT_E0_NS1_11comp_targetILNS1_3genE10ELNS1_11target_archE1201ELNS1_3gpuE5ELNS1_3repE0EEENS1_30default_config_static_selectorELNS0_4arch9wavefront6targetE1EEEvSK_
	.globl	_ZN7rocprim17ROCPRIM_400000_NS6detail17trampoline_kernelINS0_14default_configENS1_22reduce_config_selectorIdEEZNS1_11reduce_implILb1ES3_N6thrust23THRUST_200600_302600_NS6detail15normal_iteratorINS8_10device_ptrIdEEEEPdd9plus_mod3IdEEE10hipError_tPvRmT1_T2_T3_mT4_P12ihipStream_tbEUlT_E0_NS1_11comp_targetILNS1_3genE10ELNS1_11target_archE1201ELNS1_3gpuE5ELNS1_3repE0EEENS1_30default_config_static_selectorELNS0_4arch9wavefront6targetE1EEEvSK_
	.p2align	8
	.type	_ZN7rocprim17ROCPRIM_400000_NS6detail17trampoline_kernelINS0_14default_configENS1_22reduce_config_selectorIdEEZNS1_11reduce_implILb1ES3_N6thrust23THRUST_200600_302600_NS6detail15normal_iteratorINS8_10device_ptrIdEEEEPdd9plus_mod3IdEEE10hipError_tPvRmT1_T2_T3_mT4_P12ihipStream_tbEUlT_E0_NS1_11comp_targetILNS1_3genE10ELNS1_11target_archE1201ELNS1_3gpuE5ELNS1_3repE0EEENS1_30default_config_static_selectorELNS0_4arch9wavefront6targetE1EEEvSK_,@function
_ZN7rocprim17ROCPRIM_400000_NS6detail17trampoline_kernelINS0_14default_configENS1_22reduce_config_selectorIdEEZNS1_11reduce_implILb1ES3_N6thrust23THRUST_200600_302600_NS6detail15normal_iteratorINS8_10device_ptrIdEEEEPdd9plus_mod3IdEEE10hipError_tPvRmT1_T2_T3_mT4_P12ihipStream_tbEUlT_E0_NS1_11comp_targetILNS1_3genE10ELNS1_11target_archE1201ELNS1_3gpuE5ELNS1_3repE0EEENS1_30default_config_static_selectorELNS0_4arch9wavefront6targetE1EEEvSK_: ; @_ZN7rocprim17ROCPRIM_400000_NS6detail17trampoline_kernelINS0_14default_configENS1_22reduce_config_selectorIdEEZNS1_11reduce_implILb1ES3_N6thrust23THRUST_200600_302600_NS6detail15normal_iteratorINS8_10device_ptrIdEEEEPdd9plus_mod3IdEEE10hipError_tPvRmT1_T2_T3_mT4_P12ihipStream_tbEUlT_E0_NS1_11comp_targetILNS1_3genE10ELNS1_11target_archE1201ELNS1_3gpuE5ELNS1_3repE0EEENS1_30default_config_static_selectorELNS0_4arch9wavefront6targetE1EEEvSK_
; %bb.0:
	.section	.rodata,"a",@progbits
	.p2align	6, 0x0
	.amdhsa_kernel _ZN7rocprim17ROCPRIM_400000_NS6detail17trampoline_kernelINS0_14default_configENS1_22reduce_config_selectorIdEEZNS1_11reduce_implILb1ES3_N6thrust23THRUST_200600_302600_NS6detail15normal_iteratorINS8_10device_ptrIdEEEEPdd9plus_mod3IdEEE10hipError_tPvRmT1_T2_T3_mT4_P12ihipStream_tbEUlT_E0_NS1_11comp_targetILNS1_3genE10ELNS1_11target_archE1201ELNS1_3gpuE5ELNS1_3repE0EEENS1_30default_config_static_selectorELNS0_4arch9wavefront6targetE1EEEvSK_
		.amdhsa_group_segment_fixed_size 0
		.amdhsa_private_segment_fixed_size 0
		.amdhsa_kernarg_size 64
		.amdhsa_user_sgpr_count 2
		.amdhsa_user_sgpr_dispatch_ptr 0
		.amdhsa_user_sgpr_queue_ptr 0
		.amdhsa_user_sgpr_kernarg_segment_ptr 1
		.amdhsa_user_sgpr_dispatch_id 0
		.amdhsa_user_sgpr_kernarg_preload_length 0
		.amdhsa_user_sgpr_kernarg_preload_offset 0
		.amdhsa_user_sgpr_private_segment_size 0
		.amdhsa_uses_dynamic_stack 0
		.amdhsa_enable_private_segment 0
		.amdhsa_system_sgpr_workgroup_id_x 1
		.amdhsa_system_sgpr_workgroup_id_y 0
		.amdhsa_system_sgpr_workgroup_id_z 0
		.amdhsa_system_sgpr_workgroup_info 0
		.amdhsa_system_vgpr_workitem_id 0
		.amdhsa_next_free_vgpr 1
		.amdhsa_next_free_sgpr 0
		.amdhsa_accum_offset 4
		.amdhsa_reserve_vcc 0
		.amdhsa_float_round_mode_32 0
		.amdhsa_float_round_mode_16_64 0
		.amdhsa_float_denorm_mode_32 3
		.amdhsa_float_denorm_mode_16_64 3
		.amdhsa_dx10_clamp 1
		.amdhsa_ieee_mode 1
		.amdhsa_fp16_overflow 0
		.amdhsa_tg_split 0
		.amdhsa_exception_fp_ieee_invalid_op 0
		.amdhsa_exception_fp_denorm_src 0
		.amdhsa_exception_fp_ieee_div_zero 0
		.amdhsa_exception_fp_ieee_overflow 0
		.amdhsa_exception_fp_ieee_underflow 0
		.amdhsa_exception_fp_ieee_inexact 0
		.amdhsa_exception_int_div_zero 0
	.end_amdhsa_kernel
	.section	.text._ZN7rocprim17ROCPRIM_400000_NS6detail17trampoline_kernelINS0_14default_configENS1_22reduce_config_selectorIdEEZNS1_11reduce_implILb1ES3_N6thrust23THRUST_200600_302600_NS6detail15normal_iteratorINS8_10device_ptrIdEEEEPdd9plus_mod3IdEEE10hipError_tPvRmT1_T2_T3_mT4_P12ihipStream_tbEUlT_E0_NS1_11comp_targetILNS1_3genE10ELNS1_11target_archE1201ELNS1_3gpuE5ELNS1_3repE0EEENS1_30default_config_static_selectorELNS0_4arch9wavefront6targetE1EEEvSK_,"axG",@progbits,_ZN7rocprim17ROCPRIM_400000_NS6detail17trampoline_kernelINS0_14default_configENS1_22reduce_config_selectorIdEEZNS1_11reduce_implILb1ES3_N6thrust23THRUST_200600_302600_NS6detail15normal_iteratorINS8_10device_ptrIdEEEEPdd9plus_mod3IdEEE10hipError_tPvRmT1_T2_T3_mT4_P12ihipStream_tbEUlT_E0_NS1_11comp_targetILNS1_3genE10ELNS1_11target_archE1201ELNS1_3gpuE5ELNS1_3repE0EEENS1_30default_config_static_selectorELNS0_4arch9wavefront6targetE1EEEvSK_,comdat
.Lfunc_end718:
	.size	_ZN7rocprim17ROCPRIM_400000_NS6detail17trampoline_kernelINS0_14default_configENS1_22reduce_config_selectorIdEEZNS1_11reduce_implILb1ES3_N6thrust23THRUST_200600_302600_NS6detail15normal_iteratorINS8_10device_ptrIdEEEEPdd9plus_mod3IdEEE10hipError_tPvRmT1_T2_T3_mT4_P12ihipStream_tbEUlT_E0_NS1_11comp_targetILNS1_3genE10ELNS1_11target_archE1201ELNS1_3gpuE5ELNS1_3repE0EEENS1_30default_config_static_selectorELNS0_4arch9wavefront6targetE1EEEvSK_, .Lfunc_end718-_ZN7rocprim17ROCPRIM_400000_NS6detail17trampoline_kernelINS0_14default_configENS1_22reduce_config_selectorIdEEZNS1_11reduce_implILb1ES3_N6thrust23THRUST_200600_302600_NS6detail15normal_iteratorINS8_10device_ptrIdEEEEPdd9plus_mod3IdEEE10hipError_tPvRmT1_T2_T3_mT4_P12ihipStream_tbEUlT_E0_NS1_11comp_targetILNS1_3genE10ELNS1_11target_archE1201ELNS1_3gpuE5ELNS1_3repE0EEENS1_30default_config_static_selectorELNS0_4arch9wavefront6targetE1EEEvSK_
                                        ; -- End function
	.set _ZN7rocprim17ROCPRIM_400000_NS6detail17trampoline_kernelINS0_14default_configENS1_22reduce_config_selectorIdEEZNS1_11reduce_implILb1ES3_N6thrust23THRUST_200600_302600_NS6detail15normal_iteratorINS8_10device_ptrIdEEEEPdd9plus_mod3IdEEE10hipError_tPvRmT1_T2_T3_mT4_P12ihipStream_tbEUlT_E0_NS1_11comp_targetILNS1_3genE10ELNS1_11target_archE1201ELNS1_3gpuE5ELNS1_3repE0EEENS1_30default_config_static_selectorELNS0_4arch9wavefront6targetE1EEEvSK_.num_vgpr, 0
	.set _ZN7rocprim17ROCPRIM_400000_NS6detail17trampoline_kernelINS0_14default_configENS1_22reduce_config_selectorIdEEZNS1_11reduce_implILb1ES3_N6thrust23THRUST_200600_302600_NS6detail15normal_iteratorINS8_10device_ptrIdEEEEPdd9plus_mod3IdEEE10hipError_tPvRmT1_T2_T3_mT4_P12ihipStream_tbEUlT_E0_NS1_11comp_targetILNS1_3genE10ELNS1_11target_archE1201ELNS1_3gpuE5ELNS1_3repE0EEENS1_30default_config_static_selectorELNS0_4arch9wavefront6targetE1EEEvSK_.num_agpr, 0
	.set _ZN7rocprim17ROCPRIM_400000_NS6detail17trampoline_kernelINS0_14default_configENS1_22reduce_config_selectorIdEEZNS1_11reduce_implILb1ES3_N6thrust23THRUST_200600_302600_NS6detail15normal_iteratorINS8_10device_ptrIdEEEEPdd9plus_mod3IdEEE10hipError_tPvRmT1_T2_T3_mT4_P12ihipStream_tbEUlT_E0_NS1_11comp_targetILNS1_3genE10ELNS1_11target_archE1201ELNS1_3gpuE5ELNS1_3repE0EEENS1_30default_config_static_selectorELNS0_4arch9wavefront6targetE1EEEvSK_.numbered_sgpr, 0
	.set _ZN7rocprim17ROCPRIM_400000_NS6detail17trampoline_kernelINS0_14default_configENS1_22reduce_config_selectorIdEEZNS1_11reduce_implILb1ES3_N6thrust23THRUST_200600_302600_NS6detail15normal_iteratorINS8_10device_ptrIdEEEEPdd9plus_mod3IdEEE10hipError_tPvRmT1_T2_T3_mT4_P12ihipStream_tbEUlT_E0_NS1_11comp_targetILNS1_3genE10ELNS1_11target_archE1201ELNS1_3gpuE5ELNS1_3repE0EEENS1_30default_config_static_selectorELNS0_4arch9wavefront6targetE1EEEvSK_.num_named_barrier, 0
	.set _ZN7rocprim17ROCPRIM_400000_NS6detail17trampoline_kernelINS0_14default_configENS1_22reduce_config_selectorIdEEZNS1_11reduce_implILb1ES3_N6thrust23THRUST_200600_302600_NS6detail15normal_iteratorINS8_10device_ptrIdEEEEPdd9plus_mod3IdEEE10hipError_tPvRmT1_T2_T3_mT4_P12ihipStream_tbEUlT_E0_NS1_11comp_targetILNS1_3genE10ELNS1_11target_archE1201ELNS1_3gpuE5ELNS1_3repE0EEENS1_30default_config_static_selectorELNS0_4arch9wavefront6targetE1EEEvSK_.private_seg_size, 0
	.set _ZN7rocprim17ROCPRIM_400000_NS6detail17trampoline_kernelINS0_14default_configENS1_22reduce_config_selectorIdEEZNS1_11reduce_implILb1ES3_N6thrust23THRUST_200600_302600_NS6detail15normal_iteratorINS8_10device_ptrIdEEEEPdd9plus_mod3IdEEE10hipError_tPvRmT1_T2_T3_mT4_P12ihipStream_tbEUlT_E0_NS1_11comp_targetILNS1_3genE10ELNS1_11target_archE1201ELNS1_3gpuE5ELNS1_3repE0EEENS1_30default_config_static_selectorELNS0_4arch9wavefront6targetE1EEEvSK_.uses_vcc, 0
	.set _ZN7rocprim17ROCPRIM_400000_NS6detail17trampoline_kernelINS0_14default_configENS1_22reduce_config_selectorIdEEZNS1_11reduce_implILb1ES3_N6thrust23THRUST_200600_302600_NS6detail15normal_iteratorINS8_10device_ptrIdEEEEPdd9plus_mod3IdEEE10hipError_tPvRmT1_T2_T3_mT4_P12ihipStream_tbEUlT_E0_NS1_11comp_targetILNS1_3genE10ELNS1_11target_archE1201ELNS1_3gpuE5ELNS1_3repE0EEENS1_30default_config_static_selectorELNS0_4arch9wavefront6targetE1EEEvSK_.uses_flat_scratch, 0
	.set _ZN7rocprim17ROCPRIM_400000_NS6detail17trampoline_kernelINS0_14default_configENS1_22reduce_config_selectorIdEEZNS1_11reduce_implILb1ES3_N6thrust23THRUST_200600_302600_NS6detail15normal_iteratorINS8_10device_ptrIdEEEEPdd9plus_mod3IdEEE10hipError_tPvRmT1_T2_T3_mT4_P12ihipStream_tbEUlT_E0_NS1_11comp_targetILNS1_3genE10ELNS1_11target_archE1201ELNS1_3gpuE5ELNS1_3repE0EEENS1_30default_config_static_selectorELNS0_4arch9wavefront6targetE1EEEvSK_.has_dyn_sized_stack, 0
	.set _ZN7rocprim17ROCPRIM_400000_NS6detail17trampoline_kernelINS0_14default_configENS1_22reduce_config_selectorIdEEZNS1_11reduce_implILb1ES3_N6thrust23THRUST_200600_302600_NS6detail15normal_iteratorINS8_10device_ptrIdEEEEPdd9plus_mod3IdEEE10hipError_tPvRmT1_T2_T3_mT4_P12ihipStream_tbEUlT_E0_NS1_11comp_targetILNS1_3genE10ELNS1_11target_archE1201ELNS1_3gpuE5ELNS1_3repE0EEENS1_30default_config_static_selectorELNS0_4arch9wavefront6targetE1EEEvSK_.has_recursion, 0
	.set _ZN7rocprim17ROCPRIM_400000_NS6detail17trampoline_kernelINS0_14default_configENS1_22reduce_config_selectorIdEEZNS1_11reduce_implILb1ES3_N6thrust23THRUST_200600_302600_NS6detail15normal_iteratorINS8_10device_ptrIdEEEEPdd9plus_mod3IdEEE10hipError_tPvRmT1_T2_T3_mT4_P12ihipStream_tbEUlT_E0_NS1_11comp_targetILNS1_3genE10ELNS1_11target_archE1201ELNS1_3gpuE5ELNS1_3repE0EEENS1_30default_config_static_selectorELNS0_4arch9wavefront6targetE1EEEvSK_.has_indirect_call, 0
	.section	.AMDGPU.csdata,"",@progbits
; Kernel info:
; codeLenInByte = 0
; TotalNumSgprs: 6
; NumVgprs: 0
; NumAgprs: 0
; TotalNumVgprs: 0
; ScratchSize: 0
; MemoryBound: 0
; FloatMode: 240
; IeeeMode: 1
; LDSByteSize: 0 bytes/workgroup (compile time only)
; SGPRBlocks: 0
; VGPRBlocks: 0
; NumSGPRsForWavesPerEU: 6
; NumVGPRsForWavesPerEU: 1
; AccumOffset: 4
; Occupancy: 8
; WaveLimiterHint : 0
; COMPUTE_PGM_RSRC2:SCRATCH_EN: 0
; COMPUTE_PGM_RSRC2:USER_SGPR: 2
; COMPUTE_PGM_RSRC2:TRAP_HANDLER: 0
; COMPUTE_PGM_RSRC2:TGID_X_EN: 1
; COMPUTE_PGM_RSRC2:TGID_Y_EN: 0
; COMPUTE_PGM_RSRC2:TGID_Z_EN: 0
; COMPUTE_PGM_RSRC2:TIDIG_COMP_CNT: 0
; COMPUTE_PGM_RSRC3_GFX90A:ACCUM_OFFSET: 0
; COMPUTE_PGM_RSRC3_GFX90A:TG_SPLIT: 0
	.section	.text._ZN7rocprim17ROCPRIM_400000_NS6detail17trampoline_kernelINS0_14default_configENS1_22reduce_config_selectorIdEEZNS1_11reduce_implILb1ES3_N6thrust23THRUST_200600_302600_NS6detail15normal_iteratorINS8_10device_ptrIdEEEEPdd9plus_mod3IdEEE10hipError_tPvRmT1_T2_T3_mT4_P12ihipStream_tbEUlT_E0_NS1_11comp_targetILNS1_3genE10ELNS1_11target_archE1200ELNS1_3gpuE4ELNS1_3repE0EEENS1_30default_config_static_selectorELNS0_4arch9wavefront6targetE1EEEvSK_,"axG",@progbits,_ZN7rocprim17ROCPRIM_400000_NS6detail17trampoline_kernelINS0_14default_configENS1_22reduce_config_selectorIdEEZNS1_11reduce_implILb1ES3_N6thrust23THRUST_200600_302600_NS6detail15normal_iteratorINS8_10device_ptrIdEEEEPdd9plus_mod3IdEEE10hipError_tPvRmT1_T2_T3_mT4_P12ihipStream_tbEUlT_E0_NS1_11comp_targetILNS1_3genE10ELNS1_11target_archE1200ELNS1_3gpuE4ELNS1_3repE0EEENS1_30default_config_static_selectorELNS0_4arch9wavefront6targetE1EEEvSK_,comdat
	.protected	_ZN7rocprim17ROCPRIM_400000_NS6detail17trampoline_kernelINS0_14default_configENS1_22reduce_config_selectorIdEEZNS1_11reduce_implILb1ES3_N6thrust23THRUST_200600_302600_NS6detail15normal_iteratorINS8_10device_ptrIdEEEEPdd9plus_mod3IdEEE10hipError_tPvRmT1_T2_T3_mT4_P12ihipStream_tbEUlT_E0_NS1_11comp_targetILNS1_3genE10ELNS1_11target_archE1200ELNS1_3gpuE4ELNS1_3repE0EEENS1_30default_config_static_selectorELNS0_4arch9wavefront6targetE1EEEvSK_ ; -- Begin function _ZN7rocprim17ROCPRIM_400000_NS6detail17trampoline_kernelINS0_14default_configENS1_22reduce_config_selectorIdEEZNS1_11reduce_implILb1ES3_N6thrust23THRUST_200600_302600_NS6detail15normal_iteratorINS8_10device_ptrIdEEEEPdd9plus_mod3IdEEE10hipError_tPvRmT1_T2_T3_mT4_P12ihipStream_tbEUlT_E0_NS1_11comp_targetILNS1_3genE10ELNS1_11target_archE1200ELNS1_3gpuE4ELNS1_3repE0EEENS1_30default_config_static_selectorELNS0_4arch9wavefront6targetE1EEEvSK_
	.globl	_ZN7rocprim17ROCPRIM_400000_NS6detail17trampoline_kernelINS0_14default_configENS1_22reduce_config_selectorIdEEZNS1_11reduce_implILb1ES3_N6thrust23THRUST_200600_302600_NS6detail15normal_iteratorINS8_10device_ptrIdEEEEPdd9plus_mod3IdEEE10hipError_tPvRmT1_T2_T3_mT4_P12ihipStream_tbEUlT_E0_NS1_11comp_targetILNS1_3genE10ELNS1_11target_archE1200ELNS1_3gpuE4ELNS1_3repE0EEENS1_30default_config_static_selectorELNS0_4arch9wavefront6targetE1EEEvSK_
	.p2align	8
	.type	_ZN7rocprim17ROCPRIM_400000_NS6detail17trampoline_kernelINS0_14default_configENS1_22reduce_config_selectorIdEEZNS1_11reduce_implILb1ES3_N6thrust23THRUST_200600_302600_NS6detail15normal_iteratorINS8_10device_ptrIdEEEEPdd9plus_mod3IdEEE10hipError_tPvRmT1_T2_T3_mT4_P12ihipStream_tbEUlT_E0_NS1_11comp_targetILNS1_3genE10ELNS1_11target_archE1200ELNS1_3gpuE4ELNS1_3repE0EEENS1_30default_config_static_selectorELNS0_4arch9wavefront6targetE1EEEvSK_,@function
_ZN7rocprim17ROCPRIM_400000_NS6detail17trampoline_kernelINS0_14default_configENS1_22reduce_config_selectorIdEEZNS1_11reduce_implILb1ES3_N6thrust23THRUST_200600_302600_NS6detail15normal_iteratorINS8_10device_ptrIdEEEEPdd9plus_mod3IdEEE10hipError_tPvRmT1_T2_T3_mT4_P12ihipStream_tbEUlT_E0_NS1_11comp_targetILNS1_3genE10ELNS1_11target_archE1200ELNS1_3gpuE4ELNS1_3repE0EEENS1_30default_config_static_selectorELNS0_4arch9wavefront6targetE1EEEvSK_: ; @_ZN7rocprim17ROCPRIM_400000_NS6detail17trampoline_kernelINS0_14default_configENS1_22reduce_config_selectorIdEEZNS1_11reduce_implILb1ES3_N6thrust23THRUST_200600_302600_NS6detail15normal_iteratorINS8_10device_ptrIdEEEEPdd9plus_mod3IdEEE10hipError_tPvRmT1_T2_T3_mT4_P12ihipStream_tbEUlT_E0_NS1_11comp_targetILNS1_3genE10ELNS1_11target_archE1200ELNS1_3gpuE4ELNS1_3repE0EEENS1_30default_config_static_selectorELNS0_4arch9wavefront6targetE1EEEvSK_
; %bb.0:
	.section	.rodata,"a",@progbits
	.p2align	6, 0x0
	.amdhsa_kernel _ZN7rocprim17ROCPRIM_400000_NS6detail17trampoline_kernelINS0_14default_configENS1_22reduce_config_selectorIdEEZNS1_11reduce_implILb1ES3_N6thrust23THRUST_200600_302600_NS6detail15normal_iteratorINS8_10device_ptrIdEEEEPdd9plus_mod3IdEEE10hipError_tPvRmT1_T2_T3_mT4_P12ihipStream_tbEUlT_E0_NS1_11comp_targetILNS1_3genE10ELNS1_11target_archE1200ELNS1_3gpuE4ELNS1_3repE0EEENS1_30default_config_static_selectorELNS0_4arch9wavefront6targetE1EEEvSK_
		.amdhsa_group_segment_fixed_size 0
		.amdhsa_private_segment_fixed_size 0
		.amdhsa_kernarg_size 64
		.amdhsa_user_sgpr_count 2
		.amdhsa_user_sgpr_dispatch_ptr 0
		.amdhsa_user_sgpr_queue_ptr 0
		.amdhsa_user_sgpr_kernarg_segment_ptr 1
		.amdhsa_user_sgpr_dispatch_id 0
		.amdhsa_user_sgpr_kernarg_preload_length 0
		.amdhsa_user_sgpr_kernarg_preload_offset 0
		.amdhsa_user_sgpr_private_segment_size 0
		.amdhsa_uses_dynamic_stack 0
		.amdhsa_enable_private_segment 0
		.amdhsa_system_sgpr_workgroup_id_x 1
		.amdhsa_system_sgpr_workgroup_id_y 0
		.amdhsa_system_sgpr_workgroup_id_z 0
		.amdhsa_system_sgpr_workgroup_info 0
		.amdhsa_system_vgpr_workitem_id 0
		.amdhsa_next_free_vgpr 1
		.amdhsa_next_free_sgpr 0
		.amdhsa_accum_offset 4
		.amdhsa_reserve_vcc 0
		.amdhsa_float_round_mode_32 0
		.amdhsa_float_round_mode_16_64 0
		.amdhsa_float_denorm_mode_32 3
		.amdhsa_float_denorm_mode_16_64 3
		.amdhsa_dx10_clamp 1
		.amdhsa_ieee_mode 1
		.amdhsa_fp16_overflow 0
		.amdhsa_tg_split 0
		.amdhsa_exception_fp_ieee_invalid_op 0
		.amdhsa_exception_fp_denorm_src 0
		.amdhsa_exception_fp_ieee_div_zero 0
		.amdhsa_exception_fp_ieee_overflow 0
		.amdhsa_exception_fp_ieee_underflow 0
		.amdhsa_exception_fp_ieee_inexact 0
		.amdhsa_exception_int_div_zero 0
	.end_amdhsa_kernel
	.section	.text._ZN7rocprim17ROCPRIM_400000_NS6detail17trampoline_kernelINS0_14default_configENS1_22reduce_config_selectorIdEEZNS1_11reduce_implILb1ES3_N6thrust23THRUST_200600_302600_NS6detail15normal_iteratorINS8_10device_ptrIdEEEEPdd9plus_mod3IdEEE10hipError_tPvRmT1_T2_T3_mT4_P12ihipStream_tbEUlT_E0_NS1_11comp_targetILNS1_3genE10ELNS1_11target_archE1200ELNS1_3gpuE4ELNS1_3repE0EEENS1_30default_config_static_selectorELNS0_4arch9wavefront6targetE1EEEvSK_,"axG",@progbits,_ZN7rocprim17ROCPRIM_400000_NS6detail17trampoline_kernelINS0_14default_configENS1_22reduce_config_selectorIdEEZNS1_11reduce_implILb1ES3_N6thrust23THRUST_200600_302600_NS6detail15normal_iteratorINS8_10device_ptrIdEEEEPdd9plus_mod3IdEEE10hipError_tPvRmT1_T2_T3_mT4_P12ihipStream_tbEUlT_E0_NS1_11comp_targetILNS1_3genE10ELNS1_11target_archE1200ELNS1_3gpuE4ELNS1_3repE0EEENS1_30default_config_static_selectorELNS0_4arch9wavefront6targetE1EEEvSK_,comdat
.Lfunc_end719:
	.size	_ZN7rocprim17ROCPRIM_400000_NS6detail17trampoline_kernelINS0_14default_configENS1_22reduce_config_selectorIdEEZNS1_11reduce_implILb1ES3_N6thrust23THRUST_200600_302600_NS6detail15normal_iteratorINS8_10device_ptrIdEEEEPdd9plus_mod3IdEEE10hipError_tPvRmT1_T2_T3_mT4_P12ihipStream_tbEUlT_E0_NS1_11comp_targetILNS1_3genE10ELNS1_11target_archE1200ELNS1_3gpuE4ELNS1_3repE0EEENS1_30default_config_static_selectorELNS0_4arch9wavefront6targetE1EEEvSK_, .Lfunc_end719-_ZN7rocprim17ROCPRIM_400000_NS6detail17trampoline_kernelINS0_14default_configENS1_22reduce_config_selectorIdEEZNS1_11reduce_implILb1ES3_N6thrust23THRUST_200600_302600_NS6detail15normal_iteratorINS8_10device_ptrIdEEEEPdd9plus_mod3IdEEE10hipError_tPvRmT1_T2_T3_mT4_P12ihipStream_tbEUlT_E0_NS1_11comp_targetILNS1_3genE10ELNS1_11target_archE1200ELNS1_3gpuE4ELNS1_3repE0EEENS1_30default_config_static_selectorELNS0_4arch9wavefront6targetE1EEEvSK_
                                        ; -- End function
	.set _ZN7rocprim17ROCPRIM_400000_NS6detail17trampoline_kernelINS0_14default_configENS1_22reduce_config_selectorIdEEZNS1_11reduce_implILb1ES3_N6thrust23THRUST_200600_302600_NS6detail15normal_iteratorINS8_10device_ptrIdEEEEPdd9plus_mod3IdEEE10hipError_tPvRmT1_T2_T3_mT4_P12ihipStream_tbEUlT_E0_NS1_11comp_targetILNS1_3genE10ELNS1_11target_archE1200ELNS1_3gpuE4ELNS1_3repE0EEENS1_30default_config_static_selectorELNS0_4arch9wavefront6targetE1EEEvSK_.num_vgpr, 0
	.set _ZN7rocprim17ROCPRIM_400000_NS6detail17trampoline_kernelINS0_14default_configENS1_22reduce_config_selectorIdEEZNS1_11reduce_implILb1ES3_N6thrust23THRUST_200600_302600_NS6detail15normal_iteratorINS8_10device_ptrIdEEEEPdd9plus_mod3IdEEE10hipError_tPvRmT1_T2_T3_mT4_P12ihipStream_tbEUlT_E0_NS1_11comp_targetILNS1_3genE10ELNS1_11target_archE1200ELNS1_3gpuE4ELNS1_3repE0EEENS1_30default_config_static_selectorELNS0_4arch9wavefront6targetE1EEEvSK_.num_agpr, 0
	.set _ZN7rocprim17ROCPRIM_400000_NS6detail17trampoline_kernelINS0_14default_configENS1_22reduce_config_selectorIdEEZNS1_11reduce_implILb1ES3_N6thrust23THRUST_200600_302600_NS6detail15normal_iteratorINS8_10device_ptrIdEEEEPdd9plus_mod3IdEEE10hipError_tPvRmT1_T2_T3_mT4_P12ihipStream_tbEUlT_E0_NS1_11comp_targetILNS1_3genE10ELNS1_11target_archE1200ELNS1_3gpuE4ELNS1_3repE0EEENS1_30default_config_static_selectorELNS0_4arch9wavefront6targetE1EEEvSK_.numbered_sgpr, 0
	.set _ZN7rocprim17ROCPRIM_400000_NS6detail17trampoline_kernelINS0_14default_configENS1_22reduce_config_selectorIdEEZNS1_11reduce_implILb1ES3_N6thrust23THRUST_200600_302600_NS6detail15normal_iteratorINS8_10device_ptrIdEEEEPdd9plus_mod3IdEEE10hipError_tPvRmT1_T2_T3_mT4_P12ihipStream_tbEUlT_E0_NS1_11comp_targetILNS1_3genE10ELNS1_11target_archE1200ELNS1_3gpuE4ELNS1_3repE0EEENS1_30default_config_static_selectorELNS0_4arch9wavefront6targetE1EEEvSK_.num_named_barrier, 0
	.set _ZN7rocprim17ROCPRIM_400000_NS6detail17trampoline_kernelINS0_14default_configENS1_22reduce_config_selectorIdEEZNS1_11reduce_implILb1ES3_N6thrust23THRUST_200600_302600_NS6detail15normal_iteratorINS8_10device_ptrIdEEEEPdd9plus_mod3IdEEE10hipError_tPvRmT1_T2_T3_mT4_P12ihipStream_tbEUlT_E0_NS1_11comp_targetILNS1_3genE10ELNS1_11target_archE1200ELNS1_3gpuE4ELNS1_3repE0EEENS1_30default_config_static_selectorELNS0_4arch9wavefront6targetE1EEEvSK_.private_seg_size, 0
	.set _ZN7rocprim17ROCPRIM_400000_NS6detail17trampoline_kernelINS0_14default_configENS1_22reduce_config_selectorIdEEZNS1_11reduce_implILb1ES3_N6thrust23THRUST_200600_302600_NS6detail15normal_iteratorINS8_10device_ptrIdEEEEPdd9plus_mod3IdEEE10hipError_tPvRmT1_T2_T3_mT4_P12ihipStream_tbEUlT_E0_NS1_11comp_targetILNS1_3genE10ELNS1_11target_archE1200ELNS1_3gpuE4ELNS1_3repE0EEENS1_30default_config_static_selectorELNS0_4arch9wavefront6targetE1EEEvSK_.uses_vcc, 0
	.set _ZN7rocprim17ROCPRIM_400000_NS6detail17trampoline_kernelINS0_14default_configENS1_22reduce_config_selectorIdEEZNS1_11reduce_implILb1ES3_N6thrust23THRUST_200600_302600_NS6detail15normal_iteratorINS8_10device_ptrIdEEEEPdd9plus_mod3IdEEE10hipError_tPvRmT1_T2_T3_mT4_P12ihipStream_tbEUlT_E0_NS1_11comp_targetILNS1_3genE10ELNS1_11target_archE1200ELNS1_3gpuE4ELNS1_3repE0EEENS1_30default_config_static_selectorELNS0_4arch9wavefront6targetE1EEEvSK_.uses_flat_scratch, 0
	.set _ZN7rocprim17ROCPRIM_400000_NS6detail17trampoline_kernelINS0_14default_configENS1_22reduce_config_selectorIdEEZNS1_11reduce_implILb1ES3_N6thrust23THRUST_200600_302600_NS6detail15normal_iteratorINS8_10device_ptrIdEEEEPdd9plus_mod3IdEEE10hipError_tPvRmT1_T2_T3_mT4_P12ihipStream_tbEUlT_E0_NS1_11comp_targetILNS1_3genE10ELNS1_11target_archE1200ELNS1_3gpuE4ELNS1_3repE0EEENS1_30default_config_static_selectorELNS0_4arch9wavefront6targetE1EEEvSK_.has_dyn_sized_stack, 0
	.set _ZN7rocprim17ROCPRIM_400000_NS6detail17trampoline_kernelINS0_14default_configENS1_22reduce_config_selectorIdEEZNS1_11reduce_implILb1ES3_N6thrust23THRUST_200600_302600_NS6detail15normal_iteratorINS8_10device_ptrIdEEEEPdd9plus_mod3IdEEE10hipError_tPvRmT1_T2_T3_mT4_P12ihipStream_tbEUlT_E0_NS1_11comp_targetILNS1_3genE10ELNS1_11target_archE1200ELNS1_3gpuE4ELNS1_3repE0EEENS1_30default_config_static_selectorELNS0_4arch9wavefront6targetE1EEEvSK_.has_recursion, 0
	.set _ZN7rocprim17ROCPRIM_400000_NS6detail17trampoline_kernelINS0_14default_configENS1_22reduce_config_selectorIdEEZNS1_11reduce_implILb1ES3_N6thrust23THRUST_200600_302600_NS6detail15normal_iteratorINS8_10device_ptrIdEEEEPdd9plus_mod3IdEEE10hipError_tPvRmT1_T2_T3_mT4_P12ihipStream_tbEUlT_E0_NS1_11comp_targetILNS1_3genE10ELNS1_11target_archE1200ELNS1_3gpuE4ELNS1_3repE0EEENS1_30default_config_static_selectorELNS0_4arch9wavefront6targetE1EEEvSK_.has_indirect_call, 0
	.section	.AMDGPU.csdata,"",@progbits
; Kernel info:
; codeLenInByte = 0
; TotalNumSgprs: 6
; NumVgprs: 0
; NumAgprs: 0
; TotalNumVgprs: 0
; ScratchSize: 0
; MemoryBound: 0
; FloatMode: 240
; IeeeMode: 1
; LDSByteSize: 0 bytes/workgroup (compile time only)
; SGPRBlocks: 0
; VGPRBlocks: 0
; NumSGPRsForWavesPerEU: 6
; NumVGPRsForWavesPerEU: 1
; AccumOffset: 4
; Occupancy: 8
; WaveLimiterHint : 0
; COMPUTE_PGM_RSRC2:SCRATCH_EN: 0
; COMPUTE_PGM_RSRC2:USER_SGPR: 2
; COMPUTE_PGM_RSRC2:TRAP_HANDLER: 0
; COMPUTE_PGM_RSRC2:TGID_X_EN: 1
; COMPUTE_PGM_RSRC2:TGID_Y_EN: 0
; COMPUTE_PGM_RSRC2:TGID_Z_EN: 0
; COMPUTE_PGM_RSRC2:TIDIG_COMP_CNT: 0
; COMPUTE_PGM_RSRC3_GFX90A:ACCUM_OFFSET: 0
; COMPUTE_PGM_RSRC3_GFX90A:TG_SPLIT: 0
	.section	.text._ZN7rocprim17ROCPRIM_400000_NS6detail17trampoline_kernelINS0_14default_configENS1_22reduce_config_selectorIdEEZNS1_11reduce_implILb1ES3_N6thrust23THRUST_200600_302600_NS6detail15normal_iteratorINS8_10device_ptrIdEEEEPdd9plus_mod3IdEEE10hipError_tPvRmT1_T2_T3_mT4_P12ihipStream_tbEUlT_E0_NS1_11comp_targetILNS1_3genE9ELNS1_11target_archE1100ELNS1_3gpuE3ELNS1_3repE0EEENS1_30default_config_static_selectorELNS0_4arch9wavefront6targetE1EEEvSK_,"axG",@progbits,_ZN7rocprim17ROCPRIM_400000_NS6detail17trampoline_kernelINS0_14default_configENS1_22reduce_config_selectorIdEEZNS1_11reduce_implILb1ES3_N6thrust23THRUST_200600_302600_NS6detail15normal_iteratorINS8_10device_ptrIdEEEEPdd9plus_mod3IdEEE10hipError_tPvRmT1_T2_T3_mT4_P12ihipStream_tbEUlT_E0_NS1_11comp_targetILNS1_3genE9ELNS1_11target_archE1100ELNS1_3gpuE3ELNS1_3repE0EEENS1_30default_config_static_selectorELNS0_4arch9wavefront6targetE1EEEvSK_,comdat
	.protected	_ZN7rocprim17ROCPRIM_400000_NS6detail17trampoline_kernelINS0_14default_configENS1_22reduce_config_selectorIdEEZNS1_11reduce_implILb1ES3_N6thrust23THRUST_200600_302600_NS6detail15normal_iteratorINS8_10device_ptrIdEEEEPdd9plus_mod3IdEEE10hipError_tPvRmT1_T2_T3_mT4_P12ihipStream_tbEUlT_E0_NS1_11comp_targetILNS1_3genE9ELNS1_11target_archE1100ELNS1_3gpuE3ELNS1_3repE0EEENS1_30default_config_static_selectorELNS0_4arch9wavefront6targetE1EEEvSK_ ; -- Begin function _ZN7rocprim17ROCPRIM_400000_NS6detail17trampoline_kernelINS0_14default_configENS1_22reduce_config_selectorIdEEZNS1_11reduce_implILb1ES3_N6thrust23THRUST_200600_302600_NS6detail15normal_iteratorINS8_10device_ptrIdEEEEPdd9plus_mod3IdEEE10hipError_tPvRmT1_T2_T3_mT4_P12ihipStream_tbEUlT_E0_NS1_11comp_targetILNS1_3genE9ELNS1_11target_archE1100ELNS1_3gpuE3ELNS1_3repE0EEENS1_30default_config_static_selectorELNS0_4arch9wavefront6targetE1EEEvSK_
	.globl	_ZN7rocprim17ROCPRIM_400000_NS6detail17trampoline_kernelINS0_14default_configENS1_22reduce_config_selectorIdEEZNS1_11reduce_implILb1ES3_N6thrust23THRUST_200600_302600_NS6detail15normal_iteratorINS8_10device_ptrIdEEEEPdd9plus_mod3IdEEE10hipError_tPvRmT1_T2_T3_mT4_P12ihipStream_tbEUlT_E0_NS1_11comp_targetILNS1_3genE9ELNS1_11target_archE1100ELNS1_3gpuE3ELNS1_3repE0EEENS1_30default_config_static_selectorELNS0_4arch9wavefront6targetE1EEEvSK_
	.p2align	8
	.type	_ZN7rocprim17ROCPRIM_400000_NS6detail17trampoline_kernelINS0_14default_configENS1_22reduce_config_selectorIdEEZNS1_11reduce_implILb1ES3_N6thrust23THRUST_200600_302600_NS6detail15normal_iteratorINS8_10device_ptrIdEEEEPdd9plus_mod3IdEEE10hipError_tPvRmT1_T2_T3_mT4_P12ihipStream_tbEUlT_E0_NS1_11comp_targetILNS1_3genE9ELNS1_11target_archE1100ELNS1_3gpuE3ELNS1_3repE0EEENS1_30default_config_static_selectorELNS0_4arch9wavefront6targetE1EEEvSK_,@function
_ZN7rocprim17ROCPRIM_400000_NS6detail17trampoline_kernelINS0_14default_configENS1_22reduce_config_selectorIdEEZNS1_11reduce_implILb1ES3_N6thrust23THRUST_200600_302600_NS6detail15normal_iteratorINS8_10device_ptrIdEEEEPdd9plus_mod3IdEEE10hipError_tPvRmT1_T2_T3_mT4_P12ihipStream_tbEUlT_E0_NS1_11comp_targetILNS1_3genE9ELNS1_11target_archE1100ELNS1_3gpuE3ELNS1_3repE0EEENS1_30default_config_static_selectorELNS0_4arch9wavefront6targetE1EEEvSK_: ; @_ZN7rocprim17ROCPRIM_400000_NS6detail17trampoline_kernelINS0_14default_configENS1_22reduce_config_selectorIdEEZNS1_11reduce_implILb1ES3_N6thrust23THRUST_200600_302600_NS6detail15normal_iteratorINS8_10device_ptrIdEEEEPdd9plus_mod3IdEEE10hipError_tPvRmT1_T2_T3_mT4_P12ihipStream_tbEUlT_E0_NS1_11comp_targetILNS1_3genE9ELNS1_11target_archE1100ELNS1_3gpuE3ELNS1_3repE0EEENS1_30default_config_static_selectorELNS0_4arch9wavefront6targetE1EEEvSK_
; %bb.0:
	.section	.rodata,"a",@progbits
	.p2align	6, 0x0
	.amdhsa_kernel _ZN7rocprim17ROCPRIM_400000_NS6detail17trampoline_kernelINS0_14default_configENS1_22reduce_config_selectorIdEEZNS1_11reduce_implILb1ES3_N6thrust23THRUST_200600_302600_NS6detail15normal_iteratorINS8_10device_ptrIdEEEEPdd9plus_mod3IdEEE10hipError_tPvRmT1_T2_T3_mT4_P12ihipStream_tbEUlT_E0_NS1_11comp_targetILNS1_3genE9ELNS1_11target_archE1100ELNS1_3gpuE3ELNS1_3repE0EEENS1_30default_config_static_selectorELNS0_4arch9wavefront6targetE1EEEvSK_
		.amdhsa_group_segment_fixed_size 0
		.amdhsa_private_segment_fixed_size 0
		.amdhsa_kernarg_size 64
		.amdhsa_user_sgpr_count 2
		.amdhsa_user_sgpr_dispatch_ptr 0
		.amdhsa_user_sgpr_queue_ptr 0
		.amdhsa_user_sgpr_kernarg_segment_ptr 1
		.amdhsa_user_sgpr_dispatch_id 0
		.amdhsa_user_sgpr_kernarg_preload_length 0
		.amdhsa_user_sgpr_kernarg_preload_offset 0
		.amdhsa_user_sgpr_private_segment_size 0
		.amdhsa_uses_dynamic_stack 0
		.amdhsa_enable_private_segment 0
		.amdhsa_system_sgpr_workgroup_id_x 1
		.amdhsa_system_sgpr_workgroup_id_y 0
		.amdhsa_system_sgpr_workgroup_id_z 0
		.amdhsa_system_sgpr_workgroup_info 0
		.amdhsa_system_vgpr_workitem_id 0
		.amdhsa_next_free_vgpr 1
		.amdhsa_next_free_sgpr 0
		.amdhsa_accum_offset 4
		.amdhsa_reserve_vcc 0
		.amdhsa_float_round_mode_32 0
		.amdhsa_float_round_mode_16_64 0
		.amdhsa_float_denorm_mode_32 3
		.amdhsa_float_denorm_mode_16_64 3
		.amdhsa_dx10_clamp 1
		.amdhsa_ieee_mode 1
		.amdhsa_fp16_overflow 0
		.amdhsa_tg_split 0
		.amdhsa_exception_fp_ieee_invalid_op 0
		.amdhsa_exception_fp_denorm_src 0
		.amdhsa_exception_fp_ieee_div_zero 0
		.amdhsa_exception_fp_ieee_overflow 0
		.amdhsa_exception_fp_ieee_underflow 0
		.amdhsa_exception_fp_ieee_inexact 0
		.amdhsa_exception_int_div_zero 0
	.end_amdhsa_kernel
	.section	.text._ZN7rocprim17ROCPRIM_400000_NS6detail17trampoline_kernelINS0_14default_configENS1_22reduce_config_selectorIdEEZNS1_11reduce_implILb1ES3_N6thrust23THRUST_200600_302600_NS6detail15normal_iteratorINS8_10device_ptrIdEEEEPdd9plus_mod3IdEEE10hipError_tPvRmT1_T2_T3_mT4_P12ihipStream_tbEUlT_E0_NS1_11comp_targetILNS1_3genE9ELNS1_11target_archE1100ELNS1_3gpuE3ELNS1_3repE0EEENS1_30default_config_static_selectorELNS0_4arch9wavefront6targetE1EEEvSK_,"axG",@progbits,_ZN7rocprim17ROCPRIM_400000_NS6detail17trampoline_kernelINS0_14default_configENS1_22reduce_config_selectorIdEEZNS1_11reduce_implILb1ES3_N6thrust23THRUST_200600_302600_NS6detail15normal_iteratorINS8_10device_ptrIdEEEEPdd9plus_mod3IdEEE10hipError_tPvRmT1_T2_T3_mT4_P12ihipStream_tbEUlT_E0_NS1_11comp_targetILNS1_3genE9ELNS1_11target_archE1100ELNS1_3gpuE3ELNS1_3repE0EEENS1_30default_config_static_selectorELNS0_4arch9wavefront6targetE1EEEvSK_,comdat
.Lfunc_end720:
	.size	_ZN7rocprim17ROCPRIM_400000_NS6detail17trampoline_kernelINS0_14default_configENS1_22reduce_config_selectorIdEEZNS1_11reduce_implILb1ES3_N6thrust23THRUST_200600_302600_NS6detail15normal_iteratorINS8_10device_ptrIdEEEEPdd9plus_mod3IdEEE10hipError_tPvRmT1_T2_T3_mT4_P12ihipStream_tbEUlT_E0_NS1_11comp_targetILNS1_3genE9ELNS1_11target_archE1100ELNS1_3gpuE3ELNS1_3repE0EEENS1_30default_config_static_selectorELNS0_4arch9wavefront6targetE1EEEvSK_, .Lfunc_end720-_ZN7rocprim17ROCPRIM_400000_NS6detail17trampoline_kernelINS0_14default_configENS1_22reduce_config_selectorIdEEZNS1_11reduce_implILb1ES3_N6thrust23THRUST_200600_302600_NS6detail15normal_iteratorINS8_10device_ptrIdEEEEPdd9plus_mod3IdEEE10hipError_tPvRmT1_T2_T3_mT4_P12ihipStream_tbEUlT_E0_NS1_11comp_targetILNS1_3genE9ELNS1_11target_archE1100ELNS1_3gpuE3ELNS1_3repE0EEENS1_30default_config_static_selectorELNS0_4arch9wavefront6targetE1EEEvSK_
                                        ; -- End function
	.set _ZN7rocprim17ROCPRIM_400000_NS6detail17trampoline_kernelINS0_14default_configENS1_22reduce_config_selectorIdEEZNS1_11reduce_implILb1ES3_N6thrust23THRUST_200600_302600_NS6detail15normal_iteratorINS8_10device_ptrIdEEEEPdd9plus_mod3IdEEE10hipError_tPvRmT1_T2_T3_mT4_P12ihipStream_tbEUlT_E0_NS1_11comp_targetILNS1_3genE9ELNS1_11target_archE1100ELNS1_3gpuE3ELNS1_3repE0EEENS1_30default_config_static_selectorELNS0_4arch9wavefront6targetE1EEEvSK_.num_vgpr, 0
	.set _ZN7rocprim17ROCPRIM_400000_NS6detail17trampoline_kernelINS0_14default_configENS1_22reduce_config_selectorIdEEZNS1_11reduce_implILb1ES3_N6thrust23THRUST_200600_302600_NS6detail15normal_iteratorINS8_10device_ptrIdEEEEPdd9plus_mod3IdEEE10hipError_tPvRmT1_T2_T3_mT4_P12ihipStream_tbEUlT_E0_NS1_11comp_targetILNS1_3genE9ELNS1_11target_archE1100ELNS1_3gpuE3ELNS1_3repE0EEENS1_30default_config_static_selectorELNS0_4arch9wavefront6targetE1EEEvSK_.num_agpr, 0
	.set _ZN7rocprim17ROCPRIM_400000_NS6detail17trampoline_kernelINS0_14default_configENS1_22reduce_config_selectorIdEEZNS1_11reduce_implILb1ES3_N6thrust23THRUST_200600_302600_NS6detail15normal_iteratorINS8_10device_ptrIdEEEEPdd9plus_mod3IdEEE10hipError_tPvRmT1_T2_T3_mT4_P12ihipStream_tbEUlT_E0_NS1_11comp_targetILNS1_3genE9ELNS1_11target_archE1100ELNS1_3gpuE3ELNS1_3repE0EEENS1_30default_config_static_selectorELNS0_4arch9wavefront6targetE1EEEvSK_.numbered_sgpr, 0
	.set _ZN7rocprim17ROCPRIM_400000_NS6detail17trampoline_kernelINS0_14default_configENS1_22reduce_config_selectorIdEEZNS1_11reduce_implILb1ES3_N6thrust23THRUST_200600_302600_NS6detail15normal_iteratorINS8_10device_ptrIdEEEEPdd9plus_mod3IdEEE10hipError_tPvRmT1_T2_T3_mT4_P12ihipStream_tbEUlT_E0_NS1_11comp_targetILNS1_3genE9ELNS1_11target_archE1100ELNS1_3gpuE3ELNS1_3repE0EEENS1_30default_config_static_selectorELNS0_4arch9wavefront6targetE1EEEvSK_.num_named_barrier, 0
	.set _ZN7rocprim17ROCPRIM_400000_NS6detail17trampoline_kernelINS0_14default_configENS1_22reduce_config_selectorIdEEZNS1_11reduce_implILb1ES3_N6thrust23THRUST_200600_302600_NS6detail15normal_iteratorINS8_10device_ptrIdEEEEPdd9plus_mod3IdEEE10hipError_tPvRmT1_T2_T3_mT4_P12ihipStream_tbEUlT_E0_NS1_11comp_targetILNS1_3genE9ELNS1_11target_archE1100ELNS1_3gpuE3ELNS1_3repE0EEENS1_30default_config_static_selectorELNS0_4arch9wavefront6targetE1EEEvSK_.private_seg_size, 0
	.set _ZN7rocprim17ROCPRIM_400000_NS6detail17trampoline_kernelINS0_14default_configENS1_22reduce_config_selectorIdEEZNS1_11reduce_implILb1ES3_N6thrust23THRUST_200600_302600_NS6detail15normal_iteratorINS8_10device_ptrIdEEEEPdd9plus_mod3IdEEE10hipError_tPvRmT1_T2_T3_mT4_P12ihipStream_tbEUlT_E0_NS1_11comp_targetILNS1_3genE9ELNS1_11target_archE1100ELNS1_3gpuE3ELNS1_3repE0EEENS1_30default_config_static_selectorELNS0_4arch9wavefront6targetE1EEEvSK_.uses_vcc, 0
	.set _ZN7rocprim17ROCPRIM_400000_NS6detail17trampoline_kernelINS0_14default_configENS1_22reduce_config_selectorIdEEZNS1_11reduce_implILb1ES3_N6thrust23THRUST_200600_302600_NS6detail15normal_iteratorINS8_10device_ptrIdEEEEPdd9plus_mod3IdEEE10hipError_tPvRmT1_T2_T3_mT4_P12ihipStream_tbEUlT_E0_NS1_11comp_targetILNS1_3genE9ELNS1_11target_archE1100ELNS1_3gpuE3ELNS1_3repE0EEENS1_30default_config_static_selectorELNS0_4arch9wavefront6targetE1EEEvSK_.uses_flat_scratch, 0
	.set _ZN7rocprim17ROCPRIM_400000_NS6detail17trampoline_kernelINS0_14default_configENS1_22reduce_config_selectorIdEEZNS1_11reduce_implILb1ES3_N6thrust23THRUST_200600_302600_NS6detail15normal_iteratorINS8_10device_ptrIdEEEEPdd9plus_mod3IdEEE10hipError_tPvRmT1_T2_T3_mT4_P12ihipStream_tbEUlT_E0_NS1_11comp_targetILNS1_3genE9ELNS1_11target_archE1100ELNS1_3gpuE3ELNS1_3repE0EEENS1_30default_config_static_selectorELNS0_4arch9wavefront6targetE1EEEvSK_.has_dyn_sized_stack, 0
	.set _ZN7rocprim17ROCPRIM_400000_NS6detail17trampoline_kernelINS0_14default_configENS1_22reduce_config_selectorIdEEZNS1_11reduce_implILb1ES3_N6thrust23THRUST_200600_302600_NS6detail15normal_iteratorINS8_10device_ptrIdEEEEPdd9plus_mod3IdEEE10hipError_tPvRmT1_T2_T3_mT4_P12ihipStream_tbEUlT_E0_NS1_11comp_targetILNS1_3genE9ELNS1_11target_archE1100ELNS1_3gpuE3ELNS1_3repE0EEENS1_30default_config_static_selectorELNS0_4arch9wavefront6targetE1EEEvSK_.has_recursion, 0
	.set _ZN7rocprim17ROCPRIM_400000_NS6detail17trampoline_kernelINS0_14default_configENS1_22reduce_config_selectorIdEEZNS1_11reduce_implILb1ES3_N6thrust23THRUST_200600_302600_NS6detail15normal_iteratorINS8_10device_ptrIdEEEEPdd9plus_mod3IdEEE10hipError_tPvRmT1_T2_T3_mT4_P12ihipStream_tbEUlT_E0_NS1_11comp_targetILNS1_3genE9ELNS1_11target_archE1100ELNS1_3gpuE3ELNS1_3repE0EEENS1_30default_config_static_selectorELNS0_4arch9wavefront6targetE1EEEvSK_.has_indirect_call, 0
	.section	.AMDGPU.csdata,"",@progbits
; Kernel info:
; codeLenInByte = 0
; TotalNumSgprs: 6
; NumVgprs: 0
; NumAgprs: 0
; TotalNumVgprs: 0
; ScratchSize: 0
; MemoryBound: 0
; FloatMode: 240
; IeeeMode: 1
; LDSByteSize: 0 bytes/workgroup (compile time only)
; SGPRBlocks: 0
; VGPRBlocks: 0
; NumSGPRsForWavesPerEU: 6
; NumVGPRsForWavesPerEU: 1
; AccumOffset: 4
; Occupancy: 8
; WaveLimiterHint : 0
; COMPUTE_PGM_RSRC2:SCRATCH_EN: 0
; COMPUTE_PGM_RSRC2:USER_SGPR: 2
; COMPUTE_PGM_RSRC2:TRAP_HANDLER: 0
; COMPUTE_PGM_RSRC2:TGID_X_EN: 1
; COMPUTE_PGM_RSRC2:TGID_Y_EN: 0
; COMPUTE_PGM_RSRC2:TGID_Z_EN: 0
; COMPUTE_PGM_RSRC2:TIDIG_COMP_CNT: 0
; COMPUTE_PGM_RSRC3_GFX90A:ACCUM_OFFSET: 0
; COMPUTE_PGM_RSRC3_GFX90A:TG_SPLIT: 0
	.section	.text._ZN7rocprim17ROCPRIM_400000_NS6detail17trampoline_kernelINS0_14default_configENS1_22reduce_config_selectorIdEEZNS1_11reduce_implILb1ES3_N6thrust23THRUST_200600_302600_NS6detail15normal_iteratorINS8_10device_ptrIdEEEEPdd9plus_mod3IdEEE10hipError_tPvRmT1_T2_T3_mT4_P12ihipStream_tbEUlT_E0_NS1_11comp_targetILNS1_3genE8ELNS1_11target_archE1030ELNS1_3gpuE2ELNS1_3repE0EEENS1_30default_config_static_selectorELNS0_4arch9wavefront6targetE1EEEvSK_,"axG",@progbits,_ZN7rocprim17ROCPRIM_400000_NS6detail17trampoline_kernelINS0_14default_configENS1_22reduce_config_selectorIdEEZNS1_11reduce_implILb1ES3_N6thrust23THRUST_200600_302600_NS6detail15normal_iteratorINS8_10device_ptrIdEEEEPdd9plus_mod3IdEEE10hipError_tPvRmT1_T2_T3_mT4_P12ihipStream_tbEUlT_E0_NS1_11comp_targetILNS1_3genE8ELNS1_11target_archE1030ELNS1_3gpuE2ELNS1_3repE0EEENS1_30default_config_static_selectorELNS0_4arch9wavefront6targetE1EEEvSK_,comdat
	.protected	_ZN7rocprim17ROCPRIM_400000_NS6detail17trampoline_kernelINS0_14default_configENS1_22reduce_config_selectorIdEEZNS1_11reduce_implILb1ES3_N6thrust23THRUST_200600_302600_NS6detail15normal_iteratorINS8_10device_ptrIdEEEEPdd9plus_mod3IdEEE10hipError_tPvRmT1_T2_T3_mT4_P12ihipStream_tbEUlT_E0_NS1_11comp_targetILNS1_3genE8ELNS1_11target_archE1030ELNS1_3gpuE2ELNS1_3repE0EEENS1_30default_config_static_selectorELNS0_4arch9wavefront6targetE1EEEvSK_ ; -- Begin function _ZN7rocprim17ROCPRIM_400000_NS6detail17trampoline_kernelINS0_14default_configENS1_22reduce_config_selectorIdEEZNS1_11reduce_implILb1ES3_N6thrust23THRUST_200600_302600_NS6detail15normal_iteratorINS8_10device_ptrIdEEEEPdd9plus_mod3IdEEE10hipError_tPvRmT1_T2_T3_mT4_P12ihipStream_tbEUlT_E0_NS1_11comp_targetILNS1_3genE8ELNS1_11target_archE1030ELNS1_3gpuE2ELNS1_3repE0EEENS1_30default_config_static_selectorELNS0_4arch9wavefront6targetE1EEEvSK_
	.globl	_ZN7rocprim17ROCPRIM_400000_NS6detail17trampoline_kernelINS0_14default_configENS1_22reduce_config_selectorIdEEZNS1_11reduce_implILb1ES3_N6thrust23THRUST_200600_302600_NS6detail15normal_iteratorINS8_10device_ptrIdEEEEPdd9plus_mod3IdEEE10hipError_tPvRmT1_T2_T3_mT4_P12ihipStream_tbEUlT_E0_NS1_11comp_targetILNS1_3genE8ELNS1_11target_archE1030ELNS1_3gpuE2ELNS1_3repE0EEENS1_30default_config_static_selectorELNS0_4arch9wavefront6targetE1EEEvSK_
	.p2align	8
	.type	_ZN7rocprim17ROCPRIM_400000_NS6detail17trampoline_kernelINS0_14default_configENS1_22reduce_config_selectorIdEEZNS1_11reduce_implILb1ES3_N6thrust23THRUST_200600_302600_NS6detail15normal_iteratorINS8_10device_ptrIdEEEEPdd9plus_mod3IdEEE10hipError_tPvRmT1_T2_T3_mT4_P12ihipStream_tbEUlT_E0_NS1_11comp_targetILNS1_3genE8ELNS1_11target_archE1030ELNS1_3gpuE2ELNS1_3repE0EEENS1_30default_config_static_selectorELNS0_4arch9wavefront6targetE1EEEvSK_,@function
_ZN7rocprim17ROCPRIM_400000_NS6detail17trampoline_kernelINS0_14default_configENS1_22reduce_config_selectorIdEEZNS1_11reduce_implILb1ES3_N6thrust23THRUST_200600_302600_NS6detail15normal_iteratorINS8_10device_ptrIdEEEEPdd9plus_mod3IdEEE10hipError_tPvRmT1_T2_T3_mT4_P12ihipStream_tbEUlT_E0_NS1_11comp_targetILNS1_3genE8ELNS1_11target_archE1030ELNS1_3gpuE2ELNS1_3repE0EEENS1_30default_config_static_selectorELNS0_4arch9wavefront6targetE1EEEvSK_: ; @_ZN7rocprim17ROCPRIM_400000_NS6detail17trampoline_kernelINS0_14default_configENS1_22reduce_config_selectorIdEEZNS1_11reduce_implILb1ES3_N6thrust23THRUST_200600_302600_NS6detail15normal_iteratorINS8_10device_ptrIdEEEEPdd9plus_mod3IdEEE10hipError_tPvRmT1_T2_T3_mT4_P12ihipStream_tbEUlT_E0_NS1_11comp_targetILNS1_3genE8ELNS1_11target_archE1030ELNS1_3gpuE2ELNS1_3repE0EEENS1_30default_config_static_selectorELNS0_4arch9wavefront6targetE1EEEvSK_
; %bb.0:
	.section	.rodata,"a",@progbits
	.p2align	6, 0x0
	.amdhsa_kernel _ZN7rocprim17ROCPRIM_400000_NS6detail17trampoline_kernelINS0_14default_configENS1_22reduce_config_selectorIdEEZNS1_11reduce_implILb1ES3_N6thrust23THRUST_200600_302600_NS6detail15normal_iteratorINS8_10device_ptrIdEEEEPdd9plus_mod3IdEEE10hipError_tPvRmT1_T2_T3_mT4_P12ihipStream_tbEUlT_E0_NS1_11comp_targetILNS1_3genE8ELNS1_11target_archE1030ELNS1_3gpuE2ELNS1_3repE0EEENS1_30default_config_static_selectorELNS0_4arch9wavefront6targetE1EEEvSK_
		.amdhsa_group_segment_fixed_size 0
		.amdhsa_private_segment_fixed_size 0
		.amdhsa_kernarg_size 64
		.amdhsa_user_sgpr_count 2
		.amdhsa_user_sgpr_dispatch_ptr 0
		.amdhsa_user_sgpr_queue_ptr 0
		.amdhsa_user_sgpr_kernarg_segment_ptr 1
		.amdhsa_user_sgpr_dispatch_id 0
		.amdhsa_user_sgpr_kernarg_preload_length 0
		.amdhsa_user_sgpr_kernarg_preload_offset 0
		.amdhsa_user_sgpr_private_segment_size 0
		.amdhsa_uses_dynamic_stack 0
		.amdhsa_enable_private_segment 0
		.amdhsa_system_sgpr_workgroup_id_x 1
		.amdhsa_system_sgpr_workgroup_id_y 0
		.amdhsa_system_sgpr_workgroup_id_z 0
		.amdhsa_system_sgpr_workgroup_info 0
		.amdhsa_system_vgpr_workitem_id 0
		.amdhsa_next_free_vgpr 1
		.amdhsa_next_free_sgpr 0
		.amdhsa_accum_offset 4
		.amdhsa_reserve_vcc 0
		.amdhsa_float_round_mode_32 0
		.amdhsa_float_round_mode_16_64 0
		.amdhsa_float_denorm_mode_32 3
		.amdhsa_float_denorm_mode_16_64 3
		.amdhsa_dx10_clamp 1
		.amdhsa_ieee_mode 1
		.amdhsa_fp16_overflow 0
		.amdhsa_tg_split 0
		.amdhsa_exception_fp_ieee_invalid_op 0
		.amdhsa_exception_fp_denorm_src 0
		.amdhsa_exception_fp_ieee_div_zero 0
		.amdhsa_exception_fp_ieee_overflow 0
		.amdhsa_exception_fp_ieee_underflow 0
		.amdhsa_exception_fp_ieee_inexact 0
		.amdhsa_exception_int_div_zero 0
	.end_amdhsa_kernel
	.section	.text._ZN7rocprim17ROCPRIM_400000_NS6detail17trampoline_kernelINS0_14default_configENS1_22reduce_config_selectorIdEEZNS1_11reduce_implILb1ES3_N6thrust23THRUST_200600_302600_NS6detail15normal_iteratorINS8_10device_ptrIdEEEEPdd9plus_mod3IdEEE10hipError_tPvRmT1_T2_T3_mT4_P12ihipStream_tbEUlT_E0_NS1_11comp_targetILNS1_3genE8ELNS1_11target_archE1030ELNS1_3gpuE2ELNS1_3repE0EEENS1_30default_config_static_selectorELNS0_4arch9wavefront6targetE1EEEvSK_,"axG",@progbits,_ZN7rocprim17ROCPRIM_400000_NS6detail17trampoline_kernelINS0_14default_configENS1_22reduce_config_selectorIdEEZNS1_11reduce_implILb1ES3_N6thrust23THRUST_200600_302600_NS6detail15normal_iteratorINS8_10device_ptrIdEEEEPdd9plus_mod3IdEEE10hipError_tPvRmT1_T2_T3_mT4_P12ihipStream_tbEUlT_E0_NS1_11comp_targetILNS1_3genE8ELNS1_11target_archE1030ELNS1_3gpuE2ELNS1_3repE0EEENS1_30default_config_static_selectorELNS0_4arch9wavefront6targetE1EEEvSK_,comdat
.Lfunc_end721:
	.size	_ZN7rocprim17ROCPRIM_400000_NS6detail17trampoline_kernelINS0_14default_configENS1_22reduce_config_selectorIdEEZNS1_11reduce_implILb1ES3_N6thrust23THRUST_200600_302600_NS6detail15normal_iteratorINS8_10device_ptrIdEEEEPdd9plus_mod3IdEEE10hipError_tPvRmT1_T2_T3_mT4_P12ihipStream_tbEUlT_E0_NS1_11comp_targetILNS1_3genE8ELNS1_11target_archE1030ELNS1_3gpuE2ELNS1_3repE0EEENS1_30default_config_static_selectorELNS0_4arch9wavefront6targetE1EEEvSK_, .Lfunc_end721-_ZN7rocprim17ROCPRIM_400000_NS6detail17trampoline_kernelINS0_14default_configENS1_22reduce_config_selectorIdEEZNS1_11reduce_implILb1ES3_N6thrust23THRUST_200600_302600_NS6detail15normal_iteratorINS8_10device_ptrIdEEEEPdd9plus_mod3IdEEE10hipError_tPvRmT1_T2_T3_mT4_P12ihipStream_tbEUlT_E0_NS1_11comp_targetILNS1_3genE8ELNS1_11target_archE1030ELNS1_3gpuE2ELNS1_3repE0EEENS1_30default_config_static_selectorELNS0_4arch9wavefront6targetE1EEEvSK_
                                        ; -- End function
	.set _ZN7rocprim17ROCPRIM_400000_NS6detail17trampoline_kernelINS0_14default_configENS1_22reduce_config_selectorIdEEZNS1_11reduce_implILb1ES3_N6thrust23THRUST_200600_302600_NS6detail15normal_iteratorINS8_10device_ptrIdEEEEPdd9plus_mod3IdEEE10hipError_tPvRmT1_T2_T3_mT4_P12ihipStream_tbEUlT_E0_NS1_11comp_targetILNS1_3genE8ELNS1_11target_archE1030ELNS1_3gpuE2ELNS1_3repE0EEENS1_30default_config_static_selectorELNS0_4arch9wavefront6targetE1EEEvSK_.num_vgpr, 0
	.set _ZN7rocprim17ROCPRIM_400000_NS6detail17trampoline_kernelINS0_14default_configENS1_22reduce_config_selectorIdEEZNS1_11reduce_implILb1ES3_N6thrust23THRUST_200600_302600_NS6detail15normal_iteratorINS8_10device_ptrIdEEEEPdd9plus_mod3IdEEE10hipError_tPvRmT1_T2_T3_mT4_P12ihipStream_tbEUlT_E0_NS1_11comp_targetILNS1_3genE8ELNS1_11target_archE1030ELNS1_3gpuE2ELNS1_3repE0EEENS1_30default_config_static_selectorELNS0_4arch9wavefront6targetE1EEEvSK_.num_agpr, 0
	.set _ZN7rocprim17ROCPRIM_400000_NS6detail17trampoline_kernelINS0_14default_configENS1_22reduce_config_selectorIdEEZNS1_11reduce_implILb1ES3_N6thrust23THRUST_200600_302600_NS6detail15normal_iteratorINS8_10device_ptrIdEEEEPdd9plus_mod3IdEEE10hipError_tPvRmT1_T2_T3_mT4_P12ihipStream_tbEUlT_E0_NS1_11comp_targetILNS1_3genE8ELNS1_11target_archE1030ELNS1_3gpuE2ELNS1_3repE0EEENS1_30default_config_static_selectorELNS0_4arch9wavefront6targetE1EEEvSK_.numbered_sgpr, 0
	.set _ZN7rocprim17ROCPRIM_400000_NS6detail17trampoline_kernelINS0_14default_configENS1_22reduce_config_selectorIdEEZNS1_11reduce_implILb1ES3_N6thrust23THRUST_200600_302600_NS6detail15normal_iteratorINS8_10device_ptrIdEEEEPdd9plus_mod3IdEEE10hipError_tPvRmT1_T2_T3_mT4_P12ihipStream_tbEUlT_E0_NS1_11comp_targetILNS1_3genE8ELNS1_11target_archE1030ELNS1_3gpuE2ELNS1_3repE0EEENS1_30default_config_static_selectorELNS0_4arch9wavefront6targetE1EEEvSK_.num_named_barrier, 0
	.set _ZN7rocprim17ROCPRIM_400000_NS6detail17trampoline_kernelINS0_14default_configENS1_22reduce_config_selectorIdEEZNS1_11reduce_implILb1ES3_N6thrust23THRUST_200600_302600_NS6detail15normal_iteratorINS8_10device_ptrIdEEEEPdd9plus_mod3IdEEE10hipError_tPvRmT1_T2_T3_mT4_P12ihipStream_tbEUlT_E0_NS1_11comp_targetILNS1_3genE8ELNS1_11target_archE1030ELNS1_3gpuE2ELNS1_3repE0EEENS1_30default_config_static_selectorELNS0_4arch9wavefront6targetE1EEEvSK_.private_seg_size, 0
	.set _ZN7rocprim17ROCPRIM_400000_NS6detail17trampoline_kernelINS0_14default_configENS1_22reduce_config_selectorIdEEZNS1_11reduce_implILb1ES3_N6thrust23THRUST_200600_302600_NS6detail15normal_iteratorINS8_10device_ptrIdEEEEPdd9plus_mod3IdEEE10hipError_tPvRmT1_T2_T3_mT4_P12ihipStream_tbEUlT_E0_NS1_11comp_targetILNS1_3genE8ELNS1_11target_archE1030ELNS1_3gpuE2ELNS1_3repE0EEENS1_30default_config_static_selectorELNS0_4arch9wavefront6targetE1EEEvSK_.uses_vcc, 0
	.set _ZN7rocprim17ROCPRIM_400000_NS6detail17trampoline_kernelINS0_14default_configENS1_22reduce_config_selectorIdEEZNS1_11reduce_implILb1ES3_N6thrust23THRUST_200600_302600_NS6detail15normal_iteratorINS8_10device_ptrIdEEEEPdd9plus_mod3IdEEE10hipError_tPvRmT1_T2_T3_mT4_P12ihipStream_tbEUlT_E0_NS1_11comp_targetILNS1_3genE8ELNS1_11target_archE1030ELNS1_3gpuE2ELNS1_3repE0EEENS1_30default_config_static_selectorELNS0_4arch9wavefront6targetE1EEEvSK_.uses_flat_scratch, 0
	.set _ZN7rocprim17ROCPRIM_400000_NS6detail17trampoline_kernelINS0_14default_configENS1_22reduce_config_selectorIdEEZNS1_11reduce_implILb1ES3_N6thrust23THRUST_200600_302600_NS6detail15normal_iteratorINS8_10device_ptrIdEEEEPdd9plus_mod3IdEEE10hipError_tPvRmT1_T2_T3_mT4_P12ihipStream_tbEUlT_E0_NS1_11comp_targetILNS1_3genE8ELNS1_11target_archE1030ELNS1_3gpuE2ELNS1_3repE0EEENS1_30default_config_static_selectorELNS0_4arch9wavefront6targetE1EEEvSK_.has_dyn_sized_stack, 0
	.set _ZN7rocprim17ROCPRIM_400000_NS6detail17trampoline_kernelINS0_14default_configENS1_22reduce_config_selectorIdEEZNS1_11reduce_implILb1ES3_N6thrust23THRUST_200600_302600_NS6detail15normal_iteratorINS8_10device_ptrIdEEEEPdd9plus_mod3IdEEE10hipError_tPvRmT1_T2_T3_mT4_P12ihipStream_tbEUlT_E0_NS1_11comp_targetILNS1_3genE8ELNS1_11target_archE1030ELNS1_3gpuE2ELNS1_3repE0EEENS1_30default_config_static_selectorELNS0_4arch9wavefront6targetE1EEEvSK_.has_recursion, 0
	.set _ZN7rocprim17ROCPRIM_400000_NS6detail17trampoline_kernelINS0_14default_configENS1_22reduce_config_selectorIdEEZNS1_11reduce_implILb1ES3_N6thrust23THRUST_200600_302600_NS6detail15normal_iteratorINS8_10device_ptrIdEEEEPdd9plus_mod3IdEEE10hipError_tPvRmT1_T2_T3_mT4_P12ihipStream_tbEUlT_E0_NS1_11comp_targetILNS1_3genE8ELNS1_11target_archE1030ELNS1_3gpuE2ELNS1_3repE0EEENS1_30default_config_static_selectorELNS0_4arch9wavefront6targetE1EEEvSK_.has_indirect_call, 0
	.section	.AMDGPU.csdata,"",@progbits
; Kernel info:
; codeLenInByte = 0
; TotalNumSgprs: 6
; NumVgprs: 0
; NumAgprs: 0
; TotalNumVgprs: 0
; ScratchSize: 0
; MemoryBound: 0
; FloatMode: 240
; IeeeMode: 1
; LDSByteSize: 0 bytes/workgroup (compile time only)
; SGPRBlocks: 0
; VGPRBlocks: 0
; NumSGPRsForWavesPerEU: 6
; NumVGPRsForWavesPerEU: 1
; AccumOffset: 4
; Occupancy: 8
; WaveLimiterHint : 0
; COMPUTE_PGM_RSRC2:SCRATCH_EN: 0
; COMPUTE_PGM_RSRC2:USER_SGPR: 2
; COMPUTE_PGM_RSRC2:TRAP_HANDLER: 0
; COMPUTE_PGM_RSRC2:TGID_X_EN: 1
; COMPUTE_PGM_RSRC2:TGID_Y_EN: 0
; COMPUTE_PGM_RSRC2:TGID_Z_EN: 0
; COMPUTE_PGM_RSRC2:TIDIG_COMP_CNT: 0
; COMPUTE_PGM_RSRC3_GFX90A:ACCUM_OFFSET: 0
; COMPUTE_PGM_RSRC3_GFX90A:TG_SPLIT: 0
	.section	.text._ZN7rocprim17ROCPRIM_400000_NS6detail17trampoline_kernelINS0_14default_configENS1_22reduce_config_selectorIdEEZNS1_11reduce_implILb1ES3_N6thrust23THRUST_200600_302600_NS6detail15normal_iteratorINS8_10device_ptrIdEEEEPdd9plus_mod3IdEEE10hipError_tPvRmT1_T2_T3_mT4_P12ihipStream_tbEUlT_E1_NS1_11comp_targetILNS1_3genE0ELNS1_11target_archE4294967295ELNS1_3gpuE0ELNS1_3repE0EEENS1_30default_config_static_selectorELNS0_4arch9wavefront6targetE1EEEvSK_,"axG",@progbits,_ZN7rocprim17ROCPRIM_400000_NS6detail17trampoline_kernelINS0_14default_configENS1_22reduce_config_selectorIdEEZNS1_11reduce_implILb1ES3_N6thrust23THRUST_200600_302600_NS6detail15normal_iteratorINS8_10device_ptrIdEEEEPdd9plus_mod3IdEEE10hipError_tPvRmT1_T2_T3_mT4_P12ihipStream_tbEUlT_E1_NS1_11comp_targetILNS1_3genE0ELNS1_11target_archE4294967295ELNS1_3gpuE0ELNS1_3repE0EEENS1_30default_config_static_selectorELNS0_4arch9wavefront6targetE1EEEvSK_,comdat
	.protected	_ZN7rocprim17ROCPRIM_400000_NS6detail17trampoline_kernelINS0_14default_configENS1_22reduce_config_selectorIdEEZNS1_11reduce_implILb1ES3_N6thrust23THRUST_200600_302600_NS6detail15normal_iteratorINS8_10device_ptrIdEEEEPdd9plus_mod3IdEEE10hipError_tPvRmT1_T2_T3_mT4_P12ihipStream_tbEUlT_E1_NS1_11comp_targetILNS1_3genE0ELNS1_11target_archE4294967295ELNS1_3gpuE0ELNS1_3repE0EEENS1_30default_config_static_selectorELNS0_4arch9wavefront6targetE1EEEvSK_ ; -- Begin function _ZN7rocprim17ROCPRIM_400000_NS6detail17trampoline_kernelINS0_14default_configENS1_22reduce_config_selectorIdEEZNS1_11reduce_implILb1ES3_N6thrust23THRUST_200600_302600_NS6detail15normal_iteratorINS8_10device_ptrIdEEEEPdd9plus_mod3IdEEE10hipError_tPvRmT1_T2_T3_mT4_P12ihipStream_tbEUlT_E1_NS1_11comp_targetILNS1_3genE0ELNS1_11target_archE4294967295ELNS1_3gpuE0ELNS1_3repE0EEENS1_30default_config_static_selectorELNS0_4arch9wavefront6targetE1EEEvSK_
	.globl	_ZN7rocprim17ROCPRIM_400000_NS6detail17trampoline_kernelINS0_14default_configENS1_22reduce_config_selectorIdEEZNS1_11reduce_implILb1ES3_N6thrust23THRUST_200600_302600_NS6detail15normal_iteratorINS8_10device_ptrIdEEEEPdd9plus_mod3IdEEE10hipError_tPvRmT1_T2_T3_mT4_P12ihipStream_tbEUlT_E1_NS1_11comp_targetILNS1_3genE0ELNS1_11target_archE4294967295ELNS1_3gpuE0ELNS1_3repE0EEENS1_30default_config_static_selectorELNS0_4arch9wavefront6targetE1EEEvSK_
	.p2align	8
	.type	_ZN7rocprim17ROCPRIM_400000_NS6detail17trampoline_kernelINS0_14default_configENS1_22reduce_config_selectorIdEEZNS1_11reduce_implILb1ES3_N6thrust23THRUST_200600_302600_NS6detail15normal_iteratorINS8_10device_ptrIdEEEEPdd9plus_mod3IdEEE10hipError_tPvRmT1_T2_T3_mT4_P12ihipStream_tbEUlT_E1_NS1_11comp_targetILNS1_3genE0ELNS1_11target_archE4294967295ELNS1_3gpuE0ELNS1_3repE0EEENS1_30default_config_static_selectorELNS0_4arch9wavefront6targetE1EEEvSK_,@function
_ZN7rocprim17ROCPRIM_400000_NS6detail17trampoline_kernelINS0_14default_configENS1_22reduce_config_selectorIdEEZNS1_11reduce_implILb1ES3_N6thrust23THRUST_200600_302600_NS6detail15normal_iteratorINS8_10device_ptrIdEEEEPdd9plus_mod3IdEEE10hipError_tPvRmT1_T2_T3_mT4_P12ihipStream_tbEUlT_E1_NS1_11comp_targetILNS1_3genE0ELNS1_11target_archE4294967295ELNS1_3gpuE0ELNS1_3repE0EEENS1_30default_config_static_selectorELNS0_4arch9wavefront6targetE1EEEvSK_: ; @_ZN7rocprim17ROCPRIM_400000_NS6detail17trampoline_kernelINS0_14default_configENS1_22reduce_config_selectorIdEEZNS1_11reduce_implILb1ES3_N6thrust23THRUST_200600_302600_NS6detail15normal_iteratorINS8_10device_ptrIdEEEEPdd9plus_mod3IdEEE10hipError_tPvRmT1_T2_T3_mT4_P12ihipStream_tbEUlT_E1_NS1_11comp_targetILNS1_3genE0ELNS1_11target_archE4294967295ELNS1_3gpuE0ELNS1_3repE0EEENS1_30default_config_static_selectorELNS0_4arch9wavefront6targetE1EEEvSK_
; %bb.0:
	s_load_dword s33, s[0:1], 0x4
	s_load_dwordx8 s[36:43], s[0:1], 0x8
	s_load_dwordx2 s[30:31], s[0:1], 0x28
	s_waitcnt lgkmcnt(0)
	s_cmp_lt_i32 s33, 4
	s_cbranch_scc1 .LBB722_10
; %bb.1:
	s_cmp_gt_i32 s33, 7
	s_cbranch_scc0 .LBB722_11
; %bb.2:
	s_cmp_gt_i32 s33, 15
	s_cbranch_scc0 .LBB722_12
; %bb.3:
	s_cmp_eq_u32 s33, 16
	s_mov_b64 s[34:35], 0
	s_cbranch_scc0 .LBB722_13
; %bb.4:
	s_mov_b32 s3, 0
	s_lshl_b32 s0, s2, 12
	s_mov_b32 s1, s3
	s_lshr_b64 s[4:5], s[38:39], 12
	s_lshl_b64 s[6:7], s[0:1], 3
	s_add_u32 s46, s36, s6
	s_addc_u32 s47, s37, s7
	s_cmp_lg_u64 s[4:5], s[2:3]
	s_cbranch_scc0 .LBB722_22
; %bb.5:
	v_lshlrev_b32_e32 v2, 3, v0
	global_load_dwordx2 v[4:5], v2, s[46:47]
	global_load_dwordx2 v[6:7], v2, s[46:47] offset:2048
	v_mov_b32_e32 v3, 0
	v_lshl_add_u64 v[2:3], s[46:47], 0, v[2:3]
	v_add_co_u32_e32 v8, vcc, 0x1000, v2
	v_mbcnt_lo_u32_b32 v1, -1, 0
	s_nop 0
	v_addc_co_u32_e32 v9, vcc, 0, v3, vcc
	global_load_dwordx2 v[10:11], v[8:9], off
	s_waitcnt vmcnt(1)
	v_add_f64 v[4:5], v[4:5], v[6:7]
	v_cvt_i32_f64_e32 v4, v[4:5]
	v_ashrrev_i32_e32 v5, 31, v4
	v_lshl_add_u64 v[4:5], v[4:5], 3, s[30:31]
	global_load_dwordx2 v[4:5], v[4:5], off
	v_add_co_u32_e32 v6, vcc, 0x2000, v2
	s_waitcnt vmcnt(0)
	v_add_f64 v[4:5], v[10:11], v[4:5]
	v_cvt_i32_f64_e32 v4, v[4:5]
	v_ashrrev_i32_e32 v5, 31, v4
	v_lshl_add_u64 v[4:5], v[4:5], 3, s[30:31]
	v_addc_co_u32_e32 v7, vcc, 0, v3, vcc
	global_load_dwordx2 v[12:13], v[8:9], off offset:2048
	global_load_dwordx2 v[14:15], v[6:7], off
	global_load_dwordx2 v[16:17], v[6:7], off offset:2048
	v_add_co_u32_e32 v6, vcc, 0x3000, v2
	global_load_dwordx2 v[4:5], v[4:5], off
	s_nop 0
	v_addc_co_u32_e32 v7, vcc, 0, v3, vcc
	global_load_dwordx2 v[8:9], v[6:7], off
	v_add_co_u32_e32 v10, vcc, 0x4000, v2
	s_waitcnt vmcnt(1)
	v_add_f64 v[4:5], v[12:13], v[4:5]
	v_cvt_i32_f64_e32 v4, v[4:5]
	v_ashrrev_i32_e32 v5, 31, v4
	v_lshl_add_u64 v[4:5], v[4:5], 3, s[30:31]
	global_load_dwordx2 v[4:5], v[4:5], off
	v_addc_co_u32_e32 v11, vcc, 0, v3, vcc
	s_waitcnt vmcnt(0)
	v_add_f64 v[4:5], v[14:15], v[4:5]
	v_cvt_i32_f64_e32 v4, v[4:5]
	v_ashrrev_i32_e32 v5, 31, v4
	v_lshl_add_u64 v[4:5], v[4:5], 3, s[30:31]
	global_load_dwordx2 v[4:5], v[4:5], off
	s_waitcnt vmcnt(0)
	v_add_f64 v[4:5], v[16:17], v[4:5]
	v_cvt_i32_f64_e32 v4, v[4:5]
	v_ashrrev_i32_e32 v5, 31, v4
	v_lshl_add_u64 v[4:5], v[4:5], 3, s[30:31]
	global_load_dwordx2 v[4:5], v[4:5], off
	s_nop 0
	global_load_dwordx2 v[12:13], v[6:7], off offset:2048
	global_load_dwordx2 v[14:15], v[10:11], off
	global_load_dwordx2 v[16:17], v[10:11], off offset:2048
	v_add_co_u32_e32 v6, vcc, 0x5000, v2
	s_waitcnt vmcnt(3)
	v_add_f64 v[4:5], v[8:9], v[4:5]
	v_cvt_i32_f64_e32 v4, v[4:5]
	v_ashrrev_i32_e32 v5, 31, v4
	v_lshl_add_u64 v[4:5], v[4:5], 3, s[30:31]
	global_load_dwordx2 v[4:5], v[4:5], off
	v_addc_co_u32_e32 v7, vcc, 0, v3, vcc
	global_load_dwordx2 v[8:9], v[6:7], off
	v_add_co_u32_e32 v10, vcc, 0x6000, v2
	s_waitcnt vmcnt(1)
	v_add_f64 v[4:5], v[12:13], v[4:5]
	v_cvt_i32_f64_e32 v4, v[4:5]
	v_ashrrev_i32_e32 v5, 31, v4
	v_lshl_add_u64 v[4:5], v[4:5], 3, s[30:31]
	global_load_dwordx2 v[4:5], v[4:5], off
	v_addc_co_u32_e32 v11, vcc, 0, v3, vcc
	v_add_co_u32_e32 v2, vcc, 0x7000, v2
	s_waitcnt vmcnt(0)
	v_add_f64 v[4:5], v[14:15], v[4:5]
	v_cvt_i32_f64_e32 v4, v[4:5]
	v_ashrrev_i32_e32 v5, 31, v4
	v_lshl_add_u64 v[4:5], v[4:5], 3, s[30:31]
	global_load_dwordx2 v[4:5], v[4:5], off
	v_addc_co_u32_e32 v3, vcc, 0, v3, vcc
	s_waitcnt vmcnt(0)
	v_add_f64 v[4:5], v[16:17], v[4:5]
	v_cvt_i32_f64_e32 v4, v[4:5]
	v_ashrrev_i32_e32 v5, 31, v4
	v_lshl_add_u64 v[4:5], v[4:5], 3, s[30:31]
	global_load_dwordx2 v[4:5], v[4:5], off
	s_nop 0
	global_load_dwordx2 v[12:13], v[6:7], off offset:2048
	global_load_dwordx2 v[14:15], v[10:11], off
	global_load_dwordx2 v[16:17], v[10:11], off offset:2048
	s_waitcnt vmcnt(3)
	v_add_f64 v[4:5], v[8:9], v[4:5]
	v_cvt_i32_f64_e32 v4, v[4:5]
	v_ashrrev_i32_e32 v5, 31, v4
	v_lshl_add_u64 v[4:5], v[4:5], 3, s[30:31]
	global_load_dwordx2 v[4:5], v[4:5], off
	s_waitcnt vmcnt(0)
	v_add_f64 v[4:5], v[12:13], v[4:5]
	v_cvt_i32_f64_e32 v4, v[4:5]
	v_ashrrev_i32_e32 v5, 31, v4
	v_lshl_add_u64 v[4:5], v[4:5], 3, s[30:31]
	global_load_dwordx2 v[4:5], v[4:5], off
	;; [unrolled: 6-line block ×4, first 2 shown]
	global_load_dwordx2 v[8:9], v[2:3], off
	global_load_dwordx2 v[10:11], v[2:3], off offset:2048
	s_waitcnt vmcnt(1)
	v_add_f64 v[2:3], v[8:9], v[6:7]
	v_cvt_i32_f64_e32 v2, v[2:3]
	v_ashrrev_i32_e32 v3, 31, v2
	v_lshl_add_u64 v[2:3], v[2:3], 3, s[30:31]
	global_load_dwordx2 v[2:3], v[2:3], off
	v_mbcnt_hi_u32_b32 v6, -1, v1
	v_lshlrev_b32_e32 v1, 2, v6
	v_cmp_eq_u32_e32 vcc, 0, v6
	s_waitcnt vmcnt(0)
	v_add_f64 v[2:3], v[10:11], v[2:3]
	v_cvt_i32_f64_e32 v2, v[2:3]
	v_ashrrev_i32_e32 v3, 31, v2
	v_lshl_add_u64 v[2:3], v[2:3], 3, s[30:31]
	global_load_dwordx2 v[2:3], v[2:3], off
	s_waitcnt vmcnt(0)
	s_nop 0
	v_mov_b32_dpp v4, v2 quad_perm:[1,0,3,2] row_mask:0xf bank_mask:0xf bound_ctrl:1
	v_mov_b32_dpp v5, v3 quad_perm:[1,0,3,2] row_mask:0xf bank_mask:0xf bound_ctrl:1
	v_add_f64 v[2:3], v[2:3], v[4:5]
	v_cvt_i32_f64_e32 v2, v[2:3]
	v_ashrrev_i32_e32 v3, 31, v2
	v_lshl_add_u64 v[2:3], v[2:3], 3, s[30:31]
	global_load_dwordx2 v[2:3], v[2:3], off
	s_waitcnt vmcnt(0)
	s_nop 0
	v_mov_b32_dpp v4, v2 quad_perm:[2,3,0,1] row_mask:0xf bank_mask:0xf bound_ctrl:1
	v_mov_b32_dpp v5, v3 quad_perm:[2,3,0,1] row_mask:0xf bank_mask:0xf bound_ctrl:1
	v_add_f64 v[2:3], v[2:3], v[4:5]
	v_cvt_i32_f64_e32 v2, v[2:3]
	v_ashrrev_i32_e32 v3, 31, v2
	v_lshl_add_u64 v[2:3], v[2:3], 3, s[30:31]
	global_load_dwordx2 v[2:3], v[2:3], off
	s_waitcnt vmcnt(0)
	s_nop 0
	v_mov_b32_dpp v4, v2 row_ror:4 row_mask:0xf bank_mask:0xf bound_ctrl:1
	v_mov_b32_dpp v5, v3 row_ror:4 row_mask:0xf bank_mask:0xf bound_ctrl:1
	v_add_f64 v[2:3], v[2:3], v[4:5]
	v_cvt_i32_f64_e32 v2, v[2:3]
	v_ashrrev_i32_e32 v3, 31, v2
	v_lshl_add_u64 v[2:3], v[2:3], 3, s[30:31]
	global_load_dwordx2 v[2:3], v[2:3], off
	s_waitcnt vmcnt(0)
	s_nop 0
	v_mov_b32_dpp v4, v2 row_ror:8 row_mask:0xf bank_mask:0xf bound_ctrl:1
	v_mov_b32_dpp v5, v3 row_ror:8 row_mask:0xf bank_mask:0xf bound_ctrl:1
	v_add_f64 v[2:3], v[2:3], v[4:5]
	v_cvt_i32_f64_e32 v2, v[2:3]
	v_ashrrev_i32_e32 v3, 31, v2
	v_lshl_add_u64 v[2:3], v[2:3], 3, s[30:31]
	global_load_dwordx2 v[2:3], v[2:3], off
	s_waitcnt vmcnt(0)
	s_nop 0
	v_mov_b32_dpp v4, v2 row_bcast:15 row_mask:0xf bank_mask:0xf bound_ctrl:1
	v_mov_b32_dpp v5, v3 row_bcast:15 row_mask:0xf bank_mask:0xf bound_ctrl:1
	v_add_f64 v[2:3], v[2:3], v[4:5]
	v_cvt_i32_f64_e32 v2, v[2:3]
	v_ashrrev_i32_e32 v3, 31, v2
	v_lshl_add_u64 v[2:3], v[2:3], 3, s[30:31]
	global_load_dwordx2 v[2:3], v[2:3], off
	s_waitcnt vmcnt(0)
	s_nop 0
	v_mov_b32_dpp v4, v2 row_bcast:31 row_mask:0xf bank_mask:0xf bound_ctrl:1
	v_mov_b32_dpp v5, v3 row_bcast:31 row_mask:0xf bank_mask:0xf bound_ctrl:1
	v_add_f64 v[2:3], v[2:3], v[4:5]
	v_cvt_i32_f64_e32 v2, v[2:3]
	v_ashrrev_i32_e32 v3, 31, v2
	v_lshl_add_u64 v[2:3], v[2:3], 3, s[30:31]
	global_load_dwordx2 v[2:3], v[2:3], off
	v_or_b32_e32 v4, 0xfc, v1
	s_waitcnt vmcnt(0)
	ds_bpermute_b32 v2, v4, v2
	ds_bpermute_b32 v3, v4, v3
	s_and_saveexec_b64 s[4:5], vcc
	s_cbranch_execz .LBB722_7
; %bb.6:
	v_lshrrev_b32_e32 v4, 3, v0
	v_and_b32_e32 v4, 24, v4
	s_waitcnt lgkmcnt(0)
	ds_write_b64 v4, v[2:3] offset:32
.LBB722_7:
	s_or_b64 exec, exec, s[4:5]
	v_cmp_gt_u32_e32 vcc, 64, v0
	s_mov_b64 s[4:5], 0
	s_mov_b64 s[44:45], 0
	s_waitcnt lgkmcnt(0)
	s_barrier
                                        ; implicit-def: $vgpr4_vgpr5
	s_and_saveexec_b64 s[6:7], vcc
	s_xor_b64 s[6:7], exec, s[6:7]
	s_cbranch_execz .LBB722_9
; %bb.8:
	v_and_b32_e32 v4, 3, v6
	v_lshlrev_b32_e32 v2, 3, v4
	ds_read_b64 v[2:3], v2 offset:32
	v_cmp_ne_u32_e32 vcc, 3, v4
	v_or_b32_e32 v1, 8, v1
	s_mov_b64 s[44:45], exec
	v_addc_co_u32_e32 v4, vcc, 0, v6, vcc
	v_lshlrev_b32_e32 v5, 2, v4
	s_waitcnt lgkmcnt(0)
	ds_bpermute_b32 v4, v5, v2
	ds_bpermute_b32 v5, v5, v3
	s_waitcnt lgkmcnt(0)
	v_add_f64 v[2:3], v[2:3], v[4:5]
	v_cvt_i32_f64_e32 v2, v[2:3]
	v_ashrrev_i32_e32 v3, 31, v2
	v_lshl_add_u64 v[2:3], v[2:3], 3, s[30:31]
	global_load_dwordx2 v[2:3], v[2:3], off
	s_waitcnt vmcnt(0)
	ds_bpermute_b32 v4, v1, v2
	ds_bpermute_b32 v5, v1, v3
.LBB722_9:
	s_or_b64 exec, exec, s[6:7]
	s_branch .LBB722_23
.LBB722_10:
	s_mov_b64 s[16:17], 0
	s_mov_b64 s[14:15], 0
                                        ; implicit-def: $vgpr2_vgpr3
	s_cbranch_execnz .LBB722_196
	s_branch .LBB722_247
.LBB722_11:
	s_mov_b64 s[16:17], 0
	s_mov_b64 s[14:15], 0
                                        ; implicit-def: $vgpr2_vgpr3
	s_cbranch_execnz .LBB722_149
	s_branch .LBB722_157
.LBB722_12:
	s_mov_b64 s[34:35], -1
.LBB722_13:
	s_mov_b64 s[16:17], 0
	s_mov_b64 s[14:15], 0
                                        ; implicit-def: $vgpr2_vgpr3
	s_and_b64 vcc, exec, s[34:35]
	s_cbranch_vccz .LBB722_97
.LBB722_14:
	s_cmp_eq_u32 s33, 8
	s_cbranch_scc0 .LBB722_21
; %bb.15:
	s_mov_b32 s3, 0
	s_lshl_b32 s0, s2, 11
	s_mov_b32 s1, s3
	s_lshr_b64 s[4:5], s[38:39], 11
	s_lshl_b64 s[6:7], s[0:1], 3
	s_add_u32 s20, s36, s6
	s_addc_u32 s21, s37, s7
	s_cmp_lg_u64 s[4:5], s[2:3]
	s_cbranch_scc0 .LBB722_98
; %bb.16:
	s_waitcnt vmcnt(0)
	v_lshlrev_b32_e32 v2, 3, v0
	s_waitcnt lgkmcnt(0)
	global_load_dwordx2 v[4:5], v2, s[20:21]
	global_load_dwordx2 v[6:7], v2, s[20:21] offset:2048
	v_mov_b32_e32 v3, 0
	v_lshl_add_u64 v[2:3], s[20:21], 0, v[2:3]
	v_add_co_u32_e32 v8, vcc, 0x1000, v2
	v_mbcnt_lo_u32_b32 v1, -1, 0
	s_nop 0
	v_addc_co_u32_e32 v9, vcc, 0, v3, vcc
	global_load_dwordx2 v[10:11], v[8:9], off
	s_waitcnt vmcnt(1)
	v_add_f64 v[4:5], v[4:5], v[6:7]
	v_cvt_i32_f64_e32 v4, v[4:5]
	v_ashrrev_i32_e32 v5, 31, v4
	v_lshl_add_u64 v[4:5], v[4:5], 3, s[30:31]
	global_load_dwordx2 v[4:5], v[4:5], off
	v_add_co_u32_e32 v6, vcc, 0x2000, v2
	s_waitcnt vmcnt(0)
	v_add_f64 v[4:5], v[10:11], v[4:5]
	v_cvt_i32_f64_e32 v4, v[4:5]
	v_ashrrev_i32_e32 v5, 31, v4
	v_lshl_add_u64 v[4:5], v[4:5], 3, s[30:31]
	v_addc_co_u32_e32 v7, vcc, 0, v3, vcc
	global_load_dwordx2 v[12:13], v[8:9], off offset:2048
	global_load_dwordx2 v[14:15], v[6:7], off
	global_load_dwordx2 v[16:17], v[6:7], off offset:2048
	v_add_co_u32_e32 v2, vcc, 0x3000, v2
	global_load_dwordx2 v[4:5], v[4:5], off
	s_nop 0
	v_addc_co_u32_e32 v3, vcc, 0, v3, vcc
	s_waitcnt vmcnt(0)
	v_add_f64 v[4:5], v[12:13], v[4:5]
	v_cvt_i32_f64_e32 v4, v[4:5]
	v_ashrrev_i32_e32 v5, 31, v4
	v_lshl_add_u64 v[4:5], v[4:5], 3, s[30:31]
	global_load_dwordx2 v[4:5], v[4:5], off
	s_waitcnt vmcnt(0)
	v_add_f64 v[4:5], v[14:15], v[4:5]
	v_cvt_i32_f64_e32 v4, v[4:5]
	v_ashrrev_i32_e32 v5, 31, v4
	v_lshl_add_u64 v[4:5], v[4:5], 3, s[30:31]
	global_load_dwordx2 v[4:5], v[4:5], off
	;; [unrolled: 6-line block ×3, first 2 shown]
	global_load_dwordx2 v[8:9], v[2:3], off
	global_load_dwordx2 v[10:11], v[2:3], off offset:2048
	s_waitcnt vmcnt(1)
	v_add_f64 v[2:3], v[8:9], v[6:7]
	v_cvt_i32_f64_e32 v2, v[2:3]
	v_ashrrev_i32_e32 v3, 31, v2
	v_lshl_add_u64 v[2:3], v[2:3], 3, s[30:31]
	global_load_dwordx2 v[2:3], v[2:3], off
	v_mbcnt_hi_u32_b32 v6, -1, v1
	v_lshlrev_b32_e32 v1, 2, v6
	v_cmp_eq_u32_e32 vcc, 0, v6
	s_waitcnt vmcnt(0)
	v_add_f64 v[2:3], v[10:11], v[2:3]
	v_cvt_i32_f64_e32 v2, v[2:3]
	v_ashrrev_i32_e32 v3, 31, v2
	v_lshl_add_u64 v[2:3], v[2:3], 3, s[30:31]
	global_load_dwordx2 v[2:3], v[2:3], off
	s_waitcnt vmcnt(0)
	s_nop 0
	v_mov_b32_dpp v4, v2 quad_perm:[1,0,3,2] row_mask:0xf bank_mask:0xf bound_ctrl:1
	v_mov_b32_dpp v5, v3 quad_perm:[1,0,3,2] row_mask:0xf bank_mask:0xf bound_ctrl:1
	v_add_f64 v[2:3], v[2:3], v[4:5]
	v_cvt_i32_f64_e32 v2, v[2:3]
	v_ashrrev_i32_e32 v3, 31, v2
	v_lshl_add_u64 v[2:3], v[2:3], 3, s[30:31]
	global_load_dwordx2 v[2:3], v[2:3], off
	s_waitcnt vmcnt(0)
	s_nop 0
	v_mov_b32_dpp v4, v2 quad_perm:[2,3,0,1] row_mask:0xf bank_mask:0xf bound_ctrl:1
	v_mov_b32_dpp v5, v3 quad_perm:[2,3,0,1] row_mask:0xf bank_mask:0xf bound_ctrl:1
	v_add_f64 v[2:3], v[2:3], v[4:5]
	v_cvt_i32_f64_e32 v2, v[2:3]
	v_ashrrev_i32_e32 v3, 31, v2
	v_lshl_add_u64 v[2:3], v[2:3], 3, s[30:31]
	global_load_dwordx2 v[2:3], v[2:3], off
	s_waitcnt vmcnt(0)
	s_nop 0
	v_mov_b32_dpp v4, v2 row_ror:4 row_mask:0xf bank_mask:0xf bound_ctrl:1
	v_mov_b32_dpp v5, v3 row_ror:4 row_mask:0xf bank_mask:0xf bound_ctrl:1
	v_add_f64 v[2:3], v[2:3], v[4:5]
	v_cvt_i32_f64_e32 v2, v[2:3]
	v_ashrrev_i32_e32 v3, 31, v2
	v_lshl_add_u64 v[2:3], v[2:3], 3, s[30:31]
	global_load_dwordx2 v[2:3], v[2:3], off
	s_waitcnt vmcnt(0)
	s_nop 0
	v_mov_b32_dpp v4, v2 row_ror:8 row_mask:0xf bank_mask:0xf bound_ctrl:1
	v_mov_b32_dpp v5, v3 row_ror:8 row_mask:0xf bank_mask:0xf bound_ctrl:1
	v_add_f64 v[2:3], v[2:3], v[4:5]
	v_cvt_i32_f64_e32 v2, v[2:3]
	v_ashrrev_i32_e32 v3, 31, v2
	v_lshl_add_u64 v[2:3], v[2:3], 3, s[30:31]
	global_load_dwordx2 v[2:3], v[2:3], off
	s_waitcnt vmcnt(0)
	s_nop 0
	v_mov_b32_dpp v4, v2 row_bcast:15 row_mask:0xf bank_mask:0xf bound_ctrl:1
	v_mov_b32_dpp v5, v3 row_bcast:15 row_mask:0xf bank_mask:0xf bound_ctrl:1
	v_add_f64 v[2:3], v[2:3], v[4:5]
	v_cvt_i32_f64_e32 v2, v[2:3]
	v_ashrrev_i32_e32 v3, 31, v2
	v_lshl_add_u64 v[2:3], v[2:3], 3, s[30:31]
	global_load_dwordx2 v[2:3], v[2:3], off
	s_waitcnt vmcnt(0)
	s_nop 0
	v_mov_b32_dpp v4, v2 row_bcast:31 row_mask:0xf bank_mask:0xf bound_ctrl:1
	v_mov_b32_dpp v5, v3 row_bcast:31 row_mask:0xf bank_mask:0xf bound_ctrl:1
	v_add_f64 v[2:3], v[2:3], v[4:5]
	v_cvt_i32_f64_e32 v2, v[2:3]
	v_ashrrev_i32_e32 v3, 31, v2
	v_lshl_add_u64 v[2:3], v[2:3], 3, s[30:31]
	global_load_dwordx2 v[2:3], v[2:3], off
	v_or_b32_e32 v4, 0xfc, v1
	s_waitcnt vmcnt(0)
	ds_bpermute_b32 v2, v4, v2
	ds_bpermute_b32 v3, v4, v3
	s_and_saveexec_b64 s[4:5], vcc
	s_cbranch_execz .LBB722_18
; %bb.17:
	v_lshrrev_b32_e32 v4, 3, v0
	v_and_b32_e32 v4, 24, v4
	s_waitcnt lgkmcnt(0)
	ds_write_b64 v4, v[2:3] offset:160
.LBB722_18:
	s_or_b64 exec, exec, s[4:5]
	v_cmp_gt_u32_e32 vcc, 64, v0
	s_mov_b64 s[4:5], 0
	s_mov_b64 s[18:19], 0
	s_waitcnt lgkmcnt(0)
	s_barrier
                                        ; implicit-def: $vgpr4_vgpr5
	s_and_saveexec_b64 s[6:7], vcc
	s_xor_b64 s[6:7], exec, s[6:7]
	s_cbranch_execz .LBB722_20
; %bb.19:
	v_and_b32_e32 v4, 3, v6
	v_lshlrev_b32_e32 v2, 3, v4
	ds_read_b64 v[2:3], v2 offset:160
	v_cmp_ne_u32_e32 vcc, 3, v4
	v_or_b32_e32 v1, 8, v1
	s_mov_b64 s[18:19], exec
	v_addc_co_u32_e32 v4, vcc, 0, v6, vcc
	v_lshlrev_b32_e32 v5, 2, v4
	s_waitcnt lgkmcnt(0)
	ds_bpermute_b32 v4, v5, v2
	ds_bpermute_b32 v5, v5, v3
	s_waitcnt lgkmcnt(0)
	v_add_f64 v[2:3], v[2:3], v[4:5]
	v_cvt_i32_f64_e32 v2, v[2:3]
	v_ashrrev_i32_e32 v3, 31, v2
	v_lshl_add_u64 v[2:3], v[2:3], 3, s[30:31]
	global_load_dwordx2 v[2:3], v[2:3], off
	s_waitcnt vmcnt(0)
	ds_bpermute_b32 v4, v1, v2
	ds_bpermute_b32 v5, v1, v3
.LBB722_20:
	s_or_b64 exec, exec, s[6:7]
	s_branch .LBB722_99
.LBB722_21:
                                        ; implicit-def: $vgpr2_vgpr3
	s_branch .LBB722_157
.LBB722_22:
	s_mov_b64 s[4:5], -1
	s_mov_b64 s[44:45], 0
                                        ; implicit-def: $vgpr4_vgpr5
                                        ; implicit-def: $vgpr2_vgpr3
.LBB722_23:
	s_and_b64 vcc, exec, s[4:5]
	s_cbranch_vccz .LBB722_92
; %bb.24:
	s_sub_i32 s50, s38, s0
	v_mov_b32_e32 v2, 0
	v_cmp_gt_u32_e32 vcc, s50, v0
	v_mov_b32_e32 v3, v2
	s_waitcnt lgkmcnt(1)
	v_mov_b32_e32 v4, v2
	s_waitcnt lgkmcnt(0)
	v_mov_b32_e32 v5, v2
	v_mov_b32_e32 v6, v2
	;; [unrolled: 1-line block ×29, first 2 shown]
	s_and_saveexec_b64 s[0:1], vcc
	s_cbranch_execz .LBB722_26
; %bb.25:
	v_lshlrev_b32_e32 v1, 3, v0
	global_load_dwordx2 v[4:5], v1, s[46:47]
	v_mov_b32_e32 v6, v2
	v_mov_b32_e32 v7, v2
	;; [unrolled: 1-line block ×30, first 2 shown]
	s_waitcnt vmcnt(0)
	v_mov_b64_e32 v[2:3], v[4:5]
	v_mov_b64_e32 v[4:5], v[6:7]
	;; [unrolled: 1-line block ×16, first 2 shown]
.LBB722_26:
	s_or_b64 exec, exec, s[0:1]
	v_or_b32_e32 v1, 0x100, v0
	v_cmp_gt_u32_e64 s[28:29], s50, v1
	s_and_saveexec_b64 s[0:1], s[28:29]
	s_cbranch_execz .LBB722_28
; %bb.27:
	v_lshlrev_b32_e32 v1, 3, v0
	global_load_dwordx2 v[4:5], v1, s[46:47] offset:2048
.LBB722_28:
	s_or_b64 exec, exec, s[0:1]
	v_or_b32_e32 v1, 0x200, v0
	v_cmp_gt_u32_e64 s[26:27], s50, v1
	s_and_saveexec_b64 s[0:1], s[26:27]
	s_cbranch_execz .LBB722_30
; %bb.29:
	v_lshlrev_b32_e32 v1, 3, v1
	global_load_dwordx2 v[6:7], v1, s[46:47]
.LBB722_30:
	s_or_b64 exec, exec, s[0:1]
	v_or_b32_e32 v1, 0x300, v0
	v_cmp_gt_u32_e64 s[24:25], s50, v1
	s_and_saveexec_b64 s[0:1], s[24:25]
	s_cbranch_execz .LBB722_32
; %bb.31:
	v_lshlrev_b32_e32 v1, 3, v1
	global_load_dwordx2 v[8:9], v1, s[46:47]
.LBB722_32:
	;; [unrolled: 9-line block ×13, first 2 shown]
	s_or_b64 exec, exec, s[48:49]
	v_or_b32_e32 v1, 0xf00, v0
	v_cmp_gt_u32_e32 vcc, s50, v1
	s_and_saveexec_b64 s[48:49], vcc
	s_cbranch_execnz .LBB722_284
; %bb.55:
	s_or_b64 exec, exec, s[48:49]
	s_and_saveexec_b64 s[46:47], s[28:29]
	s_cbranch_execnz .LBB722_285
.LBB722_56:
	s_or_b64 exec, exec, s[46:47]
	s_and_saveexec_b64 s[28:29], s[26:27]
	s_cbranch_execnz .LBB722_286
.LBB722_57:
	s_or_b64 exec, exec, s[28:29]
	s_and_saveexec_b64 s[26:27], s[24:25]
	s_cbranch_execnz .LBB722_287
.LBB722_58:
	s_or_b64 exec, exec, s[26:27]
	s_and_saveexec_b64 s[24:25], s[22:23]
	s_cbranch_execnz .LBB722_288
.LBB722_59:
	s_or_b64 exec, exec, s[24:25]
	s_and_saveexec_b64 s[22:23], s[20:21]
	s_cbranch_execnz .LBB722_289
.LBB722_60:
	s_or_b64 exec, exec, s[22:23]
	s_and_saveexec_b64 s[20:21], s[18:19]
	s_cbranch_execnz .LBB722_290
.LBB722_61:
	s_or_b64 exec, exec, s[20:21]
	s_and_saveexec_b64 s[18:19], s[16:17]
	s_cbranch_execnz .LBB722_291
.LBB722_62:
	s_or_b64 exec, exec, s[18:19]
	s_and_saveexec_b64 s[16:17], s[14:15]
	s_cbranch_execnz .LBB722_292
.LBB722_63:
	s_or_b64 exec, exec, s[16:17]
	s_and_saveexec_b64 s[14:15], s[12:13]
	s_cbranch_execnz .LBB722_293
.LBB722_64:
	s_or_b64 exec, exec, s[14:15]
	s_and_saveexec_b64 s[12:13], s[10:11]
	s_cbranch_execnz .LBB722_294
.LBB722_65:
	s_or_b64 exec, exec, s[12:13]
	s_and_saveexec_b64 s[10:11], s[8:9]
	s_cbranch_execnz .LBB722_295
.LBB722_66:
	s_or_b64 exec, exec, s[10:11]
	s_and_saveexec_b64 s[8:9], s[6:7]
	s_cbranch_execnz .LBB722_296
.LBB722_67:
	s_or_b64 exec, exec, s[8:9]
	s_and_saveexec_b64 s[6:7], s[4:5]
	s_cbranch_execnz .LBB722_297
.LBB722_68:
	s_or_b64 exec, exec, s[6:7]
	s_and_saveexec_b64 s[4:5], s[0:1]
	s_cbranch_execnz .LBB722_298
.LBB722_69:
	s_or_b64 exec, exec, s[4:5]
	s_and_saveexec_b64 s[0:1], vcc
	s_cbranch_execz .LBB722_71
.LBB722_70:
	s_waitcnt vmcnt(0)
	v_mov_b32_e32 v4, v32
	v_mov_b32_e32 v5, v33
	v_add_f64 v[2:3], v[4:5], v[2:3]
	v_cvt_i32_f64_e32 v2, v[2:3]
	v_ashrrev_i32_e32 v3, 31, v2
	v_lshl_add_u64 v[2:3], v[2:3], 3, s[30:31]
	global_load_dwordx2 v[2:3], v[2:3], off
.LBB722_71:
	s_or_b64 exec, exec, s[0:1]
	v_mbcnt_lo_u32_b32 v1, -1, 0
	v_mbcnt_hi_u32_b32 v1, -1, v1
	s_waitcnt vmcnt(0)
	v_and_b32_e32 v6, 63, v1
	v_cmp_ne_u32_e32 vcc, 63, v6
	s_min_u32 s4, s50, 0x100
	v_and_b32_e32 v7, 0xc0, v0
	v_addc_co_u32_e32 v4, vcc, 0, v1, vcc
	v_lshlrev_b32_e32 v5, 2, v4
	ds_bpermute_b32 v4, v5, v2
	ds_bpermute_b32 v5, v5, v3
	v_sub_u32_e64 v7, s4, v7 clamp
	v_add_u32_e32 v8, 1, v6
	v_cmp_lt_u32_e32 vcc, v8, v7
	s_and_saveexec_b64 s[0:1], vcc
	s_xor_b64 s[0:1], exec, s[0:1]
	s_cbranch_execz .LBB722_73
; %bb.72:
	s_waitcnt lgkmcnt(0)
	v_add_f64 v[2:3], v[2:3], v[4:5]
	v_cvt_i32_f64_e32 v2, v[2:3]
	v_ashrrev_i32_e32 v3, 31, v2
	v_lshl_add_u64 v[2:3], v[2:3], 3, s[30:31]
	global_load_dwordx2 v[2:3], v[2:3], off
.LBB722_73:
	s_or_b64 exec, exec, s[0:1]
	v_cmp_gt_u32_e32 vcc, 62, v6
	v_add_u32_e32 v8, 2, v6
	s_waitcnt lgkmcnt(1)
	v_cndmask_b32_e64 v4, 0, 2, vcc
	s_waitcnt lgkmcnt(0)
	v_add_lshl_u32 v5, v4, v1, 2
	s_waitcnt vmcnt(0)
	ds_bpermute_b32 v4, v5, v2
	ds_bpermute_b32 v5, v5, v3
	v_cmp_lt_u32_e32 vcc, v8, v7
	s_and_saveexec_b64 s[0:1], vcc
	s_cbranch_execz .LBB722_75
; %bb.74:
	s_waitcnt lgkmcnt(0)
	v_add_f64 v[2:3], v[2:3], v[4:5]
	v_cvt_i32_f64_e32 v2, v[2:3]
	v_ashrrev_i32_e32 v3, 31, v2
	v_lshl_add_u64 v[2:3], v[2:3], 3, s[30:31]
	global_load_dwordx2 v[2:3], v[2:3], off
.LBB722_75:
	s_or_b64 exec, exec, s[0:1]
	v_cmp_gt_u32_e32 vcc, 60, v6
	v_add_u32_e32 v8, 4, v6
	s_waitcnt lgkmcnt(1)
	v_cndmask_b32_e64 v4, 0, 4, vcc
	s_waitcnt lgkmcnt(0)
	v_add_lshl_u32 v5, v4, v1, 2
	s_waitcnt vmcnt(0)
	ds_bpermute_b32 v4, v5, v2
	ds_bpermute_b32 v5, v5, v3
	v_cmp_lt_u32_e32 vcc, v8, v7
	s_and_saveexec_b64 s[0:1], vcc
	s_cbranch_execz .LBB722_77
; %bb.76:
	s_waitcnt lgkmcnt(0)
	v_add_f64 v[2:3], v[2:3], v[4:5]
	v_cvt_i32_f64_e32 v2, v[2:3]
	v_ashrrev_i32_e32 v3, 31, v2
	v_lshl_add_u64 v[2:3], v[2:3], 3, s[30:31]
	global_load_dwordx2 v[2:3], v[2:3], off
.LBB722_77:
	s_or_b64 exec, exec, s[0:1]
	v_cmp_gt_u32_e32 vcc, 56, v6
	v_add_u32_e32 v8, 8, v6
	s_waitcnt lgkmcnt(1)
	v_cndmask_b32_e64 v4, 0, 8, vcc
	s_waitcnt lgkmcnt(0)
	v_add_lshl_u32 v5, v4, v1, 2
	s_waitcnt vmcnt(0)
	ds_bpermute_b32 v4, v5, v2
	ds_bpermute_b32 v5, v5, v3
	v_cmp_lt_u32_e32 vcc, v8, v7
	s_and_saveexec_b64 s[0:1], vcc
	s_cbranch_execz .LBB722_79
; %bb.78:
	s_waitcnt lgkmcnt(0)
	v_add_f64 v[2:3], v[2:3], v[4:5]
	v_cvt_i32_f64_e32 v2, v[2:3]
	v_ashrrev_i32_e32 v3, 31, v2
	v_lshl_add_u64 v[2:3], v[2:3], 3, s[30:31]
	global_load_dwordx2 v[2:3], v[2:3], off
.LBB722_79:
	s_or_b64 exec, exec, s[0:1]
	v_cmp_gt_u32_e32 vcc, 48, v6
	v_add_u32_e32 v8, 16, v6
	s_waitcnt lgkmcnt(1)
	v_cndmask_b32_e64 v4, 0, 16, vcc
	s_waitcnt lgkmcnt(0)
	v_add_lshl_u32 v5, v4, v1, 2
	s_waitcnt vmcnt(0)
	ds_bpermute_b32 v4, v5, v2
	ds_bpermute_b32 v5, v5, v3
	v_cmp_lt_u32_e32 vcc, v8, v7
	s_and_saveexec_b64 s[0:1], vcc
	s_cbranch_execz .LBB722_81
; %bb.80:
	s_waitcnt lgkmcnt(0)
	v_add_f64 v[2:3], v[2:3], v[4:5]
	v_cvt_i32_f64_e32 v2, v[2:3]
	v_ashrrev_i32_e32 v3, 31, v2
	v_lshl_add_u64 v[2:3], v[2:3], 3, s[30:31]
	global_load_dwordx2 v[2:3], v[2:3], off
.LBB722_81:
	s_or_b64 exec, exec, s[0:1]
	v_lshlrev_b32_e32 v8, 2, v1
	s_waitcnt lgkmcnt(0)
	v_or_b32_e32 v5, 0x80, v8
	s_waitcnt vmcnt(0)
	ds_bpermute_b32 v4, v5, v2
	ds_bpermute_b32 v5, v5, v3
	v_add_u32_e32 v6, 32, v6
	v_cmp_lt_u32_e32 vcc, v6, v7
	s_and_saveexec_b64 s[0:1], vcc
	s_cbranch_execz .LBB722_83
; %bb.82:
	s_waitcnt lgkmcnt(0)
	v_add_f64 v[2:3], v[2:3], v[4:5]
	v_cvt_i32_f64_e32 v2, v[2:3]
	v_ashrrev_i32_e32 v3, 31, v2
	v_lshl_add_u64 v[2:3], v[2:3], 3, s[30:31]
	global_load_dwordx2 v[2:3], v[2:3], off
.LBB722_83:
	s_or_b64 exec, exec, s[0:1]
	v_cmp_eq_u32_e32 vcc, 0, v1
	s_and_saveexec_b64 s[0:1], vcc
	s_cbranch_execz .LBB722_85
; %bb.84:
	s_waitcnt lgkmcnt(1)
	v_lshrrev_b32_e32 v4, 3, v0
	v_and_b32_e32 v4, 24, v4
	s_waitcnt vmcnt(0)
	ds_write_b64 v4, v[2:3]
.LBB722_85:
	s_or_b64 exec, exec, s[0:1]
	v_cmp_gt_u32_e32 vcc, 4, v0
	s_waitcnt lgkmcnt(0)
	s_barrier
                                        ; implicit-def: $vgpr4_vgpr5
	s_and_saveexec_b64 s[0:1], vcc
	s_cbranch_execz .LBB722_91
; %bb.86:
	s_waitcnt vmcnt(0)
	v_lshlrev_b32_e32 v2, 3, v1
	ds_read_b64 v[2:3], v2
	v_and_b32_e32 v6, 3, v1
	v_cmp_ne_u32_e32 vcc, 3, v6
	s_add_i32 s4, s4, 63
	s_lshr_b32 s6, s4, 6
	v_addc_co_u32_e32 v1, vcc, 0, v1, vcc
	v_lshlrev_b32_e32 v1, 2, v1
	s_waitcnt lgkmcnt(0)
	ds_bpermute_b32 v4, v1, v2
	ds_bpermute_b32 v5, v1, v3
	v_add_u32_e32 v1, 1, v6
	v_cmp_gt_u32_e32 vcc, s6, v1
	s_and_saveexec_b64 s[4:5], vcc
	s_cbranch_execz .LBB722_88
; %bb.87:
	s_waitcnt lgkmcnt(0)
	v_add_f64 v[2:3], v[2:3], v[4:5]
	v_cvt_i32_f64_e32 v2, v[2:3]
	v_ashrrev_i32_e32 v3, 31, v2
	v_lshl_add_u64 v[2:3], v[2:3], 3, s[30:31]
	global_load_dwordx2 v[2:3], v[2:3], off
.LBB722_88:
	s_or_b64 exec, exec, s[4:5]
	v_or_b32_e32 v1, 8, v8
	s_waitcnt vmcnt(0) lgkmcnt(1)
	ds_bpermute_b32 v4, v1, v2
	s_waitcnt lgkmcnt(1)
	ds_bpermute_b32 v5, v1, v3
	v_add_u32_e32 v1, 2, v6
	v_cmp_gt_u32_e32 vcc, s6, v1
	s_mov_b64 s[4:5], s[44:45]
	s_and_saveexec_b64 s[6:7], vcc
; %bb.89:
	s_or_b64 s[4:5], s[44:45], exec
; %bb.90:
	s_or_b64 exec, exec, s[6:7]
	s_andn2_b64 s[6:7], s[44:45], exec
	s_and_b64 s[4:5], s[4:5], exec
	s_or_b64 s[44:45], s[6:7], s[4:5]
.LBB722_91:
	s_or_b64 exec, exec, s[0:1]
.LBB722_92:
	s_and_saveexec_b64 s[0:1], s[44:45]
	s_cbranch_execz .LBB722_94
; %bb.93:
	s_waitcnt vmcnt(0) lgkmcnt(0)
	v_add_f64 v[2:3], v[2:3], v[4:5]
	v_cvt_i32_f64_e32 v2, v[2:3]
	v_ashrrev_i32_e32 v3, 31, v2
	v_lshl_add_u64 v[2:3], v[2:3], 3, s[30:31]
	global_load_dwordx2 v[2:3], v[2:3], off
.LBB722_94:
	s_or_b64 exec, exec, s[0:1]
	v_cmp_eq_u32_e32 vcc, 0, v0
	s_mov_b64 s[16:17], 0
	s_mov_b64 s[14:15], 0
	s_and_saveexec_b64 s[0:1], vcc
	s_xor_b64 s[0:1], exec, s[0:1]
; %bb.95:
	s_cmp_eq_u64 s[38:39], 0
	s_cselect_b64 s[4:5], -1, 0
	s_cmp_lg_u64 s[38:39], 0
	s_cselect_b64 s[6:7], -1, 0
	s_and_b64 s[14:15], s[4:5], exec
	s_and_b64 s[16:17], s[6:7], exec
; %bb.96:
	s_or_b64 exec, exec, s[0:1]
	s_and_b64 vcc, exec, s[34:35]
	s_cbranch_vccnz .LBB722_14
.LBB722_97:
	s_branch .LBB722_157
.LBB722_98:
	s_mov_b64 s[4:5], -1
	s_mov_b64 s[18:19], 0
                                        ; implicit-def: $vgpr4_vgpr5
                                        ; implicit-def: $vgpr2_vgpr3
.LBB722_99:
	s_and_b64 vcc, exec, s[4:5]
	s_cbranch_vccz .LBB722_144
; %bb.100:
	s_sub_i32 s24, s38, s0
	s_waitcnt vmcnt(0)
	v_mov_b32_e32 v2, 0
	v_cmp_gt_u32_e32 vcc, s24, v0
	v_mov_b32_e32 v3, v2
	s_waitcnt lgkmcnt(1)
	v_mov_b32_e32 v4, v2
	s_waitcnt lgkmcnt(0)
	v_mov_b32_e32 v5, v2
	v_mov_b32_e32 v6, v2
	;; [unrolled: 1-line block ×13, first 2 shown]
	s_and_saveexec_b64 s[0:1], vcc
	s_cbranch_execz .LBB722_102
; %bb.101:
	v_lshlrev_b32_e32 v1, 3, v0
	global_load_dwordx2 v[4:5], v1, s[20:21]
	v_mov_b32_e32 v6, v2
	v_mov_b32_e32 v7, v2
	;; [unrolled: 1-line block ×14, first 2 shown]
	s_waitcnt vmcnt(0)
	v_mov_b64_e32 v[2:3], v[4:5]
	v_mov_b64_e32 v[4:5], v[6:7]
	;; [unrolled: 1-line block ×8, first 2 shown]
.LBB722_102:
	s_or_b64 exec, exec, s[0:1]
	v_or_b32_e32 v1, 0x100, v0
	v_cmp_gt_u32_e64 s[12:13], s24, v1
	s_and_saveexec_b64 s[0:1], s[12:13]
	s_cbranch_execz .LBB722_104
; %bb.103:
	v_lshlrev_b32_e32 v1, 3, v0
	global_load_dwordx2 v[4:5], v1, s[20:21] offset:2048
.LBB722_104:
	s_or_b64 exec, exec, s[0:1]
	v_or_b32_e32 v1, 0x200, v0
	v_cmp_gt_u32_e64 s[10:11], s24, v1
	s_and_saveexec_b64 s[0:1], s[10:11]
	s_cbranch_execz .LBB722_106
; %bb.105:
	v_lshlrev_b32_e32 v1, 3, v1
	global_load_dwordx2 v[6:7], v1, s[20:21]
.LBB722_106:
	s_or_b64 exec, exec, s[0:1]
	v_or_b32_e32 v1, 0x300, v0
	v_cmp_gt_u32_e64 s[8:9], s24, v1
	s_and_saveexec_b64 s[0:1], s[8:9]
	s_cbranch_execz .LBB722_108
; %bb.107:
	v_lshlrev_b32_e32 v1, 3, v1
	global_load_dwordx2 v[8:9], v1, s[20:21]
.LBB722_108:
	;; [unrolled: 9-line block ×5, first 2 shown]
	s_or_b64 exec, exec, s[22:23]
	v_or_b32_e32 v1, 0x700, v0
	v_cmp_gt_u32_e32 vcc, s24, v1
	s_and_saveexec_b64 s[22:23], vcc
	s_cbranch_execnz .LBB722_299
; %bb.115:
	s_or_b64 exec, exec, s[22:23]
	s_and_saveexec_b64 s[20:21], s[12:13]
	s_cbranch_execnz .LBB722_300
.LBB722_116:
	s_or_b64 exec, exec, s[20:21]
	s_and_saveexec_b64 s[12:13], s[10:11]
	s_cbranch_execnz .LBB722_301
.LBB722_117:
	s_or_b64 exec, exec, s[12:13]
	s_and_saveexec_b64 s[10:11], s[8:9]
	s_cbranch_execnz .LBB722_302
.LBB722_118:
	s_or_b64 exec, exec, s[10:11]
	s_and_saveexec_b64 s[8:9], s[6:7]
	s_cbranch_execnz .LBB722_303
.LBB722_119:
	s_or_b64 exec, exec, s[8:9]
	s_and_saveexec_b64 s[6:7], s[4:5]
	s_cbranch_execnz .LBB722_304
.LBB722_120:
	s_or_b64 exec, exec, s[6:7]
	s_and_saveexec_b64 s[4:5], s[0:1]
	s_cbranch_execnz .LBB722_305
.LBB722_121:
	s_or_b64 exec, exec, s[4:5]
	s_and_saveexec_b64 s[0:1], vcc
	s_cbranch_execz .LBB722_123
.LBB722_122:
	s_waitcnt vmcnt(0)
	v_add_f64 v[2:3], v[16:17], v[2:3]
	v_cvt_i32_f64_e32 v2, v[2:3]
	v_ashrrev_i32_e32 v3, 31, v2
	v_lshl_add_u64 v[2:3], v[2:3], 3, s[30:31]
	global_load_dwordx2 v[2:3], v[2:3], off
.LBB722_123:
	s_or_b64 exec, exec, s[0:1]
	v_mbcnt_lo_u32_b32 v1, -1, 0
	v_mbcnt_hi_u32_b32 v1, -1, v1
	s_waitcnt vmcnt(0)
	v_and_b32_e32 v6, 63, v1
	v_cmp_ne_u32_e32 vcc, 63, v6
	s_min_u32 s4, s24, 0x100
	v_and_b32_e32 v7, 0xc0, v0
	v_addc_co_u32_e32 v4, vcc, 0, v1, vcc
	v_lshlrev_b32_e32 v5, 2, v4
	ds_bpermute_b32 v4, v5, v2
	ds_bpermute_b32 v5, v5, v3
	v_sub_u32_e64 v7, s4, v7 clamp
	v_add_u32_e32 v8, 1, v6
	v_cmp_lt_u32_e32 vcc, v8, v7
	s_and_saveexec_b64 s[0:1], vcc
	s_xor_b64 s[0:1], exec, s[0:1]
	s_cbranch_execz .LBB722_125
; %bb.124:
	s_waitcnt lgkmcnt(0)
	v_add_f64 v[2:3], v[2:3], v[4:5]
	v_cvt_i32_f64_e32 v2, v[2:3]
	v_ashrrev_i32_e32 v3, 31, v2
	v_lshl_add_u64 v[2:3], v[2:3], 3, s[30:31]
	global_load_dwordx2 v[2:3], v[2:3], off
.LBB722_125:
	s_or_b64 exec, exec, s[0:1]
	v_cmp_gt_u32_e32 vcc, 62, v6
	v_add_u32_e32 v8, 2, v6
	s_waitcnt lgkmcnt(1)
	v_cndmask_b32_e64 v4, 0, 2, vcc
	s_waitcnt lgkmcnt(0)
	v_add_lshl_u32 v5, v4, v1, 2
	s_waitcnt vmcnt(0)
	ds_bpermute_b32 v4, v5, v2
	ds_bpermute_b32 v5, v5, v3
	v_cmp_lt_u32_e32 vcc, v8, v7
	s_and_saveexec_b64 s[0:1], vcc
	s_cbranch_execz .LBB722_127
; %bb.126:
	s_waitcnt lgkmcnt(0)
	v_add_f64 v[2:3], v[2:3], v[4:5]
	v_cvt_i32_f64_e32 v2, v[2:3]
	v_ashrrev_i32_e32 v3, 31, v2
	v_lshl_add_u64 v[2:3], v[2:3], 3, s[30:31]
	global_load_dwordx2 v[2:3], v[2:3], off
.LBB722_127:
	s_or_b64 exec, exec, s[0:1]
	v_cmp_gt_u32_e32 vcc, 60, v6
	v_add_u32_e32 v8, 4, v6
	s_waitcnt lgkmcnt(1)
	v_cndmask_b32_e64 v4, 0, 4, vcc
	s_waitcnt lgkmcnt(0)
	v_add_lshl_u32 v5, v4, v1, 2
	s_waitcnt vmcnt(0)
	ds_bpermute_b32 v4, v5, v2
	ds_bpermute_b32 v5, v5, v3
	v_cmp_lt_u32_e32 vcc, v8, v7
	s_and_saveexec_b64 s[0:1], vcc
	;; [unrolled: 21-line block ×4, first 2 shown]
	s_cbranch_execz .LBB722_133
; %bb.132:
	s_waitcnt lgkmcnt(0)
	v_add_f64 v[2:3], v[2:3], v[4:5]
	v_cvt_i32_f64_e32 v2, v[2:3]
	v_ashrrev_i32_e32 v3, 31, v2
	v_lshl_add_u64 v[2:3], v[2:3], 3, s[30:31]
	global_load_dwordx2 v[2:3], v[2:3], off
.LBB722_133:
	s_or_b64 exec, exec, s[0:1]
	v_lshlrev_b32_e32 v8, 2, v1
	s_waitcnt lgkmcnt(0)
	v_or_b32_e32 v5, 0x80, v8
	s_waitcnt vmcnt(0)
	ds_bpermute_b32 v4, v5, v2
	ds_bpermute_b32 v5, v5, v3
	v_add_u32_e32 v6, 32, v6
	v_cmp_lt_u32_e32 vcc, v6, v7
	s_and_saveexec_b64 s[0:1], vcc
	s_cbranch_execz .LBB722_135
; %bb.134:
	s_waitcnt lgkmcnt(0)
	v_add_f64 v[2:3], v[2:3], v[4:5]
	v_cvt_i32_f64_e32 v2, v[2:3]
	v_ashrrev_i32_e32 v3, 31, v2
	v_lshl_add_u64 v[2:3], v[2:3], 3, s[30:31]
	global_load_dwordx2 v[2:3], v[2:3], off
.LBB722_135:
	s_or_b64 exec, exec, s[0:1]
	v_cmp_eq_u32_e32 vcc, 0, v1
	s_and_saveexec_b64 s[0:1], vcc
	s_cbranch_execz .LBB722_137
; %bb.136:
	s_waitcnt lgkmcnt(1)
	v_lshrrev_b32_e32 v4, 3, v0
	v_and_b32_e32 v4, 24, v4
	s_waitcnt vmcnt(0)
	ds_write_b64 v4, v[2:3]
.LBB722_137:
	s_or_b64 exec, exec, s[0:1]
	v_cmp_gt_u32_e32 vcc, 4, v0
	s_waitcnt lgkmcnt(0)
	s_barrier
                                        ; implicit-def: $vgpr4_vgpr5
	s_and_saveexec_b64 s[0:1], vcc
	s_cbranch_execz .LBB722_143
; %bb.138:
	s_waitcnt vmcnt(0)
	v_lshlrev_b32_e32 v2, 3, v1
	ds_read_b64 v[2:3], v2
	v_and_b32_e32 v6, 3, v1
	v_cmp_ne_u32_e32 vcc, 3, v6
	s_add_i32 s4, s4, 63
	s_lshr_b32 s6, s4, 6
	v_addc_co_u32_e32 v1, vcc, 0, v1, vcc
	v_lshlrev_b32_e32 v1, 2, v1
	s_waitcnt lgkmcnt(0)
	ds_bpermute_b32 v4, v1, v2
	ds_bpermute_b32 v5, v1, v3
	v_add_u32_e32 v1, 1, v6
	v_cmp_gt_u32_e32 vcc, s6, v1
	s_and_saveexec_b64 s[4:5], vcc
	s_cbranch_execz .LBB722_140
; %bb.139:
	s_waitcnt lgkmcnt(0)
	v_add_f64 v[2:3], v[2:3], v[4:5]
	v_cvt_i32_f64_e32 v2, v[2:3]
	v_ashrrev_i32_e32 v3, 31, v2
	v_lshl_add_u64 v[2:3], v[2:3], 3, s[30:31]
	global_load_dwordx2 v[2:3], v[2:3], off
.LBB722_140:
	s_or_b64 exec, exec, s[4:5]
	v_or_b32_e32 v1, 8, v8
	s_waitcnt vmcnt(0) lgkmcnt(1)
	ds_bpermute_b32 v4, v1, v2
	s_waitcnt lgkmcnt(1)
	ds_bpermute_b32 v5, v1, v3
	v_add_u32_e32 v1, 2, v6
	v_cmp_gt_u32_e32 vcc, s6, v1
	s_mov_b64 s[4:5], s[18:19]
	s_and_saveexec_b64 s[6:7], vcc
; %bb.141:
	s_or_b64 s[4:5], s[18:19], exec
; %bb.142:
	s_or_b64 exec, exec, s[6:7]
	s_andn2_b64 s[6:7], s[18:19], exec
	s_and_b64 s[4:5], s[4:5], exec
	s_or_b64 s[18:19], s[6:7], s[4:5]
.LBB722_143:
	s_or_b64 exec, exec, s[0:1]
.LBB722_144:
	s_and_saveexec_b64 s[0:1], s[18:19]
	s_cbranch_execz .LBB722_146
; %bb.145:
	s_waitcnt vmcnt(0) lgkmcnt(0)
	v_add_f64 v[2:3], v[2:3], v[4:5]
	v_cvt_i32_f64_e32 v2, v[2:3]
	v_ashrrev_i32_e32 v3, 31, v2
	v_lshl_add_u64 v[2:3], v[2:3], 3, s[30:31]
	global_load_dwordx2 v[2:3], v[2:3], off
.LBB722_146:
	s_or_b64 exec, exec, s[0:1]
	v_cmp_eq_u32_e32 vcc, 0, v0
	s_and_saveexec_b64 s[0:1], vcc
	s_xor_b64 s[0:1], exec, s[0:1]
	s_cbranch_execz .LBB722_148
; %bb.147:
	s_cmp_eq_u64 s[38:39], 0
	s_cselect_b64 s[4:5], -1, 0
	s_cmp_lg_u64 s[38:39], 0
	s_cselect_b64 s[6:7], -1, 0
	s_andn2_b64 s[8:9], s[14:15], exec
	s_and_b64 s[4:5], s[4:5], exec
	s_or_b64 s[14:15], s[8:9], s[4:5]
	s_andn2_b64 s[4:5], s[16:17], exec
	s_and_b64 s[6:7], s[6:7], exec
	s_or_b64 s[16:17], s[4:5], s[6:7]
.LBB722_148:
	s_or_b64 exec, exec, s[0:1]
	s_branch .LBB722_157
.LBB722_149:
	s_cmp_eq_u32 s33, 4
	s_cbranch_scc0 .LBB722_156
; %bb.150:
	s_mov_b32 s3, 0
	s_lshl_b32 s0, s2, 10
	s_mov_b32 s1, s3
	s_lshr_b64 s[4:5], s[38:39], 10
	s_lshl_b64 s[6:7], s[0:1], 3
	s_add_u32 s8, s36, s6
	s_addc_u32 s9, s37, s7
	s_cmp_lg_u64 s[4:5], s[2:3]
	s_cbranch_scc0 .LBB722_158
; %bb.151:
	s_waitcnt vmcnt(0)
	v_lshlrev_b32_e32 v2, 3, v0
	s_waitcnt lgkmcnt(0)
	global_load_dwordx2 v[4:5], v2, s[8:9]
	global_load_dwordx2 v[6:7], v2, s[8:9] offset:2048
	v_mov_b32_e32 v3, 0
	v_lshl_add_u64 v[2:3], s[8:9], 0, v[2:3]
	v_add_co_u32_e32 v2, vcc, 0x1000, v2
	v_mbcnt_lo_u32_b32 v1, -1, 0
	s_nop 0
	v_addc_co_u32_e32 v3, vcc, 0, v3, vcc
	s_waitcnt vmcnt(0)
	v_add_f64 v[4:5], v[4:5], v[6:7]
	v_cvt_i32_f64_e32 v4, v[4:5]
	v_ashrrev_i32_e32 v5, 31, v4
	v_lshl_add_u64 v[4:5], v[4:5], 3, s[30:31]
	global_load_dwordx2 v[6:7], v[4:5], off
	global_load_dwordx2 v[8:9], v[2:3], off
	global_load_dwordx2 v[10:11], v[2:3], off offset:2048
	s_waitcnt vmcnt(1)
	v_add_f64 v[2:3], v[8:9], v[6:7]
	v_cvt_i32_f64_e32 v2, v[2:3]
	v_ashrrev_i32_e32 v3, 31, v2
	v_lshl_add_u64 v[2:3], v[2:3], 3, s[30:31]
	global_load_dwordx2 v[2:3], v[2:3], off
	v_mbcnt_hi_u32_b32 v6, -1, v1
	v_lshlrev_b32_e32 v1, 2, v6
	v_cmp_eq_u32_e32 vcc, 0, v6
	s_waitcnt vmcnt(0)
	v_add_f64 v[2:3], v[10:11], v[2:3]
	v_cvt_i32_f64_e32 v2, v[2:3]
	v_ashrrev_i32_e32 v3, 31, v2
	v_lshl_add_u64 v[2:3], v[2:3], 3, s[30:31]
	global_load_dwordx2 v[2:3], v[2:3], off
	s_waitcnt vmcnt(0)
	s_nop 0
	v_mov_b32_dpp v4, v2 quad_perm:[1,0,3,2] row_mask:0xf bank_mask:0xf bound_ctrl:1
	v_mov_b32_dpp v5, v3 quad_perm:[1,0,3,2] row_mask:0xf bank_mask:0xf bound_ctrl:1
	v_add_f64 v[2:3], v[2:3], v[4:5]
	v_cvt_i32_f64_e32 v2, v[2:3]
	v_ashrrev_i32_e32 v3, 31, v2
	v_lshl_add_u64 v[2:3], v[2:3], 3, s[30:31]
	global_load_dwordx2 v[2:3], v[2:3], off
	s_waitcnt vmcnt(0)
	s_nop 0
	v_mov_b32_dpp v4, v2 quad_perm:[2,3,0,1] row_mask:0xf bank_mask:0xf bound_ctrl:1
	v_mov_b32_dpp v5, v3 quad_perm:[2,3,0,1] row_mask:0xf bank_mask:0xf bound_ctrl:1
	v_add_f64 v[2:3], v[2:3], v[4:5]
	v_cvt_i32_f64_e32 v2, v[2:3]
	v_ashrrev_i32_e32 v3, 31, v2
	v_lshl_add_u64 v[2:3], v[2:3], 3, s[30:31]
	global_load_dwordx2 v[2:3], v[2:3], off
	s_waitcnt vmcnt(0)
	s_nop 0
	v_mov_b32_dpp v4, v2 row_ror:4 row_mask:0xf bank_mask:0xf bound_ctrl:1
	v_mov_b32_dpp v5, v3 row_ror:4 row_mask:0xf bank_mask:0xf bound_ctrl:1
	v_add_f64 v[2:3], v[2:3], v[4:5]
	v_cvt_i32_f64_e32 v2, v[2:3]
	v_ashrrev_i32_e32 v3, 31, v2
	v_lshl_add_u64 v[2:3], v[2:3], 3, s[30:31]
	global_load_dwordx2 v[2:3], v[2:3], off
	s_waitcnt vmcnt(0)
	s_nop 0
	v_mov_b32_dpp v4, v2 row_ror:8 row_mask:0xf bank_mask:0xf bound_ctrl:1
	v_mov_b32_dpp v5, v3 row_ror:8 row_mask:0xf bank_mask:0xf bound_ctrl:1
	v_add_f64 v[2:3], v[2:3], v[4:5]
	v_cvt_i32_f64_e32 v2, v[2:3]
	v_ashrrev_i32_e32 v3, 31, v2
	v_lshl_add_u64 v[2:3], v[2:3], 3, s[30:31]
	global_load_dwordx2 v[2:3], v[2:3], off
	s_waitcnt vmcnt(0)
	s_nop 0
	v_mov_b32_dpp v4, v2 row_bcast:15 row_mask:0xf bank_mask:0xf bound_ctrl:1
	v_mov_b32_dpp v5, v3 row_bcast:15 row_mask:0xf bank_mask:0xf bound_ctrl:1
	v_add_f64 v[2:3], v[2:3], v[4:5]
	v_cvt_i32_f64_e32 v2, v[2:3]
	v_ashrrev_i32_e32 v3, 31, v2
	v_lshl_add_u64 v[2:3], v[2:3], 3, s[30:31]
	global_load_dwordx2 v[2:3], v[2:3], off
	s_waitcnt vmcnt(0)
	s_nop 0
	v_mov_b32_dpp v4, v2 row_bcast:31 row_mask:0xf bank_mask:0xf bound_ctrl:1
	v_mov_b32_dpp v5, v3 row_bcast:31 row_mask:0xf bank_mask:0xf bound_ctrl:1
	v_add_f64 v[2:3], v[2:3], v[4:5]
	v_cvt_i32_f64_e32 v2, v[2:3]
	v_ashrrev_i32_e32 v3, 31, v2
	v_lshl_add_u64 v[2:3], v[2:3], 3, s[30:31]
	global_load_dwordx2 v[2:3], v[2:3], off
	v_or_b32_e32 v4, 0xfc, v1
	s_waitcnt vmcnt(0)
	ds_bpermute_b32 v2, v4, v2
	ds_bpermute_b32 v3, v4, v3
	s_and_saveexec_b64 s[4:5], vcc
	s_cbranch_execz .LBB722_153
; %bb.152:
	v_lshrrev_b32_e32 v4, 3, v0
	v_and_b32_e32 v4, 24, v4
	s_waitcnt lgkmcnt(0)
	ds_write_b64 v4, v[2:3] offset:128
.LBB722_153:
	s_or_b64 exec, exec, s[4:5]
	v_cmp_gt_u32_e32 vcc, 64, v0
	s_mov_b64 s[4:5], 0
	s_mov_b64 s[6:7], 0
	s_waitcnt lgkmcnt(0)
	s_barrier
                                        ; implicit-def: $vgpr4_vgpr5
	s_and_saveexec_b64 s[10:11], vcc
	s_xor_b64 s[10:11], exec, s[10:11]
	s_cbranch_execz .LBB722_155
; %bb.154:
	v_and_b32_e32 v4, 3, v6
	v_lshlrev_b32_e32 v2, 3, v4
	ds_read_b64 v[2:3], v2 offset:128
	v_cmp_ne_u32_e32 vcc, 3, v4
	v_or_b32_e32 v1, 8, v1
	s_mov_b64 s[6:7], exec
	v_addc_co_u32_e32 v4, vcc, 0, v6, vcc
	v_lshlrev_b32_e32 v5, 2, v4
	s_waitcnt lgkmcnt(0)
	ds_bpermute_b32 v4, v5, v2
	ds_bpermute_b32 v5, v5, v3
	s_waitcnt lgkmcnt(0)
	v_add_f64 v[2:3], v[2:3], v[4:5]
	v_cvt_i32_f64_e32 v2, v[2:3]
	v_ashrrev_i32_e32 v3, 31, v2
	v_lshl_add_u64 v[2:3], v[2:3], 3, s[30:31]
	global_load_dwordx2 v[2:3], v[2:3], off
	s_waitcnt vmcnt(0)
	ds_bpermute_b32 v4, v1, v2
	ds_bpermute_b32 v5, v1, v3
.LBB722_155:
	s_or_b64 exec, exec, s[10:11]
	s_and_b64 vcc, exec, s[4:5]
	s_cbranch_vccnz .LBB722_159
	s_branch .LBB722_191
.LBB722_156:
                                        ; implicit-def: $vgpr2_vgpr3
.LBB722_157:
	s_branch .LBB722_247
.LBB722_158:
	s_mov_b64 s[6:7], 0
                                        ; implicit-def: $vgpr4_vgpr5
                                        ; implicit-def: $vgpr2_vgpr3
	s_cbranch_execz .LBB722_191
.LBB722_159:
	s_sub_i32 s12, s38, s0
	s_waitcnt vmcnt(0)
	v_mov_b32_e32 v2, 0
	v_cmp_gt_u32_e32 vcc, s12, v0
	v_mov_b32_e32 v3, v2
	s_waitcnt lgkmcnt(1)
	v_mov_b32_e32 v4, v2
	s_waitcnt lgkmcnt(0)
	v_mov_b32_e32 v5, v2
	v_mov_b32_e32 v6, v2
	;; [unrolled: 1-line block ×5, first 2 shown]
	s_and_saveexec_b64 s[0:1], vcc
	s_cbranch_execz .LBB722_161
; %bb.160:
	v_lshlrev_b32_e32 v1, 3, v0
	global_load_dwordx2 v[4:5], v1, s[8:9]
	v_mov_b32_e32 v6, v2
	v_mov_b32_e32 v7, v2
	;; [unrolled: 1-line block ×6, first 2 shown]
	s_waitcnt vmcnt(0)
	v_mov_b64_e32 v[2:3], v[4:5]
	v_mov_b64_e32 v[4:5], v[6:7]
	;; [unrolled: 1-line block ×4, first 2 shown]
.LBB722_161:
	s_or_b64 exec, exec, s[0:1]
	v_or_b32_e32 v1, 0x100, v0
	v_cmp_gt_u32_e64 s[4:5], s12, v1
	s_and_saveexec_b64 s[0:1], s[4:5]
	s_cbranch_execz .LBB722_163
; %bb.162:
	v_lshlrev_b32_e32 v1, 3, v0
	global_load_dwordx2 v[4:5], v1, s[8:9] offset:2048
.LBB722_163:
	s_or_b64 exec, exec, s[0:1]
	v_or_b32_e32 v1, 0x200, v0
	v_cmp_gt_u32_e64 s[0:1], s12, v1
	s_and_saveexec_b64 s[10:11], s[0:1]
	s_cbranch_execz .LBB722_165
; %bb.164:
	v_lshlrev_b32_e32 v1, 3, v1
	global_load_dwordx2 v[6:7], v1, s[8:9]
.LBB722_165:
	s_or_b64 exec, exec, s[10:11]
	v_or_b32_e32 v1, 0x300, v0
	v_cmp_gt_u32_e32 vcc, s12, v1
	s_and_saveexec_b64 s[10:11], vcc
	s_cbranch_execnz .LBB722_281
; %bb.166:
	s_or_b64 exec, exec, s[10:11]
	s_and_saveexec_b64 s[8:9], s[4:5]
	s_cbranch_execnz .LBB722_282
.LBB722_167:
	s_or_b64 exec, exec, s[8:9]
	s_and_saveexec_b64 s[4:5], s[0:1]
	s_cbranch_execnz .LBB722_283
.LBB722_168:
	s_or_b64 exec, exec, s[4:5]
	s_and_saveexec_b64 s[0:1], vcc
	s_cbranch_execz .LBB722_170
.LBB722_169:
	s_waitcnt vmcnt(0)
	v_add_f64 v[2:3], v[8:9], v[2:3]
	v_cvt_i32_f64_e32 v2, v[2:3]
	v_ashrrev_i32_e32 v3, 31, v2
	v_lshl_add_u64 v[2:3], v[2:3], 3, s[30:31]
	global_load_dwordx2 v[2:3], v[2:3], off
.LBB722_170:
	s_or_b64 exec, exec, s[0:1]
	v_mbcnt_lo_u32_b32 v1, -1, 0
	v_mbcnt_hi_u32_b32 v1, -1, v1
	s_waitcnt vmcnt(0)
	v_and_b32_e32 v6, 63, v1
	v_cmp_ne_u32_e32 vcc, 63, v6
	s_min_u32 s4, s12, 0x100
	v_and_b32_e32 v7, 0xc0, v0
	v_addc_co_u32_e32 v4, vcc, 0, v1, vcc
	v_lshlrev_b32_e32 v5, 2, v4
	ds_bpermute_b32 v4, v5, v2
	ds_bpermute_b32 v5, v5, v3
	v_sub_u32_e64 v7, s4, v7 clamp
	v_add_u32_e32 v8, 1, v6
	v_cmp_lt_u32_e32 vcc, v8, v7
	s_and_saveexec_b64 s[0:1], vcc
	s_xor_b64 s[0:1], exec, s[0:1]
	s_cbranch_execz .LBB722_172
; %bb.171:
	s_waitcnt lgkmcnt(0)
	v_add_f64 v[2:3], v[2:3], v[4:5]
	v_cvt_i32_f64_e32 v2, v[2:3]
	v_ashrrev_i32_e32 v3, 31, v2
	v_lshl_add_u64 v[2:3], v[2:3], 3, s[30:31]
	global_load_dwordx2 v[2:3], v[2:3], off
.LBB722_172:
	s_or_b64 exec, exec, s[0:1]
	v_cmp_gt_u32_e32 vcc, 62, v6
	v_add_u32_e32 v8, 2, v6
	s_waitcnt lgkmcnt(1)
	v_cndmask_b32_e64 v4, 0, 2, vcc
	s_waitcnt lgkmcnt(0)
	v_add_lshl_u32 v5, v4, v1, 2
	s_waitcnt vmcnt(0)
	ds_bpermute_b32 v4, v5, v2
	ds_bpermute_b32 v5, v5, v3
	v_cmp_lt_u32_e32 vcc, v8, v7
	s_and_saveexec_b64 s[0:1], vcc
	s_cbranch_execz .LBB722_174
; %bb.173:
	s_waitcnt lgkmcnt(0)
	v_add_f64 v[2:3], v[2:3], v[4:5]
	v_cvt_i32_f64_e32 v2, v[2:3]
	v_ashrrev_i32_e32 v3, 31, v2
	v_lshl_add_u64 v[2:3], v[2:3], 3, s[30:31]
	global_load_dwordx2 v[2:3], v[2:3], off
.LBB722_174:
	s_or_b64 exec, exec, s[0:1]
	v_cmp_gt_u32_e32 vcc, 60, v6
	v_add_u32_e32 v8, 4, v6
	s_waitcnt lgkmcnt(1)
	v_cndmask_b32_e64 v4, 0, 4, vcc
	s_waitcnt lgkmcnt(0)
	v_add_lshl_u32 v5, v4, v1, 2
	s_waitcnt vmcnt(0)
	ds_bpermute_b32 v4, v5, v2
	ds_bpermute_b32 v5, v5, v3
	v_cmp_lt_u32_e32 vcc, v8, v7
	s_and_saveexec_b64 s[0:1], vcc
	;; [unrolled: 21-line block ×4, first 2 shown]
	s_cbranch_execz .LBB722_180
; %bb.179:
	s_waitcnt lgkmcnt(0)
	v_add_f64 v[2:3], v[2:3], v[4:5]
	v_cvt_i32_f64_e32 v2, v[2:3]
	v_ashrrev_i32_e32 v3, 31, v2
	v_lshl_add_u64 v[2:3], v[2:3], 3, s[30:31]
	global_load_dwordx2 v[2:3], v[2:3], off
.LBB722_180:
	s_or_b64 exec, exec, s[0:1]
	v_lshlrev_b32_e32 v8, 2, v1
	s_waitcnt lgkmcnt(0)
	v_or_b32_e32 v5, 0x80, v8
	s_waitcnt vmcnt(0)
	ds_bpermute_b32 v4, v5, v2
	ds_bpermute_b32 v5, v5, v3
	v_add_u32_e32 v6, 32, v6
	v_cmp_lt_u32_e32 vcc, v6, v7
	s_and_saveexec_b64 s[0:1], vcc
	s_cbranch_execz .LBB722_182
; %bb.181:
	s_waitcnt lgkmcnt(0)
	v_add_f64 v[2:3], v[2:3], v[4:5]
	v_cvt_i32_f64_e32 v2, v[2:3]
	v_ashrrev_i32_e32 v3, 31, v2
	v_lshl_add_u64 v[2:3], v[2:3], 3, s[30:31]
	global_load_dwordx2 v[2:3], v[2:3], off
.LBB722_182:
	s_or_b64 exec, exec, s[0:1]
	v_cmp_eq_u32_e32 vcc, 0, v1
	s_and_saveexec_b64 s[0:1], vcc
	s_cbranch_execz .LBB722_184
; %bb.183:
	s_waitcnt lgkmcnt(1)
	v_lshrrev_b32_e32 v4, 3, v0
	v_and_b32_e32 v4, 24, v4
	s_waitcnt vmcnt(0)
	ds_write_b64 v4, v[2:3]
.LBB722_184:
	s_or_b64 exec, exec, s[0:1]
	v_cmp_gt_u32_e32 vcc, 4, v0
	s_waitcnt lgkmcnt(0)
	s_barrier
                                        ; implicit-def: $vgpr4_vgpr5
	s_and_saveexec_b64 s[0:1], vcc
	s_cbranch_execz .LBB722_190
; %bb.185:
	s_waitcnt vmcnt(0)
	v_lshlrev_b32_e32 v2, 3, v1
	ds_read_b64 v[2:3], v2
	v_and_b32_e32 v6, 3, v1
	v_cmp_ne_u32_e32 vcc, 3, v6
	s_add_i32 s4, s4, 63
	s_lshr_b32 s8, s4, 6
	v_addc_co_u32_e32 v1, vcc, 0, v1, vcc
	v_lshlrev_b32_e32 v1, 2, v1
	s_waitcnt lgkmcnt(0)
	ds_bpermute_b32 v4, v1, v2
	ds_bpermute_b32 v5, v1, v3
	v_add_u32_e32 v1, 1, v6
	v_cmp_gt_u32_e32 vcc, s8, v1
	s_and_saveexec_b64 s[4:5], vcc
	s_cbranch_execz .LBB722_187
; %bb.186:
	s_waitcnt lgkmcnt(0)
	v_add_f64 v[2:3], v[2:3], v[4:5]
	v_cvt_i32_f64_e32 v2, v[2:3]
	v_ashrrev_i32_e32 v3, 31, v2
	v_lshl_add_u64 v[2:3], v[2:3], 3, s[30:31]
	global_load_dwordx2 v[2:3], v[2:3], off
.LBB722_187:
	s_or_b64 exec, exec, s[4:5]
	v_or_b32_e32 v1, 8, v8
	s_waitcnt vmcnt(0) lgkmcnt(1)
	ds_bpermute_b32 v4, v1, v2
	s_waitcnt lgkmcnt(1)
	ds_bpermute_b32 v5, v1, v3
	v_add_u32_e32 v1, 2, v6
	v_cmp_gt_u32_e32 vcc, s8, v1
	s_mov_b64 s[4:5], s[6:7]
	s_and_saveexec_b64 s[8:9], vcc
; %bb.188:
	s_or_b64 s[4:5], s[6:7], exec
; %bb.189:
	s_or_b64 exec, exec, s[8:9]
	s_andn2_b64 s[6:7], s[6:7], exec
	s_and_b64 s[4:5], s[4:5], exec
	s_or_b64 s[6:7], s[6:7], s[4:5]
.LBB722_190:
	s_or_b64 exec, exec, s[0:1]
.LBB722_191:
	s_and_saveexec_b64 s[0:1], s[6:7]
	s_cbranch_execz .LBB722_193
; %bb.192:
	s_waitcnt vmcnt(0) lgkmcnt(0)
	v_add_f64 v[2:3], v[2:3], v[4:5]
	v_cvt_i32_f64_e32 v2, v[2:3]
	v_ashrrev_i32_e32 v3, 31, v2
	v_lshl_add_u64 v[2:3], v[2:3], 3, s[30:31]
	global_load_dwordx2 v[2:3], v[2:3], off
.LBB722_193:
	s_or_b64 exec, exec, s[0:1]
	v_cmp_eq_u32_e32 vcc, 0, v0
	s_and_saveexec_b64 s[0:1], vcc
	s_xor_b64 s[0:1], exec, s[0:1]
	s_cbranch_execz .LBB722_195
; %bb.194:
	s_cmp_eq_u64 s[38:39], 0
	s_cselect_b64 s[4:5], -1, 0
	s_cmp_lg_u64 s[38:39], 0
	s_cselect_b64 s[6:7], -1, 0
	s_andn2_b64 s[8:9], s[14:15], exec
	s_and_b64 s[4:5], s[4:5], exec
	s_or_b64 s[14:15], s[8:9], s[4:5]
	s_andn2_b64 s[4:5], s[16:17], exec
	s_and_b64 s[6:7], s[6:7], exec
	s_or_b64 s[16:17], s[4:5], s[6:7]
.LBB722_195:
	s_or_b64 exec, exec, s[0:1]
	s_branch .LBB722_247
.LBB722_196:
	s_cmp_gt_i32 s33, 1
	s_cbranch_scc0 .LBB722_204
; %bb.197:
	s_cmp_eq_u32 s33, 2
	s_cbranch_scc0 .LBB722_205
; %bb.198:
	s_mov_b32 s3, 0
	s_lshl_b32 s6, s2, 9
	s_mov_b32 s7, s3
	s_lshr_b64 s[0:1], s[38:39], 9
	s_lshl_b64 s[4:5], s[6:7], 3
	s_add_u32 s4, s36, s4
	s_addc_u32 s5, s37, s5
	s_cmp_lg_u64 s[0:1], s[2:3]
	s_cbranch_scc0 .LBB722_206
; %bb.199:
	v_lshlrev_b32_e32 v1, 3, v0
	global_load_dwordx2 v[2:3], v1, s[4:5]
	s_waitcnt lgkmcnt(0)
	global_load_dwordx2 v[4:5], v1, s[4:5] offset:2048
	v_mbcnt_lo_u32_b32 v1, -1, 0
	v_mbcnt_hi_u32_b32 v6, -1, v1
	v_lshlrev_b32_e32 v1, 2, v6
	v_cmp_eq_u32_e32 vcc, 0, v6
	s_waitcnt vmcnt(0)
	v_add_f64 v[2:3], v[2:3], v[4:5]
	v_cvt_i32_f64_e32 v2, v[2:3]
	v_ashrrev_i32_e32 v3, 31, v2
	v_lshl_add_u64 v[2:3], v[2:3], 3, s[30:31]
	global_load_dwordx2 v[2:3], v[2:3], off
	s_waitcnt vmcnt(0)
	s_nop 0
	v_mov_b32_dpp v4, v2 quad_perm:[1,0,3,2] row_mask:0xf bank_mask:0xf bound_ctrl:1
	v_mov_b32_dpp v5, v3 quad_perm:[1,0,3,2] row_mask:0xf bank_mask:0xf bound_ctrl:1
	v_add_f64 v[2:3], v[2:3], v[4:5]
	v_cvt_i32_f64_e32 v2, v[2:3]
	v_ashrrev_i32_e32 v3, 31, v2
	v_lshl_add_u64 v[2:3], v[2:3], 3, s[30:31]
	global_load_dwordx2 v[2:3], v[2:3], off
	s_waitcnt vmcnt(0)
	s_nop 0
	v_mov_b32_dpp v4, v2 quad_perm:[2,3,0,1] row_mask:0xf bank_mask:0xf bound_ctrl:1
	v_mov_b32_dpp v5, v3 quad_perm:[2,3,0,1] row_mask:0xf bank_mask:0xf bound_ctrl:1
	v_add_f64 v[2:3], v[2:3], v[4:5]
	v_cvt_i32_f64_e32 v2, v[2:3]
	v_ashrrev_i32_e32 v3, 31, v2
	v_lshl_add_u64 v[2:3], v[2:3], 3, s[30:31]
	global_load_dwordx2 v[2:3], v[2:3], off
	s_waitcnt vmcnt(0)
	s_nop 0
	v_mov_b32_dpp v4, v2 row_ror:4 row_mask:0xf bank_mask:0xf bound_ctrl:1
	v_mov_b32_dpp v5, v3 row_ror:4 row_mask:0xf bank_mask:0xf bound_ctrl:1
	v_add_f64 v[2:3], v[2:3], v[4:5]
	v_cvt_i32_f64_e32 v2, v[2:3]
	v_ashrrev_i32_e32 v3, 31, v2
	v_lshl_add_u64 v[2:3], v[2:3], 3, s[30:31]
	global_load_dwordx2 v[2:3], v[2:3], off
	s_waitcnt vmcnt(0)
	s_nop 0
	v_mov_b32_dpp v4, v2 row_ror:8 row_mask:0xf bank_mask:0xf bound_ctrl:1
	v_mov_b32_dpp v5, v3 row_ror:8 row_mask:0xf bank_mask:0xf bound_ctrl:1
	v_add_f64 v[2:3], v[2:3], v[4:5]
	v_cvt_i32_f64_e32 v2, v[2:3]
	v_ashrrev_i32_e32 v3, 31, v2
	v_lshl_add_u64 v[2:3], v[2:3], 3, s[30:31]
	global_load_dwordx2 v[2:3], v[2:3], off
	s_waitcnt vmcnt(0)
	s_nop 0
	v_mov_b32_dpp v4, v2 row_bcast:15 row_mask:0xf bank_mask:0xf bound_ctrl:1
	v_mov_b32_dpp v5, v3 row_bcast:15 row_mask:0xf bank_mask:0xf bound_ctrl:1
	v_add_f64 v[2:3], v[2:3], v[4:5]
	v_cvt_i32_f64_e32 v2, v[2:3]
	v_ashrrev_i32_e32 v3, 31, v2
	v_lshl_add_u64 v[2:3], v[2:3], 3, s[30:31]
	global_load_dwordx2 v[2:3], v[2:3], off
	s_waitcnt vmcnt(0)
	s_nop 0
	v_mov_b32_dpp v4, v2 row_bcast:31 row_mask:0xf bank_mask:0xf bound_ctrl:1
	v_mov_b32_dpp v5, v3 row_bcast:31 row_mask:0xf bank_mask:0xf bound_ctrl:1
	v_add_f64 v[2:3], v[2:3], v[4:5]
	v_cvt_i32_f64_e32 v2, v[2:3]
	v_ashrrev_i32_e32 v3, 31, v2
	v_lshl_add_u64 v[2:3], v[2:3], 3, s[30:31]
	global_load_dwordx2 v[2:3], v[2:3], off
	v_or_b32_e32 v4, 0xfc, v1
	s_waitcnt vmcnt(0)
	ds_bpermute_b32 v2, v4, v2
	ds_bpermute_b32 v3, v4, v3
	s_and_saveexec_b64 s[0:1], vcc
	s_cbranch_execz .LBB722_201
; %bb.200:
	v_lshrrev_b32_e32 v4, 3, v0
	v_and_b32_e32 v4, 24, v4
	s_waitcnt lgkmcnt(0)
	ds_write_b64 v4, v[2:3] offset:96
.LBB722_201:
	s_or_b64 exec, exec, s[0:1]
	v_cmp_gt_u32_e32 vcc, 64, v0
	s_mov_b64 s[8:9], 0
	s_mov_b64 s[0:1], 0
	s_waitcnt lgkmcnt(0)
	s_barrier
                                        ; implicit-def: $vgpr4_vgpr5
	s_and_saveexec_b64 s[10:11], vcc
	s_xor_b64 s[10:11], exec, s[10:11]
	s_cbranch_execz .LBB722_203
; %bb.202:
	v_and_b32_e32 v4, 3, v6
	v_lshlrev_b32_e32 v2, 3, v4
	ds_read_b64 v[2:3], v2 offset:96
	v_cmp_ne_u32_e32 vcc, 3, v4
	v_or_b32_e32 v1, 8, v1
	s_mov_b64 s[0:1], exec
	v_addc_co_u32_e32 v4, vcc, 0, v6, vcc
	v_lshlrev_b32_e32 v5, 2, v4
	s_waitcnt lgkmcnt(0)
	ds_bpermute_b32 v4, v5, v2
	ds_bpermute_b32 v5, v5, v3
	s_waitcnt lgkmcnt(0)
	v_add_f64 v[2:3], v[2:3], v[4:5]
	v_cvt_i32_f64_e32 v2, v[2:3]
	v_ashrrev_i32_e32 v3, 31, v2
	v_lshl_add_u64 v[2:3], v[2:3], 3, s[30:31]
	global_load_dwordx2 v[2:3], v[2:3], off
	s_waitcnt vmcnt(0)
	ds_bpermute_b32 v4, v1, v2
	ds_bpermute_b32 v5, v1, v3
.LBB722_203:
	s_or_b64 exec, exec, s[10:11]
	s_and_b64 vcc, exec, s[8:9]
	s_cbranch_vccnz .LBB722_207
	s_branch .LBB722_234
.LBB722_204:
                                        ; implicit-def: $vgpr2_vgpr3
	s_cbranch_execnz .LBB722_239
	s_branch .LBB722_247
.LBB722_205:
                                        ; implicit-def: $vgpr2_vgpr3
	s_branch .LBB722_247
.LBB722_206:
	s_mov_b64 s[0:1], 0
                                        ; implicit-def: $vgpr4_vgpr5
                                        ; implicit-def: $vgpr2_vgpr3
	s_cbranch_execz .LBB722_234
.LBB722_207:
	s_sub_i32 s8, s38, s6
	s_waitcnt vmcnt(0)
	v_mov_b32_e32 v2, 0
	v_cmp_gt_u32_e32 vcc, s8, v0
	v_mov_b32_e32 v3, v2
	s_waitcnt lgkmcnt(1)
	v_mov_b32_e32 v4, v2
	s_waitcnt lgkmcnt(0)
	v_mov_b32_e32 v5, v2
	s_and_saveexec_b64 s[6:7], vcc
	s_cbranch_execz .LBB722_209
; %bb.208:
	v_lshlrev_b32_e32 v1, 3, v0
	global_load_dwordx2 v[4:5], v1, s[4:5]
	v_mov_b32_e32 v6, v2
	v_mov_b32_e32 v7, v2
	s_waitcnt vmcnt(0)
	v_mov_b64_e32 v[2:3], v[4:5]
	v_mov_b64_e32 v[4:5], v[6:7]
.LBB722_209:
	s_or_b64 exec, exec, s[6:7]
	v_or_b32_e32 v1, 0x100, v0
	v_cmp_gt_u32_e32 vcc, s8, v1
	s_and_saveexec_b64 s[6:7], vcc
	s_cbranch_execz .LBB722_211
; %bb.210:
	v_lshlrev_b32_e32 v1, 3, v0
	global_load_dwordx2 v[4:5], v1, s[4:5] offset:2048
.LBB722_211:
	s_or_b64 exec, exec, s[6:7]
	s_and_saveexec_b64 s[4:5], vcc
	s_cbranch_execz .LBB722_213
; %bb.212:
	s_waitcnt vmcnt(0)
	v_add_f64 v[2:3], v[4:5], v[2:3]
	v_cvt_i32_f64_e32 v2, v[2:3]
	v_ashrrev_i32_e32 v3, 31, v2
	v_lshl_add_u64 v[2:3], v[2:3], 3, s[30:31]
	global_load_dwordx2 v[2:3], v[2:3], off
.LBB722_213:
	s_or_b64 exec, exec, s[4:5]
	v_mbcnt_lo_u32_b32 v1, -1, 0
	v_mbcnt_hi_u32_b32 v1, -1, v1
	v_and_b32_e32 v6, 63, v1
	v_cmp_ne_u32_e32 vcc, 63, v6
	s_min_u32 s6, s8, 0x100
	v_and_b32_e32 v7, 0xc0, v0
	s_waitcnt vmcnt(0)
	v_addc_co_u32_e32 v4, vcc, 0, v1, vcc
	v_lshlrev_b32_e32 v5, 2, v4
	ds_bpermute_b32 v4, v5, v2
	ds_bpermute_b32 v5, v5, v3
	v_sub_u32_e64 v7, s6, v7 clamp
	v_add_u32_e32 v8, 1, v6
	v_cmp_lt_u32_e32 vcc, v8, v7
	s_and_saveexec_b64 s[4:5], vcc
	s_xor_b64 s[4:5], exec, s[4:5]
	s_cbranch_execz .LBB722_215
; %bb.214:
	s_waitcnt lgkmcnt(0)
	v_add_f64 v[2:3], v[2:3], v[4:5]
	v_cvt_i32_f64_e32 v2, v[2:3]
	v_ashrrev_i32_e32 v3, 31, v2
	v_lshl_add_u64 v[2:3], v[2:3], 3, s[30:31]
	global_load_dwordx2 v[2:3], v[2:3], off
.LBB722_215:
	s_or_b64 exec, exec, s[4:5]
	v_cmp_gt_u32_e32 vcc, 62, v6
	v_add_u32_e32 v8, 2, v6
	s_waitcnt lgkmcnt(1)
	v_cndmask_b32_e64 v4, 0, 2, vcc
	s_waitcnt lgkmcnt(0)
	v_add_lshl_u32 v5, v4, v1, 2
	s_waitcnt vmcnt(0)
	ds_bpermute_b32 v4, v5, v2
	ds_bpermute_b32 v5, v5, v3
	v_cmp_lt_u32_e32 vcc, v8, v7
	s_and_saveexec_b64 s[4:5], vcc
	s_cbranch_execz .LBB722_217
; %bb.216:
	s_waitcnt lgkmcnt(0)
	v_add_f64 v[2:3], v[2:3], v[4:5]
	v_cvt_i32_f64_e32 v2, v[2:3]
	v_ashrrev_i32_e32 v3, 31, v2
	v_lshl_add_u64 v[2:3], v[2:3], 3, s[30:31]
	global_load_dwordx2 v[2:3], v[2:3], off
.LBB722_217:
	s_or_b64 exec, exec, s[4:5]
	v_cmp_gt_u32_e32 vcc, 60, v6
	v_add_u32_e32 v8, 4, v6
	s_waitcnt lgkmcnt(1)
	v_cndmask_b32_e64 v4, 0, 4, vcc
	s_waitcnt lgkmcnt(0)
	v_add_lshl_u32 v5, v4, v1, 2
	s_waitcnt vmcnt(0)
	ds_bpermute_b32 v4, v5, v2
	ds_bpermute_b32 v5, v5, v3
	v_cmp_lt_u32_e32 vcc, v8, v7
	s_and_saveexec_b64 s[4:5], vcc
	;; [unrolled: 21-line block ×4, first 2 shown]
	s_cbranch_execz .LBB722_223
; %bb.222:
	s_waitcnt lgkmcnt(0)
	v_add_f64 v[2:3], v[2:3], v[4:5]
	v_cvt_i32_f64_e32 v2, v[2:3]
	v_ashrrev_i32_e32 v3, 31, v2
	v_lshl_add_u64 v[2:3], v[2:3], 3, s[30:31]
	global_load_dwordx2 v[2:3], v[2:3], off
.LBB722_223:
	s_or_b64 exec, exec, s[4:5]
	v_lshlrev_b32_e32 v8, 2, v1
	s_waitcnt lgkmcnt(0)
	v_or_b32_e32 v5, 0x80, v8
	s_waitcnt vmcnt(0)
	ds_bpermute_b32 v4, v5, v2
	ds_bpermute_b32 v5, v5, v3
	v_add_u32_e32 v6, 32, v6
	v_cmp_lt_u32_e32 vcc, v6, v7
	s_and_saveexec_b64 s[4:5], vcc
	s_cbranch_execz .LBB722_225
; %bb.224:
	s_waitcnt lgkmcnt(0)
	v_add_f64 v[2:3], v[2:3], v[4:5]
	v_cvt_i32_f64_e32 v2, v[2:3]
	v_ashrrev_i32_e32 v3, 31, v2
	v_lshl_add_u64 v[2:3], v[2:3], 3, s[30:31]
	global_load_dwordx2 v[2:3], v[2:3], off
.LBB722_225:
	s_or_b64 exec, exec, s[4:5]
	v_cmp_eq_u32_e32 vcc, 0, v1
	s_and_saveexec_b64 s[4:5], vcc
	s_cbranch_execz .LBB722_227
; %bb.226:
	s_waitcnt lgkmcnt(1)
	v_lshrrev_b32_e32 v4, 3, v0
	v_and_b32_e32 v4, 24, v4
	s_waitcnt vmcnt(0)
	ds_write_b64 v4, v[2:3]
.LBB722_227:
	s_or_b64 exec, exec, s[4:5]
	v_cmp_gt_u32_e32 vcc, 4, v0
	s_waitcnt lgkmcnt(0)
	s_barrier
                                        ; implicit-def: $vgpr4_vgpr5
	s_and_saveexec_b64 s[4:5], vcc
	s_cbranch_execz .LBB722_233
; %bb.228:
	s_waitcnt vmcnt(0)
	v_lshlrev_b32_e32 v2, 3, v1
	ds_read_b64 v[2:3], v2
	v_and_b32_e32 v6, 3, v1
	v_cmp_ne_u32_e32 vcc, 3, v6
	s_add_i32 s6, s6, 63
	s_lshr_b32 s8, s6, 6
	v_addc_co_u32_e32 v1, vcc, 0, v1, vcc
	v_lshlrev_b32_e32 v1, 2, v1
	s_waitcnt lgkmcnt(0)
	ds_bpermute_b32 v4, v1, v2
	ds_bpermute_b32 v5, v1, v3
	v_add_u32_e32 v1, 1, v6
	v_cmp_gt_u32_e32 vcc, s8, v1
	s_and_saveexec_b64 s[6:7], vcc
	s_cbranch_execz .LBB722_230
; %bb.229:
	s_waitcnt lgkmcnt(0)
	v_add_f64 v[2:3], v[2:3], v[4:5]
	v_cvt_i32_f64_e32 v2, v[2:3]
	v_ashrrev_i32_e32 v3, 31, v2
	v_lshl_add_u64 v[2:3], v[2:3], 3, s[30:31]
	global_load_dwordx2 v[2:3], v[2:3], off
.LBB722_230:
	s_or_b64 exec, exec, s[6:7]
	v_or_b32_e32 v1, 8, v8
	s_waitcnt vmcnt(0) lgkmcnt(1)
	ds_bpermute_b32 v4, v1, v2
	s_waitcnt lgkmcnt(1)
	ds_bpermute_b32 v5, v1, v3
	v_add_u32_e32 v1, 2, v6
	v_cmp_gt_u32_e32 vcc, s8, v1
	s_mov_b64 s[6:7], s[0:1]
	s_and_saveexec_b64 s[8:9], vcc
; %bb.231:
	s_or_b64 s[6:7], s[0:1], exec
; %bb.232:
	s_or_b64 exec, exec, s[8:9]
	s_andn2_b64 s[0:1], s[0:1], exec
	s_and_b64 s[6:7], s[6:7], exec
	s_or_b64 s[0:1], s[0:1], s[6:7]
.LBB722_233:
	s_or_b64 exec, exec, s[4:5]
.LBB722_234:
	s_and_saveexec_b64 s[4:5], s[0:1]
	s_cbranch_execz .LBB722_236
; %bb.235:
	s_waitcnt vmcnt(0) lgkmcnt(0)
	v_add_f64 v[2:3], v[2:3], v[4:5]
	v_cvt_i32_f64_e32 v2, v[2:3]
	v_ashrrev_i32_e32 v3, 31, v2
	v_lshl_add_u64 v[2:3], v[2:3], 3, s[30:31]
	global_load_dwordx2 v[2:3], v[2:3], off
.LBB722_236:
	s_or_b64 exec, exec, s[4:5]
	v_cmp_eq_u32_e32 vcc, 0, v0
	s_and_saveexec_b64 s[0:1], vcc
	s_xor_b64 s[0:1], exec, s[0:1]
	s_cbranch_execz .LBB722_238
; %bb.237:
	s_cmp_eq_u64 s[38:39], 0
	s_cselect_b64 s[4:5], -1, 0
	s_cmp_lg_u64 s[38:39], 0
	s_cselect_b64 s[6:7], -1, 0
	s_andn2_b64 s[8:9], s[14:15], exec
	s_and_b64 s[4:5], s[4:5], exec
	s_or_b64 s[14:15], s[8:9], s[4:5]
	s_andn2_b64 s[4:5], s[16:17], exec
	s_and_b64 s[6:7], s[6:7], exec
	s_or_b64 s[16:17], s[4:5], s[6:7]
.LBB722_238:
	s_or_b64 exec, exec, s[0:1]
	s_branch .LBB722_247
.LBB722_239:
	s_cmp_eq_u32 s33, 1
	s_cbranch_scc0 .LBB722_246
; %bb.240:
	s_mov_b32 s5, 0
	s_lshl_b32 s4, s2, 8
	s_mov_b32 s3, s5
	s_lshr_b64 s[0:1], s[38:39], 8
	s_cmp_lg_u64 s[0:1], s[2:3]
	v_mbcnt_lo_u32_b32 v1, -1, 0
	s_cbranch_scc0 .LBB722_250
; %bb.241:
	s_lshl_b64 s[0:1], s[4:5], 3
	s_add_u32 s0, s36, s0
	s_addc_u32 s1, s37, s1
	s_waitcnt vmcnt(0)
	v_lshlrev_b32_e32 v2, 3, v0
	global_load_dwordx2 v[2:3], v2, s[0:1]
	v_mbcnt_hi_u32_b32 v7, -1, v1
	v_lshlrev_b32_e32 v6, 2, v7
	v_cmp_eq_u32_e32 vcc, 0, v7
	s_waitcnt vmcnt(0) lgkmcnt(1)
	v_mov_b32_dpp v4, v2 quad_perm:[1,0,3,2] row_mask:0xf bank_mask:0xf bound_ctrl:1
	s_waitcnt lgkmcnt(0)
	v_mov_b32_dpp v5, v3 quad_perm:[1,0,3,2] row_mask:0xf bank_mask:0xf bound_ctrl:1
	v_add_f64 v[2:3], v[2:3], v[4:5]
	v_cvt_i32_f64_e32 v2, v[2:3]
	v_ashrrev_i32_e32 v3, 31, v2
	v_lshl_add_u64 v[2:3], v[2:3], 3, s[30:31]
	global_load_dwordx2 v[2:3], v[2:3], off
	s_waitcnt vmcnt(0)
	s_nop 0
	v_mov_b32_dpp v4, v2 quad_perm:[2,3,0,1] row_mask:0xf bank_mask:0xf bound_ctrl:1
	v_mov_b32_dpp v5, v3 quad_perm:[2,3,0,1] row_mask:0xf bank_mask:0xf bound_ctrl:1
	v_add_f64 v[2:3], v[2:3], v[4:5]
	v_cvt_i32_f64_e32 v2, v[2:3]
	v_ashrrev_i32_e32 v3, 31, v2
	v_lshl_add_u64 v[2:3], v[2:3], 3, s[30:31]
	global_load_dwordx2 v[2:3], v[2:3], off
	s_waitcnt vmcnt(0)
	s_nop 0
	v_mov_b32_dpp v4, v2 row_ror:4 row_mask:0xf bank_mask:0xf bound_ctrl:1
	v_mov_b32_dpp v5, v3 row_ror:4 row_mask:0xf bank_mask:0xf bound_ctrl:1
	v_add_f64 v[2:3], v[2:3], v[4:5]
	v_cvt_i32_f64_e32 v2, v[2:3]
	v_ashrrev_i32_e32 v3, 31, v2
	v_lshl_add_u64 v[2:3], v[2:3], 3, s[30:31]
	global_load_dwordx2 v[2:3], v[2:3], off
	s_waitcnt vmcnt(0)
	s_nop 0
	v_mov_b32_dpp v4, v2 row_ror:8 row_mask:0xf bank_mask:0xf bound_ctrl:1
	v_mov_b32_dpp v5, v3 row_ror:8 row_mask:0xf bank_mask:0xf bound_ctrl:1
	v_add_f64 v[2:3], v[2:3], v[4:5]
	v_cvt_i32_f64_e32 v2, v[2:3]
	v_ashrrev_i32_e32 v3, 31, v2
	v_lshl_add_u64 v[2:3], v[2:3], 3, s[30:31]
	global_load_dwordx2 v[2:3], v[2:3], off
	s_waitcnt vmcnt(0)
	s_nop 0
	v_mov_b32_dpp v4, v2 row_bcast:15 row_mask:0xf bank_mask:0xf bound_ctrl:1
	v_mov_b32_dpp v5, v3 row_bcast:15 row_mask:0xf bank_mask:0xf bound_ctrl:1
	v_add_f64 v[2:3], v[2:3], v[4:5]
	v_cvt_i32_f64_e32 v2, v[2:3]
	v_ashrrev_i32_e32 v3, 31, v2
	v_lshl_add_u64 v[2:3], v[2:3], 3, s[30:31]
	global_load_dwordx2 v[2:3], v[2:3], off
	s_waitcnt vmcnt(0)
	s_nop 0
	v_mov_b32_dpp v4, v2 row_bcast:31 row_mask:0xf bank_mask:0xf bound_ctrl:1
	v_mov_b32_dpp v5, v3 row_bcast:31 row_mask:0xf bank_mask:0xf bound_ctrl:1
	v_add_f64 v[2:3], v[2:3], v[4:5]
	v_cvt_i32_f64_e32 v2, v[2:3]
	v_ashrrev_i32_e32 v3, 31, v2
	v_lshl_add_u64 v[2:3], v[2:3], 3, s[30:31]
	global_load_dwordx2 v[2:3], v[2:3], off
	v_or_b32_e32 v4, 0xfc, v6
	s_waitcnt vmcnt(0)
	ds_bpermute_b32 v2, v4, v2
	ds_bpermute_b32 v3, v4, v3
	s_and_saveexec_b64 s[0:1], vcc
	s_cbranch_execz .LBB722_243
; %bb.242:
	v_lshrrev_b32_e32 v4, 3, v0
	v_and_b32_e32 v4, 24, v4
	s_waitcnt lgkmcnt(0)
	ds_write_b64 v4, v[2:3] offset:64
.LBB722_243:
	s_or_b64 exec, exec, s[0:1]
	v_cmp_gt_u32_e32 vcc, 64, v0
	s_mov_b64 s[6:7], 0
	s_mov_b64 s[0:1], 0
	s_waitcnt lgkmcnt(0)
	s_barrier
                                        ; implicit-def: $vgpr4_vgpr5
	s_and_saveexec_b64 s[8:9], vcc
	s_xor_b64 s[8:9], exec, s[8:9]
	s_cbranch_execz .LBB722_245
; %bb.244:
	v_and_b32_e32 v4, 3, v7
	v_lshlrev_b32_e32 v2, 3, v4
	ds_read_b64 v[2:3], v2 offset:64
	v_cmp_ne_u32_e32 vcc, 3, v4
	s_mov_b64 s[0:1], exec
	s_nop 0
	v_addc_co_u32_e32 v4, vcc, 0, v7, vcc
	v_lshlrev_b32_e32 v5, 2, v4
	s_waitcnt lgkmcnt(0)
	ds_bpermute_b32 v4, v5, v2
	ds_bpermute_b32 v5, v5, v3
	s_waitcnt lgkmcnt(0)
	v_add_f64 v[2:3], v[2:3], v[4:5]
	v_cvt_i32_f64_e32 v2, v[2:3]
	v_ashrrev_i32_e32 v3, 31, v2
	v_lshl_add_u64 v[2:3], v[2:3], 3, s[30:31]
	global_load_dwordx2 v[2:3], v[2:3], off
	v_or_b32_e32 v5, 8, v6
	s_waitcnt vmcnt(0)
	ds_bpermute_b32 v4, v5, v2
	ds_bpermute_b32 v5, v5, v3
.LBB722_245:
	s_or_b64 exec, exec, s[8:9]
	s_and_b64 vcc, exec, s[6:7]
	s_cbranch_vccnz .LBB722_251
	s_branch .LBB722_274
.LBB722_246:
                                        ; implicit-def: $sgpr2_sgpr3
                                        ; implicit-def: $vgpr2_vgpr3
.LBB722_247:
	v_mov_b64_e32 v[0:1], s[42:43]
	s_and_saveexec_b64 s[0:1], s[16:17]
	s_cbranch_execnz .LBB722_279
.LBB722_248:
	s_or_b64 exec, exec, s[0:1]
	s_and_saveexec_b64 s[0:1], s[14:15]
	s_cbranch_execnz .LBB722_280
.LBB722_249:
	s_endpgm
.LBB722_250:
	s_mov_b64 s[0:1], 0
                                        ; implicit-def: $vgpr4_vgpr5
                                        ; implicit-def: $vgpr2_vgpr3
	s_cbranch_execz .LBB722_274
.LBB722_251:
	s_sub_i32 s8, s38, s4
	v_cmp_gt_u32_e32 vcc, s8, v0
                                        ; implicit-def: $vgpr2_vgpr3
	s_and_saveexec_b64 s[6:7], vcc
	s_cbranch_execz .LBB722_253
; %bb.252:
	s_lshl_b64 s[4:5], s[4:5], 3
	s_add_u32 s4, s36, s4
	s_addc_u32 s5, s37, s5
	s_waitcnt vmcnt(0)
	v_lshlrev_b32_e32 v2, 3, v0
	global_load_dwordx2 v[2:3], v2, s[4:5]
.LBB722_253:
	s_or_b64 exec, exec, s[6:7]
	v_mbcnt_hi_u32_b32 v1, -1, v1
	v_and_b32_e32 v6, 63, v1
	v_cmp_ne_u32_e32 vcc, 63, v6
	s_min_u32 s6, s8, 0x100
	v_and_b32_e32 v7, 0xc0, v0
	s_waitcnt lgkmcnt(1)
	v_addc_co_u32_e32 v4, vcc, 0, v1, vcc
	s_waitcnt lgkmcnt(0)
	v_lshlrev_b32_e32 v5, 2, v4
	s_waitcnt vmcnt(0)
	ds_bpermute_b32 v4, v5, v2
	ds_bpermute_b32 v5, v5, v3
	v_sub_u32_e64 v7, s6, v7 clamp
	v_add_u32_e32 v8, 1, v6
	v_cmp_lt_u32_e32 vcc, v8, v7
	s_and_saveexec_b64 s[4:5], vcc
	s_cbranch_execz .LBB722_255
; %bb.254:
	s_waitcnt lgkmcnt(0)
	v_add_f64 v[2:3], v[2:3], v[4:5]
	v_cvt_i32_f64_e32 v2, v[2:3]
	v_ashrrev_i32_e32 v3, 31, v2
	v_lshl_add_u64 v[2:3], v[2:3], 3, s[30:31]
	global_load_dwordx2 v[2:3], v[2:3], off
.LBB722_255:
	s_or_b64 exec, exec, s[4:5]
	v_cmp_gt_u32_e32 vcc, 62, v6
	v_add_u32_e32 v8, 2, v6
	s_waitcnt lgkmcnt(1)
	v_cndmask_b32_e64 v4, 0, 2, vcc
	s_waitcnt lgkmcnt(0)
	v_add_lshl_u32 v5, v4, v1, 2
	s_waitcnt vmcnt(0)
	ds_bpermute_b32 v4, v5, v2
	ds_bpermute_b32 v5, v5, v3
	v_cmp_lt_u32_e32 vcc, v8, v7
	s_and_saveexec_b64 s[4:5], vcc
	s_cbranch_execz .LBB722_257
; %bb.256:
	s_waitcnt lgkmcnt(0)
	v_add_f64 v[2:3], v[2:3], v[4:5]
	v_cvt_i32_f64_e32 v2, v[2:3]
	v_ashrrev_i32_e32 v3, 31, v2
	v_lshl_add_u64 v[2:3], v[2:3], 3, s[30:31]
	global_load_dwordx2 v[2:3], v[2:3], off
.LBB722_257:
	s_or_b64 exec, exec, s[4:5]
	v_cmp_gt_u32_e32 vcc, 60, v6
	v_add_u32_e32 v8, 4, v6
	s_waitcnt lgkmcnt(1)
	v_cndmask_b32_e64 v4, 0, 4, vcc
	s_waitcnt lgkmcnt(0)
	v_add_lshl_u32 v5, v4, v1, 2
	s_waitcnt vmcnt(0)
	ds_bpermute_b32 v4, v5, v2
	ds_bpermute_b32 v5, v5, v3
	;; [unrolled: 21-line block ×4, first 2 shown]
	v_cmp_lt_u32_e32 vcc, v8, v7
	s_and_saveexec_b64 s[4:5], vcc
	s_cbranch_execz .LBB722_263
; %bb.262:
	s_waitcnt lgkmcnt(0)
	v_add_f64 v[2:3], v[2:3], v[4:5]
	v_cvt_i32_f64_e32 v2, v[2:3]
	v_ashrrev_i32_e32 v3, 31, v2
	v_lshl_add_u64 v[2:3], v[2:3], 3, s[30:31]
	global_load_dwordx2 v[2:3], v[2:3], off
.LBB722_263:
	s_or_b64 exec, exec, s[4:5]
	v_lshlrev_b32_e32 v8, 2, v1
	s_waitcnt lgkmcnt(0)
	v_or_b32_e32 v5, 0x80, v8
	s_waitcnt vmcnt(0)
	ds_bpermute_b32 v4, v5, v2
	ds_bpermute_b32 v5, v5, v3
	v_add_u32_e32 v6, 32, v6
	v_cmp_lt_u32_e32 vcc, v6, v7
	s_and_saveexec_b64 s[4:5], vcc
	s_cbranch_execz .LBB722_265
; %bb.264:
	s_waitcnt lgkmcnt(0)
	v_add_f64 v[2:3], v[2:3], v[4:5]
	v_cvt_i32_f64_e32 v2, v[2:3]
	v_ashrrev_i32_e32 v3, 31, v2
	v_lshl_add_u64 v[2:3], v[2:3], 3, s[30:31]
	global_load_dwordx2 v[2:3], v[2:3], off
.LBB722_265:
	s_or_b64 exec, exec, s[4:5]
	v_cmp_eq_u32_e32 vcc, 0, v1
	s_and_saveexec_b64 s[4:5], vcc
	s_cbranch_execz .LBB722_267
; %bb.266:
	s_waitcnt lgkmcnt(1)
	v_lshrrev_b32_e32 v4, 3, v0
	v_and_b32_e32 v4, 24, v4
	s_waitcnt vmcnt(0)
	ds_write_b64 v4, v[2:3]
.LBB722_267:
	s_or_b64 exec, exec, s[4:5]
	v_cmp_gt_u32_e32 vcc, 4, v0
	s_waitcnt lgkmcnt(0)
	s_barrier
                                        ; implicit-def: $vgpr4_vgpr5
	s_and_saveexec_b64 s[4:5], vcc
	s_cbranch_execz .LBB722_273
; %bb.268:
	s_waitcnt vmcnt(0)
	v_lshlrev_b32_e32 v2, 3, v1
	ds_read_b64 v[2:3], v2
	v_and_b32_e32 v6, 3, v1
	v_cmp_ne_u32_e32 vcc, 3, v6
	s_add_i32 s6, s6, 63
	s_lshr_b32 s8, s6, 6
	v_addc_co_u32_e32 v1, vcc, 0, v1, vcc
	v_lshlrev_b32_e32 v1, 2, v1
	s_waitcnt lgkmcnt(0)
	ds_bpermute_b32 v4, v1, v2
	ds_bpermute_b32 v5, v1, v3
	v_add_u32_e32 v1, 1, v6
	v_cmp_gt_u32_e32 vcc, s8, v1
	s_and_saveexec_b64 s[6:7], vcc
	s_cbranch_execz .LBB722_270
; %bb.269:
	s_waitcnt lgkmcnt(0)
	v_add_f64 v[2:3], v[2:3], v[4:5]
	v_cvt_i32_f64_e32 v2, v[2:3]
	v_ashrrev_i32_e32 v3, 31, v2
	v_lshl_add_u64 v[2:3], v[2:3], 3, s[30:31]
	global_load_dwordx2 v[2:3], v[2:3], off
.LBB722_270:
	s_or_b64 exec, exec, s[6:7]
	v_or_b32_e32 v1, 8, v8
	s_waitcnt vmcnt(0) lgkmcnt(1)
	ds_bpermute_b32 v4, v1, v2
	s_waitcnt lgkmcnt(1)
	ds_bpermute_b32 v5, v1, v3
	v_add_u32_e32 v1, 2, v6
	v_cmp_gt_u32_e32 vcc, s8, v1
	s_mov_b64 s[6:7], s[0:1]
	s_and_saveexec_b64 s[8:9], vcc
; %bb.271:
	s_or_b64 s[6:7], s[0:1], exec
; %bb.272:
	s_or_b64 exec, exec, s[8:9]
	s_andn2_b64 s[0:1], s[0:1], exec
	s_and_b64 s[6:7], s[6:7], exec
	s_or_b64 s[0:1], s[0:1], s[6:7]
.LBB722_273:
	s_or_b64 exec, exec, s[4:5]
.LBB722_274:
	s_and_saveexec_b64 s[4:5], s[0:1]
	s_cbranch_execz .LBB722_276
; %bb.275:
	s_waitcnt vmcnt(0) lgkmcnt(0)
	v_add_f64 v[2:3], v[2:3], v[4:5]
	v_cvt_i32_f64_e32 v2, v[2:3]
	v_ashrrev_i32_e32 v3, 31, v2
	v_lshl_add_u64 v[2:3], v[2:3], 3, s[30:31]
	global_load_dwordx2 v[2:3], v[2:3], off
.LBB722_276:
	s_or_b64 exec, exec, s[4:5]
	v_cmp_eq_u32_e32 vcc, 0, v0
	s_and_saveexec_b64 s[0:1], vcc
	s_cbranch_execz .LBB722_278
; %bb.277:
	s_cmp_eq_u64 s[38:39], 0
	s_cselect_b64 s[4:5], -1, 0
	s_cmp_lg_u64 s[38:39], 0
	s_cselect_b64 s[6:7], -1, 0
	s_andn2_b64 s[8:9], s[14:15], exec
	s_and_b64 s[4:5], s[4:5], exec
	s_or_b64 s[14:15], s[8:9], s[4:5]
	s_andn2_b64 s[4:5], s[16:17], exec
	s_and_b64 s[6:7], s[6:7], exec
	s_or_b64 s[16:17], s[4:5], s[6:7]
.LBB722_278:
	s_or_b64 exec, exec, s[0:1]
	v_mov_b64_e32 v[0:1], s[42:43]
	s_and_saveexec_b64 s[0:1], s[16:17]
	s_cbranch_execz .LBB722_248
.LBB722_279:
	s_waitcnt vmcnt(0)
	v_add_f64 v[0:1], s[42:43], v[2:3]
	v_cvt_i32_f64_e32 v0, v[0:1]
	v_ashrrev_i32_e32 v1, 31, v0
	v_lshl_add_u64 v[0:1], v[0:1], 3, s[30:31]
	global_load_dwordx2 v[0:1], v[0:1], off
	s_or_b64 s[14:15], s[14:15], exec
	s_or_b64 exec, exec, s[0:1]
	s_and_saveexec_b64 s[0:1], s[14:15]
	s_cbranch_execz .LBB722_249
.LBB722_280:
	s_lshl_b64 s[0:1], s[2:3], 3
	s_add_u32 s0, s40, s0
	s_addc_u32 s1, s41, s1
	s_waitcnt vmcnt(0)
	v_mov_b32_e32 v2, 0
	global_store_dwordx2 v2, v[0:1], s[0:1]
	s_endpgm
.LBB722_281:
	v_lshlrev_b32_e32 v1, 3, v1
	global_load_dwordx2 v[8:9], v1, s[8:9]
	s_or_b64 exec, exec, s[10:11]
	s_and_saveexec_b64 s[8:9], s[4:5]
	s_cbranch_execz .LBB722_167
.LBB722_282:
	s_waitcnt vmcnt(0)
	v_add_f64 v[2:3], v[2:3], v[4:5]
	v_cvt_i32_f64_e32 v2, v[2:3]
	v_ashrrev_i32_e32 v3, 31, v2
	v_lshl_add_u64 v[2:3], v[2:3], 3, s[30:31]
	global_load_dwordx2 v[2:3], v[2:3], off
	s_or_b64 exec, exec, s[8:9]
	s_and_saveexec_b64 s[4:5], s[0:1]
	s_cbranch_execz .LBB722_168
.LBB722_283:
	s_waitcnt vmcnt(0)
	v_add_f64 v[2:3], v[6:7], v[2:3]
	v_cvt_i32_f64_e32 v2, v[2:3]
	v_ashrrev_i32_e32 v3, 31, v2
	v_lshl_add_u64 v[2:3], v[2:3], 3, s[30:31]
	global_load_dwordx2 v[2:3], v[2:3], off
	s_or_b64 exec, exec, s[4:5]
	s_and_saveexec_b64 s[0:1], vcc
	s_cbranch_execnz .LBB722_169
	s_branch .LBB722_170
.LBB722_284:
	v_lshlrev_b32_e32 v1, 3, v1
	global_load_dwordx2 v[32:33], v1, s[46:47]
	s_or_b64 exec, exec, s[48:49]
	s_and_saveexec_b64 s[46:47], s[28:29]
	s_cbranch_execz .LBB722_56
.LBB722_285:
	s_waitcnt vmcnt(0)
	v_add_f64 v[2:3], v[2:3], v[4:5]
	v_cvt_i32_f64_e32 v2, v[2:3]
	v_ashrrev_i32_e32 v3, 31, v2
	v_lshl_add_u64 v[2:3], v[2:3], 3, s[30:31]
	global_load_dwordx2 v[2:3], v[2:3], off
	s_or_b64 exec, exec, s[46:47]
	s_and_saveexec_b64 s[28:29], s[26:27]
	s_cbranch_execz .LBB722_57
.LBB722_286:
	s_waitcnt vmcnt(0)
	v_add_f64 v[2:3], v[6:7], v[2:3]
	v_cvt_i32_f64_e32 v2, v[2:3]
	v_ashrrev_i32_e32 v3, 31, v2
	v_lshl_add_u64 v[2:3], v[2:3], 3, s[30:31]
	global_load_dwordx2 v[2:3], v[2:3], off
	s_or_b64 exec, exec, s[28:29]
	s_and_saveexec_b64 s[26:27], s[24:25]
	s_cbranch_execz .LBB722_58
.LBB722_287:
	s_waitcnt vmcnt(0)
	v_add_f64 v[2:3], v[8:9], v[2:3]
	v_cvt_i32_f64_e32 v2, v[2:3]
	v_ashrrev_i32_e32 v3, 31, v2
	v_lshl_add_u64 v[2:3], v[2:3], 3, s[30:31]
	global_load_dwordx2 v[2:3], v[2:3], off
	s_or_b64 exec, exec, s[26:27]
	s_and_saveexec_b64 s[24:25], s[22:23]
	s_cbranch_execz .LBB722_59
.LBB722_288:
	s_waitcnt vmcnt(0)
	v_add_f64 v[2:3], v[10:11], v[2:3]
	v_cvt_i32_f64_e32 v2, v[2:3]
	v_ashrrev_i32_e32 v3, 31, v2
	v_lshl_add_u64 v[2:3], v[2:3], 3, s[30:31]
	global_load_dwordx2 v[2:3], v[2:3], off
	s_or_b64 exec, exec, s[24:25]
	s_and_saveexec_b64 s[22:23], s[20:21]
	s_cbranch_execz .LBB722_60
.LBB722_289:
	s_waitcnt vmcnt(0)
	v_add_f64 v[2:3], v[12:13], v[2:3]
	v_cvt_i32_f64_e32 v2, v[2:3]
	v_ashrrev_i32_e32 v3, 31, v2
	v_lshl_add_u64 v[2:3], v[2:3], 3, s[30:31]
	global_load_dwordx2 v[2:3], v[2:3], off
	s_or_b64 exec, exec, s[22:23]
	s_and_saveexec_b64 s[20:21], s[18:19]
	s_cbranch_execz .LBB722_61
.LBB722_290:
	s_waitcnt vmcnt(0)
	v_add_f64 v[2:3], v[14:15], v[2:3]
	v_cvt_i32_f64_e32 v2, v[2:3]
	v_ashrrev_i32_e32 v3, 31, v2
	v_lshl_add_u64 v[2:3], v[2:3], 3, s[30:31]
	global_load_dwordx2 v[2:3], v[2:3], off
	s_or_b64 exec, exec, s[20:21]
	s_and_saveexec_b64 s[18:19], s[16:17]
	s_cbranch_execz .LBB722_62
.LBB722_291:
	s_waitcnt vmcnt(0)
	v_mov_b32_e32 v4, v16
	v_mov_b32_e32 v5, v17
	v_add_f64 v[2:3], v[4:5], v[2:3]
	v_cvt_i32_f64_e32 v2, v[2:3]
	v_ashrrev_i32_e32 v3, 31, v2
	v_lshl_add_u64 v[2:3], v[2:3], 3, s[30:31]
	global_load_dwordx2 v[2:3], v[2:3], off
	s_or_b64 exec, exec, s[18:19]
	s_and_saveexec_b64 s[16:17], s[14:15]
	s_cbranch_execz .LBB722_63
.LBB722_292:
	s_waitcnt vmcnt(0)
	v_mov_b32_e32 v4, v18
	v_mov_b32_e32 v5, v19
	v_add_f64 v[2:3], v[4:5], v[2:3]
	v_cvt_i32_f64_e32 v2, v[2:3]
	v_ashrrev_i32_e32 v3, 31, v2
	v_lshl_add_u64 v[2:3], v[2:3], 3, s[30:31]
	global_load_dwordx2 v[2:3], v[2:3], off
	s_or_b64 exec, exec, s[16:17]
	s_and_saveexec_b64 s[14:15], s[12:13]
	s_cbranch_execz .LBB722_64
.LBB722_293:
	s_waitcnt vmcnt(0)
	v_mov_b32_e32 v4, v20
	v_mov_b32_e32 v5, v21
	v_add_f64 v[2:3], v[4:5], v[2:3]
	v_cvt_i32_f64_e32 v2, v[2:3]
	v_ashrrev_i32_e32 v3, 31, v2
	v_lshl_add_u64 v[2:3], v[2:3], 3, s[30:31]
	global_load_dwordx2 v[2:3], v[2:3], off
	s_or_b64 exec, exec, s[14:15]
	s_and_saveexec_b64 s[12:13], s[10:11]
	s_cbranch_execz .LBB722_65
.LBB722_294:
	s_waitcnt vmcnt(0)
	v_mov_b32_e32 v4, v22
	v_mov_b32_e32 v5, v23
	v_add_f64 v[2:3], v[4:5], v[2:3]
	v_cvt_i32_f64_e32 v2, v[2:3]
	v_ashrrev_i32_e32 v3, 31, v2
	v_lshl_add_u64 v[2:3], v[2:3], 3, s[30:31]
	global_load_dwordx2 v[2:3], v[2:3], off
	s_or_b64 exec, exec, s[12:13]
	s_and_saveexec_b64 s[10:11], s[8:9]
	s_cbranch_execz .LBB722_66
.LBB722_295:
	s_waitcnt vmcnt(0)
	v_mov_b32_e32 v4, v24
	v_mov_b32_e32 v5, v25
	v_add_f64 v[2:3], v[4:5], v[2:3]
	v_cvt_i32_f64_e32 v2, v[2:3]
	v_ashrrev_i32_e32 v3, 31, v2
	v_lshl_add_u64 v[2:3], v[2:3], 3, s[30:31]
	global_load_dwordx2 v[2:3], v[2:3], off
	s_or_b64 exec, exec, s[10:11]
	s_and_saveexec_b64 s[8:9], s[6:7]
	s_cbranch_execz .LBB722_67
.LBB722_296:
	s_waitcnt vmcnt(0)
	v_mov_b32_e32 v4, v26
	v_mov_b32_e32 v5, v27
	v_add_f64 v[2:3], v[4:5], v[2:3]
	v_cvt_i32_f64_e32 v2, v[2:3]
	v_ashrrev_i32_e32 v3, 31, v2
	v_lshl_add_u64 v[2:3], v[2:3], 3, s[30:31]
	global_load_dwordx2 v[2:3], v[2:3], off
	s_or_b64 exec, exec, s[8:9]
	s_and_saveexec_b64 s[6:7], s[4:5]
	s_cbranch_execz .LBB722_68
.LBB722_297:
	s_waitcnt vmcnt(0)
	v_mov_b32_e32 v4, v28
	v_mov_b32_e32 v5, v29
	v_add_f64 v[2:3], v[4:5], v[2:3]
	v_cvt_i32_f64_e32 v2, v[2:3]
	v_ashrrev_i32_e32 v3, 31, v2
	v_lshl_add_u64 v[2:3], v[2:3], 3, s[30:31]
	global_load_dwordx2 v[2:3], v[2:3], off
	s_or_b64 exec, exec, s[6:7]
	s_and_saveexec_b64 s[4:5], s[0:1]
	s_cbranch_execz .LBB722_69
.LBB722_298:
	s_waitcnt vmcnt(0)
	v_mov_b32_e32 v4, v30
	v_mov_b32_e32 v5, v31
	v_add_f64 v[2:3], v[4:5], v[2:3]
	v_cvt_i32_f64_e32 v2, v[2:3]
	v_ashrrev_i32_e32 v3, 31, v2
	v_lshl_add_u64 v[2:3], v[2:3], 3, s[30:31]
	global_load_dwordx2 v[2:3], v[2:3], off
	s_or_b64 exec, exec, s[4:5]
	s_and_saveexec_b64 s[0:1], vcc
	s_cbranch_execnz .LBB722_70
	s_branch .LBB722_71
.LBB722_299:
	v_lshlrev_b32_e32 v1, 3, v1
	global_load_dwordx2 v[16:17], v1, s[20:21]
	s_or_b64 exec, exec, s[22:23]
	s_and_saveexec_b64 s[20:21], s[12:13]
	s_cbranch_execz .LBB722_116
.LBB722_300:
	s_waitcnt vmcnt(0)
	v_add_f64 v[2:3], v[2:3], v[4:5]
	v_cvt_i32_f64_e32 v2, v[2:3]
	v_ashrrev_i32_e32 v3, 31, v2
	v_lshl_add_u64 v[2:3], v[2:3], 3, s[30:31]
	global_load_dwordx2 v[2:3], v[2:3], off
	s_or_b64 exec, exec, s[20:21]
	s_and_saveexec_b64 s[12:13], s[10:11]
	s_cbranch_execz .LBB722_117
.LBB722_301:
	s_waitcnt vmcnt(0)
	v_add_f64 v[2:3], v[6:7], v[2:3]
	v_cvt_i32_f64_e32 v2, v[2:3]
	v_ashrrev_i32_e32 v3, 31, v2
	v_lshl_add_u64 v[2:3], v[2:3], 3, s[30:31]
	global_load_dwordx2 v[2:3], v[2:3], off
	s_or_b64 exec, exec, s[12:13]
	s_and_saveexec_b64 s[10:11], s[8:9]
	s_cbranch_execz .LBB722_118
.LBB722_302:
	s_waitcnt vmcnt(0)
	v_add_f64 v[2:3], v[8:9], v[2:3]
	v_cvt_i32_f64_e32 v2, v[2:3]
	v_ashrrev_i32_e32 v3, 31, v2
	v_lshl_add_u64 v[2:3], v[2:3], 3, s[30:31]
	global_load_dwordx2 v[2:3], v[2:3], off
	s_or_b64 exec, exec, s[10:11]
	s_and_saveexec_b64 s[8:9], s[6:7]
	s_cbranch_execz .LBB722_119
.LBB722_303:
	s_waitcnt vmcnt(0)
	v_add_f64 v[2:3], v[10:11], v[2:3]
	v_cvt_i32_f64_e32 v2, v[2:3]
	v_ashrrev_i32_e32 v3, 31, v2
	v_lshl_add_u64 v[2:3], v[2:3], 3, s[30:31]
	global_load_dwordx2 v[2:3], v[2:3], off
	s_or_b64 exec, exec, s[8:9]
	s_and_saveexec_b64 s[6:7], s[4:5]
	s_cbranch_execz .LBB722_120
.LBB722_304:
	s_waitcnt vmcnt(0)
	v_add_f64 v[2:3], v[12:13], v[2:3]
	v_cvt_i32_f64_e32 v2, v[2:3]
	v_ashrrev_i32_e32 v3, 31, v2
	v_lshl_add_u64 v[2:3], v[2:3], 3, s[30:31]
	global_load_dwordx2 v[2:3], v[2:3], off
	s_or_b64 exec, exec, s[6:7]
	s_and_saveexec_b64 s[4:5], s[0:1]
	s_cbranch_execz .LBB722_121
.LBB722_305:
	s_waitcnt vmcnt(0)
	v_add_f64 v[2:3], v[14:15], v[2:3]
	v_cvt_i32_f64_e32 v2, v[2:3]
	v_ashrrev_i32_e32 v3, 31, v2
	v_lshl_add_u64 v[2:3], v[2:3], 3, s[30:31]
	global_load_dwordx2 v[2:3], v[2:3], off
	s_or_b64 exec, exec, s[4:5]
	s_and_saveexec_b64 s[0:1], vcc
	s_cbranch_execnz .LBB722_122
	s_branch .LBB722_123
	.section	.rodata,"a",@progbits
	.p2align	6, 0x0
	.amdhsa_kernel _ZN7rocprim17ROCPRIM_400000_NS6detail17trampoline_kernelINS0_14default_configENS1_22reduce_config_selectorIdEEZNS1_11reduce_implILb1ES3_N6thrust23THRUST_200600_302600_NS6detail15normal_iteratorINS8_10device_ptrIdEEEEPdd9plus_mod3IdEEE10hipError_tPvRmT1_T2_T3_mT4_P12ihipStream_tbEUlT_E1_NS1_11comp_targetILNS1_3genE0ELNS1_11target_archE4294967295ELNS1_3gpuE0ELNS1_3repE0EEENS1_30default_config_static_selectorELNS0_4arch9wavefront6targetE1EEEvSK_
		.amdhsa_group_segment_fixed_size 192
		.amdhsa_private_segment_fixed_size 0
		.amdhsa_kernarg_size 48
		.amdhsa_user_sgpr_count 2
		.amdhsa_user_sgpr_dispatch_ptr 0
		.amdhsa_user_sgpr_queue_ptr 0
		.amdhsa_user_sgpr_kernarg_segment_ptr 1
		.amdhsa_user_sgpr_dispatch_id 0
		.amdhsa_user_sgpr_kernarg_preload_length 0
		.amdhsa_user_sgpr_kernarg_preload_offset 0
		.amdhsa_user_sgpr_private_segment_size 0
		.amdhsa_uses_dynamic_stack 0
		.amdhsa_enable_private_segment 0
		.amdhsa_system_sgpr_workgroup_id_x 1
		.amdhsa_system_sgpr_workgroup_id_y 0
		.amdhsa_system_sgpr_workgroup_id_z 0
		.amdhsa_system_sgpr_workgroup_info 0
		.amdhsa_system_vgpr_workitem_id 0
		.amdhsa_next_free_vgpr 36
		.amdhsa_next_free_sgpr 51
		.amdhsa_accum_offset 36
		.amdhsa_reserve_vcc 1
		.amdhsa_float_round_mode_32 0
		.amdhsa_float_round_mode_16_64 0
		.amdhsa_float_denorm_mode_32 3
		.amdhsa_float_denorm_mode_16_64 3
		.amdhsa_dx10_clamp 1
		.amdhsa_ieee_mode 1
		.amdhsa_fp16_overflow 0
		.amdhsa_tg_split 0
		.amdhsa_exception_fp_ieee_invalid_op 0
		.amdhsa_exception_fp_denorm_src 0
		.amdhsa_exception_fp_ieee_div_zero 0
		.amdhsa_exception_fp_ieee_overflow 0
		.amdhsa_exception_fp_ieee_underflow 0
		.amdhsa_exception_fp_ieee_inexact 0
		.amdhsa_exception_int_div_zero 0
	.end_amdhsa_kernel
	.section	.text._ZN7rocprim17ROCPRIM_400000_NS6detail17trampoline_kernelINS0_14default_configENS1_22reduce_config_selectorIdEEZNS1_11reduce_implILb1ES3_N6thrust23THRUST_200600_302600_NS6detail15normal_iteratorINS8_10device_ptrIdEEEEPdd9plus_mod3IdEEE10hipError_tPvRmT1_T2_T3_mT4_P12ihipStream_tbEUlT_E1_NS1_11comp_targetILNS1_3genE0ELNS1_11target_archE4294967295ELNS1_3gpuE0ELNS1_3repE0EEENS1_30default_config_static_selectorELNS0_4arch9wavefront6targetE1EEEvSK_,"axG",@progbits,_ZN7rocprim17ROCPRIM_400000_NS6detail17trampoline_kernelINS0_14default_configENS1_22reduce_config_selectorIdEEZNS1_11reduce_implILb1ES3_N6thrust23THRUST_200600_302600_NS6detail15normal_iteratorINS8_10device_ptrIdEEEEPdd9plus_mod3IdEEE10hipError_tPvRmT1_T2_T3_mT4_P12ihipStream_tbEUlT_E1_NS1_11comp_targetILNS1_3genE0ELNS1_11target_archE4294967295ELNS1_3gpuE0ELNS1_3repE0EEENS1_30default_config_static_selectorELNS0_4arch9wavefront6targetE1EEEvSK_,comdat
.Lfunc_end722:
	.size	_ZN7rocprim17ROCPRIM_400000_NS6detail17trampoline_kernelINS0_14default_configENS1_22reduce_config_selectorIdEEZNS1_11reduce_implILb1ES3_N6thrust23THRUST_200600_302600_NS6detail15normal_iteratorINS8_10device_ptrIdEEEEPdd9plus_mod3IdEEE10hipError_tPvRmT1_T2_T3_mT4_P12ihipStream_tbEUlT_E1_NS1_11comp_targetILNS1_3genE0ELNS1_11target_archE4294967295ELNS1_3gpuE0ELNS1_3repE0EEENS1_30default_config_static_selectorELNS0_4arch9wavefront6targetE1EEEvSK_, .Lfunc_end722-_ZN7rocprim17ROCPRIM_400000_NS6detail17trampoline_kernelINS0_14default_configENS1_22reduce_config_selectorIdEEZNS1_11reduce_implILb1ES3_N6thrust23THRUST_200600_302600_NS6detail15normal_iteratorINS8_10device_ptrIdEEEEPdd9plus_mod3IdEEE10hipError_tPvRmT1_T2_T3_mT4_P12ihipStream_tbEUlT_E1_NS1_11comp_targetILNS1_3genE0ELNS1_11target_archE4294967295ELNS1_3gpuE0ELNS1_3repE0EEENS1_30default_config_static_selectorELNS0_4arch9wavefront6targetE1EEEvSK_
                                        ; -- End function
	.set _ZN7rocprim17ROCPRIM_400000_NS6detail17trampoline_kernelINS0_14default_configENS1_22reduce_config_selectorIdEEZNS1_11reduce_implILb1ES3_N6thrust23THRUST_200600_302600_NS6detail15normal_iteratorINS8_10device_ptrIdEEEEPdd9plus_mod3IdEEE10hipError_tPvRmT1_T2_T3_mT4_P12ihipStream_tbEUlT_E1_NS1_11comp_targetILNS1_3genE0ELNS1_11target_archE4294967295ELNS1_3gpuE0ELNS1_3repE0EEENS1_30default_config_static_selectorELNS0_4arch9wavefront6targetE1EEEvSK_.num_vgpr, 36
	.set _ZN7rocprim17ROCPRIM_400000_NS6detail17trampoline_kernelINS0_14default_configENS1_22reduce_config_selectorIdEEZNS1_11reduce_implILb1ES3_N6thrust23THRUST_200600_302600_NS6detail15normal_iteratorINS8_10device_ptrIdEEEEPdd9plus_mod3IdEEE10hipError_tPvRmT1_T2_T3_mT4_P12ihipStream_tbEUlT_E1_NS1_11comp_targetILNS1_3genE0ELNS1_11target_archE4294967295ELNS1_3gpuE0ELNS1_3repE0EEENS1_30default_config_static_selectorELNS0_4arch9wavefront6targetE1EEEvSK_.num_agpr, 0
	.set _ZN7rocprim17ROCPRIM_400000_NS6detail17trampoline_kernelINS0_14default_configENS1_22reduce_config_selectorIdEEZNS1_11reduce_implILb1ES3_N6thrust23THRUST_200600_302600_NS6detail15normal_iteratorINS8_10device_ptrIdEEEEPdd9plus_mod3IdEEE10hipError_tPvRmT1_T2_T3_mT4_P12ihipStream_tbEUlT_E1_NS1_11comp_targetILNS1_3genE0ELNS1_11target_archE4294967295ELNS1_3gpuE0ELNS1_3repE0EEENS1_30default_config_static_selectorELNS0_4arch9wavefront6targetE1EEEvSK_.numbered_sgpr, 51
	.set _ZN7rocprim17ROCPRIM_400000_NS6detail17trampoline_kernelINS0_14default_configENS1_22reduce_config_selectorIdEEZNS1_11reduce_implILb1ES3_N6thrust23THRUST_200600_302600_NS6detail15normal_iteratorINS8_10device_ptrIdEEEEPdd9plus_mod3IdEEE10hipError_tPvRmT1_T2_T3_mT4_P12ihipStream_tbEUlT_E1_NS1_11comp_targetILNS1_3genE0ELNS1_11target_archE4294967295ELNS1_3gpuE0ELNS1_3repE0EEENS1_30default_config_static_selectorELNS0_4arch9wavefront6targetE1EEEvSK_.num_named_barrier, 0
	.set _ZN7rocprim17ROCPRIM_400000_NS6detail17trampoline_kernelINS0_14default_configENS1_22reduce_config_selectorIdEEZNS1_11reduce_implILb1ES3_N6thrust23THRUST_200600_302600_NS6detail15normal_iteratorINS8_10device_ptrIdEEEEPdd9plus_mod3IdEEE10hipError_tPvRmT1_T2_T3_mT4_P12ihipStream_tbEUlT_E1_NS1_11comp_targetILNS1_3genE0ELNS1_11target_archE4294967295ELNS1_3gpuE0ELNS1_3repE0EEENS1_30default_config_static_selectorELNS0_4arch9wavefront6targetE1EEEvSK_.private_seg_size, 0
	.set _ZN7rocprim17ROCPRIM_400000_NS6detail17trampoline_kernelINS0_14default_configENS1_22reduce_config_selectorIdEEZNS1_11reduce_implILb1ES3_N6thrust23THRUST_200600_302600_NS6detail15normal_iteratorINS8_10device_ptrIdEEEEPdd9plus_mod3IdEEE10hipError_tPvRmT1_T2_T3_mT4_P12ihipStream_tbEUlT_E1_NS1_11comp_targetILNS1_3genE0ELNS1_11target_archE4294967295ELNS1_3gpuE0ELNS1_3repE0EEENS1_30default_config_static_selectorELNS0_4arch9wavefront6targetE1EEEvSK_.uses_vcc, 1
	.set _ZN7rocprim17ROCPRIM_400000_NS6detail17trampoline_kernelINS0_14default_configENS1_22reduce_config_selectorIdEEZNS1_11reduce_implILb1ES3_N6thrust23THRUST_200600_302600_NS6detail15normal_iteratorINS8_10device_ptrIdEEEEPdd9plus_mod3IdEEE10hipError_tPvRmT1_T2_T3_mT4_P12ihipStream_tbEUlT_E1_NS1_11comp_targetILNS1_3genE0ELNS1_11target_archE4294967295ELNS1_3gpuE0ELNS1_3repE0EEENS1_30default_config_static_selectorELNS0_4arch9wavefront6targetE1EEEvSK_.uses_flat_scratch, 0
	.set _ZN7rocprim17ROCPRIM_400000_NS6detail17trampoline_kernelINS0_14default_configENS1_22reduce_config_selectorIdEEZNS1_11reduce_implILb1ES3_N6thrust23THRUST_200600_302600_NS6detail15normal_iteratorINS8_10device_ptrIdEEEEPdd9plus_mod3IdEEE10hipError_tPvRmT1_T2_T3_mT4_P12ihipStream_tbEUlT_E1_NS1_11comp_targetILNS1_3genE0ELNS1_11target_archE4294967295ELNS1_3gpuE0ELNS1_3repE0EEENS1_30default_config_static_selectorELNS0_4arch9wavefront6targetE1EEEvSK_.has_dyn_sized_stack, 0
	.set _ZN7rocprim17ROCPRIM_400000_NS6detail17trampoline_kernelINS0_14default_configENS1_22reduce_config_selectorIdEEZNS1_11reduce_implILb1ES3_N6thrust23THRUST_200600_302600_NS6detail15normal_iteratorINS8_10device_ptrIdEEEEPdd9plus_mod3IdEEE10hipError_tPvRmT1_T2_T3_mT4_P12ihipStream_tbEUlT_E1_NS1_11comp_targetILNS1_3genE0ELNS1_11target_archE4294967295ELNS1_3gpuE0ELNS1_3repE0EEENS1_30default_config_static_selectorELNS0_4arch9wavefront6targetE1EEEvSK_.has_recursion, 0
	.set _ZN7rocprim17ROCPRIM_400000_NS6detail17trampoline_kernelINS0_14default_configENS1_22reduce_config_selectorIdEEZNS1_11reduce_implILb1ES3_N6thrust23THRUST_200600_302600_NS6detail15normal_iteratorINS8_10device_ptrIdEEEEPdd9plus_mod3IdEEE10hipError_tPvRmT1_T2_T3_mT4_P12ihipStream_tbEUlT_E1_NS1_11comp_targetILNS1_3genE0ELNS1_11target_archE4294967295ELNS1_3gpuE0ELNS1_3repE0EEENS1_30default_config_static_selectorELNS0_4arch9wavefront6targetE1EEEvSK_.has_indirect_call, 0
	.section	.AMDGPU.csdata,"",@progbits
; Kernel info:
; codeLenInByte = 13292
; TotalNumSgprs: 57
; NumVgprs: 36
; NumAgprs: 0
; TotalNumVgprs: 36
; ScratchSize: 0
; MemoryBound: 0
; FloatMode: 240
; IeeeMode: 1
; LDSByteSize: 192 bytes/workgroup (compile time only)
; SGPRBlocks: 7
; VGPRBlocks: 4
; NumSGPRsForWavesPerEU: 57
; NumVGPRsForWavesPerEU: 36
; AccumOffset: 36
; Occupancy: 8
; WaveLimiterHint : 1
; COMPUTE_PGM_RSRC2:SCRATCH_EN: 0
; COMPUTE_PGM_RSRC2:USER_SGPR: 2
; COMPUTE_PGM_RSRC2:TRAP_HANDLER: 0
; COMPUTE_PGM_RSRC2:TGID_X_EN: 1
; COMPUTE_PGM_RSRC2:TGID_Y_EN: 0
; COMPUTE_PGM_RSRC2:TGID_Z_EN: 0
; COMPUTE_PGM_RSRC2:TIDIG_COMP_CNT: 0
; COMPUTE_PGM_RSRC3_GFX90A:ACCUM_OFFSET: 8
; COMPUTE_PGM_RSRC3_GFX90A:TG_SPLIT: 0
	.section	.text._ZN7rocprim17ROCPRIM_400000_NS6detail17trampoline_kernelINS0_14default_configENS1_22reduce_config_selectorIdEEZNS1_11reduce_implILb1ES3_N6thrust23THRUST_200600_302600_NS6detail15normal_iteratorINS8_10device_ptrIdEEEEPdd9plus_mod3IdEEE10hipError_tPvRmT1_T2_T3_mT4_P12ihipStream_tbEUlT_E1_NS1_11comp_targetILNS1_3genE5ELNS1_11target_archE942ELNS1_3gpuE9ELNS1_3repE0EEENS1_30default_config_static_selectorELNS0_4arch9wavefront6targetE1EEEvSK_,"axG",@progbits,_ZN7rocprim17ROCPRIM_400000_NS6detail17trampoline_kernelINS0_14default_configENS1_22reduce_config_selectorIdEEZNS1_11reduce_implILb1ES3_N6thrust23THRUST_200600_302600_NS6detail15normal_iteratorINS8_10device_ptrIdEEEEPdd9plus_mod3IdEEE10hipError_tPvRmT1_T2_T3_mT4_P12ihipStream_tbEUlT_E1_NS1_11comp_targetILNS1_3genE5ELNS1_11target_archE942ELNS1_3gpuE9ELNS1_3repE0EEENS1_30default_config_static_selectorELNS0_4arch9wavefront6targetE1EEEvSK_,comdat
	.protected	_ZN7rocprim17ROCPRIM_400000_NS6detail17trampoline_kernelINS0_14default_configENS1_22reduce_config_selectorIdEEZNS1_11reduce_implILb1ES3_N6thrust23THRUST_200600_302600_NS6detail15normal_iteratorINS8_10device_ptrIdEEEEPdd9plus_mod3IdEEE10hipError_tPvRmT1_T2_T3_mT4_P12ihipStream_tbEUlT_E1_NS1_11comp_targetILNS1_3genE5ELNS1_11target_archE942ELNS1_3gpuE9ELNS1_3repE0EEENS1_30default_config_static_selectorELNS0_4arch9wavefront6targetE1EEEvSK_ ; -- Begin function _ZN7rocprim17ROCPRIM_400000_NS6detail17trampoline_kernelINS0_14default_configENS1_22reduce_config_selectorIdEEZNS1_11reduce_implILb1ES3_N6thrust23THRUST_200600_302600_NS6detail15normal_iteratorINS8_10device_ptrIdEEEEPdd9plus_mod3IdEEE10hipError_tPvRmT1_T2_T3_mT4_P12ihipStream_tbEUlT_E1_NS1_11comp_targetILNS1_3genE5ELNS1_11target_archE942ELNS1_3gpuE9ELNS1_3repE0EEENS1_30default_config_static_selectorELNS0_4arch9wavefront6targetE1EEEvSK_
	.globl	_ZN7rocprim17ROCPRIM_400000_NS6detail17trampoline_kernelINS0_14default_configENS1_22reduce_config_selectorIdEEZNS1_11reduce_implILb1ES3_N6thrust23THRUST_200600_302600_NS6detail15normal_iteratorINS8_10device_ptrIdEEEEPdd9plus_mod3IdEEE10hipError_tPvRmT1_T2_T3_mT4_P12ihipStream_tbEUlT_E1_NS1_11comp_targetILNS1_3genE5ELNS1_11target_archE942ELNS1_3gpuE9ELNS1_3repE0EEENS1_30default_config_static_selectorELNS0_4arch9wavefront6targetE1EEEvSK_
	.p2align	8
	.type	_ZN7rocprim17ROCPRIM_400000_NS6detail17trampoline_kernelINS0_14default_configENS1_22reduce_config_selectorIdEEZNS1_11reduce_implILb1ES3_N6thrust23THRUST_200600_302600_NS6detail15normal_iteratorINS8_10device_ptrIdEEEEPdd9plus_mod3IdEEE10hipError_tPvRmT1_T2_T3_mT4_P12ihipStream_tbEUlT_E1_NS1_11comp_targetILNS1_3genE5ELNS1_11target_archE942ELNS1_3gpuE9ELNS1_3repE0EEENS1_30default_config_static_selectorELNS0_4arch9wavefront6targetE1EEEvSK_,@function
_ZN7rocprim17ROCPRIM_400000_NS6detail17trampoline_kernelINS0_14default_configENS1_22reduce_config_selectorIdEEZNS1_11reduce_implILb1ES3_N6thrust23THRUST_200600_302600_NS6detail15normal_iteratorINS8_10device_ptrIdEEEEPdd9plus_mod3IdEEE10hipError_tPvRmT1_T2_T3_mT4_P12ihipStream_tbEUlT_E1_NS1_11comp_targetILNS1_3genE5ELNS1_11target_archE942ELNS1_3gpuE9ELNS1_3repE0EEENS1_30default_config_static_selectorELNS0_4arch9wavefront6targetE1EEEvSK_: ; @_ZN7rocprim17ROCPRIM_400000_NS6detail17trampoline_kernelINS0_14default_configENS1_22reduce_config_selectorIdEEZNS1_11reduce_implILb1ES3_N6thrust23THRUST_200600_302600_NS6detail15normal_iteratorINS8_10device_ptrIdEEEEPdd9plus_mod3IdEEE10hipError_tPvRmT1_T2_T3_mT4_P12ihipStream_tbEUlT_E1_NS1_11comp_targetILNS1_3genE5ELNS1_11target_archE942ELNS1_3gpuE9ELNS1_3repE0EEENS1_30default_config_static_selectorELNS0_4arch9wavefront6targetE1EEEvSK_
; %bb.0:
	.section	.rodata,"a",@progbits
	.p2align	6, 0x0
	.amdhsa_kernel _ZN7rocprim17ROCPRIM_400000_NS6detail17trampoline_kernelINS0_14default_configENS1_22reduce_config_selectorIdEEZNS1_11reduce_implILb1ES3_N6thrust23THRUST_200600_302600_NS6detail15normal_iteratorINS8_10device_ptrIdEEEEPdd9plus_mod3IdEEE10hipError_tPvRmT1_T2_T3_mT4_P12ihipStream_tbEUlT_E1_NS1_11comp_targetILNS1_3genE5ELNS1_11target_archE942ELNS1_3gpuE9ELNS1_3repE0EEENS1_30default_config_static_selectorELNS0_4arch9wavefront6targetE1EEEvSK_
		.amdhsa_group_segment_fixed_size 0
		.amdhsa_private_segment_fixed_size 0
		.amdhsa_kernarg_size 48
		.amdhsa_user_sgpr_count 2
		.amdhsa_user_sgpr_dispatch_ptr 0
		.amdhsa_user_sgpr_queue_ptr 0
		.amdhsa_user_sgpr_kernarg_segment_ptr 1
		.amdhsa_user_sgpr_dispatch_id 0
		.amdhsa_user_sgpr_kernarg_preload_length 0
		.amdhsa_user_sgpr_kernarg_preload_offset 0
		.amdhsa_user_sgpr_private_segment_size 0
		.amdhsa_uses_dynamic_stack 0
		.amdhsa_enable_private_segment 0
		.amdhsa_system_sgpr_workgroup_id_x 1
		.amdhsa_system_sgpr_workgroup_id_y 0
		.amdhsa_system_sgpr_workgroup_id_z 0
		.amdhsa_system_sgpr_workgroup_info 0
		.amdhsa_system_vgpr_workitem_id 0
		.amdhsa_next_free_vgpr 1
		.amdhsa_next_free_sgpr 0
		.amdhsa_accum_offset 4
		.amdhsa_reserve_vcc 0
		.amdhsa_float_round_mode_32 0
		.amdhsa_float_round_mode_16_64 0
		.amdhsa_float_denorm_mode_32 3
		.amdhsa_float_denorm_mode_16_64 3
		.amdhsa_dx10_clamp 1
		.amdhsa_ieee_mode 1
		.amdhsa_fp16_overflow 0
		.amdhsa_tg_split 0
		.amdhsa_exception_fp_ieee_invalid_op 0
		.amdhsa_exception_fp_denorm_src 0
		.amdhsa_exception_fp_ieee_div_zero 0
		.amdhsa_exception_fp_ieee_overflow 0
		.amdhsa_exception_fp_ieee_underflow 0
		.amdhsa_exception_fp_ieee_inexact 0
		.amdhsa_exception_int_div_zero 0
	.end_amdhsa_kernel
	.section	.text._ZN7rocprim17ROCPRIM_400000_NS6detail17trampoline_kernelINS0_14default_configENS1_22reduce_config_selectorIdEEZNS1_11reduce_implILb1ES3_N6thrust23THRUST_200600_302600_NS6detail15normal_iteratorINS8_10device_ptrIdEEEEPdd9plus_mod3IdEEE10hipError_tPvRmT1_T2_T3_mT4_P12ihipStream_tbEUlT_E1_NS1_11comp_targetILNS1_3genE5ELNS1_11target_archE942ELNS1_3gpuE9ELNS1_3repE0EEENS1_30default_config_static_selectorELNS0_4arch9wavefront6targetE1EEEvSK_,"axG",@progbits,_ZN7rocprim17ROCPRIM_400000_NS6detail17trampoline_kernelINS0_14default_configENS1_22reduce_config_selectorIdEEZNS1_11reduce_implILb1ES3_N6thrust23THRUST_200600_302600_NS6detail15normal_iteratorINS8_10device_ptrIdEEEEPdd9plus_mod3IdEEE10hipError_tPvRmT1_T2_T3_mT4_P12ihipStream_tbEUlT_E1_NS1_11comp_targetILNS1_3genE5ELNS1_11target_archE942ELNS1_3gpuE9ELNS1_3repE0EEENS1_30default_config_static_selectorELNS0_4arch9wavefront6targetE1EEEvSK_,comdat
.Lfunc_end723:
	.size	_ZN7rocprim17ROCPRIM_400000_NS6detail17trampoline_kernelINS0_14default_configENS1_22reduce_config_selectorIdEEZNS1_11reduce_implILb1ES3_N6thrust23THRUST_200600_302600_NS6detail15normal_iteratorINS8_10device_ptrIdEEEEPdd9plus_mod3IdEEE10hipError_tPvRmT1_T2_T3_mT4_P12ihipStream_tbEUlT_E1_NS1_11comp_targetILNS1_3genE5ELNS1_11target_archE942ELNS1_3gpuE9ELNS1_3repE0EEENS1_30default_config_static_selectorELNS0_4arch9wavefront6targetE1EEEvSK_, .Lfunc_end723-_ZN7rocprim17ROCPRIM_400000_NS6detail17trampoline_kernelINS0_14default_configENS1_22reduce_config_selectorIdEEZNS1_11reduce_implILb1ES3_N6thrust23THRUST_200600_302600_NS6detail15normal_iteratorINS8_10device_ptrIdEEEEPdd9plus_mod3IdEEE10hipError_tPvRmT1_T2_T3_mT4_P12ihipStream_tbEUlT_E1_NS1_11comp_targetILNS1_3genE5ELNS1_11target_archE942ELNS1_3gpuE9ELNS1_3repE0EEENS1_30default_config_static_selectorELNS0_4arch9wavefront6targetE1EEEvSK_
                                        ; -- End function
	.set _ZN7rocprim17ROCPRIM_400000_NS6detail17trampoline_kernelINS0_14default_configENS1_22reduce_config_selectorIdEEZNS1_11reduce_implILb1ES3_N6thrust23THRUST_200600_302600_NS6detail15normal_iteratorINS8_10device_ptrIdEEEEPdd9plus_mod3IdEEE10hipError_tPvRmT1_T2_T3_mT4_P12ihipStream_tbEUlT_E1_NS1_11comp_targetILNS1_3genE5ELNS1_11target_archE942ELNS1_3gpuE9ELNS1_3repE0EEENS1_30default_config_static_selectorELNS0_4arch9wavefront6targetE1EEEvSK_.num_vgpr, 0
	.set _ZN7rocprim17ROCPRIM_400000_NS6detail17trampoline_kernelINS0_14default_configENS1_22reduce_config_selectorIdEEZNS1_11reduce_implILb1ES3_N6thrust23THRUST_200600_302600_NS6detail15normal_iteratorINS8_10device_ptrIdEEEEPdd9plus_mod3IdEEE10hipError_tPvRmT1_T2_T3_mT4_P12ihipStream_tbEUlT_E1_NS1_11comp_targetILNS1_3genE5ELNS1_11target_archE942ELNS1_3gpuE9ELNS1_3repE0EEENS1_30default_config_static_selectorELNS0_4arch9wavefront6targetE1EEEvSK_.num_agpr, 0
	.set _ZN7rocprim17ROCPRIM_400000_NS6detail17trampoline_kernelINS0_14default_configENS1_22reduce_config_selectorIdEEZNS1_11reduce_implILb1ES3_N6thrust23THRUST_200600_302600_NS6detail15normal_iteratorINS8_10device_ptrIdEEEEPdd9plus_mod3IdEEE10hipError_tPvRmT1_T2_T3_mT4_P12ihipStream_tbEUlT_E1_NS1_11comp_targetILNS1_3genE5ELNS1_11target_archE942ELNS1_3gpuE9ELNS1_3repE0EEENS1_30default_config_static_selectorELNS0_4arch9wavefront6targetE1EEEvSK_.numbered_sgpr, 0
	.set _ZN7rocprim17ROCPRIM_400000_NS6detail17trampoline_kernelINS0_14default_configENS1_22reduce_config_selectorIdEEZNS1_11reduce_implILb1ES3_N6thrust23THRUST_200600_302600_NS6detail15normal_iteratorINS8_10device_ptrIdEEEEPdd9plus_mod3IdEEE10hipError_tPvRmT1_T2_T3_mT4_P12ihipStream_tbEUlT_E1_NS1_11comp_targetILNS1_3genE5ELNS1_11target_archE942ELNS1_3gpuE9ELNS1_3repE0EEENS1_30default_config_static_selectorELNS0_4arch9wavefront6targetE1EEEvSK_.num_named_barrier, 0
	.set _ZN7rocprim17ROCPRIM_400000_NS6detail17trampoline_kernelINS0_14default_configENS1_22reduce_config_selectorIdEEZNS1_11reduce_implILb1ES3_N6thrust23THRUST_200600_302600_NS6detail15normal_iteratorINS8_10device_ptrIdEEEEPdd9plus_mod3IdEEE10hipError_tPvRmT1_T2_T3_mT4_P12ihipStream_tbEUlT_E1_NS1_11comp_targetILNS1_3genE5ELNS1_11target_archE942ELNS1_3gpuE9ELNS1_3repE0EEENS1_30default_config_static_selectorELNS0_4arch9wavefront6targetE1EEEvSK_.private_seg_size, 0
	.set _ZN7rocprim17ROCPRIM_400000_NS6detail17trampoline_kernelINS0_14default_configENS1_22reduce_config_selectorIdEEZNS1_11reduce_implILb1ES3_N6thrust23THRUST_200600_302600_NS6detail15normal_iteratorINS8_10device_ptrIdEEEEPdd9plus_mod3IdEEE10hipError_tPvRmT1_T2_T3_mT4_P12ihipStream_tbEUlT_E1_NS1_11comp_targetILNS1_3genE5ELNS1_11target_archE942ELNS1_3gpuE9ELNS1_3repE0EEENS1_30default_config_static_selectorELNS0_4arch9wavefront6targetE1EEEvSK_.uses_vcc, 0
	.set _ZN7rocprim17ROCPRIM_400000_NS6detail17trampoline_kernelINS0_14default_configENS1_22reduce_config_selectorIdEEZNS1_11reduce_implILb1ES3_N6thrust23THRUST_200600_302600_NS6detail15normal_iteratorINS8_10device_ptrIdEEEEPdd9plus_mod3IdEEE10hipError_tPvRmT1_T2_T3_mT4_P12ihipStream_tbEUlT_E1_NS1_11comp_targetILNS1_3genE5ELNS1_11target_archE942ELNS1_3gpuE9ELNS1_3repE0EEENS1_30default_config_static_selectorELNS0_4arch9wavefront6targetE1EEEvSK_.uses_flat_scratch, 0
	.set _ZN7rocprim17ROCPRIM_400000_NS6detail17trampoline_kernelINS0_14default_configENS1_22reduce_config_selectorIdEEZNS1_11reduce_implILb1ES3_N6thrust23THRUST_200600_302600_NS6detail15normal_iteratorINS8_10device_ptrIdEEEEPdd9plus_mod3IdEEE10hipError_tPvRmT1_T2_T3_mT4_P12ihipStream_tbEUlT_E1_NS1_11comp_targetILNS1_3genE5ELNS1_11target_archE942ELNS1_3gpuE9ELNS1_3repE0EEENS1_30default_config_static_selectorELNS0_4arch9wavefront6targetE1EEEvSK_.has_dyn_sized_stack, 0
	.set _ZN7rocprim17ROCPRIM_400000_NS6detail17trampoline_kernelINS0_14default_configENS1_22reduce_config_selectorIdEEZNS1_11reduce_implILb1ES3_N6thrust23THRUST_200600_302600_NS6detail15normal_iteratorINS8_10device_ptrIdEEEEPdd9plus_mod3IdEEE10hipError_tPvRmT1_T2_T3_mT4_P12ihipStream_tbEUlT_E1_NS1_11comp_targetILNS1_3genE5ELNS1_11target_archE942ELNS1_3gpuE9ELNS1_3repE0EEENS1_30default_config_static_selectorELNS0_4arch9wavefront6targetE1EEEvSK_.has_recursion, 0
	.set _ZN7rocprim17ROCPRIM_400000_NS6detail17trampoline_kernelINS0_14default_configENS1_22reduce_config_selectorIdEEZNS1_11reduce_implILb1ES3_N6thrust23THRUST_200600_302600_NS6detail15normal_iteratorINS8_10device_ptrIdEEEEPdd9plus_mod3IdEEE10hipError_tPvRmT1_T2_T3_mT4_P12ihipStream_tbEUlT_E1_NS1_11comp_targetILNS1_3genE5ELNS1_11target_archE942ELNS1_3gpuE9ELNS1_3repE0EEENS1_30default_config_static_selectorELNS0_4arch9wavefront6targetE1EEEvSK_.has_indirect_call, 0
	.section	.AMDGPU.csdata,"",@progbits
; Kernel info:
; codeLenInByte = 0
; TotalNumSgprs: 6
; NumVgprs: 0
; NumAgprs: 0
; TotalNumVgprs: 0
; ScratchSize: 0
; MemoryBound: 0
; FloatMode: 240
; IeeeMode: 1
; LDSByteSize: 0 bytes/workgroup (compile time only)
; SGPRBlocks: 0
; VGPRBlocks: 0
; NumSGPRsForWavesPerEU: 6
; NumVGPRsForWavesPerEU: 1
; AccumOffset: 4
; Occupancy: 8
; WaveLimiterHint : 0
; COMPUTE_PGM_RSRC2:SCRATCH_EN: 0
; COMPUTE_PGM_RSRC2:USER_SGPR: 2
; COMPUTE_PGM_RSRC2:TRAP_HANDLER: 0
; COMPUTE_PGM_RSRC2:TGID_X_EN: 1
; COMPUTE_PGM_RSRC2:TGID_Y_EN: 0
; COMPUTE_PGM_RSRC2:TGID_Z_EN: 0
; COMPUTE_PGM_RSRC2:TIDIG_COMP_CNT: 0
; COMPUTE_PGM_RSRC3_GFX90A:ACCUM_OFFSET: 0
; COMPUTE_PGM_RSRC3_GFX90A:TG_SPLIT: 0
	.section	.text._ZN7rocprim17ROCPRIM_400000_NS6detail17trampoline_kernelINS0_14default_configENS1_22reduce_config_selectorIdEEZNS1_11reduce_implILb1ES3_N6thrust23THRUST_200600_302600_NS6detail15normal_iteratorINS8_10device_ptrIdEEEEPdd9plus_mod3IdEEE10hipError_tPvRmT1_T2_T3_mT4_P12ihipStream_tbEUlT_E1_NS1_11comp_targetILNS1_3genE4ELNS1_11target_archE910ELNS1_3gpuE8ELNS1_3repE0EEENS1_30default_config_static_selectorELNS0_4arch9wavefront6targetE1EEEvSK_,"axG",@progbits,_ZN7rocprim17ROCPRIM_400000_NS6detail17trampoline_kernelINS0_14default_configENS1_22reduce_config_selectorIdEEZNS1_11reduce_implILb1ES3_N6thrust23THRUST_200600_302600_NS6detail15normal_iteratorINS8_10device_ptrIdEEEEPdd9plus_mod3IdEEE10hipError_tPvRmT1_T2_T3_mT4_P12ihipStream_tbEUlT_E1_NS1_11comp_targetILNS1_3genE4ELNS1_11target_archE910ELNS1_3gpuE8ELNS1_3repE0EEENS1_30default_config_static_selectorELNS0_4arch9wavefront6targetE1EEEvSK_,comdat
	.protected	_ZN7rocprim17ROCPRIM_400000_NS6detail17trampoline_kernelINS0_14default_configENS1_22reduce_config_selectorIdEEZNS1_11reduce_implILb1ES3_N6thrust23THRUST_200600_302600_NS6detail15normal_iteratorINS8_10device_ptrIdEEEEPdd9plus_mod3IdEEE10hipError_tPvRmT1_T2_T3_mT4_P12ihipStream_tbEUlT_E1_NS1_11comp_targetILNS1_3genE4ELNS1_11target_archE910ELNS1_3gpuE8ELNS1_3repE0EEENS1_30default_config_static_selectorELNS0_4arch9wavefront6targetE1EEEvSK_ ; -- Begin function _ZN7rocprim17ROCPRIM_400000_NS6detail17trampoline_kernelINS0_14default_configENS1_22reduce_config_selectorIdEEZNS1_11reduce_implILb1ES3_N6thrust23THRUST_200600_302600_NS6detail15normal_iteratorINS8_10device_ptrIdEEEEPdd9plus_mod3IdEEE10hipError_tPvRmT1_T2_T3_mT4_P12ihipStream_tbEUlT_E1_NS1_11comp_targetILNS1_3genE4ELNS1_11target_archE910ELNS1_3gpuE8ELNS1_3repE0EEENS1_30default_config_static_selectorELNS0_4arch9wavefront6targetE1EEEvSK_
	.globl	_ZN7rocprim17ROCPRIM_400000_NS6detail17trampoline_kernelINS0_14default_configENS1_22reduce_config_selectorIdEEZNS1_11reduce_implILb1ES3_N6thrust23THRUST_200600_302600_NS6detail15normal_iteratorINS8_10device_ptrIdEEEEPdd9plus_mod3IdEEE10hipError_tPvRmT1_T2_T3_mT4_P12ihipStream_tbEUlT_E1_NS1_11comp_targetILNS1_3genE4ELNS1_11target_archE910ELNS1_3gpuE8ELNS1_3repE0EEENS1_30default_config_static_selectorELNS0_4arch9wavefront6targetE1EEEvSK_
	.p2align	8
	.type	_ZN7rocprim17ROCPRIM_400000_NS6detail17trampoline_kernelINS0_14default_configENS1_22reduce_config_selectorIdEEZNS1_11reduce_implILb1ES3_N6thrust23THRUST_200600_302600_NS6detail15normal_iteratorINS8_10device_ptrIdEEEEPdd9plus_mod3IdEEE10hipError_tPvRmT1_T2_T3_mT4_P12ihipStream_tbEUlT_E1_NS1_11comp_targetILNS1_3genE4ELNS1_11target_archE910ELNS1_3gpuE8ELNS1_3repE0EEENS1_30default_config_static_selectorELNS0_4arch9wavefront6targetE1EEEvSK_,@function
_ZN7rocprim17ROCPRIM_400000_NS6detail17trampoline_kernelINS0_14default_configENS1_22reduce_config_selectorIdEEZNS1_11reduce_implILb1ES3_N6thrust23THRUST_200600_302600_NS6detail15normal_iteratorINS8_10device_ptrIdEEEEPdd9plus_mod3IdEEE10hipError_tPvRmT1_T2_T3_mT4_P12ihipStream_tbEUlT_E1_NS1_11comp_targetILNS1_3genE4ELNS1_11target_archE910ELNS1_3gpuE8ELNS1_3repE0EEENS1_30default_config_static_selectorELNS0_4arch9wavefront6targetE1EEEvSK_: ; @_ZN7rocprim17ROCPRIM_400000_NS6detail17trampoline_kernelINS0_14default_configENS1_22reduce_config_selectorIdEEZNS1_11reduce_implILb1ES3_N6thrust23THRUST_200600_302600_NS6detail15normal_iteratorINS8_10device_ptrIdEEEEPdd9plus_mod3IdEEE10hipError_tPvRmT1_T2_T3_mT4_P12ihipStream_tbEUlT_E1_NS1_11comp_targetILNS1_3genE4ELNS1_11target_archE910ELNS1_3gpuE8ELNS1_3repE0EEENS1_30default_config_static_selectorELNS0_4arch9wavefront6targetE1EEEvSK_
; %bb.0:
	.section	.rodata,"a",@progbits
	.p2align	6, 0x0
	.amdhsa_kernel _ZN7rocprim17ROCPRIM_400000_NS6detail17trampoline_kernelINS0_14default_configENS1_22reduce_config_selectorIdEEZNS1_11reduce_implILb1ES3_N6thrust23THRUST_200600_302600_NS6detail15normal_iteratorINS8_10device_ptrIdEEEEPdd9plus_mod3IdEEE10hipError_tPvRmT1_T2_T3_mT4_P12ihipStream_tbEUlT_E1_NS1_11comp_targetILNS1_3genE4ELNS1_11target_archE910ELNS1_3gpuE8ELNS1_3repE0EEENS1_30default_config_static_selectorELNS0_4arch9wavefront6targetE1EEEvSK_
		.amdhsa_group_segment_fixed_size 0
		.amdhsa_private_segment_fixed_size 0
		.amdhsa_kernarg_size 48
		.amdhsa_user_sgpr_count 2
		.amdhsa_user_sgpr_dispatch_ptr 0
		.amdhsa_user_sgpr_queue_ptr 0
		.amdhsa_user_sgpr_kernarg_segment_ptr 1
		.amdhsa_user_sgpr_dispatch_id 0
		.amdhsa_user_sgpr_kernarg_preload_length 0
		.amdhsa_user_sgpr_kernarg_preload_offset 0
		.amdhsa_user_sgpr_private_segment_size 0
		.amdhsa_uses_dynamic_stack 0
		.amdhsa_enable_private_segment 0
		.amdhsa_system_sgpr_workgroup_id_x 1
		.amdhsa_system_sgpr_workgroup_id_y 0
		.amdhsa_system_sgpr_workgroup_id_z 0
		.amdhsa_system_sgpr_workgroup_info 0
		.amdhsa_system_vgpr_workitem_id 0
		.amdhsa_next_free_vgpr 1
		.amdhsa_next_free_sgpr 0
		.amdhsa_accum_offset 4
		.amdhsa_reserve_vcc 0
		.amdhsa_float_round_mode_32 0
		.amdhsa_float_round_mode_16_64 0
		.amdhsa_float_denorm_mode_32 3
		.amdhsa_float_denorm_mode_16_64 3
		.amdhsa_dx10_clamp 1
		.amdhsa_ieee_mode 1
		.amdhsa_fp16_overflow 0
		.amdhsa_tg_split 0
		.amdhsa_exception_fp_ieee_invalid_op 0
		.amdhsa_exception_fp_denorm_src 0
		.amdhsa_exception_fp_ieee_div_zero 0
		.amdhsa_exception_fp_ieee_overflow 0
		.amdhsa_exception_fp_ieee_underflow 0
		.amdhsa_exception_fp_ieee_inexact 0
		.amdhsa_exception_int_div_zero 0
	.end_amdhsa_kernel
	.section	.text._ZN7rocprim17ROCPRIM_400000_NS6detail17trampoline_kernelINS0_14default_configENS1_22reduce_config_selectorIdEEZNS1_11reduce_implILb1ES3_N6thrust23THRUST_200600_302600_NS6detail15normal_iteratorINS8_10device_ptrIdEEEEPdd9plus_mod3IdEEE10hipError_tPvRmT1_T2_T3_mT4_P12ihipStream_tbEUlT_E1_NS1_11comp_targetILNS1_3genE4ELNS1_11target_archE910ELNS1_3gpuE8ELNS1_3repE0EEENS1_30default_config_static_selectorELNS0_4arch9wavefront6targetE1EEEvSK_,"axG",@progbits,_ZN7rocprim17ROCPRIM_400000_NS6detail17trampoline_kernelINS0_14default_configENS1_22reduce_config_selectorIdEEZNS1_11reduce_implILb1ES3_N6thrust23THRUST_200600_302600_NS6detail15normal_iteratorINS8_10device_ptrIdEEEEPdd9plus_mod3IdEEE10hipError_tPvRmT1_T2_T3_mT4_P12ihipStream_tbEUlT_E1_NS1_11comp_targetILNS1_3genE4ELNS1_11target_archE910ELNS1_3gpuE8ELNS1_3repE0EEENS1_30default_config_static_selectorELNS0_4arch9wavefront6targetE1EEEvSK_,comdat
.Lfunc_end724:
	.size	_ZN7rocprim17ROCPRIM_400000_NS6detail17trampoline_kernelINS0_14default_configENS1_22reduce_config_selectorIdEEZNS1_11reduce_implILb1ES3_N6thrust23THRUST_200600_302600_NS6detail15normal_iteratorINS8_10device_ptrIdEEEEPdd9plus_mod3IdEEE10hipError_tPvRmT1_T2_T3_mT4_P12ihipStream_tbEUlT_E1_NS1_11comp_targetILNS1_3genE4ELNS1_11target_archE910ELNS1_3gpuE8ELNS1_3repE0EEENS1_30default_config_static_selectorELNS0_4arch9wavefront6targetE1EEEvSK_, .Lfunc_end724-_ZN7rocprim17ROCPRIM_400000_NS6detail17trampoline_kernelINS0_14default_configENS1_22reduce_config_selectorIdEEZNS1_11reduce_implILb1ES3_N6thrust23THRUST_200600_302600_NS6detail15normal_iteratorINS8_10device_ptrIdEEEEPdd9plus_mod3IdEEE10hipError_tPvRmT1_T2_T3_mT4_P12ihipStream_tbEUlT_E1_NS1_11comp_targetILNS1_3genE4ELNS1_11target_archE910ELNS1_3gpuE8ELNS1_3repE0EEENS1_30default_config_static_selectorELNS0_4arch9wavefront6targetE1EEEvSK_
                                        ; -- End function
	.set _ZN7rocprim17ROCPRIM_400000_NS6detail17trampoline_kernelINS0_14default_configENS1_22reduce_config_selectorIdEEZNS1_11reduce_implILb1ES3_N6thrust23THRUST_200600_302600_NS6detail15normal_iteratorINS8_10device_ptrIdEEEEPdd9plus_mod3IdEEE10hipError_tPvRmT1_T2_T3_mT4_P12ihipStream_tbEUlT_E1_NS1_11comp_targetILNS1_3genE4ELNS1_11target_archE910ELNS1_3gpuE8ELNS1_3repE0EEENS1_30default_config_static_selectorELNS0_4arch9wavefront6targetE1EEEvSK_.num_vgpr, 0
	.set _ZN7rocprim17ROCPRIM_400000_NS6detail17trampoline_kernelINS0_14default_configENS1_22reduce_config_selectorIdEEZNS1_11reduce_implILb1ES3_N6thrust23THRUST_200600_302600_NS6detail15normal_iteratorINS8_10device_ptrIdEEEEPdd9plus_mod3IdEEE10hipError_tPvRmT1_T2_T3_mT4_P12ihipStream_tbEUlT_E1_NS1_11comp_targetILNS1_3genE4ELNS1_11target_archE910ELNS1_3gpuE8ELNS1_3repE0EEENS1_30default_config_static_selectorELNS0_4arch9wavefront6targetE1EEEvSK_.num_agpr, 0
	.set _ZN7rocprim17ROCPRIM_400000_NS6detail17trampoline_kernelINS0_14default_configENS1_22reduce_config_selectorIdEEZNS1_11reduce_implILb1ES3_N6thrust23THRUST_200600_302600_NS6detail15normal_iteratorINS8_10device_ptrIdEEEEPdd9plus_mod3IdEEE10hipError_tPvRmT1_T2_T3_mT4_P12ihipStream_tbEUlT_E1_NS1_11comp_targetILNS1_3genE4ELNS1_11target_archE910ELNS1_3gpuE8ELNS1_3repE0EEENS1_30default_config_static_selectorELNS0_4arch9wavefront6targetE1EEEvSK_.numbered_sgpr, 0
	.set _ZN7rocprim17ROCPRIM_400000_NS6detail17trampoline_kernelINS0_14default_configENS1_22reduce_config_selectorIdEEZNS1_11reduce_implILb1ES3_N6thrust23THRUST_200600_302600_NS6detail15normal_iteratorINS8_10device_ptrIdEEEEPdd9plus_mod3IdEEE10hipError_tPvRmT1_T2_T3_mT4_P12ihipStream_tbEUlT_E1_NS1_11comp_targetILNS1_3genE4ELNS1_11target_archE910ELNS1_3gpuE8ELNS1_3repE0EEENS1_30default_config_static_selectorELNS0_4arch9wavefront6targetE1EEEvSK_.num_named_barrier, 0
	.set _ZN7rocprim17ROCPRIM_400000_NS6detail17trampoline_kernelINS0_14default_configENS1_22reduce_config_selectorIdEEZNS1_11reduce_implILb1ES3_N6thrust23THRUST_200600_302600_NS6detail15normal_iteratorINS8_10device_ptrIdEEEEPdd9plus_mod3IdEEE10hipError_tPvRmT1_T2_T3_mT4_P12ihipStream_tbEUlT_E1_NS1_11comp_targetILNS1_3genE4ELNS1_11target_archE910ELNS1_3gpuE8ELNS1_3repE0EEENS1_30default_config_static_selectorELNS0_4arch9wavefront6targetE1EEEvSK_.private_seg_size, 0
	.set _ZN7rocprim17ROCPRIM_400000_NS6detail17trampoline_kernelINS0_14default_configENS1_22reduce_config_selectorIdEEZNS1_11reduce_implILb1ES3_N6thrust23THRUST_200600_302600_NS6detail15normal_iteratorINS8_10device_ptrIdEEEEPdd9plus_mod3IdEEE10hipError_tPvRmT1_T2_T3_mT4_P12ihipStream_tbEUlT_E1_NS1_11comp_targetILNS1_3genE4ELNS1_11target_archE910ELNS1_3gpuE8ELNS1_3repE0EEENS1_30default_config_static_selectorELNS0_4arch9wavefront6targetE1EEEvSK_.uses_vcc, 0
	.set _ZN7rocprim17ROCPRIM_400000_NS6detail17trampoline_kernelINS0_14default_configENS1_22reduce_config_selectorIdEEZNS1_11reduce_implILb1ES3_N6thrust23THRUST_200600_302600_NS6detail15normal_iteratorINS8_10device_ptrIdEEEEPdd9plus_mod3IdEEE10hipError_tPvRmT1_T2_T3_mT4_P12ihipStream_tbEUlT_E1_NS1_11comp_targetILNS1_3genE4ELNS1_11target_archE910ELNS1_3gpuE8ELNS1_3repE0EEENS1_30default_config_static_selectorELNS0_4arch9wavefront6targetE1EEEvSK_.uses_flat_scratch, 0
	.set _ZN7rocprim17ROCPRIM_400000_NS6detail17trampoline_kernelINS0_14default_configENS1_22reduce_config_selectorIdEEZNS1_11reduce_implILb1ES3_N6thrust23THRUST_200600_302600_NS6detail15normal_iteratorINS8_10device_ptrIdEEEEPdd9plus_mod3IdEEE10hipError_tPvRmT1_T2_T3_mT4_P12ihipStream_tbEUlT_E1_NS1_11comp_targetILNS1_3genE4ELNS1_11target_archE910ELNS1_3gpuE8ELNS1_3repE0EEENS1_30default_config_static_selectorELNS0_4arch9wavefront6targetE1EEEvSK_.has_dyn_sized_stack, 0
	.set _ZN7rocprim17ROCPRIM_400000_NS6detail17trampoline_kernelINS0_14default_configENS1_22reduce_config_selectorIdEEZNS1_11reduce_implILb1ES3_N6thrust23THRUST_200600_302600_NS6detail15normal_iteratorINS8_10device_ptrIdEEEEPdd9plus_mod3IdEEE10hipError_tPvRmT1_T2_T3_mT4_P12ihipStream_tbEUlT_E1_NS1_11comp_targetILNS1_3genE4ELNS1_11target_archE910ELNS1_3gpuE8ELNS1_3repE0EEENS1_30default_config_static_selectorELNS0_4arch9wavefront6targetE1EEEvSK_.has_recursion, 0
	.set _ZN7rocprim17ROCPRIM_400000_NS6detail17trampoline_kernelINS0_14default_configENS1_22reduce_config_selectorIdEEZNS1_11reduce_implILb1ES3_N6thrust23THRUST_200600_302600_NS6detail15normal_iteratorINS8_10device_ptrIdEEEEPdd9plus_mod3IdEEE10hipError_tPvRmT1_T2_T3_mT4_P12ihipStream_tbEUlT_E1_NS1_11comp_targetILNS1_3genE4ELNS1_11target_archE910ELNS1_3gpuE8ELNS1_3repE0EEENS1_30default_config_static_selectorELNS0_4arch9wavefront6targetE1EEEvSK_.has_indirect_call, 0
	.section	.AMDGPU.csdata,"",@progbits
; Kernel info:
; codeLenInByte = 0
; TotalNumSgprs: 6
; NumVgprs: 0
; NumAgprs: 0
; TotalNumVgprs: 0
; ScratchSize: 0
; MemoryBound: 0
; FloatMode: 240
; IeeeMode: 1
; LDSByteSize: 0 bytes/workgroup (compile time only)
; SGPRBlocks: 0
; VGPRBlocks: 0
; NumSGPRsForWavesPerEU: 6
; NumVGPRsForWavesPerEU: 1
; AccumOffset: 4
; Occupancy: 8
; WaveLimiterHint : 0
; COMPUTE_PGM_RSRC2:SCRATCH_EN: 0
; COMPUTE_PGM_RSRC2:USER_SGPR: 2
; COMPUTE_PGM_RSRC2:TRAP_HANDLER: 0
; COMPUTE_PGM_RSRC2:TGID_X_EN: 1
; COMPUTE_PGM_RSRC2:TGID_Y_EN: 0
; COMPUTE_PGM_RSRC2:TGID_Z_EN: 0
; COMPUTE_PGM_RSRC2:TIDIG_COMP_CNT: 0
; COMPUTE_PGM_RSRC3_GFX90A:ACCUM_OFFSET: 0
; COMPUTE_PGM_RSRC3_GFX90A:TG_SPLIT: 0
	.section	.text._ZN7rocprim17ROCPRIM_400000_NS6detail17trampoline_kernelINS0_14default_configENS1_22reduce_config_selectorIdEEZNS1_11reduce_implILb1ES3_N6thrust23THRUST_200600_302600_NS6detail15normal_iteratorINS8_10device_ptrIdEEEEPdd9plus_mod3IdEEE10hipError_tPvRmT1_T2_T3_mT4_P12ihipStream_tbEUlT_E1_NS1_11comp_targetILNS1_3genE3ELNS1_11target_archE908ELNS1_3gpuE7ELNS1_3repE0EEENS1_30default_config_static_selectorELNS0_4arch9wavefront6targetE1EEEvSK_,"axG",@progbits,_ZN7rocprim17ROCPRIM_400000_NS6detail17trampoline_kernelINS0_14default_configENS1_22reduce_config_selectorIdEEZNS1_11reduce_implILb1ES3_N6thrust23THRUST_200600_302600_NS6detail15normal_iteratorINS8_10device_ptrIdEEEEPdd9plus_mod3IdEEE10hipError_tPvRmT1_T2_T3_mT4_P12ihipStream_tbEUlT_E1_NS1_11comp_targetILNS1_3genE3ELNS1_11target_archE908ELNS1_3gpuE7ELNS1_3repE0EEENS1_30default_config_static_selectorELNS0_4arch9wavefront6targetE1EEEvSK_,comdat
	.protected	_ZN7rocprim17ROCPRIM_400000_NS6detail17trampoline_kernelINS0_14default_configENS1_22reduce_config_selectorIdEEZNS1_11reduce_implILb1ES3_N6thrust23THRUST_200600_302600_NS6detail15normal_iteratorINS8_10device_ptrIdEEEEPdd9plus_mod3IdEEE10hipError_tPvRmT1_T2_T3_mT4_P12ihipStream_tbEUlT_E1_NS1_11comp_targetILNS1_3genE3ELNS1_11target_archE908ELNS1_3gpuE7ELNS1_3repE0EEENS1_30default_config_static_selectorELNS0_4arch9wavefront6targetE1EEEvSK_ ; -- Begin function _ZN7rocprim17ROCPRIM_400000_NS6detail17trampoline_kernelINS0_14default_configENS1_22reduce_config_selectorIdEEZNS1_11reduce_implILb1ES3_N6thrust23THRUST_200600_302600_NS6detail15normal_iteratorINS8_10device_ptrIdEEEEPdd9plus_mod3IdEEE10hipError_tPvRmT1_T2_T3_mT4_P12ihipStream_tbEUlT_E1_NS1_11comp_targetILNS1_3genE3ELNS1_11target_archE908ELNS1_3gpuE7ELNS1_3repE0EEENS1_30default_config_static_selectorELNS0_4arch9wavefront6targetE1EEEvSK_
	.globl	_ZN7rocprim17ROCPRIM_400000_NS6detail17trampoline_kernelINS0_14default_configENS1_22reduce_config_selectorIdEEZNS1_11reduce_implILb1ES3_N6thrust23THRUST_200600_302600_NS6detail15normal_iteratorINS8_10device_ptrIdEEEEPdd9plus_mod3IdEEE10hipError_tPvRmT1_T2_T3_mT4_P12ihipStream_tbEUlT_E1_NS1_11comp_targetILNS1_3genE3ELNS1_11target_archE908ELNS1_3gpuE7ELNS1_3repE0EEENS1_30default_config_static_selectorELNS0_4arch9wavefront6targetE1EEEvSK_
	.p2align	8
	.type	_ZN7rocprim17ROCPRIM_400000_NS6detail17trampoline_kernelINS0_14default_configENS1_22reduce_config_selectorIdEEZNS1_11reduce_implILb1ES3_N6thrust23THRUST_200600_302600_NS6detail15normal_iteratorINS8_10device_ptrIdEEEEPdd9plus_mod3IdEEE10hipError_tPvRmT1_T2_T3_mT4_P12ihipStream_tbEUlT_E1_NS1_11comp_targetILNS1_3genE3ELNS1_11target_archE908ELNS1_3gpuE7ELNS1_3repE0EEENS1_30default_config_static_selectorELNS0_4arch9wavefront6targetE1EEEvSK_,@function
_ZN7rocprim17ROCPRIM_400000_NS6detail17trampoline_kernelINS0_14default_configENS1_22reduce_config_selectorIdEEZNS1_11reduce_implILb1ES3_N6thrust23THRUST_200600_302600_NS6detail15normal_iteratorINS8_10device_ptrIdEEEEPdd9plus_mod3IdEEE10hipError_tPvRmT1_T2_T3_mT4_P12ihipStream_tbEUlT_E1_NS1_11comp_targetILNS1_3genE3ELNS1_11target_archE908ELNS1_3gpuE7ELNS1_3repE0EEENS1_30default_config_static_selectorELNS0_4arch9wavefront6targetE1EEEvSK_: ; @_ZN7rocprim17ROCPRIM_400000_NS6detail17trampoline_kernelINS0_14default_configENS1_22reduce_config_selectorIdEEZNS1_11reduce_implILb1ES3_N6thrust23THRUST_200600_302600_NS6detail15normal_iteratorINS8_10device_ptrIdEEEEPdd9plus_mod3IdEEE10hipError_tPvRmT1_T2_T3_mT4_P12ihipStream_tbEUlT_E1_NS1_11comp_targetILNS1_3genE3ELNS1_11target_archE908ELNS1_3gpuE7ELNS1_3repE0EEENS1_30default_config_static_selectorELNS0_4arch9wavefront6targetE1EEEvSK_
; %bb.0:
	.section	.rodata,"a",@progbits
	.p2align	6, 0x0
	.amdhsa_kernel _ZN7rocprim17ROCPRIM_400000_NS6detail17trampoline_kernelINS0_14default_configENS1_22reduce_config_selectorIdEEZNS1_11reduce_implILb1ES3_N6thrust23THRUST_200600_302600_NS6detail15normal_iteratorINS8_10device_ptrIdEEEEPdd9plus_mod3IdEEE10hipError_tPvRmT1_T2_T3_mT4_P12ihipStream_tbEUlT_E1_NS1_11comp_targetILNS1_3genE3ELNS1_11target_archE908ELNS1_3gpuE7ELNS1_3repE0EEENS1_30default_config_static_selectorELNS0_4arch9wavefront6targetE1EEEvSK_
		.amdhsa_group_segment_fixed_size 0
		.amdhsa_private_segment_fixed_size 0
		.amdhsa_kernarg_size 48
		.amdhsa_user_sgpr_count 2
		.amdhsa_user_sgpr_dispatch_ptr 0
		.amdhsa_user_sgpr_queue_ptr 0
		.amdhsa_user_sgpr_kernarg_segment_ptr 1
		.amdhsa_user_sgpr_dispatch_id 0
		.amdhsa_user_sgpr_kernarg_preload_length 0
		.amdhsa_user_sgpr_kernarg_preload_offset 0
		.amdhsa_user_sgpr_private_segment_size 0
		.amdhsa_uses_dynamic_stack 0
		.amdhsa_enable_private_segment 0
		.amdhsa_system_sgpr_workgroup_id_x 1
		.amdhsa_system_sgpr_workgroup_id_y 0
		.amdhsa_system_sgpr_workgroup_id_z 0
		.amdhsa_system_sgpr_workgroup_info 0
		.amdhsa_system_vgpr_workitem_id 0
		.amdhsa_next_free_vgpr 1
		.amdhsa_next_free_sgpr 0
		.amdhsa_accum_offset 4
		.amdhsa_reserve_vcc 0
		.amdhsa_float_round_mode_32 0
		.amdhsa_float_round_mode_16_64 0
		.amdhsa_float_denorm_mode_32 3
		.amdhsa_float_denorm_mode_16_64 3
		.amdhsa_dx10_clamp 1
		.amdhsa_ieee_mode 1
		.amdhsa_fp16_overflow 0
		.amdhsa_tg_split 0
		.amdhsa_exception_fp_ieee_invalid_op 0
		.amdhsa_exception_fp_denorm_src 0
		.amdhsa_exception_fp_ieee_div_zero 0
		.amdhsa_exception_fp_ieee_overflow 0
		.amdhsa_exception_fp_ieee_underflow 0
		.amdhsa_exception_fp_ieee_inexact 0
		.amdhsa_exception_int_div_zero 0
	.end_amdhsa_kernel
	.section	.text._ZN7rocprim17ROCPRIM_400000_NS6detail17trampoline_kernelINS0_14default_configENS1_22reduce_config_selectorIdEEZNS1_11reduce_implILb1ES3_N6thrust23THRUST_200600_302600_NS6detail15normal_iteratorINS8_10device_ptrIdEEEEPdd9plus_mod3IdEEE10hipError_tPvRmT1_T2_T3_mT4_P12ihipStream_tbEUlT_E1_NS1_11comp_targetILNS1_3genE3ELNS1_11target_archE908ELNS1_3gpuE7ELNS1_3repE0EEENS1_30default_config_static_selectorELNS0_4arch9wavefront6targetE1EEEvSK_,"axG",@progbits,_ZN7rocprim17ROCPRIM_400000_NS6detail17trampoline_kernelINS0_14default_configENS1_22reduce_config_selectorIdEEZNS1_11reduce_implILb1ES3_N6thrust23THRUST_200600_302600_NS6detail15normal_iteratorINS8_10device_ptrIdEEEEPdd9plus_mod3IdEEE10hipError_tPvRmT1_T2_T3_mT4_P12ihipStream_tbEUlT_E1_NS1_11comp_targetILNS1_3genE3ELNS1_11target_archE908ELNS1_3gpuE7ELNS1_3repE0EEENS1_30default_config_static_selectorELNS0_4arch9wavefront6targetE1EEEvSK_,comdat
.Lfunc_end725:
	.size	_ZN7rocprim17ROCPRIM_400000_NS6detail17trampoline_kernelINS0_14default_configENS1_22reduce_config_selectorIdEEZNS1_11reduce_implILb1ES3_N6thrust23THRUST_200600_302600_NS6detail15normal_iteratorINS8_10device_ptrIdEEEEPdd9plus_mod3IdEEE10hipError_tPvRmT1_T2_T3_mT4_P12ihipStream_tbEUlT_E1_NS1_11comp_targetILNS1_3genE3ELNS1_11target_archE908ELNS1_3gpuE7ELNS1_3repE0EEENS1_30default_config_static_selectorELNS0_4arch9wavefront6targetE1EEEvSK_, .Lfunc_end725-_ZN7rocprim17ROCPRIM_400000_NS6detail17trampoline_kernelINS0_14default_configENS1_22reduce_config_selectorIdEEZNS1_11reduce_implILb1ES3_N6thrust23THRUST_200600_302600_NS6detail15normal_iteratorINS8_10device_ptrIdEEEEPdd9plus_mod3IdEEE10hipError_tPvRmT1_T2_T3_mT4_P12ihipStream_tbEUlT_E1_NS1_11comp_targetILNS1_3genE3ELNS1_11target_archE908ELNS1_3gpuE7ELNS1_3repE0EEENS1_30default_config_static_selectorELNS0_4arch9wavefront6targetE1EEEvSK_
                                        ; -- End function
	.set _ZN7rocprim17ROCPRIM_400000_NS6detail17trampoline_kernelINS0_14default_configENS1_22reduce_config_selectorIdEEZNS1_11reduce_implILb1ES3_N6thrust23THRUST_200600_302600_NS6detail15normal_iteratorINS8_10device_ptrIdEEEEPdd9plus_mod3IdEEE10hipError_tPvRmT1_T2_T3_mT4_P12ihipStream_tbEUlT_E1_NS1_11comp_targetILNS1_3genE3ELNS1_11target_archE908ELNS1_3gpuE7ELNS1_3repE0EEENS1_30default_config_static_selectorELNS0_4arch9wavefront6targetE1EEEvSK_.num_vgpr, 0
	.set _ZN7rocprim17ROCPRIM_400000_NS6detail17trampoline_kernelINS0_14default_configENS1_22reduce_config_selectorIdEEZNS1_11reduce_implILb1ES3_N6thrust23THRUST_200600_302600_NS6detail15normal_iteratorINS8_10device_ptrIdEEEEPdd9plus_mod3IdEEE10hipError_tPvRmT1_T2_T3_mT4_P12ihipStream_tbEUlT_E1_NS1_11comp_targetILNS1_3genE3ELNS1_11target_archE908ELNS1_3gpuE7ELNS1_3repE0EEENS1_30default_config_static_selectorELNS0_4arch9wavefront6targetE1EEEvSK_.num_agpr, 0
	.set _ZN7rocprim17ROCPRIM_400000_NS6detail17trampoline_kernelINS0_14default_configENS1_22reduce_config_selectorIdEEZNS1_11reduce_implILb1ES3_N6thrust23THRUST_200600_302600_NS6detail15normal_iteratorINS8_10device_ptrIdEEEEPdd9plus_mod3IdEEE10hipError_tPvRmT1_T2_T3_mT4_P12ihipStream_tbEUlT_E1_NS1_11comp_targetILNS1_3genE3ELNS1_11target_archE908ELNS1_3gpuE7ELNS1_3repE0EEENS1_30default_config_static_selectorELNS0_4arch9wavefront6targetE1EEEvSK_.numbered_sgpr, 0
	.set _ZN7rocprim17ROCPRIM_400000_NS6detail17trampoline_kernelINS0_14default_configENS1_22reduce_config_selectorIdEEZNS1_11reduce_implILb1ES3_N6thrust23THRUST_200600_302600_NS6detail15normal_iteratorINS8_10device_ptrIdEEEEPdd9plus_mod3IdEEE10hipError_tPvRmT1_T2_T3_mT4_P12ihipStream_tbEUlT_E1_NS1_11comp_targetILNS1_3genE3ELNS1_11target_archE908ELNS1_3gpuE7ELNS1_3repE0EEENS1_30default_config_static_selectorELNS0_4arch9wavefront6targetE1EEEvSK_.num_named_barrier, 0
	.set _ZN7rocprim17ROCPRIM_400000_NS6detail17trampoline_kernelINS0_14default_configENS1_22reduce_config_selectorIdEEZNS1_11reduce_implILb1ES3_N6thrust23THRUST_200600_302600_NS6detail15normal_iteratorINS8_10device_ptrIdEEEEPdd9plus_mod3IdEEE10hipError_tPvRmT1_T2_T3_mT4_P12ihipStream_tbEUlT_E1_NS1_11comp_targetILNS1_3genE3ELNS1_11target_archE908ELNS1_3gpuE7ELNS1_3repE0EEENS1_30default_config_static_selectorELNS0_4arch9wavefront6targetE1EEEvSK_.private_seg_size, 0
	.set _ZN7rocprim17ROCPRIM_400000_NS6detail17trampoline_kernelINS0_14default_configENS1_22reduce_config_selectorIdEEZNS1_11reduce_implILb1ES3_N6thrust23THRUST_200600_302600_NS6detail15normal_iteratorINS8_10device_ptrIdEEEEPdd9plus_mod3IdEEE10hipError_tPvRmT1_T2_T3_mT4_P12ihipStream_tbEUlT_E1_NS1_11comp_targetILNS1_3genE3ELNS1_11target_archE908ELNS1_3gpuE7ELNS1_3repE0EEENS1_30default_config_static_selectorELNS0_4arch9wavefront6targetE1EEEvSK_.uses_vcc, 0
	.set _ZN7rocprim17ROCPRIM_400000_NS6detail17trampoline_kernelINS0_14default_configENS1_22reduce_config_selectorIdEEZNS1_11reduce_implILb1ES3_N6thrust23THRUST_200600_302600_NS6detail15normal_iteratorINS8_10device_ptrIdEEEEPdd9plus_mod3IdEEE10hipError_tPvRmT1_T2_T3_mT4_P12ihipStream_tbEUlT_E1_NS1_11comp_targetILNS1_3genE3ELNS1_11target_archE908ELNS1_3gpuE7ELNS1_3repE0EEENS1_30default_config_static_selectorELNS0_4arch9wavefront6targetE1EEEvSK_.uses_flat_scratch, 0
	.set _ZN7rocprim17ROCPRIM_400000_NS6detail17trampoline_kernelINS0_14default_configENS1_22reduce_config_selectorIdEEZNS1_11reduce_implILb1ES3_N6thrust23THRUST_200600_302600_NS6detail15normal_iteratorINS8_10device_ptrIdEEEEPdd9plus_mod3IdEEE10hipError_tPvRmT1_T2_T3_mT4_P12ihipStream_tbEUlT_E1_NS1_11comp_targetILNS1_3genE3ELNS1_11target_archE908ELNS1_3gpuE7ELNS1_3repE0EEENS1_30default_config_static_selectorELNS0_4arch9wavefront6targetE1EEEvSK_.has_dyn_sized_stack, 0
	.set _ZN7rocprim17ROCPRIM_400000_NS6detail17trampoline_kernelINS0_14default_configENS1_22reduce_config_selectorIdEEZNS1_11reduce_implILb1ES3_N6thrust23THRUST_200600_302600_NS6detail15normal_iteratorINS8_10device_ptrIdEEEEPdd9plus_mod3IdEEE10hipError_tPvRmT1_T2_T3_mT4_P12ihipStream_tbEUlT_E1_NS1_11comp_targetILNS1_3genE3ELNS1_11target_archE908ELNS1_3gpuE7ELNS1_3repE0EEENS1_30default_config_static_selectorELNS0_4arch9wavefront6targetE1EEEvSK_.has_recursion, 0
	.set _ZN7rocprim17ROCPRIM_400000_NS6detail17trampoline_kernelINS0_14default_configENS1_22reduce_config_selectorIdEEZNS1_11reduce_implILb1ES3_N6thrust23THRUST_200600_302600_NS6detail15normal_iteratorINS8_10device_ptrIdEEEEPdd9plus_mod3IdEEE10hipError_tPvRmT1_T2_T3_mT4_P12ihipStream_tbEUlT_E1_NS1_11comp_targetILNS1_3genE3ELNS1_11target_archE908ELNS1_3gpuE7ELNS1_3repE0EEENS1_30default_config_static_selectorELNS0_4arch9wavefront6targetE1EEEvSK_.has_indirect_call, 0
	.section	.AMDGPU.csdata,"",@progbits
; Kernel info:
; codeLenInByte = 0
; TotalNumSgprs: 6
; NumVgprs: 0
; NumAgprs: 0
; TotalNumVgprs: 0
; ScratchSize: 0
; MemoryBound: 0
; FloatMode: 240
; IeeeMode: 1
; LDSByteSize: 0 bytes/workgroup (compile time only)
; SGPRBlocks: 0
; VGPRBlocks: 0
; NumSGPRsForWavesPerEU: 6
; NumVGPRsForWavesPerEU: 1
; AccumOffset: 4
; Occupancy: 8
; WaveLimiterHint : 0
; COMPUTE_PGM_RSRC2:SCRATCH_EN: 0
; COMPUTE_PGM_RSRC2:USER_SGPR: 2
; COMPUTE_PGM_RSRC2:TRAP_HANDLER: 0
; COMPUTE_PGM_RSRC2:TGID_X_EN: 1
; COMPUTE_PGM_RSRC2:TGID_Y_EN: 0
; COMPUTE_PGM_RSRC2:TGID_Z_EN: 0
; COMPUTE_PGM_RSRC2:TIDIG_COMP_CNT: 0
; COMPUTE_PGM_RSRC3_GFX90A:ACCUM_OFFSET: 0
; COMPUTE_PGM_RSRC3_GFX90A:TG_SPLIT: 0
	.section	.text._ZN7rocprim17ROCPRIM_400000_NS6detail17trampoline_kernelINS0_14default_configENS1_22reduce_config_selectorIdEEZNS1_11reduce_implILb1ES3_N6thrust23THRUST_200600_302600_NS6detail15normal_iteratorINS8_10device_ptrIdEEEEPdd9plus_mod3IdEEE10hipError_tPvRmT1_T2_T3_mT4_P12ihipStream_tbEUlT_E1_NS1_11comp_targetILNS1_3genE2ELNS1_11target_archE906ELNS1_3gpuE6ELNS1_3repE0EEENS1_30default_config_static_selectorELNS0_4arch9wavefront6targetE1EEEvSK_,"axG",@progbits,_ZN7rocprim17ROCPRIM_400000_NS6detail17trampoline_kernelINS0_14default_configENS1_22reduce_config_selectorIdEEZNS1_11reduce_implILb1ES3_N6thrust23THRUST_200600_302600_NS6detail15normal_iteratorINS8_10device_ptrIdEEEEPdd9plus_mod3IdEEE10hipError_tPvRmT1_T2_T3_mT4_P12ihipStream_tbEUlT_E1_NS1_11comp_targetILNS1_3genE2ELNS1_11target_archE906ELNS1_3gpuE6ELNS1_3repE0EEENS1_30default_config_static_selectorELNS0_4arch9wavefront6targetE1EEEvSK_,comdat
	.protected	_ZN7rocprim17ROCPRIM_400000_NS6detail17trampoline_kernelINS0_14default_configENS1_22reduce_config_selectorIdEEZNS1_11reduce_implILb1ES3_N6thrust23THRUST_200600_302600_NS6detail15normal_iteratorINS8_10device_ptrIdEEEEPdd9plus_mod3IdEEE10hipError_tPvRmT1_T2_T3_mT4_P12ihipStream_tbEUlT_E1_NS1_11comp_targetILNS1_3genE2ELNS1_11target_archE906ELNS1_3gpuE6ELNS1_3repE0EEENS1_30default_config_static_selectorELNS0_4arch9wavefront6targetE1EEEvSK_ ; -- Begin function _ZN7rocprim17ROCPRIM_400000_NS6detail17trampoline_kernelINS0_14default_configENS1_22reduce_config_selectorIdEEZNS1_11reduce_implILb1ES3_N6thrust23THRUST_200600_302600_NS6detail15normal_iteratorINS8_10device_ptrIdEEEEPdd9plus_mod3IdEEE10hipError_tPvRmT1_T2_T3_mT4_P12ihipStream_tbEUlT_E1_NS1_11comp_targetILNS1_3genE2ELNS1_11target_archE906ELNS1_3gpuE6ELNS1_3repE0EEENS1_30default_config_static_selectorELNS0_4arch9wavefront6targetE1EEEvSK_
	.globl	_ZN7rocprim17ROCPRIM_400000_NS6detail17trampoline_kernelINS0_14default_configENS1_22reduce_config_selectorIdEEZNS1_11reduce_implILb1ES3_N6thrust23THRUST_200600_302600_NS6detail15normal_iteratorINS8_10device_ptrIdEEEEPdd9plus_mod3IdEEE10hipError_tPvRmT1_T2_T3_mT4_P12ihipStream_tbEUlT_E1_NS1_11comp_targetILNS1_3genE2ELNS1_11target_archE906ELNS1_3gpuE6ELNS1_3repE0EEENS1_30default_config_static_selectorELNS0_4arch9wavefront6targetE1EEEvSK_
	.p2align	8
	.type	_ZN7rocprim17ROCPRIM_400000_NS6detail17trampoline_kernelINS0_14default_configENS1_22reduce_config_selectorIdEEZNS1_11reduce_implILb1ES3_N6thrust23THRUST_200600_302600_NS6detail15normal_iteratorINS8_10device_ptrIdEEEEPdd9plus_mod3IdEEE10hipError_tPvRmT1_T2_T3_mT4_P12ihipStream_tbEUlT_E1_NS1_11comp_targetILNS1_3genE2ELNS1_11target_archE906ELNS1_3gpuE6ELNS1_3repE0EEENS1_30default_config_static_selectorELNS0_4arch9wavefront6targetE1EEEvSK_,@function
_ZN7rocprim17ROCPRIM_400000_NS6detail17trampoline_kernelINS0_14default_configENS1_22reduce_config_selectorIdEEZNS1_11reduce_implILb1ES3_N6thrust23THRUST_200600_302600_NS6detail15normal_iteratorINS8_10device_ptrIdEEEEPdd9plus_mod3IdEEE10hipError_tPvRmT1_T2_T3_mT4_P12ihipStream_tbEUlT_E1_NS1_11comp_targetILNS1_3genE2ELNS1_11target_archE906ELNS1_3gpuE6ELNS1_3repE0EEENS1_30default_config_static_selectorELNS0_4arch9wavefront6targetE1EEEvSK_: ; @_ZN7rocprim17ROCPRIM_400000_NS6detail17trampoline_kernelINS0_14default_configENS1_22reduce_config_selectorIdEEZNS1_11reduce_implILb1ES3_N6thrust23THRUST_200600_302600_NS6detail15normal_iteratorINS8_10device_ptrIdEEEEPdd9plus_mod3IdEEE10hipError_tPvRmT1_T2_T3_mT4_P12ihipStream_tbEUlT_E1_NS1_11comp_targetILNS1_3genE2ELNS1_11target_archE906ELNS1_3gpuE6ELNS1_3repE0EEENS1_30default_config_static_selectorELNS0_4arch9wavefront6targetE1EEEvSK_
; %bb.0:
	.section	.rodata,"a",@progbits
	.p2align	6, 0x0
	.amdhsa_kernel _ZN7rocprim17ROCPRIM_400000_NS6detail17trampoline_kernelINS0_14default_configENS1_22reduce_config_selectorIdEEZNS1_11reduce_implILb1ES3_N6thrust23THRUST_200600_302600_NS6detail15normal_iteratorINS8_10device_ptrIdEEEEPdd9plus_mod3IdEEE10hipError_tPvRmT1_T2_T3_mT4_P12ihipStream_tbEUlT_E1_NS1_11comp_targetILNS1_3genE2ELNS1_11target_archE906ELNS1_3gpuE6ELNS1_3repE0EEENS1_30default_config_static_selectorELNS0_4arch9wavefront6targetE1EEEvSK_
		.amdhsa_group_segment_fixed_size 0
		.amdhsa_private_segment_fixed_size 0
		.amdhsa_kernarg_size 48
		.amdhsa_user_sgpr_count 2
		.amdhsa_user_sgpr_dispatch_ptr 0
		.amdhsa_user_sgpr_queue_ptr 0
		.amdhsa_user_sgpr_kernarg_segment_ptr 1
		.amdhsa_user_sgpr_dispatch_id 0
		.amdhsa_user_sgpr_kernarg_preload_length 0
		.amdhsa_user_sgpr_kernarg_preload_offset 0
		.amdhsa_user_sgpr_private_segment_size 0
		.amdhsa_uses_dynamic_stack 0
		.amdhsa_enable_private_segment 0
		.amdhsa_system_sgpr_workgroup_id_x 1
		.amdhsa_system_sgpr_workgroup_id_y 0
		.amdhsa_system_sgpr_workgroup_id_z 0
		.amdhsa_system_sgpr_workgroup_info 0
		.amdhsa_system_vgpr_workitem_id 0
		.amdhsa_next_free_vgpr 1
		.amdhsa_next_free_sgpr 0
		.amdhsa_accum_offset 4
		.amdhsa_reserve_vcc 0
		.amdhsa_float_round_mode_32 0
		.amdhsa_float_round_mode_16_64 0
		.amdhsa_float_denorm_mode_32 3
		.amdhsa_float_denorm_mode_16_64 3
		.amdhsa_dx10_clamp 1
		.amdhsa_ieee_mode 1
		.amdhsa_fp16_overflow 0
		.amdhsa_tg_split 0
		.amdhsa_exception_fp_ieee_invalid_op 0
		.amdhsa_exception_fp_denorm_src 0
		.amdhsa_exception_fp_ieee_div_zero 0
		.amdhsa_exception_fp_ieee_overflow 0
		.amdhsa_exception_fp_ieee_underflow 0
		.amdhsa_exception_fp_ieee_inexact 0
		.amdhsa_exception_int_div_zero 0
	.end_amdhsa_kernel
	.section	.text._ZN7rocprim17ROCPRIM_400000_NS6detail17trampoline_kernelINS0_14default_configENS1_22reduce_config_selectorIdEEZNS1_11reduce_implILb1ES3_N6thrust23THRUST_200600_302600_NS6detail15normal_iteratorINS8_10device_ptrIdEEEEPdd9plus_mod3IdEEE10hipError_tPvRmT1_T2_T3_mT4_P12ihipStream_tbEUlT_E1_NS1_11comp_targetILNS1_3genE2ELNS1_11target_archE906ELNS1_3gpuE6ELNS1_3repE0EEENS1_30default_config_static_selectorELNS0_4arch9wavefront6targetE1EEEvSK_,"axG",@progbits,_ZN7rocprim17ROCPRIM_400000_NS6detail17trampoline_kernelINS0_14default_configENS1_22reduce_config_selectorIdEEZNS1_11reduce_implILb1ES3_N6thrust23THRUST_200600_302600_NS6detail15normal_iteratorINS8_10device_ptrIdEEEEPdd9plus_mod3IdEEE10hipError_tPvRmT1_T2_T3_mT4_P12ihipStream_tbEUlT_E1_NS1_11comp_targetILNS1_3genE2ELNS1_11target_archE906ELNS1_3gpuE6ELNS1_3repE0EEENS1_30default_config_static_selectorELNS0_4arch9wavefront6targetE1EEEvSK_,comdat
.Lfunc_end726:
	.size	_ZN7rocprim17ROCPRIM_400000_NS6detail17trampoline_kernelINS0_14default_configENS1_22reduce_config_selectorIdEEZNS1_11reduce_implILb1ES3_N6thrust23THRUST_200600_302600_NS6detail15normal_iteratorINS8_10device_ptrIdEEEEPdd9plus_mod3IdEEE10hipError_tPvRmT1_T2_T3_mT4_P12ihipStream_tbEUlT_E1_NS1_11comp_targetILNS1_3genE2ELNS1_11target_archE906ELNS1_3gpuE6ELNS1_3repE0EEENS1_30default_config_static_selectorELNS0_4arch9wavefront6targetE1EEEvSK_, .Lfunc_end726-_ZN7rocprim17ROCPRIM_400000_NS6detail17trampoline_kernelINS0_14default_configENS1_22reduce_config_selectorIdEEZNS1_11reduce_implILb1ES3_N6thrust23THRUST_200600_302600_NS6detail15normal_iteratorINS8_10device_ptrIdEEEEPdd9plus_mod3IdEEE10hipError_tPvRmT1_T2_T3_mT4_P12ihipStream_tbEUlT_E1_NS1_11comp_targetILNS1_3genE2ELNS1_11target_archE906ELNS1_3gpuE6ELNS1_3repE0EEENS1_30default_config_static_selectorELNS0_4arch9wavefront6targetE1EEEvSK_
                                        ; -- End function
	.set _ZN7rocprim17ROCPRIM_400000_NS6detail17trampoline_kernelINS0_14default_configENS1_22reduce_config_selectorIdEEZNS1_11reduce_implILb1ES3_N6thrust23THRUST_200600_302600_NS6detail15normal_iteratorINS8_10device_ptrIdEEEEPdd9plus_mod3IdEEE10hipError_tPvRmT1_T2_T3_mT4_P12ihipStream_tbEUlT_E1_NS1_11comp_targetILNS1_3genE2ELNS1_11target_archE906ELNS1_3gpuE6ELNS1_3repE0EEENS1_30default_config_static_selectorELNS0_4arch9wavefront6targetE1EEEvSK_.num_vgpr, 0
	.set _ZN7rocprim17ROCPRIM_400000_NS6detail17trampoline_kernelINS0_14default_configENS1_22reduce_config_selectorIdEEZNS1_11reduce_implILb1ES3_N6thrust23THRUST_200600_302600_NS6detail15normal_iteratorINS8_10device_ptrIdEEEEPdd9plus_mod3IdEEE10hipError_tPvRmT1_T2_T3_mT4_P12ihipStream_tbEUlT_E1_NS1_11comp_targetILNS1_3genE2ELNS1_11target_archE906ELNS1_3gpuE6ELNS1_3repE0EEENS1_30default_config_static_selectorELNS0_4arch9wavefront6targetE1EEEvSK_.num_agpr, 0
	.set _ZN7rocprim17ROCPRIM_400000_NS6detail17trampoline_kernelINS0_14default_configENS1_22reduce_config_selectorIdEEZNS1_11reduce_implILb1ES3_N6thrust23THRUST_200600_302600_NS6detail15normal_iteratorINS8_10device_ptrIdEEEEPdd9plus_mod3IdEEE10hipError_tPvRmT1_T2_T3_mT4_P12ihipStream_tbEUlT_E1_NS1_11comp_targetILNS1_3genE2ELNS1_11target_archE906ELNS1_3gpuE6ELNS1_3repE0EEENS1_30default_config_static_selectorELNS0_4arch9wavefront6targetE1EEEvSK_.numbered_sgpr, 0
	.set _ZN7rocprim17ROCPRIM_400000_NS6detail17trampoline_kernelINS0_14default_configENS1_22reduce_config_selectorIdEEZNS1_11reduce_implILb1ES3_N6thrust23THRUST_200600_302600_NS6detail15normal_iteratorINS8_10device_ptrIdEEEEPdd9plus_mod3IdEEE10hipError_tPvRmT1_T2_T3_mT4_P12ihipStream_tbEUlT_E1_NS1_11comp_targetILNS1_3genE2ELNS1_11target_archE906ELNS1_3gpuE6ELNS1_3repE0EEENS1_30default_config_static_selectorELNS0_4arch9wavefront6targetE1EEEvSK_.num_named_barrier, 0
	.set _ZN7rocprim17ROCPRIM_400000_NS6detail17trampoline_kernelINS0_14default_configENS1_22reduce_config_selectorIdEEZNS1_11reduce_implILb1ES3_N6thrust23THRUST_200600_302600_NS6detail15normal_iteratorINS8_10device_ptrIdEEEEPdd9plus_mod3IdEEE10hipError_tPvRmT1_T2_T3_mT4_P12ihipStream_tbEUlT_E1_NS1_11comp_targetILNS1_3genE2ELNS1_11target_archE906ELNS1_3gpuE6ELNS1_3repE0EEENS1_30default_config_static_selectorELNS0_4arch9wavefront6targetE1EEEvSK_.private_seg_size, 0
	.set _ZN7rocprim17ROCPRIM_400000_NS6detail17trampoline_kernelINS0_14default_configENS1_22reduce_config_selectorIdEEZNS1_11reduce_implILb1ES3_N6thrust23THRUST_200600_302600_NS6detail15normal_iteratorINS8_10device_ptrIdEEEEPdd9plus_mod3IdEEE10hipError_tPvRmT1_T2_T3_mT4_P12ihipStream_tbEUlT_E1_NS1_11comp_targetILNS1_3genE2ELNS1_11target_archE906ELNS1_3gpuE6ELNS1_3repE0EEENS1_30default_config_static_selectorELNS0_4arch9wavefront6targetE1EEEvSK_.uses_vcc, 0
	.set _ZN7rocprim17ROCPRIM_400000_NS6detail17trampoline_kernelINS0_14default_configENS1_22reduce_config_selectorIdEEZNS1_11reduce_implILb1ES3_N6thrust23THRUST_200600_302600_NS6detail15normal_iteratorINS8_10device_ptrIdEEEEPdd9plus_mod3IdEEE10hipError_tPvRmT1_T2_T3_mT4_P12ihipStream_tbEUlT_E1_NS1_11comp_targetILNS1_3genE2ELNS1_11target_archE906ELNS1_3gpuE6ELNS1_3repE0EEENS1_30default_config_static_selectorELNS0_4arch9wavefront6targetE1EEEvSK_.uses_flat_scratch, 0
	.set _ZN7rocprim17ROCPRIM_400000_NS6detail17trampoline_kernelINS0_14default_configENS1_22reduce_config_selectorIdEEZNS1_11reduce_implILb1ES3_N6thrust23THRUST_200600_302600_NS6detail15normal_iteratorINS8_10device_ptrIdEEEEPdd9plus_mod3IdEEE10hipError_tPvRmT1_T2_T3_mT4_P12ihipStream_tbEUlT_E1_NS1_11comp_targetILNS1_3genE2ELNS1_11target_archE906ELNS1_3gpuE6ELNS1_3repE0EEENS1_30default_config_static_selectorELNS0_4arch9wavefront6targetE1EEEvSK_.has_dyn_sized_stack, 0
	.set _ZN7rocprim17ROCPRIM_400000_NS6detail17trampoline_kernelINS0_14default_configENS1_22reduce_config_selectorIdEEZNS1_11reduce_implILb1ES3_N6thrust23THRUST_200600_302600_NS6detail15normal_iteratorINS8_10device_ptrIdEEEEPdd9plus_mod3IdEEE10hipError_tPvRmT1_T2_T3_mT4_P12ihipStream_tbEUlT_E1_NS1_11comp_targetILNS1_3genE2ELNS1_11target_archE906ELNS1_3gpuE6ELNS1_3repE0EEENS1_30default_config_static_selectorELNS0_4arch9wavefront6targetE1EEEvSK_.has_recursion, 0
	.set _ZN7rocprim17ROCPRIM_400000_NS6detail17trampoline_kernelINS0_14default_configENS1_22reduce_config_selectorIdEEZNS1_11reduce_implILb1ES3_N6thrust23THRUST_200600_302600_NS6detail15normal_iteratorINS8_10device_ptrIdEEEEPdd9plus_mod3IdEEE10hipError_tPvRmT1_T2_T3_mT4_P12ihipStream_tbEUlT_E1_NS1_11comp_targetILNS1_3genE2ELNS1_11target_archE906ELNS1_3gpuE6ELNS1_3repE0EEENS1_30default_config_static_selectorELNS0_4arch9wavefront6targetE1EEEvSK_.has_indirect_call, 0
	.section	.AMDGPU.csdata,"",@progbits
; Kernel info:
; codeLenInByte = 0
; TotalNumSgprs: 6
; NumVgprs: 0
; NumAgprs: 0
; TotalNumVgprs: 0
; ScratchSize: 0
; MemoryBound: 0
; FloatMode: 240
; IeeeMode: 1
; LDSByteSize: 0 bytes/workgroup (compile time only)
; SGPRBlocks: 0
; VGPRBlocks: 0
; NumSGPRsForWavesPerEU: 6
; NumVGPRsForWavesPerEU: 1
; AccumOffset: 4
; Occupancy: 8
; WaveLimiterHint : 0
; COMPUTE_PGM_RSRC2:SCRATCH_EN: 0
; COMPUTE_PGM_RSRC2:USER_SGPR: 2
; COMPUTE_PGM_RSRC2:TRAP_HANDLER: 0
; COMPUTE_PGM_RSRC2:TGID_X_EN: 1
; COMPUTE_PGM_RSRC2:TGID_Y_EN: 0
; COMPUTE_PGM_RSRC2:TGID_Z_EN: 0
; COMPUTE_PGM_RSRC2:TIDIG_COMP_CNT: 0
; COMPUTE_PGM_RSRC3_GFX90A:ACCUM_OFFSET: 0
; COMPUTE_PGM_RSRC3_GFX90A:TG_SPLIT: 0
	.section	.text._ZN7rocprim17ROCPRIM_400000_NS6detail17trampoline_kernelINS0_14default_configENS1_22reduce_config_selectorIdEEZNS1_11reduce_implILb1ES3_N6thrust23THRUST_200600_302600_NS6detail15normal_iteratorINS8_10device_ptrIdEEEEPdd9plus_mod3IdEEE10hipError_tPvRmT1_T2_T3_mT4_P12ihipStream_tbEUlT_E1_NS1_11comp_targetILNS1_3genE10ELNS1_11target_archE1201ELNS1_3gpuE5ELNS1_3repE0EEENS1_30default_config_static_selectorELNS0_4arch9wavefront6targetE1EEEvSK_,"axG",@progbits,_ZN7rocprim17ROCPRIM_400000_NS6detail17trampoline_kernelINS0_14default_configENS1_22reduce_config_selectorIdEEZNS1_11reduce_implILb1ES3_N6thrust23THRUST_200600_302600_NS6detail15normal_iteratorINS8_10device_ptrIdEEEEPdd9plus_mod3IdEEE10hipError_tPvRmT1_T2_T3_mT4_P12ihipStream_tbEUlT_E1_NS1_11comp_targetILNS1_3genE10ELNS1_11target_archE1201ELNS1_3gpuE5ELNS1_3repE0EEENS1_30default_config_static_selectorELNS0_4arch9wavefront6targetE1EEEvSK_,comdat
	.protected	_ZN7rocprim17ROCPRIM_400000_NS6detail17trampoline_kernelINS0_14default_configENS1_22reduce_config_selectorIdEEZNS1_11reduce_implILb1ES3_N6thrust23THRUST_200600_302600_NS6detail15normal_iteratorINS8_10device_ptrIdEEEEPdd9plus_mod3IdEEE10hipError_tPvRmT1_T2_T3_mT4_P12ihipStream_tbEUlT_E1_NS1_11comp_targetILNS1_3genE10ELNS1_11target_archE1201ELNS1_3gpuE5ELNS1_3repE0EEENS1_30default_config_static_selectorELNS0_4arch9wavefront6targetE1EEEvSK_ ; -- Begin function _ZN7rocprim17ROCPRIM_400000_NS6detail17trampoline_kernelINS0_14default_configENS1_22reduce_config_selectorIdEEZNS1_11reduce_implILb1ES3_N6thrust23THRUST_200600_302600_NS6detail15normal_iteratorINS8_10device_ptrIdEEEEPdd9plus_mod3IdEEE10hipError_tPvRmT1_T2_T3_mT4_P12ihipStream_tbEUlT_E1_NS1_11comp_targetILNS1_3genE10ELNS1_11target_archE1201ELNS1_3gpuE5ELNS1_3repE0EEENS1_30default_config_static_selectorELNS0_4arch9wavefront6targetE1EEEvSK_
	.globl	_ZN7rocprim17ROCPRIM_400000_NS6detail17trampoline_kernelINS0_14default_configENS1_22reduce_config_selectorIdEEZNS1_11reduce_implILb1ES3_N6thrust23THRUST_200600_302600_NS6detail15normal_iteratorINS8_10device_ptrIdEEEEPdd9plus_mod3IdEEE10hipError_tPvRmT1_T2_T3_mT4_P12ihipStream_tbEUlT_E1_NS1_11comp_targetILNS1_3genE10ELNS1_11target_archE1201ELNS1_3gpuE5ELNS1_3repE0EEENS1_30default_config_static_selectorELNS0_4arch9wavefront6targetE1EEEvSK_
	.p2align	8
	.type	_ZN7rocprim17ROCPRIM_400000_NS6detail17trampoline_kernelINS0_14default_configENS1_22reduce_config_selectorIdEEZNS1_11reduce_implILb1ES3_N6thrust23THRUST_200600_302600_NS6detail15normal_iteratorINS8_10device_ptrIdEEEEPdd9plus_mod3IdEEE10hipError_tPvRmT1_T2_T3_mT4_P12ihipStream_tbEUlT_E1_NS1_11comp_targetILNS1_3genE10ELNS1_11target_archE1201ELNS1_3gpuE5ELNS1_3repE0EEENS1_30default_config_static_selectorELNS0_4arch9wavefront6targetE1EEEvSK_,@function
_ZN7rocprim17ROCPRIM_400000_NS6detail17trampoline_kernelINS0_14default_configENS1_22reduce_config_selectorIdEEZNS1_11reduce_implILb1ES3_N6thrust23THRUST_200600_302600_NS6detail15normal_iteratorINS8_10device_ptrIdEEEEPdd9plus_mod3IdEEE10hipError_tPvRmT1_T2_T3_mT4_P12ihipStream_tbEUlT_E1_NS1_11comp_targetILNS1_3genE10ELNS1_11target_archE1201ELNS1_3gpuE5ELNS1_3repE0EEENS1_30default_config_static_selectorELNS0_4arch9wavefront6targetE1EEEvSK_: ; @_ZN7rocprim17ROCPRIM_400000_NS6detail17trampoline_kernelINS0_14default_configENS1_22reduce_config_selectorIdEEZNS1_11reduce_implILb1ES3_N6thrust23THRUST_200600_302600_NS6detail15normal_iteratorINS8_10device_ptrIdEEEEPdd9plus_mod3IdEEE10hipError_tPvRmT1_T2_T3_mT4_P12ihipStream_tbEUlT_E1_NS1_11comp_targetILNS1_3genE10ELNS1_11target_archE1201ELNS1_3gpuE5ELNS1_3repE0EEENS1_30default_config_static_selectorELNS0_4arch9wavefront6targetE1EEEvSK_
; %bb.0:
	.section	.rodata,"a",@progbits
	.p2align	6, 0x0
	.amdhsa_kernel _ZN7rocprim17ROCPRIM_400000_NS6detail17trampoline_kernelINS0_14default_configENS1_22reduce_config_selectorIdEEZNS1_11reduce_implILb1ES3_N6thrust23THRUST_200600_302600_NS6detail15normal_iteratorINS8_10device_ptrIdEEEEPdd9plus_mod3IdEEE10hipError_tPvRmT1_T2_T3_mT4_P12ihipStream_tbEUlT_E1_NS1_11comp_targetILNS1_3genE10ELNS1_11target_archE1201ELNS1_3gpuE5ELNS1_3repE0EEENS1_30default_config_static_selectorELNS0_4arch9wavefront6targetE1EEEvSK_
		.amdhsa_group_segment_fixed_size 0
		.amdhsa_private_segment_fixed_size 0
		.amdhsa_kernarg_size 48
		.amdhsa_user_sgpr_count 2
		.amdhsa_user_sgpr_dispatch_ptr 0
		.amdhsa_user_sgpr_queue_ptr 0
		.amdhsa_user_sgpr_kernarg_segment_ptr 1
		.amdhsa_user_sgpr_dispatch_id 0
		.amdhsa_user_sgpr_kernarg_preload_length 0
		.amdhsa_user_sgpr_kernarg_preload_offset 0
		.amdhsa_user_sgpr_private_segment_size 0
		.amdhsa_uses_dynamic_stack 0
		.amdhsa_enable_private_segment 0
		.amdhsa_system_sgpr_workgroup_id_x 1
		.amdhsa_system_sgpr_workgroup_id_y 0
		.amdhsa_system_sgpr_workgroup_id_z 0
		.amdhsa_system_sgpr_workgroup_info 0
		.amdhsa_system_vgpr_workitem_id 0
		.amdhsa_next_free_vgpr 1
		.amdhsa_next_free_sgpr 0
		.amdhsa_accum_offset 4
		.amdhsa_reserve_vcc 0
		.amdhsa_float_round_mode_32 0
		.amdhsa_float_round_mode_16_64 0
		.amdhsa_float_denorm_mode_32 3
		.amdhsa_float_denorm_mode_16_64 3
		.amdhsa_dx10_clamp 1
		.amdhsa_ieee_mode 1
		.amdhsa_fp16_overflow 0
		.amdhsa_tg_split 0
		.amdhsa_exception_fp_ieee_invalid_op 0
		.amdhsa_exception_fp_denorm_src 0
		.amdhsa_exception_fp_ieee_div_zero 0
		.amdhsa_exception_fp_ieee_overflow 0
		.amdhsa_exception_fp_ieee_underflow 0
		.amdhsa_exception_fp_ieee_inexact 0
		.amdhsa_exception_int_div_zero 0
	.end_amdhsa_kernel
	.section	.text._ZN7rocprim17ROCPRIM_400000_NS6detail17trampoline_kernelINS0_14default_configENS1_22reduce_config_selectorIdEEZNS1_11reduce_implILb1ES3_N6thrust23THRUST_200600_302600_NS6detail15normal_iteratorINS8_10device_ptrIdEEEEPdd9plus_mod3IdEEE10hipError_tPvRmT1_T2_T3_mT4_P12ihipStream_tbEUlT_E1_NS1_11comp_targetILNS1_3genE10ELNS1_11target_archE1201ELNS1_3gpuE5ELNS1_3repE0EEENS1_30default_config_static_selectorELNS0_4arch9wavefront6targetE1EEEvSK_,"axG",@progbits,_ZN7rocprim17ROCPRIM_400000_NS6detail17trampoline_kernelINS0_14default_configENS1_22reduce_config_selectorIdEEZNS1_11reduce_implILb1ES3_N6thrust23THRUST_200600_302600_NS6detail15normal_iteratorINS8_10device_ptrIdEEEEPdd9plus_mod3IdEEE10hipError_tPvRmT1_T2_T3_mT4_P12ihipStream_tbEUlT_E1_NS1_11comp_targetILNS1_3genE10ELNS1_11target_archE1201ELNS1_3gpuE5ELNS1_3repE0EEENS1_30default_config_static_selectorELNS0_4arch9wavefront6targetE1EEEvSK_,comdat
.Lfunc_end727:
	.size	_ZN7rocprim17ROCPRIM_400000_NS6detail17trampoline_kernelINS0_14default_configENS1_22reduce_config_selectorIdEEZNS1_11reduce_implILb1ES3_N6thrust23THRUST_200600_302600_NS6detail15normal_iteratorINS8_10device_ptrIdEEEEPdd9plus_mod3IdEEE10hipError_tPvRmT1_T2_T3_mT4_P12ihipStream_tbEUlT_E1_NS1_11comp_targetILNS1_3genE10ELNS1_11target_archE1201ELNS1_3gpuE5ELNS1_3repE0EEENS1_30default_config_static_selectorELNS0_4arch9wavefront6targetE1EEEvSK_, .Lfunc_end727-_ZN7rocprim17ROCPRIM_400000_NS6detail17trampoline_kernelINS0_14default_configENS1_22reduce_config_selectorIdEEZNS1_11reduce_implILb1ES3_N6thrust23THRUST_200600_302600_NS6detail15normal_iteratorINS8_10device_ptrIdEEEEPdd9plus_mod3IdEEE10hipError_tPvRmT1_T2_T3_mT4_P12ihipStream_tbEUlT_E1_NS1_11comp_targetILNS1_3genE10ELNS1_11target_archE1201ELNS1_3gpuE5ELNS1_3repE0EEENS1_30default_config_static_selectorELNS0_4arch9wavefront6targetE1EEEvSK_
                                        ; -- End function
	.set _ZN7rocprim17ROCPRIM_400000_NS6detail17trampoline_kernelINS0_14default_configENS1_22reduce_config_selectorIdEEZNS1_11reduce_implILb1ES3_N6thrust23THRUST_200600_302600_NS6detail15normal_iteratorINS8_10device_ptrIdEEEEPdd9plus_mod3IdEEE10hipError_tPvRmT1_T2_T3_mT4_P12ihipStream_tbEUlT_E1_NS1_11comp_targetILNS1_3genE10ELNS1_11target_archE1201ELNS1_3gpuE5ELNS1_3repE0EEENS1_30default_config_static_selectorELNS0_4arch9wavefront6targetE1EEEvSK_.num_vgpr, 0
	.set _ZN7rocprim17ROCPRIM_400000_NS6detail17trampoline_kernelINS0_14default_configENS1_22reduce_config_selectorIdEEZNS1_11reduce_implILb1ES3_N6thrust23THRUST_200600_302600_NS6detail15normal_iteratorINS8_10device_ptrIdEEEEPdd9plus_mod3IdEEE10hipError_tPvRmT1_T2_T3_mT4_P12ihipStream_tbEUlT_E1_NS1_11comp_targetILNS1_3genE10ELNS1_11target_archE1201ELNS1_3gpuE5ELNS1_3repE0EEENS1_30default_config_static_selectorELNS0_4arch9wavefront6targetE1EEEvSK_.num_agpr, 0
	.set _ZN7rocprim17ROCPRIM_400000_NS6detail17trampoline_kernelINS0_14default_configENS1_22reduce_config_selectorIdEEZNS1_11reduce_implILb1ES3_N6thrust23THRUST_200600_302600_NS6detail15normal_iteratorINS8_10device_ptrIdEEEEPdd9plus_mod3IdEEE10hipError_tPvRmT1_T2_T3_mT4_P12ihipStream_tbEUlT_E1_NS1_11comp_targetILNS1_3genE10ELNS1_11target_archE1201ELNS1_3gpuE5ELNS1_3repE0EEENS1_30default_config_static_selectorELNS0_4arch9wavefront6targetE1EEEvSK_.numbered_sgpr, 0
	.set _ZN7rocprim17ROCPRIM_400000_NS6detail17trampoline_kernelINS0_14default_configENS1_22reduce_config_selectorIdEEZNS1_11reduce_implILb1ES3_N6thrust23THRUST_200600_302600_NS6detail15normal_iteratorINS8_10device_ptrIdEEEEPdd9plus_mod3IdEEE10hipError_tPvRmT1_T2_T3_mT4_P12ihipStream_tbEUlT_E1_NS1_11comp_targetILNS1_3genE10ELNS1_11target_archE1201ELNS1_3gpuE5ELNS1_3repE0EEENS1_30default_config_static_selectorELNS0_4arch9wavefront6targetE1EEEvSK_.num_named_barrier, 0
	.set _ZN7rocprim17ROCPRIM_400000_NS6detail17trampoline_kernelINS0_14default_configENS1_22reduce_config_selectorIdEEZNS1_11reduce_implILb1ES3_N6thrust23THRUST_200600_302600_NS6detail15normal_iteratorINS8_10device_ptrIdEEEEPdd9plus_mod3IdEEE10hipError_tPvRmT1_T2_T3_mT4_P12ihipStream_tbEUlT_E1_NS1_11comp_targetILNS1_3genE10ELNS1_11target_archE1201ELNS1_3gpuE5ELNS1_3repE0EEENS1_30default_config_static_selectorELNS0_4arch9wavefront6targetE1EEEvSK_.private_seg_size, 0
	.set _ZN7rocprim17ROCPRIM_400000_NS6detail17trampoline_kernelINS0_14default_configENS1_22reduce_config_selectorIdEEZNS1_11reduce_implILb1ES3_N6thrust23THRUST_200600_302600_NS6detail15normal_iteratorINS8_10device_ptrIdEEEEPdd9plus_mod3IdEEE10hipError_tPvRmT1_T2_T3_mT4_P12ihipStream_tbEUlT_E1_NS1_11comp_targetILNS1_3genE10ELNS1_11target_archE1201ELNS1_3gpuE5ELNS1_3repE0EEENS1_30default_config_static_selectorELNS0_4arch9wavefront6targetE1EEEvSK_.uses_vcc, 0
	.set _ZN7rocprim17ROCPRIM_400000_NS6detail17trampoline_kernelINS0_14default_configENS1_22reduce_config_selectorIdEEZNS1_11reduce_implILb1ES3_N6thrust23THRUST_200600_302600_NS6detail15normal_iteratorINS8_10device_ptrIdEEEEPdd9plus_mod3IdEEE10hipError_tPvRmT1_T2_T3_mT4_P12ihipStream_tbEUlT_E1_NS1_11comp_targetILNS1_3genE10ELNS1_11target_archE1201ELNS1_3gpuE5ELNS1_3repE0EEENS1_30default_config_static_selectorELNS0_4arch9wavefront6targetE1EEEvSK_.uses_flat_scratch, 0
	.set _ZN7rocprim17ROCPRIM_400000_NS6detail17trampoline_kernelINS0_14default_configENS1_22reduce_config_selectorIdEEZNS1_11reduce_implILb1ES3_N6thrust23THRUST_200600_302600_NS6detail15normal_iteratorINS8_10device_ptrIdEEEEPdd9plus_mod3IdEEE10hipError_tPvRmT1_T2_T3_mT4_P12ihipStream_tbEUlT_E1_NS1_11comp_targetILNS1_3genE10ELNS1_11target_archE1201ELNS1_3gpuE5ELNS1_3repE0EEENS1_30default_config_static_selectorELNS0_4arch9wavefront6targetE1EEEvSK_.has_dyn_sized_stack, 0
	.set _ZN7rocprim17ROCPRIM_400000_NS6detail17trampoline_kernelINS0_14default_configENS1_22reduce_config_selectorIdEEZNS1_11reduce_implILb1ES3_N6thrust23THRUST_200600_302600_NS6detail15normal_iteratorINS8_10device_ptrIdEEEEPdd9plus_mod3IdEEE10hipError_tPvRmT1_T2_T3_mT4_P12ihipStream_tbEUlT_E1_NS1_11comp_targetILNS1_3genE10ELNS1_11target_archE1201ELNS1_3gpuE5ELNS1_3repE0EEENS1_30default_config_static_selectorELNS0_4arch9wavefront6targetE1EEEvSK_.has_recursion, 0
	.set _ZN7rocprim17ROCPRIM_400000_NS6detail17trampoline_kernelINS0_14default_configENS1_22reduce_config_selectorIdEEZNS1_11reduce_implILb1ES3_N6thrust23THRUST_200600_302600_NS6detail15normal_iteratorINS8_10device_ptrIdEEEEPdd9plus_mod3IdEEE10hipError_tPvRmT1_T2_T3_mT4_P12ihipStream_tbEUlT_E1_NS1_11comp_targetILNS1_3genE10ELNS1_11target_archE1201ELNS1_3gpuE5ELNS1_3repE0EEENS1_30default_config_static_selectorELNS0_4arch9wavefront6targetE1EEEvSK_.has_indirect_call, 0
	.section	.AMDGPU.csdata,"",@progbits
; Kernel info:
; codeLenInByte = 0
; TotalNumSgprs: 6
; NumVgprs: 0
; NumAgprs: 0
; TotalNumVgprs: 0
; ScratchSize: 0
; MemoryBound: 0
; FloatMode: 240
; IeeeMode: 1
; LDSByteSize: 0 bytes/workgroup (compile time only)
; SGPRBlocks: 0
; VGPRBlocks: 0
; NumSGPRsForWavesPerEU: 6
; NumVGPRsForWavesPerEU: 1
; AccumOffset: 4
; Occupancy: 8
; WaveLimiterHint : 0
; COMPUTE_PGM_RSRC2:SCRATCH_EN: 0
; COMPUTE_PGM_RSRC2:USER_SGPR: 2
; COMPUTE_PGM_RSRC2:TRAP_HANDLER: 0
; COMPUTE_PGM_RSRC2:TGID_X_EN: 1
; COMPUTE_PGM_RSRC2:TGID_Y_EN: 0
; COMPUTE_PGM_RSRC2:TGID_Z_EN: 0
; COMPUTE_PGM_RSRC2:TIDIG_COMP_CNT: 0
; COMPUTE_PGM_RSRC3_GFX90A:ACCUM_OFFSET: 0
; COMPUTE_PGM_RSRC3_GFX90A:TG_SPLIT: 0
	.section	.text._ZN7rocprim17ROCPRIM_400000_NS6detail17trampoline_kernelINS0_14default_configENS1_22reduce_config_selectorIdEEZNS1_11reduce_implILb1ES3_N6thrust23THRUST_200600_302600_NS6detail15normal_iteratorINS8_10device_ptrIdEEEEPdd9plus_mod3IdEEE10hipError_tPvRmT1_T2_T3_mT4_P12ihipStream_tbEUlT_E1_NS1_11comp_targetILNS1_3genE10ELNS1_11target_archE1200ELNS1_3gpuE4ELNS1_3repE0EEENS1_30default_config_static_selectorELNS0_4arch9wavefront6targetE1EEEvSK_,"axG",@progbits,_ZN7rocprim17ROCPRIM_400000_NS6detail17trampoline_kernelINS0_14default_configENS1_22reduce_config_selectorIdEEZNS1_11reduce_implILb1ES3_N6thrust23THRUST_200600_302600_NS6detail15normal_iteratorINS8_10device_ptrIdEEEEPdd9plus_mod3IdEEE10hipError_tPvRmT1_T2_T3_mT4_P12ihipStream_tbEUlT_E1_NS1_11comp_targetILNS1_3genE10ELNS1_11target_archE1200ELNS1_3gpuE4ELNS1_3repE0EEENS1_30default_config_static_selectorELNS0_4arch9wavefront6targetE1EEEvSK_,comdat
	.protected	_ZN7rocprim17ROCPRIM_400000_NS6detail17trampoline_kernelINS0_14default_configENS1_22reduce_config_selectorIdEEZNS1_11reduce_implILb1ES3_N6thrust23THRUST_200600_302600_NS6detail15normal_iteratorINS8_10device_ptrIdEEEEPdd9plus_mod3IdEEE10hipError_tPvRmT1_T2_T3_mT4_P12ihipStream_tbEUlT_E1_NS1_11comp_targetILNS1_3genE10ELNS1_11target_archE1200ELNS1_3gpuE4ELNS1_3repE0EEENS1_30default_config_static_selectorELNS0_4arch9wavefront6targetE1EEEvSK_ ; -- Begin function _ZN7rocprim17ROCPRIM_400000_NS6detail17trampoline_kernelINS0_14default_configENS1_22reduce_config_selectorIdEEZNS1_11reduce_implILb1ES3_N6thrust23THRUST_200600_302600_NS6detail15normal_iteratorINS8_10device_ptrIdEEEEPdd9plus_mod3IdEEE10hipError_tPvRmT1_T2_T3_mT4_P12ihipStream_tbEUlT_E1_NS1_11comp_targetILNS1_3genE10ELNS1_11target_archE1200ELNS1_3gpuE4ELNS1_3repE0EEENS1_30default_config_static_selectorELNS0_4arch9wavefront6targetE1EEEvSK_
	.globl	_ZN7rocprim17ROCPRIM_400000_NS6detail17trampoline_kernelINS0_14default_configENS1_22reduce_config_selectorIdEEZNS1_11reduce_implILb1ES3_N6thrust23THRUST_200600_302600_NS6detail15normal_iteratorINS8_10device_ptrIdEEEEPdd9plus_mod3IdEEE10hipError_tPvRmT1_T2_T3_mT4_P12ihipStream_tbEUlT_E1_NS1_11comp_targetILNS1_3genE10ELNS1_11target_archE1200ELNS1_3gpuE4ELNS1_3repE0EEENS1_30default_config_static_selectorELNS0_4arch9wavefront6targetE1EEEvSK_
	.p2align	8
	.type	_ZN7rocprim17ROCPRIM_400000_NS6detail17trampoline_kernelINS0_14default_configENS1_22reduce_config_selectorIdEEZNS1_11reduce_implILb1ES3_N6thrust23THRUST_200600_302600_NS6detail15normal_iteratorINS8_10device_ptrIdEEEEPdd9plus_mod3IdEEE10hipError_tPvRmT1_T2_T3_mT4_P12ihipStream_tbEUlT_E1_NS1_11comp_targetILNS1_3genE10ELNS1_11target_archE1200ELNS1_3gpuE4ELNS1_3repE0EEENS1_30default_config_static_selectorELNS0_4arch9wavefront6targetE1EEEvSK_,@function
_ZN7rocprim17ROCPRIM_400000_NS6detail17trampoline_kernelINS0_14default_configENS1_22reduce_config_selectorIdEEZNS1_11reduce_implILb1ES3_N6thrust23THRUST_200600_302600_NS6detail15normal_iteratorINS8_10device_ptrIdEEEEPdd9plus_mod3IdEEE10hipError_tPvRmT1_T2_T3_mT4_P12ihipStream_tbEUlT_E1_NS1_11comp_targetILNS1_3genE10ELNS1_11target_archE1200ELNS1_3gpuE4ELNS1_3repE0EEENS1_30default_config_static_selectorELNS0_4arch9wavefront6targetE1EEEvSK_: ; @_ZN7rocprim17ROCPRIM_400000_NS6detail17trampoline_kernelINS0_14default_configENS1_22reduce_config_selectorIdEEZNS1_11reduce_implILb1ES3_N6thrust23THRUST_200600_302600_NS6detail15normal_iteratorINS8_10device_ptrIdEEEEPdd9plus_mod3IdEEE10hipError_tPvRmT1_T2_T3_mT4_P12ihipStream_tbEUlT_E1_NS1_11comp_targetILNS1_3genE10ELNS1_11target_archE1200ELNS1_3gpuE4ELNS1_3repE0EEENS1_30default_config_static_selectorELNS0_4arch9wavefront6targetE1EEEvSK_
; %bb.0:
	.section	.rodata,"a",@progbits
	.p2align	6, 0x0
	.amdhsa_kernel _ZN7rocprim17ROCPRIM_400000_NS6detail17trampoline_kernelINS0_14default_configENS1_22reduce_config_selectorIdEEZNS1_11reduce_implILb1ES3_N6thrust23THRUST_200600_302600_NS6detail15normal_iteratorINS8_10device_ptrIdEEEEPdd9plus_mod3IdEEE10hipError_tPvRmT1_T2_T3_mT4_P12ihipStream_tbEUlT_E1_NS1_11comp_targetILNS1_3genE10ELNS1_11target_archE1200ELNS1_3gpuE4ELNS1_3repE0EEENS1_30default_config_static_selectorELNS0_4arch9wavefront6targetE1EEEvSK_
		.amdhsa_group_segment_fixed_size 0
		.amdhsa_private_segment_fixed_size 0
		.amdhsa_kernarg_size 48
		.amdhsa_user_sgpr_count 2
		.amdhsa_user_sgpr_dispatch_ptr 0
		.amdhsa_user_sgpr_queue_ptr 0
		.amdhsa_user_sgpr_kernarg_segment_ptr 1
		.amdhsa_user_sgpr_dispatch_id 0
		.amdhsa_user_sgpr_kernarg_preload_length 0
		.amdhsa_user_sgpr_kernarg_preload_offset 0
		.amdhsa_user_sgpr_private_segment_size 0
		.amdhsa_uses_dynamic_stack 0
		.amdhsa_enable_private_segment 0
		.amdhsa_system_sgpr_workgroup_id_x 1
		.amdhsa_system_sgpr_workgroup_id_y 0
		.amdhsa_system_sgpr_workgroup_id_z 0
		.amdhsa_system_sgpr_workgroup_info 0
		.amdhsa_system_vgpr_workitem_id 0
		.amdhsa_next_free_vgpr 1
		.amdhsa_next_free_sgpr 0
		.amdhsa_accum_offset 4
		.amdhsa_reserve_vcc 0
		.amdhsa_float_round_mode_32 0
		.amdhsa_float_round_mode_16_64 0
		.amdhsa_float_denorm_mode_32 3
		.amdhsa_float_denorm_mode_16_64 3
		.amdhsa_dx10_clamp 1
		.amdhsa_ieee_mode 1
		.amdhsa_fp16_overflow 0
		.amdhsa_tg_split 0
		.amdhsa_exception_fp_ieee_invalid_op 0
		.amdhsa_exception_fp_denorm_src 0
		.amdhsa_exception_fp_ieee_div_zero 0
		.amdhsa_exception_fp_ieee_overflow 0
		.amdhsa_exception_fp_ieee_underflow 0
		.amdhsa_exception_fp_ieee_inexact 0
		.amdhsa_exception_int_div_zero 0
	.end_amdhsa_kernel
	.section	.text._ZN7rocprim17ROCPRIM_400000_NS6detail17trampoline_kernelINS0_14default_configENS1_22reduce_config_selectorIdEEZNS1_11reduce_implILb1ES3_N6thrust23THRUST_200600_302600_NS6detail15normal_iteratorINS8_10device_ptrIdEEEEPdd9plus_mod3IdEEE10hipError_tPvRmT1_T2_T3_mT4_P12ihipStream_tbEUlT_E1_NS1_11comp_targetILNS1_3genE10ELNS1_11target_archE1200ELNS1_3gpuE4ELNS1_3repE0EEENS1_30default_config_static_selectorELNS0_4arch9wavefront6targetE1EEEvSK_,"axG",@progbits,_ZN7rocprim17ROCPRIM_400000_NS6detail17trampoline_kernelINS0_14default_configENS1_22reduce_config_selectorIdEEZNS1_11reduce_implILb1ES3_N6thrust23THRUST_200600_302600_NS6detail15normal_iteratorINS8_10device_ptrIdEEEEPdd9plus_mod3IdEEE10hipError_tPvRmT1_T2_T3_mT4_P12ihipStream_tbEUlT_E1_NS1_11comp_targetILNS1_3genE10ELNS1_11target_archE1200ELNS1_3gpuE4ELNS1_3repE0EEENS1_30default_config_static_selectorELNS0_4arch9wavefront6targetE1EEEvSK_,comdat
.Lfunc_end728:
	.size	_ZN7rocprim17ROCPRIM_400000_NS6detail17trampoline_kernelINS0_14default_configENS1_22reduce_config_selectorIdEEZNS1_11reduce_implILb1ES3_N6thrust23THRUST_200600_302600_NS6detail15normal_iteratorINS8_10device_ptrIdEEEEPdd9plus_mod3IdEEE10hipError_tPvRmT1_T2_T3_mT4_P12ihipStream_tbEUlT_E1_NS1_11comp_targetILNS1_3genE10ELNS1_11target_archE1200ELNS1_3gpuE4ELNS1_3repE0EEENS1_30default_config_static_selectorELNS0_4arch9wavefront6targetE1EEEvSK_, .Lfunc_end728-_ZN7rocprim17ROCPRIM_400000_NS6detail17trampoline_kernelINS0_14default_configENS1_22reduce_config_selectorIdEEZNS1_11reduce_implILb1ES3_N6thrust23THRUST_200600_302600_NS6detail15normal_iteratorINS8_10device_ptrIdEEEEPdd9plus_mod3IdEEE10hipError_tPvRmT1_T2_T3_mT4_P12ihipStream_tbEUlT_E1_NS1_11comp_targetILNS1_3genE10ELNS1_11target_archE1200ELNS1_3gpuE4ELNS1_3repE0EEENS1_30default_config_static_selectorELNS0_4arch9wavefront6targetE1EEEvSK_
                                        ; -- End function
	.set _ZN7rocprim17ROCPRIM_400000_NS6detail17trampoline_kernelINS0_14default_configENS1_22reduce_config_selectorIdEEZNS1_11reduce_implILb1ES3_N6thrust23THRUST_200600_302600_NS6detail15normal_iteratorINS8_10device_ptrIdEEEEPdd9plus_mod3IdEEE10hipError_tPvRmT1_T2_T3_mT4_P12ihipStream_tbEUlT_E1_NS1_11comp_targetILNS1_3genE10ELNS1_11target_archE1200ELNS1_3gpuE4ELNS1_3repE0EEENS1_30default_config_static_selectorELNS0_4arch9wavefront6targetE1EEEvSK_.num_vgpr, 0
	.set _ZN7rocprim17ROCPRIM_400000_NS6detail17trampoline_kernelINS0_14default_configENS1_22reduce_config_selectorIdEEZNS1_11reduce_implILb1ES3_N6thrust23THRUST_200600_302600_NS6detail15normal_iteratorINS8_10device_ptrIdEEEEPdd9plus_mod3IdEEE10hipError_tPvRmT1_T2_T3_mT4_P12ihipStream_tbEUlT_E1_NS1_11comp_targetILNS1_3genE10ELNS1_11target_archE1200ELNS1_3gpuE4ELNS1_3repE0EEENS1_30default_config_static_selectorELNS0_4arch9wavefront6targetE1EEEvSK_.num_agpr, 0
	.set _ZN7rocprim17ROCPRIM_400000_NS6detail17trampoline_kernelINS0_14default_configENS1_22reduce_config_selectorIdEEZNS1_11reduce_implILb1ES3_N6thrust23THRUST_200600_302600_NS6detail15normal_iteratorINS8_10device_ptrIdEEEEPdd9plus_mod3IdEEE10hipError_tPvRmT1_T2_T3_mT4_P12ihipStream_tbEUlT_E1_NS1_11comp_targetILNS1_3genE10ELNS1_11target_archE1200ELNS1_3gpuE4ELNS1_3repE0EEENS1_30default_config_static_selectorELNS0_4arch9wavefront6targetE1EEEvSK_.numbered_sgpr, 0
	.set _ZN7rocprim17ROCPRIM_400000_NS6detail17trampoline_kernelINS0_14default_configENS1_22reduce_config_selectorIdEEZNS1_11reduce_implILb1ES3_N6thrust23THRUST_200600_302600_NS6detail15normal_iteratorINS8_10device_ptrIdEEEEPdd9plus_mod3IdEEE10hipError_tPvRmT1_T2_T3_mT4_P12ihipStream_tbEUlT_E1_NS1_11comp_targetILNS1_3genE10ELNS1_11target_archE1200ELNS1_3gpuE4ELNS1_3repE0EEENS1_30default_config_static_selectorELNS0_4arch9wavefront6targetE1EEEvSK_.num_named_barrier, 0
	.set _ZN7rocprim17ROCPRIM_400000_NS6detail17trampoline_kernelINS0_14default_configENS1_22reduce_config_selectorIdEEZNS1_11reduce_implILb1ES3_N6thrust23THRUST_200600_302600_NS6detail15normal_iteratorINS8_10device_ptrIdEEEEPdd9plus_mod3IdEEE10hipError_tPvRmT1_T2_T3_mT4_P12ihipStream_tbEUlT_E1_NS1_11comp_targetILNS1_3genE10ELNS1_11target_archE1200ELNS1_3gpuE4ELNS1_3repE0EEENS1_30default_config_static_selectorELNS0_4arch9wavefront6targetE1EEEvSK_.private_seg_size, 0
	.set _ZN7rocprim17ROCPRIM_400000_NS6detail17trampoline_kernelINS0_14default_configENS1_22reduce_config_selectorIdEEZNS1_11reduce_implILb1ES3_N6thrust23THRUST_200600_302600_NS6detail15normal_iteratorINS8_10device_ptrIdEEEEPdd9plus_mod3IdEEE10hipError_tPvRmT1_T2_T3_mT4_P12ihipStream_tbEUlT_E1_NS1_11comp_targetILNS1_3genE10ELNS1_11target_archE1200ELNS1_3gpuE4ELNS1_3repE0EEENS1_30default_config_static_selectorELNS0_4arch9wavefront6targetE1EEEvSK_.uses_vcc, 0
	.set _ZN7rocprim17ROCPRIM_400000_NS6detail17trampoline_kernelINS0_14default_configENS1_22reduce_config_selectorIdEEZNS1_11reduce_implILb1ES3_N6thrust23THRUST_200600_302600_NS6detail15normal_iteratorINS8_10device_ptrIdEEEEPdd9plus_mod3IdEEE10hipError_tPvRmT1_T2_T3_mT4_P12ihipStream_tbEUlT_E1_NS1_11comp_targetILNS1_3genE10ELNS1_11target_archE1200ELNS1_3gpuE4ELNS1_3repE0EEENS1_30default_config_static_selectorELNS0_4arch9wavefront6targetE1EEEvSK_.uses_flat_scratch, 0
	.set _ZN7rocprim17ROCPRIM_400000_NS6detail17trampoline_kernelINS0_14default_configENS1_22reduce_config_selectorIdEEZNS1_11reduce_implILb1ES3_N6thrust23THRUST_200600_302600_NS6detail15normal_iteratorINS8_10device_ptrIdEEEEPdd9plus_mod3IdEEE10hipError_tPvRmT1_T2_T3_mT4_P12ihipStream_tbEUlT_E1_NS1_11comp_targetILNS1_3genE10ELNS1_11target_archE1200ELNS1_3gpuE4ELNS1_3repE0EEENS1_30default_config_static_selectorELNS0_4arch9wavefront6targetE1EEEvSK_.has_dyn_sized_stack, 0
	.set _ZN7rocprim17ROCPRIM_400000_NS6detail17trampoline_kernelINS0_14default_configENS1_22reduce_config_selectorIdEEZNS1_11reduce_implILb1ES3_N6thrust23THRUST_200600_302600_NS6detail15normal_iteratorINS8_10device_ptrIdEEEEPdd9plus_mod3IdEEE10hipError_tPvRmT1_T2_T3_mT4_P12ihipStream_tbEUlT_E1_NS1_11comp_targetILNS1_3genE10ELNS1_11target_archE1200ELNS1_3gpuE4ELNS1_3repE0EEENS1_30default_config_static_selectorELNS0_4arch9wavefront6targetE1EEEvSK_.has_recursion, 0
	.set _ZN7rocprim17ROCPRIM_400000_NS6detail17trampoline_kernelINS0_14default_configENS1_22reduce_config_selectorIdEEZNS1_11reduce_implILb1ES3_N6thrust23THRUST_200600_302600_NS6detail15normal_iteratorINS8_10device_ptrIdEEEEPdd9plus_mod3IdEEE10hipError_tPvRmT1_T2_T3_mT4_P12ihipStream_tbEUlT_E1_NS1_11comp_targetILNS1_3genE10ELNS1_11target_archE1200ELNS1_3gpuE4ELNS1_3repE0EEENS1_30default_config_static_selectorELNS0_4arch9wavefront6targetE1EEEvSK_.has_indirect_call, 0
	.section	.AMDGPU.csdata,"",@progbits
; Kernel info:
; codeLenInByte = 0
; TotalNumSgprs: 6
; NumVgprs: 0
; NumAgprs: 0
; TotalNumVgprs: 0
; ScratchSize: 0
; MemoryBound: 0
; FloatMode: 240
; IeeeMode: 1
; LDSByteSize: 0 bytes/workgroup (compile time only)
; SGPRBlocks: 0
; VGPRBlocks: 0
; NumSGPRsForWavesPerEU: 6
; NumVGPRsForWavesPerEU: 1
; AccumOffset: 4
; Occupancy: 8
; WaveLimiterHint : 0
; COMPUTE_PGM_RSRC2:SCRATCH_EN: 0
; COMPUTE_PGM_RSRC2:USER_SGPR: 2
; COMPUTE_PGM_RSRC2:TRAP_HANDLER: 0
; COMPUTE_PGM_RSRC2:TGID_X_EN: 1
; COMPUTE_PGM_RSRC2:TGID_Y_EN: 0
; COMPUTE_PGM_RSRC2:TGID_Z_EN: 0
; COMPUTE_PGM_RSRC2:TIDIG_COMP_CNT: 0
; COMPUTE_PGM_RSRC3_GFX90A:ACCUM_OFFSET: 0
; COMPUTE_PGM_RSRC3_GFX90A:TG_SPLIT: 0
	.section	.text._ZN7rocprim17ROCPRIM_400000_NS6detail17trampoline_kernelINS0_14default_configENS1_22reduce_config_selectorIdEEZNS1_11reduce_implILb1ES3_N6thrust23THRUST_200600_302600_NS6detail15normal_iteratorINS8_10device_ptrIdEEEEPdd9plus_mod3IdEEE10hipError_tPvRmT1_T2_T3_mT4_P12ihipStream_tbEUlT_E1_NS1_11comp_targetILNS1_3genE9ELNS1_11target_archE1100ELNS1_3gpuE3ELNS1_3repE0EEENS1_30default_config_static_selectorELNS0_4arch9wavefront6targetE1EEEvSK_,"axG",@progbits,_ZN7rocprim17ROCPRIM_400000_NS6detail17trampoline_kernelINS0_14default_configENS1_22reduce_config_selectorIdEEZNS1_11reduce_implILb1ES3_N6thrust23THRUST_200600_302600_NS6detail15normal_iteratorINS8_10device_ptrIdEEEEPdd9plus_mod3IdEEE10hipError_tPvRmT1_T2_T3_mT4_P12ihipStream_tbEUlT_E1_NS1_11comp_targetILNS1_3genE9ELNS1_11target_archE1100ELNS1_3gpuE3ELNS1_3repE0EEENS1_30default_config_static_selectorELNS0_4arch9wavefront6targetE1EEEvSK_,comdat
	.protected	_ZN7rocprim17ROCPRIM_400000_NS6detail17trampoline_kernelINS0_14default_configENS1_22reduce_config_selectorIdEEZNS1_11reduce_implILb1ES3_N6thrust23THRUST_200600_302600_NS6detail15normal_iteratorINS8_10device_ptrIdEEEEPdd9plus_mod3IdEEE10hipError_tPvRmT1_T2_T3_mT4_P12ihipStream_tbEUlT_E1_NS1_11comp_targetILNS1_3genE9ELNS1_11target_archE1100ELNS1_3gpuE3ELNS1_3repE0EEENS1_30default_config_static_selectorELNS0_4arch9wavefront6targetE1EEEvSK_ ; -- Begin function _ZN7rocprim17ROCPRIM_400000_NS6detail17trampoline_kernelINS0_14default_configENS1_22reduce_config_selectorIdEEZNS1_11reduce_implILb1ES3_N6thrust23THRUST_200600_302600_NS6detail15normal_iteratorINS8_10device_ptrIdEEEEPdd9plus_mod3IdEEE10hipError_tPvRmT1_T2_T3_mT4_P12ihipStream_tbEUlT_E1_NS1_11comp_targetILNS1_3genE9ELNS1_11target_archE1100ELNS1_3gpuE3ELNS1_3repE0EEENS1_30default_config_static_selectorELNS0_4arch9wavefront6targetE1EEEvSK_
	.globl	_ZN7rocprim17ROCPRIM_400000_NS6detail17trampoline_kernelINS0_14default_configENS1_22reduce_config_selectorIdEEZNS1_11reduce_implILb1ES3_N6thrust23THRUST_200600_302600_NS6detail15normal_iteratorINS8_10device_ptrIdEEEEPdd9plus_mod3IdEEE10hipError_tPvRmT1_T2_T3_mT4_P12ihipStream_tbEUlT_E1_NS1_11comp_targetILNS1_3genE9ELNS1_11target_archE1100ELNS1_3gpuE3ELNS1_3repE0EEENS1_30default_config_static_selectorELNS0_4arch9wavefront6targetE1EEEvSK_
	.p2align	8
	.type	_ZN7rocprim17ROCPRIM_400000_NS6detail17trampoline_kernelINS0_14default_configENS1_22reduce_config_selectorIdEEZNS1_11reduce_implILb1ES3_N6thrust23THRUST_200600_302600_NS6detail15normal_iteratorINS8_10device_ptrIdEEEEPdd9plus_mod3IdEEE10hipError_tPvRmT1_T2_T3_mT4_P12ihipStream_tbEUlT_E1_NS1_11comp_targetILNS1_3genE9ELNS1_11target_archE1100ELNS1_3gpuE3ELNS1_3repE0EEENS1_30default_config_static_selectorELNS0_4arch9wavefront6targetE1EEEvSK_,@function
_ZN7rocprim17ROCPRIM_400000_NS6detail17trampoline_kernelINS0_14default_configENS1_22reduce_config_selectorIdEEZNS1_11reduce_implILb1ES3_N6thrust23THRUST_200600_302600_NS6detail15normal_iteratorINS8_10device_ptrIdEEEEPdd9plus_mod3IdEEE10hipError_tPvRmT1_T2_T3_mT4_P12ihipStream_tbEUlT_E1_NS1_11comp_targetILNS1_3genE9ELNS1_11target_archE1100ELNS1_3gpuE3ELNS1_3repE0EEENS1_30default_config_static_selectorELNS0_4arch9wavefront6targetE1EEEvSK_: ; @_ZN7rocprim17ROCPRIM_400000_NS6detail17trampoline_kernelINS0_14default_configENS1_22reduce_config_selectorIdEEZNS1_11reduce_implILb1ES3_N6thrust23THRUST_200600_302600_NS6detail15normal_iteratorINS8_10device_ptrIdEEEEPdd9plus_mod3IdEEE10hipError_tPvRmT1_T2_T3_mT4_P12ihipStream_tbEUlT_E1_NS1_11comp_targetILNS1_3genE9ELNS1_11target_archE1100ELNS1_3gpuE3ELNS1_3repE0EEENS1_30default_config_static_selectorELNS0_4arch9wavefront6targetE1EEEvSK_
; %bb.0:
	.section	.rodata,"a",@progbits
	.p2align	6, 0x0
	.amdhsa_kernel _ZN7rocprim17ROCPRIM_400000_NS6detail17trampoline_kernelINS0_14default_configENS1_22reduce_config_selectorIdEEZNS1_11reduce_implILb1ES3_N6thrust23THRUST_200600_302600_NS6detail15normal_iteratorINS8_10device_ptrIdEEEEPdd9plus_mod3IdEEE10hipError_tPvRmT1_T2_T3_mT4_P12ihipStream_tbEUlT_E1_NS1_11comp_targetILNS1_3genE9ELNS1_11target_archE1100ELNS1_3gpuE3ELNS1_3repE0EEENS1_30default_config_static_selectorELNS0_4arch9wavefront6targetE1EEEvSK_
		.amdhsa_group_segment_fixed_size 0
		.amdhsa_private_segment_fixed_size 0
		.amdhsa_kernarg_size 48
		.amdhsa_user_sgpr_count 2
		.amdhsa_user_sgpr_dispatch_ptr 0
		.amdhsa_user_sgpr_queue_ptr 0
		.amdhsa_user_sgpr_kernarg_segment_ptr 1
		.amdhsa_user_sgpr_dispatch_id 0
		.amdhsa_user_sgpr_kernarg_preload_length 0
		.amdhsa_user_sgpr_kernarg_preload_offset 0
		.amdhsa_user_sgpr_private_segment_size 0
		.amdhsa_uses_dynamic_stack 0
		.amdhsa_enable_private_segment 0
		.amdhsa_system_sgpr_workgroup_id_x 1
		.amdhsa_system_sgpr_workgroup_id_y 0
		.amdhsa_system_sgpr_workgroup_id_z 0
		.amdhsa_system_sgpr_workgroup_info 0
		.amdhsa_system_vgpr_workitem_id 0
		.amdhsa_next_free_vgpr 1
		.amdhsa_next_free_sgpr 0
		.amdhsa_accum_offset 4
		.amdhsa_reserve_vcc 0
		.amdhsa_float_round_mode_32 0
		.amdhsa_float_round_mode_16_64 0
		.amdhsa_float_denorm_mode_32 3
		.amdhsa_float_denorm_mode_16_64 3
		.amdhsa_dx10_clamp 1
		.amdhsa_ieee_mode 1
		.amdhsa_fp16_overflow 0
		.amdhsa_tg_split 0
		.amdhsa_exception_fp_ieee_invalid_op 0
		.amdhsa_exception_fp_denorm_src 0
		.amdhsa_exception_fp_ieee_div_zero 0
		.amdhsa_exception_fp_ieee_overflow 0
		.amdhsa_exception_fp_ieee_underflow 0
		.amdhsa_exception_fp_ieee_inexact 0
		.amdhsa_exception_int_div_zero 0
	.end_amdhsa_kernel
	.section	.text._ZN7rocprim17ROCPRIM_400000_NS6detail17trampoline_kernelINS0_14default_configENS1_22reduce_config_selectorIdEEZNS1_11reduce_implILb1ES3_N6thrust23THRUST_200600_302600_NS6detail15normal_iteratorINS8_10device_ptrIdEEEEPdd9plus_mod3IdEEE10hipError_tPvRmT1_T2_T3_mT4_P12ihipStream_tbEUlT_E1_NS1_11comp_targetILNS1_3genE9ELNS1_11target_archE1100ELNS1_3gpuE3ELNS1_3repE0EEENS1_30default_config_static_selectorELNS0_4arch9wavefront6targetE1EEEvSK_,"axG",@progbits,_ZN7rocprim17ROCPRIM_400000_NS6detail17trampoline_kernelINS0_14default_configENS1_22reduce_config_selectorIdEEZNS1_11reduce_implILb1ES3_N6thrust23THRUST_200600_302600_NS6detail15normal_iteratorINS8_10device_ptrIdEEEEPdd9plus_mod3IdEEE10hipError_tPvRmT1_T2_T3_mT4_P12ihipStream_tbEUlT_E1_NS1_11comp_targetILNS1_3genE9ELNS1_11target_archE1100ELNS1_3gpuE3ELNS1_3repE0EEENS1_30default_config_static_selectorELNS0_4arch9wavefront6targetE1EEEvSK_,comdat
.Lfunc_end729:
	.size	_ZN7rocprim17ROCPRIM_400000_NS6detail17trampoline_kernelINS0_14default_configENS1_22reduce_config_selectorIdEEZNS1_11reduce_implILb1ES3_N6thrust23THRUST_200600_302600_NS6detail15normal_iteratorINS8_10device_ptrIdEEEEPdd9plus_mod3IdEEE10hipError_tPvRmT1_T2_T3_mT4_P12ihipStream_tbEUlT_E1_NS1_11comp_targetILNS1_3genE9ELNS1_11target_archE1100ELNS1_3gpuE3ELNS1_3repE0EEENS1_30default_config_static_selectorELNS0_4arch9wavefront6targetE1EEEvSK_, .Lfunc_end729-_ZN7rocprim17ROCPRIM_400000_NS6detail17trampoline_kernelINS0_14default_configENS1_22reduce_config_selectorIdEEZNS1_11reduce_implILb1ES3_N6thrust23THRUST_200600_302600_NS6detail15normal_iteratorINS8_10device_ptrIdEEEEPdd9plus_mod3IdEEE10hipError_tPvRmT1_T2_T3_mT4_P12ihipStream_tbEUlT_E1_NS1_11comp_targetILNS1_3genE9ELNS1_11target_archE1100ELNS1_3gpuE3ELNS1_3repE0EEENS1_30default_config_static_selectorELNS0_4arch9wavefront6targetE1EEEvSK_
                                        ; -- End function
	.set _ZN7rocprim17ROCPRIM_400000_NS6detail17trampoline_kernelINS0_14default_configENS1_22reduce_config_selectorIdEEZNS1_11reduce_implILb1ES3_N6thrust23THRUST_200600_302600_NS6detail15normal_iteratorINS8_10device_ptrIdEEEEPdd9plus_mod3IdEEE10hipError_tPvRmT1_T2_T3_mT4_P12ihipStream_tbEUlT_E1_NS1_11comp_targetILNS1_3genE9ELNS1_11target_archE1100ELNS1_3gpuE3ELNS1_3repE0EEENS1_30default_config_static_selectorELNS0_4arch9wavefront6targetE1EEEvSK_.num_vgpr, 0
	.set _ZN7rocprim17ROCPRIM_400000_NS6detail17trampoline_kernelINS0_14default_configENS1_22reduce_config_selectorIdEEZNS1_11reduce_implILb1ES3_N6thrust23THRUST_200600_302600_NS6detail15normal_iteratorINS8_10device_ptrIdEEEEPdd9plus_mod3IdEEE10hipError_tPvRmT1_T2_T3_mT4_P12ihipStream_tbEUlT_E1_NS1_11comp_targetILNS1_3genE9ELNS1_11target_archE1100ELNS1_3gpuE3ELNS1_3repE0EEENS1_30default_config_static_selectorELNS0_4arch9wavefront6targetE1EEEvSK_.num_agpr, 0
	.set _ZN7rocprim17ROCPRIM_400000_NS6detail17trampoline_kernelINS0_14default_configENS1_22reduce_config_selectorIdEEZNS1_11reduce_implILb1ES3_N6thrust23THRUST_200600_302600_NS6detail15normal_iteratorINS8_10device_ptrIdEEEEPdd9plus_mod3IdEEE10hipError_tPvRmT1_T2_T3_mT4_P12ihipStream_tbEUlT_E1_NS1_11comp_targetILNS1_3genE9ELNS1_11target_archE1100ELNS1_3gpuE3ELNS1_3repE0EEENS1_30default_config_static_selectorELNS0_4arch9wavefront6targetE1EEEvSK_.numbered_sgpr, 0
	.set _ZN7rocprim17ROCPRIM_400000_NS6detail17trampoline_kernelINS0_14default_configENS1_22reduce_config_selectorIdEEZNS1_11reduce_implILb1ES3_N6thrust23THRUST_200600_302600_NS6detail15normal_iteratorINS8_10device_ptrIdEEEEPdd9plus_mod3IdEEE10hipError_tPvRmT1_T2_T3_mT4_P12ihipStream_tbEUlT_E1_NS1_11comp_targetILNS1_3genE9ELNS1_11target_archE1100ELNS1_3gpuE3ELNS1_3repE0EEENS1_30default_config_static_selectorELNS0_4arch9wavefront6targetE1EEEvSK_.num_named_barrier, 0
	.set _ZN7rocprim17ROCPRIM_400000_NS6detail17trampoline_kernelINS0_14default_configENS1_22reduce_config_selectorIdEEZNS1_11reduce_implILb1ES3_N6thrust23THRUST_200600_302600_NS6detail15normal_iteratorINS8_10device_ptrIdEEEEPdd9plus_mod3IdEEE10hipError_tPvRmT1_T2_T3_mT4_P12ihipStream_tbEUlT_E1_NS1_11comp_targetILNS1_3genE9ELNS1_11target_archE1100ELNS1_3gpuE3ELNS1_3repE0EEENS1_30default_config_static_selectorELNS0_4arch9wavefront6targetE1EEEvSK_.private_seg_size, 0
	.set _ZN7rocprim17ROCPRIM_400000_NS6detail17trampoline_kernelINS0_14default_configENS1_22reduce_config_selectorIdEEZNS1_11reduce_implILb1ES3_N6thrust23THRUST_200600_302600_NS6detail15normal_iteratorINS8_10device_ptrIdEEEEPdd9plus_mod3IdEEE10hipError_tPvRmT1_T2_T3_mT4_P12ihipStream_tbEUlT_E1_NS1_11comp_targetILNS1_3genE9ELNS1_11target_archE1100ELNS1_3gpuE3ELNS1_3repE0EEENS1_30default_config_static_selectorELNS0_4arch9wavefront6targetE1EEEvSK_.uses_vcc, 0
	.set _ZN7rocprim17ROCPRIM_400000_NS6detail17trampoline_kernelINS0_14default_configENS1_22reduce_config_selectorIdEEZNS1_11reduce_implILb1ES3_N6thrust23THRUST_200600_302600_NS6detail15normal_iteratorINS8_10device_ptrIdEEEEPdd9plus_mod3IdEEE10hipError_tPvRmT1_T2_T3_mT4_P12ihipStream_tbEUlT_E1_NS1_11comp_targetILNS1_3genE9ELNS1_11target_archE1100ELNS1_3gpuE3ELNS1_3repE0EEENS1_30default_config_static_selectorELNS0_4arch9wavefront6targetE1EEEvSK_.uses_flat_scratch, 0
	.set _ZN7rocprim17ROCPRIM_400000_NS6detail17trampoline_kernelINS0_14default_configENS1_22reduce_config_selectorIdEEZNS1_11reduce_implILb1ES3_N6thrust23THRUST_200600_302600_NS6detail15normal_iteratorINS8_10device_ptrIdEEEEPdd9plus_mod3IdEEE10hipError_tPvRmT1_T2_T3_mT4_P12ihipStream_tbEUlT_E1_NS1_11comp_targetILNS1_3genE9ELNS1_11target_archE1100ELNS1_3gpuE3ELNS1_3repE0EEENS1_30default_config_static_selectorELNS0_4arch9wavefront6targetE1EEEvSK_.has_dyn_sized_stack, 0
	.set _ZN7rocprim17ROCPRIM_400000_NS6detail17trampoline_kernelINS0_14default_configENS1_22reduce_config_selectorIdEEZNS1_11reduce_implILb1ES3_N6thrust23THRUST_200600_302600_NS6detail15normal_iteratorINS8_10device_ptrIdEEEEPdd9plus_mod3IdEEE10hipError_tPvRmT1_T2_T3_mT4_P12ihipStream_tbEUlT_E1_NS1_11comp_targetILNS1_3genE9ELNS1_11target_archE1100ELNS1_3gpuE3ELNS1_3repE0EEENS1_30default_config_static_selectorELNS0_4arch9wavefront6targetE1EEEvSK_.has_recursion, 0
	.set _ZN7rocprim17ROCPRIM_400000_NS6detail17trampoline_kernelINS0_14default_configENS1_22reduce_config_selectorIdEEZNS1_11reduce_implILb1ES3_N6thrust23THRUST_200600_302600_NS6detail15normal_iteratorINS8_10device_ptrIdEEEEPdd9plus_mod3IdEEE10hipError_tPvRmT1_T2_T3_mT4_P12ihipStream_tbEUlT_E1_NS1_11comp_targetILNS1_3genE9ELNS1_11target_archE1100ELNS1_3gpuE3ELNS1_3repE0EEENS1_30default_config_static_selectorELNS0_4arch9wavefront6targetE1EEEvSK_.has_indirect_call, 0
	.section	.AMDGPU.csdata,"",@progbits
; Kernel info:
; codeLenInByte = 0
; TotalNumSgprs: 6
; NumVgprs: 0
; NumAgprs: 0
; TotalNumVgprs: 0
; ScratchSize: 0
; MemoryBound: 0
; FloatMode: 240
; IeeeMode: 1
; LDSByteSize: 0 bytes/workgroup (compile time only)
; SGPRBlocks: 0
; VGPRBlocks: 0
; NumSGPRsForWavesPerEU: 6
; NumVGPRsForWavesPerEU: 1
; AccumOffset: 4
; Occupancy: 8
; WaveLimiterHint : 0
; COMPUTE_PGM_RSRC2:SCRATCH_EN: 0
; COMPUTE_PGM_RSRC2:USER_SGPR: 2
; COMPUTE_PGM_RSRC2:TRAP_HANDLER: 0
; COMPUTE_PGM_RSRC2:TGID_X_EN: 1
; COMPUTE_PGM_RSRC2:TGID_Y_EN: 0
; COMPUTE_PGM_RSRC2:TGID_Z_EN: 0
; COMPUTE_PGM_RSRC2:TIDIG_COMP_CNT: 0
; COMPUTE_PGM_RSRC3_GFX90A:ACCUM_OFFSET: 0
; COMPUTE_PGM_RSRC3_GFX90A:TG_SPLIT: 0
	.section	.text._ZN7rocprim17ROCPRIM_400000_NS6detail17trampoline_kernelINS0_14default_configENS1_22reduce_config_selectorIdEEZNS1_11reduce_implILb1ES3_N6thrust23THRUST_200600_302600_NS6detail15normal_iteratorINS8_10device_ptrIdEEEEPdd9plus_mod3IdEEE10hipError_tPvRmT1_T2_T3_mT4_P12ihipStream_tbEUlT_E1_NS1_11comp_targetILNS1_3genE8ELNS1_11target_archE1030ELNS1_3gpuE2ELNS1_3repE0EEENS1_30default_config_static_selectorELNS0_4arch9wavefront6targetE1EEEvSK_,"axG",@progbits,_ZN7rocprim17ROCPRIM_400000_NS6detail17trampoline_kernelINS0_14default_configENS1_22reduce_config_selectorIdEEZNS1_11reduce_implILb1ES3_N6thrust23THRUST_200600_302600_NS6detail15normal_iteratorINS8_10device_ptrIdEEEEPdd9plus_mod3IdEEE10hipError_tPvRmT1_T2_T3_mT4_P12ihipStream_tbEUlT_E1_NS1_11comp_targetILNS1_3genE8ELNS1_11target_archE1030ELNS1_3gpuE2ELNS1_3repE0EEENS1_30default_config_static_selectorELNS0_4arch9wavefront6targetE1EEEvSK_,comdat
	.protected	_ZN7rocprim17ROCPRIM_400000_NS6detail17trampoline_kernelINS0_14default_configENS1_22reduce_config_selectorIdEEZNS1_11reduce_implILb1ES3_N6thrust23THRUST_200600_302600_NS6detail15normal_iteratorINS8_10device_ptrIdEEEEPdd9plus_mod3IdEEE10hipError_tPvRmT1_T2_T3_mT4_P12ihipStream_tbEUlT_E1_NS1_11comp_targetILNS1_3genE8ELNS1_11target_archE1030ELNS1_3gpuE2ELNS1_3repE0EEENS1_30default_config_static_selectorELNS0_4arch9wavefront6targetE1EEEvSK_ ; -- Begin function _ZN7rocprim17ROCPRIM_400000_NS6detail17trampoline_kernelINS0_14default_configENS1_22reduce_config_selectorIdEEZNS1_11reduce_implILb1ES3_N6thrust23THRUST_200600_302600_NS6detail15normal_iteratorINS8_10device_ptrIdEEEEPdd9plus_mod3IdEEE10hipError_tPvRmT1_T2_T3_mT4_P12ihipStream_tbEUlT_E1_NS1_11comp_targetILNS1_3genE8ELNS1_11target_archE1030ELNS1_3gpuE2ELNS1_3repE0EEENS1_30default_config_static_selectorELNS0_4arch9wavefront6targetE1EEEvSK_
	.globl	_ZN7rocprim17ROCPRIM_400000_NS6detail17trampoline_kernelINS0_14default_configENS1_22reduce_config_selectorIdEEZNS1_11reduce_implILb1ES3_N6thrust23THRUST_200600_302600_NS6detail15normal_iteratorINS8_10device_ptrIdEEEEPdd9plus_mod3IdEEE10hipError_tPvRmT1_T2_T3_mT4_P12ihipStream_tbEUlT_E1_NS1_11comp_targetILNS1_3genE8ELNS1_11target_archE1030ELNS1_3gpuE2ELNS1_3repE0EEENS1_30default_config_static_selectorELNS0_4arch9wavefront6targetE1EEEvSK_
	.p2align	8
	.type	_ZN7rocprim17ROCPRIM_400000_NS6detail17trampoline_kernelINS0_14default_configENS1_22reduce_config_selectorIdEEZNS1_11reduce_implILb1ES3_N6thrust23THRUST_200600_302600_NS6detail15normal_iteratorINS8_10device_ptrIdEEEEPdd9plus_mod3IdEEE10hipError_tPvRmT1_T2_T3_mT4_P12ihipStream_tbEUlT_E1_NS1_11comp_targetILNS1_3genE8ELNS1_11target_archE1030ELNS1_3gpuE2ELNS1_3repE0EEENS1_30default_config_static_selectorELNS0_4arch9wavefront6targetE1EEEvSK_,@function
_ZN7rocprim17ROCPRIM_400000_NS6detail17trampoline_kernelINS0_14default_configENS1_22reduce_config_selectorIdEEZNS1_11reduce_implILb1ES3_N6thrust23THRUST_200600_302600_NS6detail15normal_iteratorINS8_10device_ptrIdEEEEPdd9plus_mod3IdEEE10hipError_tPvRmT1_T2_T3_mT4_P12ihipStream_tbEUlT_E1_NS1_11comp_targetILNS1_3genE8ELNS1_11target_archE1030ELNS1_3gpuE2ELNS1_3repE0EEENS1_30default_config_static_selectorELNS0_4arch9wavefront6targetE1EEEvSK_: ; @_ZN7rocprim17ROCPRIM_400000_NS6detail17trampoline_kernelINS0_14default_configENS1_22reduce_config_selectorIdEEZNS1_11reduce_implILb1ES3_N6thrust23THRUST_200600_302600_NS6detail15normal_iteratorINS8_10device_ptrIdEEEEPdd9plus_mod3IdEEE10hipError_tPvRmT1_T2_T3_mT4_P12ihipStream_tbEUlT_E1_NS1_11comp_targetILNS1_3genE8ELNS1_11target_archE1030ELNS1_3gpuE2ELNS1_3repE0EEENS1_30default_config_static_selectorELNS0_4arch9wavefront6targetE1EEEvSK_
; %bb.0:
	.section	.rodata,"a",@progbits
	.p2align	6, 0x0
	.amdhsa_kernel _ZN7rocprim17ROCPRIM_400000_NS6detail17trampoline_kernelINS0_14default_configENS1_22reduce_config_selectorIdEEZNS1_11reduce_implILb1ES3_N6thrust23THRUST_200600_302600_NS6detail15normal_iteratorINS8_10device_ptrIdEEEEPdd9plus_mod3IdEEE10hipError_tPvRmT1_T2_T3_mT4_P12ihipStream_tbEUlT_E1_NS1_11comp_targetILNS1_3genE8ELNS1_11target_archE1030ELNS1_3gpuE2ELNS1_3repE0EEENS1_30default_config_static_selectorELNS0_4arch9wavefront6targetE1EEEvSK_
		.amdhsa_group_segment_fixed_size 0
		.amdhsa_private_segment_fixed_size 0
		.amdhsa_kernarg_size 48
		.amdhsa_user_sgpr_count 2
		.amdhsa_user_sgpr_dispatch_ptr 0
		.amdhsa_user_sgpr_queue_ptr 0
		.amdhsa_user_sgpr_kernarg_segment_ptr 1
		.amdhsa_user_sgpr_dispatch_id 0
		.amdhsa_user_sgpr_kernarg_preload_length 0
		.amdhsa_user_sgpr_kernarg_preload_offset 0
		.amdhsa_user_sgpr_private_segment_size 0
		.amdhsa_uses_dynamic_stack 0
		.amdhsa_enable_private_segment 0
		.amdhsa_system_sgpr_workgroup_id_x 1
		.amdhsa_system_sgpr_workgroup_id_y 0
		.amdhsa_system_sgpr_workgroup_id_z 0
		.amdhsa_system_sgpr_workgroup_info 0
		.amdhsa_system_vgpr_workitem_id 0
		.amdhsa_next_free_vgpr 1
		.amdhsa_next_free_sgpr 0
		.amdhsa_accum_offset 4
		.amdhsa_reserve_vcc 0
		.amdhsa_float_round_mode_32 0
		.amdhsa_float_round_mode_16_64 0
		.amdhsa_float_denorm_mode_32 3
		.amdhsa_float_denorm_mode_16_64 3
		.amdhsa_dx10_clamp 1
		.amdhsa_ieee_mode 1
		.amdhsa_fp16_overflow 0
		.amdhsa_tg_split 0
		.amdhsa_exception_fp_ieee_invalid_op 0
		.amdhsa_exception_fp_denorm_src 0
		.amdhsa_exception_fp_ieee_div_zero 0
		.amdhsa_exception_fp_ieee_overflow 0
		.amdhsa_exception_fp_ieee_underflow 0
		.amdhsa_exception_fp_ieee_inexact 0
		.amdhsa_exception_int_div_zero 0
	.end_amdhsa_kernel
	.section	.text._ZN7rocprim17ROCPRIM_400000_NS6detail17trampoline_kernelINS0_14default_configENS1_22reduce_config_selectorIdEEZNS1_11reduce_implILb1ES3_N6thrust23THRUST_200600_302600_NS6detail15normal_iteratorINS8_10device_ptrIdEEEEPdd9plus_mod3IdEEE10hipError_tPvRmT1_T2_T3_mT4_P12ihipStream_tbEUlT_E1_NS1_11comp_targetILNS1_3genE8ELNS1_11target_archE1030ELNS1_3gpuE2ELNS1_3repE0EEENS1_30default_config_static_selectorELNS0_4arch9wavefront6targetE1EEEvSK_,"axG",@progbits,_ZN7rocprim17ROCPRIM_400000_NS6detail17trampoline_kernelINS0_14default_configENS1_22reduce_config_selectorIdEEZNS1_11reduce_implILb1ES3_N6thrust23THRUST_200600_302600_NS6detail15normal_iteratorINS8_10device_ptrIdEEEEPdd9plus_mod3IdEEE10hipError_tPvRmT1_T2_T3_mT4_P12ihipStream_tbEUlT_E1_NS1_11comp_targetILNS1_3genE8ELNS1_11target_archE1030ELNS1_3gpuE2ELNS1_3repE0EEENS1_30default_config_static_selectorELNS0_4arch9wavefront6targetE1EEEvSK_,comdat
.Lfunc_end730:
	.size	_ZN7rocprim17ROCPRIM_400000_NS6detail17trampoline_kernelINS0_14default_configENS1_22reduce_config_selectorIdEEZNS1_11reduce_implILb1ES3_N6thrust23THRUST_200600_302600_NS6detail15normal_iteratorINS8_10device_ptrIdEEEEPdd9plus_mod3IdEEE10hipError_tPvRmT1_T2_T3_mT4_P12ihipStream_tbEUlT_E1_NS1_11comp_targetILNS1_3genE8ELNS1_11target_archE1030ELNS1_3gpuE2ELNS1_3repE0EEENS1_30default_config_static_selectorELNS0_4arch9wavefront6targetE1EEEvSK_, .Lfunc_end730-_ZN7rocprim17ROCPRIM_400000_NS6detail17trampoline_kernelINS0_14default_configENS1_22reduce_config_selectorIdEEZNS1_11reduce_implILb1ES3_N6thrust23THRUST_200600_302600_NS6detail15normal_iteratorINS8_10device_ptrIdEEEEPdd9plus_mod3IdEEE10hipError_tPvRmT1_T2_T3_mT4_P12ihipStream_tbEUlT_E1_NS1_11comp_targetILNS1_3genE8ELNS1_11target_archE1030ELNS1_3gpuE2ELNS1_3repE0EEENS1_30default_config_static_selectorELNS0_4arch9wavefront6targetE1EEEvSK_
                                        ; -- End function
	.set _ZN7rocprim17ROCPRIM_400000_NS6detail17trampoline_kernelINS0_14default_configENS1_22reduce_config_selectorIdEEZNS1_11reduce_implILb1ES3_N6thrust23THRUST_200600_302600_NS6detail15normal_iteratorINS8_10device_ptrIdEEEEPdd9plus_mod3IdEEE10hipError_tPvRmT1_T2_T3_mT4_P12ihipStream_tbEUlT_E1_NS1_11comp_targetILNS1_3genE8ELNS1_11target_archE1030ELNS1_3gpuE2ELNS1_3repE0EEENS1_30default_config_static_selectorELNS0_4arch9wavefront6targetE1EEEvSK_.num_vgpr, 0
	.set _ZN7rocprim17ROCPRIM_400000_NS6detail17trampoline_kernelINS0_14default_configENS1_22reduce_config_selectorIdEEZNS1_11reduce_implILb1ES3_N6thrust23THRUST_200600_302600_NS6detail15normal_iteratorINS8_10device_ptrIdEEEEPdd9plus_mod3IdEEE10hipError_tPvRmT1_T2_T3_mT4_P12ihipStream_tbEUlT_E1_NS1_11comp_targetILNS1_3genE8ELNS1_11target_archE1030ELNS1_3gpuE2ELNS1_3repE0EEENS1_30default_config_static_selectorELNS0_4arch9wavefront6targetE1EEEvSK_.num_agpr, 0
	.set _ZN7rocprim17ROCPRIM_400000_NS6detail17trampoline_kernelINS0_14default_configENS1_22reduce_config_selectorIdEEZNS1_11reduce_implILb1ES3_N6thrust23THRUST_200600_302600_NS6detail15normal_iteratorINS8_10device_ptrIdEEEEPdd9plus_mod3IdEEE10hipError_tPvRmT1_T2_T3_mT4_P12ihipStream_tbEUlT_E1_NS1_11comp_targetILNS1_3genE8ELNS1_11target_archE1030ELNS1_3gpuE2ELNS1_3repE0EEENS1_30default_config_static_selectorELNS0_4arch9wavefront6targetE1EEEvSK_.numbered_sgpr, 0
	.set _ZN7rocprim17ROCPRIM_400000_NS6detail17trampoline_kernelINS0_14default_configENS1_22reduce_config_selectorIdEEZNS1_11reduce_implILb1ES3_N6thrust23THRUST_200600_302600_NS6detail15normal_iteratorINS8_10device_ptrIdEEEEPdd9plus_mod3IdEEE10hipError_tPvRmT1_T2_T3_mT4_P12ihipStream_tbEUlT_E1_NS1_11comp_targetILNS1_3genE8ELNS1_11target_archE1030ELNS1_3gpuE2ELNS1_3repE0EEENS1_30default_config_static_selectorELNS0_4arch9wavefront6targetE1EEEvSK_.num_named_barrier, 0
	.set _ZN7rocprim17ROCPRIM_400000_NS6detail17trampoline_kernelINS0_14default_configENS1_22reduce_config_selectorIdEEZNS1_11reduce_implILb1ES3_N6thrust23THRUST_200600_302600_NS6detail15normal_iteratorINS8_10device_ptrIdEEEEPdd9plus_mod3IdEEE10hipError_tPvRmT1_T2_T3_mT4_P12ihipStream_tbEUlT_E1_NS1_11comp_targetILNS1_3genE8ELNS1_11target_archE1030ELNS1_3gpuE2ELNS1_3repE0EEENS1_30default_config_static_selectorELNS0_4arch9wavefront6targetE1EEEvSK_.private_seg_size, 0
	.set _ZN7rocprim17ROCPRIM_400000_NS6detail17trampoline_kernelINS0_14default_configENS1_22reduce_config_selectorIdEEZNS1_11reduce_implILb1ES3_N6thrust23THRUST_200600_302600_NS6detail15normal_iteratorINS8_10device_ptrIdEEEEPdd9plus_mod3IdEEE10hipError_tPvRmT1_T2_T3_mT4_P12ihipStream_tbEUlT_E1_NS1_11comp_targetILNS1_3genE8ELNS1_11target_archE1030ELNS1_3gpuE2ELNS1_3repE0EEENS1_30default_config_static_selectorELNS0_4arch9wavefront6targetE1EEEvSK_.uses_vcc, 0
	.set _ZN7rocprim17ROCPRIM_400000_NS6detail17trampoline_kernelINS0_14default_configENS1_22reduce_config_selectorIdEEZNS1_11reduce_implILb1ES3_N6thrust23THRUST_200600_302600_NS6detail15normal_iteratorINS8_10device_ptrIdEEEEPdd9plus_mod3IdEEE10hipError_tPvRmT1_T2_T3_mT4_P12ihipStream_tbEUlT_E1_NS1_11comp_targetILNS1_3genE8ELNS1_11target_archE1030ELNS1_3gpuE2ELNS1_3repE0EEENS1_30default_config_static_selectorELNS0_4arch9wavefront6targetE1EEEvSK_.uses_flat_scratch, 0
	.set _ZN7rocprim17ROCPRIM_400000_NS6detail17trampoline_kernelINS0_14default_configENS1_22reduce_config_selectorIdEEZNS1_11reduce_implILb1ES3_N6thrust23THRUST_200600_302600_NS6detail15normal_iteratorINS8_10device_ptrIdEEEEPdd9plus_mod3IdEEE10hipError_tPvRmT1_T2_T3_mT4_P12ihipStream_tbEUlT_E1_NS1_11comp_targetILNS1_3genE8ELNS1_11target_archE1030ELNS1_3gpuE2ELNS1_3repE0EEENS1_30default_config_static_selectorELNS0_4arch9wavefront6targetE1EEEvSK_.has_dyn_sized_stack, 0
	.set _ZN7rocprim17ROCPRIM_400000_NS6detail17trampoline_kernelINS0_14default_configENS1_22reduce_config_selectorIdEEZNS1_11reduce_implILb1ES3_N6thrust23THRUST_200600_302600_NS6detail15normal_iteratorINS8_10device_ptrIdEEEEPdd9plus_mod3IdEEE10hipError_tPvRmT1_T2_T3_mT4_P12ihipStream_tbEUlT_E1_NS1_11comp_targetILNS1_3genE8ELNS1_11target_archE1030ELNS1_3gpuE2ELNS1_3repE0EEENS1_30default_config_static_selectorELNS0_4arch9wavefront6targetE1EEEvSK_.has_recursion, 0
	.set _ZN7rocprim17ROCPRIM_400000_NS6detail17trampoline_kernelINS0_14default_configENS1_22reduce_config_selectorIdEEZNS1_11reduce_implILb1ES3_N6thrust23THRUST_200600_302600_NS6detail15normal_iteratorINS8_10device_ptrIdEEEEPdd9plus_mod3IdEEE10hipError_tPvRmT1_T2_T3_mT4_P12ihipStream_tbEUlT_E1_NS1_11comp_targetILNS1_3genE8ELNS1_11target_archE1030ELNS1_3gpuE2ELNS1_3repE0EEENS1_30default_config_static_selectorELNS0_4arch9wavefront6targetE1EEEvSK_.has_indirect_call, 0
	.section	.AMDGPU.csdata,"",@progbits
; Kernel info:
; codeLenInByte = 0
; TotalNumSgprs: 6
; NumVgprs: 0
; NumAgprs: 0
; TotalNumVgprs: 0
; ScratchSize: 0
; MemoryBound: 0
; FloatMode: 240
; IeeeMode: 1
; LDSByteSize: 0 bytes/workgroup (compile time only)
; SGPRBlocks: 0
; VGPRBlocks: 0
; NumSGPRsForWavesPerEU: 6
; NumVGPRsForWavesPerEU: 1
; AccumOffset: 4
; Occupancy: 8
; WaveLimiterHint : 0
; COMPUTE_PGM_RSRC2:SCRATCH_EN: 0
; COMPUTE_PGM_RSRC2:USER_SGPR: 2
; COMPUTE_PGM_RSRC2:TRAP_HANDLER: 0
; COMPUTE_PGM_RSRC2:TGID_X_EN: 1
; COMPUTE_PGM_RSRC2:TGID_Y_EN: 0
; COMPUTE_PGM_RSRC2:TGID_Z_EN: 0
; COMPUTE_PGM_RSRC2:TIDIG_COMP_CNT: 0
; COMPUTE_PGM_RSRC3_GFX90A:ACCUM_OFFSET: 0
; COMPUTE_PGM_RSRC3_GFX90A:TG_SPLIT: 0
	.section	.text._ZN7rocprim17ROCPRIM_400000_NS6detail17trampoline_kernelINS0_14default_configENS1_22reduce_config_selectorIfEEZNS1_11reduce_implILb1ES3_PfS7_f9plus_mod3IfEEE10hipError_tPvRmT1_T2_T3_mT4_P12ihipStream_tbEUlT_E0_NS1_11comp_targetILNS1_3genE0ELNS1_11target_archE4294967295ELNS1_3gpuE0ELNS1_3repE0EEENS1_30default_config_static_selectorELNS0_4arch9wavefront6targetE1EEEvSD_,"axG",@progbits,_ZN7rocprim17ROCPRIM_400000_NS6detail17trampoline_kernelINS0_14default_configENS1_22reduce_config_selectorIfEEZNS1_11reduce_implILb1ES3_PfS7_f9plus_mod3IfEEE10hipError_tPvRmT1_T2_T3_mT4_P12ihipStream_tbEUlT_E0_NS1_11comp_targetILNS1_3genE0ELNS1_11target_archE4294967295ELNS1_3gpuE0ELNS1_3repE0EEENS1_30default_config_static_selectorELNS0_4arch9wavefront6targetE1EEEvSD_,comdat
	.protected	_ZN7rocprim17ROCPRIM_400000_NS6detail17trampoline_kernelINS0_14default_configENS1_22reduce_config_selectorIfEEZNS1_11reduce_implILb1ES3_PfS7_f9plus_mod3IfEEE10hipError_tPvRmT1_T2_T3_mT4_P12ihipStream_tbEUlT_E0_NS1_11comp_targetILNS1_3genE0ELNS1_11target_archE4294967295ELNS1_3gpuE0ELNS1_3repE0EEENS1_30default_config_static_selectorELNS0_4arch9wavefront6targetE1EEEvSD_ ; -- Begin function _ZN7rocprim17ROCPRIM_400000_NS6detail17trampoline_kernelINS0_14default_configENS1_22reduce_config_selectorIfEEZNS1_11reduce_implILb1ES3_PfS7_f9plus_mod3IfEEE10hipError_tPvRmT1_T2_T3_mT4_P12ihipStream_tbEUlT_E0_NS1_11comp_targetILNS1_3genE0ELNS1_11target_archE4294967295ELNS1_3gpuE0ELNS1_3repE0EEENS1_30default_config_static_selectorELNS0_4arch9wavefront6targetE1EEEvSD_
	.globl	_ZN7rocprim17ROCPRIM_400000_NS6detail17trampoline_kernelINS0_14default_configENS1_22reduce_config_selectorIfEEZNS1_11reduce_implILb1ES3_PfS7_f9plus_mod3IfEEE10hipError_tPvRmT1_T2_T3_mT4_P12ihipStream_tbEUlT_E0_NS1_11comp_targetILNS1_3genE0ELNS1_11target_archE4294967295ELNS1_3gpuE0ELNS1_3repE0EEENS1_30default_config_static_selectorELNS0_4arch9wavefront6targetE1EEEvSD_
	.p2align	8
	.type	_ZN7rocprim17ROCPRIM_400000_NS6detail17trampoline_kernelINS0_14default_configENS1_22reduce_config_selectorIfEEZNS1_11reduce_implILb1ES3_PfS7_f9plus_mod3IfEEE10hipError_tPvRmT1_T2_T3_mT4_P12ihipStream_tbEUlT_E0_NS1_11comp_targetILNS1_3genE0ELNS1_11target_archE4294967295ELNS1_3gpuE0ELNS1_3repE0EEENS1_30default_config_static_selectorELNS0_4arch9wavefront6targetE1EEEvSD_,@function
_ZN7rocprim17ROCPRIM_400000_NS6detail17trampoline_kernelINS0_14default_configENS1_22reduce_config_selectorIfEEZNS1_11reduce_implILb1ES3_PfS7_f9plus_mod3IfEEE10hipError_tPvRmT1_T2_T3_mT4_P12ihipStream_tbEUlT_E0_NS1_11comp_targetILNS1_3genE0ELNS1_11target_archE4294967295ELNS1_3gpuE0ELNS1_3repE0EEENS1_30default_config_static_selectorELNS0_4arch9wavefront6targetE1EEEvSD_: ; @_ZN7rocprim17ROCPRIM_400000_NS6detail17trampoline_kernelINS0_14default_configENS1_22reduce_config_selectorIfEEZNS1_11reduce_implILb1ES3_PfS7_f9plus_mod3IfEEE10hipError_tPvRmT1_T2_T3_mT4_P12ihipStream_tbEUlT_E0_NS1_11comp_targetILNS1_3genE0ELNS1_11target_archE4294967295ELNS1_3gpuE0ELNS1_3repE0EEENS1_30default_config_static_selectorELNS0_4arch9wavefront6targetE1EEEvSD_
; %bb.0:
	s_load_dwordx8 s[4:11], s[0:1], 0x0
	s_load_dwordx2 s[12:13], s[0:1], 0x38
	v_lshlrev_b32_e32 v6, 2, v0
	v_mbcnt_lo_u32_b32 v1, -1, 0
	s_waitcnt lgkmcnt(0)
	s_lshl_b64 s[6:7], s[6:7], 2
	s_add_u32 s16, s4, s6
	s_addc_u32 s17, s5, s7
	s_lshl_b32 s4, s2, 10
	s_mov_b32 s5, 0
	s_lshr_b64 s[6:7], s[8:9], 10
	s_lshl_b64 s[14:15], s[4:5], 2
	s_add_u32 s16, s16, s14
	s_mov_b32 s3, s5
	s_addc_u32 s17, s17, s15
	s_cmp_lg_u64 s[6:7], s[2:3]
	s_cbranch_scc0 .LBB731_6
; %bb.1:
	global_load_dword v2, v6, s[16:17]
	global_load_dword v3, v6, s[16:17] offset:1024
	global_load_dword v4, v6, s[16:17] offset:2048
	;; [unrolled: 1-line block ×3, first 2 shown]
	s_waitcnt vmcnt(2)
	v_add_f32_e32 v2, v2, v3
	v_cvt_i32_f32_e32 v2, v2
	v_ashrrev_i32_e32 v3, 31, v2
	v_lshl_add_u64 v[2:3], v[2:3], 2, s[12:13]
	global_load_dword v2, v[2:3], off
	s_waitcnt vmcnt(0)
	v_add_f32_e32 v2, v4, v2
	v_cvt_i32_f32_e32 v2, v2
	v_ashrrev_i32_e32 v3, 31, v2
	v_lshl_add_u64 v[2:3], v[2:3], 2, s[12:13]
	global_load_dword v2, v[2:3], off
	s_waitcnt vmcnt(0)
	v_add_f32_e32 v2, v5, v2
	v_cvt_i32_f32_e32 v2, v2
	v_mbcnt_hi_u32_b32 v5, -1, v1
	v_lshlrev_b32_e32 v4, 2, v5
	v_cmp_eq_u32_e32 vcc, 0, v5
	v_ashrrev_i32_e32 v3, 31, v2
	v_lshl_add_u64 v[2:3], v[2:3], 2, s[12:13]
	global_load_dword v2, v[2:3], off
	s_waitcnt vmcnt(0)
	s_nop 0
	v_add_f32_dpp v2, v2, v2 quad_perm:[1,0,3,2] row_mask:0xf bank_mask:0xf bound_ctrl:1
	v_cvt_i32_f32_e32 v2, v2
	v_ashrrev_i32_e32 v3, 31, v2
	v_lshl_add_u64 v[2:3], v[2:3], 2, s[12:13]
	global_load_dword v2, v[2:3], off
	s_waitcnt vmcnt(0)
	s_nop 0
	v_add_f32_dpp v2, v2, v2 quad_perm:[2,3,0,1] row_mask:0xf bank_mask:0xf bound_ctrl:1
	v_cvt_i32_f32_e32 v2, v2
	v_ashrrev_i32_e32 v3, 31, v2
	v_lshl_add_u64 v[2:3], v[2:3], 2, s[12:13]
	global_load_dword v2, v[2:3], off
	s_waitcnt vmcnt(0)
	s_nop 0
	v_add_f32_dpp v2, v2, v2 row_ror:4 row_mask:0xf bank_mask:0xf bound_ctrl:1
	v_cvt_i32_f32_e32 v2, v2
	v_ashrrev_i32_e32 v3, 31, v2
	v_lshl_add_u64 v[2:3], v[2:3], 2, s[12:13]
	global_load_dword v2, v[2:3], off
	s_waitcnt vmcnt(0)
	s_nop 0
	v_add_f32_dpp v2, v2, v2 row_ror:8 row_mask:0xf bank_mask:0xf bound_ctrl:1
	v_cvt_i32_f32_e32 v2, v2
	v_ashrrev_i32_e32 v3, 31, v2
	v_lshl_add_u64 v[2:3], v[2:3], 2, s[12:13]
	global_load_dword v2, v[2:3], off
	s_waitcnt vmcnt(0)
	s_nop 0
	v_add_f32_dpp v2, v2, v2 row_bcast:15 row_mask:0xf bank_mask:0xf bound_ctrl:1
	v_cvt_i32_f32_e32 v2, v2
	v_ashrrev_i32_e32 v3, 31, v2
	v_lshl_add_u64 v[2:3], v[2:3], 2, s[12:13]
	global_load_dword v2, v[2:3], off
	s_waitcnt vmcnt(0)
	s_nop 0
	v_add_f32_dpp v2, v2, v2 row_bcast:31 row_mask:0xf bank_mask:0xf bound_ctrl:1
	v_cvt_i32_f32_e32 v2, v2
	v_ashrrev_i32_e32 v3, 31, v2
	v_lshl_add_u64 v[2:3], v[2:3], 2, s[12:13]
	global_load_dword v2, v[2:3], off
	v_or_b32_e32 v3, 0xfc, v4
	s_waitcnt vmcnt(0)
	ds_bpermute_b32 v2, v3, v2
	s_and_saveexec_b64 s[6:7], vcc
	s_cbranch_execz .LBB731_3
; %bb.2:
	v_lshrrev_b32_e32 v3, 4, v0
	v_and_b32_e32 v3, 12, v3
	s_waitcnt lgkmcnt(0)
	ds_write_b32 v3, v2 offset:16
.LBB731_3:
	s_or_b64 exec, exec, s[6:7]
	v_cmp_gt_u32_e32 vcc, 64, v0
	s_mov_b64 s[6:7], 0
	s_mov_b64 s[14:15], 0
	s_waitcnt lgkmcnt(0)
	s_barrier
                                        ; implicit-def: $vgpr3
	s_and_saveexec_b64 s[18:19], vcc
	s_xor_b64 s[18:19], exec, s[18:19]
	s_cbranch_execz .LBB731_5
; %bb.4:
	v_and_b32_e32 v2, 3, v5
	v_lshlrev_b32_e32 v3, 2, v2
	ds_read_b32 v3, v3 offset:16
	v_cmp_ne_u32_e32 vcc, 3, v2
	s_mov_b64 s[14:15], exec
	s_nop 0
	v_addc_co_u32_e32 v2, vcc, 0, v5, vcc
	v_lshlrev_b32_e32 v2, 2, v2
	s_waitcnt lgkmcnt(0)
	ds_bpermute_b32 v2, v2, v3
	s_waitcnt lgkmcnt(0)
	v_add_f32_e32 v2, v3, v2
	v_cvt_i32_f32_e32 v2, v2
	v_ashrrev_i32_e32 v3, 31, v2
	v_lshl_add_u64 v[2:3], v[2:3], 2, s[12:13]
	global_load_dword v2, v[2:3], off
	v_or_b32_e32 v3, 8, v4
	s_waitcnt vmcnt(0)
	ds_bpermute_b32 v3, v3, v2
.LBB731_5:
	s_or_b64 exec, exec, s[18:19]
	s_and_b64 vcc, exec, s[6:7]
	s_cbranch_vccnz .LBB731_7
	s_branch .LBB731_37
.LBB731_6:
	s_mov_b64 s[14:15], 0
                                        ; implicit-def: $vgpr3
                                        ; implicit-def: $vgpr2
	s_cbranch_execz .LBB731_37
.LBB731_7:
	s_sub_i32 s20, s8, s4
	v_mov_b32_e32 v2, 0
	v_cmp_gt_u32_e32 vcc, s20, v0
	s_waitcnt lgkmcnt(0)
	v_mov_b32_e32 v3, v2
	v_mov_b32_e32 v4, v2
	;; [unrolled: 1-line block ×3, first 2 shown]
	s_and_saveexec_b64 s[4:5], vcc
	s_cbranch_execz .LBB731_9
; %bb.8:
	global_load_dword v8, v6, s[16:17]
	v_mov_b32_e32 v9, v2
	v_mov_b32_e32 v10, v2
	;; [unrolled: 1-line block ×3, first 2 shown]
	s_waitcnt vmcnt(0)
	v_mov_b64_e32 v[2:3], v[8:9]
	v_mov_b64_e32 v[4:5], v[10:11]
.LBB731_9:
	s_or_b64 exec, exec, s[4:5]
	v_or_b32_e32 v7, 0x100, v0
	v_cmp_gt_u32_e64 s[6:7], s20, v7
	s_and_saveexec_b64 s[4:5], s[6:7]
	s_cbranch_execz .LBB731_11
; %bb.10:
	global_load_dword v3, v6, s[16:17] offset:1024
.LBB731_11:
	s_or_b64 exec, exec, s[4:5]
	v_or_b32_e32 v7, 0x200, v0
	v_cmp_gt_u32_e64 s[4:5], s20, v7
	s_and_saveexec_b64 s[18:19], s[4:5]
	s_cbranch_execz .LBB731_13
; %bb.12:
	global_load_dword v4, v6, s[16:17] offset:2048
.LBB731_13:
	s_or_b64 exec, exec, s[18:19]
	v_or_b32_e32 v7, 0x300, v0
	v_cmp_gt_u32_e32 vcc, s20, v7
	s_and_saveexec_b64 s[18:19], vcc
	s_cbranch_execnz .LBB731_42
; %bb.14:
	s_or_b64 exec, exec, s[18:19]
	s_and_saveexec_b64 s[16:17], s[6:7]
	s_cbranch_execnz .LBB731_43
.LBB731_15:
	s_or_b64 exec, exec, s[16:17]
	s_and_saveexec_b64 s[6:7], s[4:5]
	s_cbranch_execnz .LBB731_44
.LBB731_16:
	s_or_b64 exec, exec, s[6:7]
	s_and_saveexec_b64 s[4:5], vcc
	s_cbranch_execz .LBB731_18
.LBB731_17:
	s_waitcnt vmcnt(0)
	v_add_f32_e32 v2, v5, v2
	v_cvt_i32_f32_e32 v2, v2
	v_ashrrev_i32_e32 v3, 31, v2
	v_lshl_add_u64 v[2:3], v[2:3], 2, s[12:13]
	global_load_dword v2, v[2:3], off
.LBB731_18:
	s_or_b64 exec, exec, s[4:5]
	v_mbcnt_hi_u32_b32 v1, -1, v1
	s_waitcnt vmcnt(0)
	v_and_b32_e32 v3, 63, v1
	v_cmp_ne_u32_e32 vcc, 63, v3
	s_min_u32 s6, s20, 0x100
	v_add_u32_e32 v6, 1, v3
	v_addc_co_u32_e32 v4, vcc, 0, v1, vcc
	v_lshlrev_b32_e32 v4, 2, v4
	ds_bpermute_b32 v5, v4, v2
	v_and_b32_e32 v4, 0xc0, v0
	v_sub_u32_e64 v4, s6, v4 clamp
	v_cmp_lt_u32_e32 vcc, v6, v4
	s_and_saveexec_b64 s[4:5], vcc
	s_xor_b64 s[4:5], exec, s[4:5]
	s_cbranch_execz .LBB731_20
; %bb.19:
	s_waitcnt lgkmcnt(0)
	v_add_f32_e32 v2, v2, v5
	v_cvt_i32_f32_e32 v6, v2
	v_ashrrev_i32_e32 v7, 31, v6
	v_lshl_add_u64 v[6:7], v[6:7], 2, s[12:13]
	global_load_dword v2, v[6:7], off
.LBB731_20:
	s_or_b64 exec, exec, s[4:5]
	v_cmp_gt_u32_e32 vcc, 62, v3
	v_add_u32_e32 v6, 2, v3
	s_waitcnt lgkmcnt(0)
	v_cndmask_b32_e64 v5, 0, 2, vcc
	v_add_lshl_u32 v5, v5, v1, 2
	s_waitcnt vmcnt(0)
	ds_bpermute_b32 v5, v5, v2
	v_cmp_lt_u32_e32 vcc, v6, v4
	s_and_saveexec_b64 s[4:5], vcc
	s_cbranch_execz .LBB731_22
; %bb.21:
	s_waitcnt lgkmcnt(0)
	v_add_f32_e32 v2, v2, v5
	v_cvt_i32_f32_e32 v6, v2
	v_ashrrev_i32_e32 v7, 31, v6
	v_lshl_add_u64 v[6:7], v[6:7], 2, s[12:13]
	global_load_dword v2, v[6:7], off
.LBB731_22:
	s_or_b64 exec, exec, s[4:5]
	v_cmp_gt_u32_e32 vcc, 60, v3
	v_add_u32_e32 v6, 4, v3
	s_waitcnt lgkmcnt(0)
	v_cndmask_b32_e64 v5, 0, 4, vcc
	v_add_lshl_u32 v5, v5, v1, 2
	s_waitcnt vmcnt(0)
	ds_bpermute_b32 v5, v5, v2
	v_cmp_lt_u32_e32 vcc, v6, v4
	s_and_saveexec_b64 s[4:5], vcc
	;; [unrolled: 19-line block ×4, first 2 shown]
	s_cbranch_execz .LBB731_28
; %bb.27:
	s_waitcnt lgkmcnt(0)
	v_add_f32_e32 v2, v2, v5
	v_cvt_i32_f32_e32 v6, v2
	v_ashrrev_i32_e32 v7, 31, v6
	v_lshl_add_u64 v[6:7], v[6:7], 2, s[12:13]
	global_load_dword v2, v[6:7], off
.LBB731_28:
	s_or_b64 exec, exec, s[4:5]
	s_waitcnt lgkmcnt(0)
	v_lshlrev_b32_e32 v5, 2, v1
	v_or_b32_e32 v6, 0x80, v5
	s_waitcnt vmcnt(0)
	ds_bpermute_b32 v6, v6, v2
	v_add_u32_e32 v3, 32, v3
	v_cmp_lt_u32_e32 vcc, v3, v4
	s_and_saveexec_b64 s[4:5], vcc
	s_cbranch_execz .LBB731_30
; %bb.29:
	s_waitcnt lgkmcnt(0)
	v_add_f32_e32 v2, v2, v6
	v_cvt_i32_f32_e32 v2, v2
	v_ashrrev_i32_e32 v3, 31, v2
	v_lshl_add_u64 v[2:3], v[2:3], 2, s[12:13]
	global_load_dword v2, v[2:3], off
.LBB731_30:
	s_or_b64 exec, exec, s[4:5]
	v_cmp_eq_u32_e32 vcc, 0, v1
	s_and_saveexec_b64 s[4:5], vcc
	s_cbranch_execz .LBB731_32
; %bb.31:
	v_lshrrev_b32_e32 v3, 4, v0
	v_and_b32_e32 v3, 12, v3
	s_waitcnt vmcnt(0)
	ds_write_b32 v3, v2
.LBB731_32:
	s_or_b64 exec, exec, s[4:5]
	v_cmp_gt_u32_e32 vcc, 4, v0
	s_waitcnt lgkmcnt(0)
	s_barrier
                                        ; implicit-def: $vgpr3
	s_and_saveexec_b64 s[4:5], vcc
	s_cbranch_execz .LBB731_36
; %bb.33:
	s_waitcnt vmcnt(0)
	ds_read_b32 v2, v5
	v_and_b32_e32 v3, 3, v1
	v_cmp_ne_u32_e32 vcc, 3, v3
	s_add_i32 s6, s6, 63
	s_lshr_b32 s16, s6, 6
	v_addc_co_u32_e32 v1, vcc, 0, v1, vcc
	v_lshlrev_b32_e32 v1, 2, v1
	s_waitcnt lgkmcnt(0)
	ds_bpermute_b32 v1, v1, v2
	v_add_u32_e32 v4, 1, v3
	v_cmp_gt_u32_e32 vcc, s16, v4
	s_and_saveexec_b64 s[6:7], vcc
	s_cbranch_execz .LBB731_35
; %bb.34:
	s_waitcnt lgkmcnt(0)
	v_add_f32_e32 v1, v2, v1
	v_cvt_i32_f32_e32 v6, v1
	v_ashrrev_i32_e32 v7, 31, v6
	v_lshl_add_u64 v[6:7], v[6:7], 2, s[12:13]
	global_load_dword v2, v[6:7], off
.LBB731_35:
	s_or_b64 exec, exec, s[6:7]
	s_waitcnt lgkmcnt(0)
	v_add_u32_e32 v1, 2, v3
	v_or_b32_e32 v3, 8, v5
	s_waitcnt vmcnt(0)
	ds_bpermute_b32 v3, v3, v2
	v_cmp_gt_u32_e32 vcc, s16, v1
	s_andn2_b64 s[6:7], s[14:15], exec
	s_and_b64 s[14:15], vcc, exec
	s_or_b64 s[14:15], s[6:7], s[14:15]
.LBB731_36:
	s_or_b64 exec, exec, s[4:5]
.LBB731_37:
	s_and_saveexec_b64 s[4:5], s[14:15]
	s_cbranch_execnz .LBB731_40
; %bb.38:
	s_or_b64 exec, exec, s[4:5]
	v_cmp_eq_u32_e32 vcc, 0, v0
	s_and_saveexec_b64 s[4:5], vcc
	s_cbranch_execnz .LBB731_41
.LBB731_39:
	s_endpgm
.LBB731_40:
	s_waitcnt vmcnt(0) lgkmcnt(0)
	v_add_f32_e32 v1, v2, v3
	v_cvt_i32_f32_e32 v2, v1
	v_ashrrev_i32_e32 v3, 31, v2
	v_lshl_add_u64 v[2:3], v[2:3], 2, s[12:13]
	global_load_dword v2, v[2:3], off
	s_or_b64 exec, exec, s[4:5]
	v_cmp_eq_u32_e32 vcc, 0, v0
	s_and_saveexec_b64 s[4:5], vcc
	s_cbranch_execz .LBB731_39
.LBB731_41:
	s_load_dwordx4 s[4:7], s[0:1], 0x20
	s_load_dword s12, s[0:1], 0x30
	v_mov_b32_e32 v1, 0
	s_waitcnt lgkmcnt(0)
	s_mul_i32 s1, s6, s5
	s_mul_hi_u32 s5, s6, s4
	s_mul_i32 s7, s7, s4
	s_add_i32 s1, s5, s1
	s_mul_i32 s0, s6, s4
	s_add_i32 s1, s1, s7
	s_lshl_b64 s[0:1], s[0:1], 2
	s_add_u32 s4, s10, s0
	s_addc_u32 s5, s11, s1
	s_cmp_eq_u64 s[8:9], 0
	s_cselect_b64 vcc, -1, 0
	s_lshl_b64 s[0:1], s[2:3], 2
	v_mov_b32_e32 v0, s12
	s_add_u32 s0, s4, s0
	s_waitcnt vmcnt(0)
	v_cndmask_b32_e32 v0, v2, v0, vcc
	s_addc_u32 s1, s5, s1
	global_store_dword v1, v0, s[0:1]
	s_endpgm
.LBB731_42:
	global_load_dword v5, v6, s[16:17] offset:3072
	s_or_b64 exec, exec, s[18:19]
	s_and_saveexec_b64 s[16:17], s[6:7]
	s_cbranch_execz .LBB731_15
.LBB731_43:
	s_waitcnt vmcnt(0)
	v_add_f32_e32 v2, v2, v3
	v_cvt_i32_f32_e32 v2, v2
	v_ashrrev_i32_e32 v3, 31, v2
	v_lshl_add_u64 v[2:3], v[2:3], 2, s[12:13]
	global_load_dword v2, v[2:3], off
	s_or_b64 exec, exec, s[16:17]
	s_and_saveexec_b64 s[6:7], s[4:5]
	s_cbranch_execz .LBB731_16
.LBB731_44:
	s_waitcnt vmcnt(0)
	v_add_f32_e32 v2, v4, v2
	v_cvt_i32_f32_e32 v2, v2
	v_ashrrev_i32_e32 v3, 31, v2
	v_lshl_add_u64 v[2:3], v[2:3], 2, s[12:13]
	global_load_dword v2, v[2:3], off
	s_or_b64 exec, exec, s[6:7]
	s_and_saveexec_b64 s[4:5], vcc
	s_cbranch_execnz .LBB731_17
	s_branch .LBB731_18
	.section	.rodata,"a",@progbits
	.p2align	6, 0x0
	.amdhsa_kernel _ZN7rocprim17ROCPRIM_400000_NS6detail17trampoline_kernelINS0_14default_configENS1_22reduce_config_selectorIfEEZNS1_11reduce_implILb1ES3_PfS7_f9plus_mod3IfEEE10hipError_tPvRmT1_T2_T3_mT4_P12ihipStream_tbEUlT_E0_NS1_11comp_targetILNS1_3genE0ELNS1_11target_archE4294967295ELNS1_3gpuE0ELNS1_3repE0EEENS1_30default_config_static_selectorELNS0_4arch9wavefront6targetE1EEEvSD_
		.amdhsa_group_segment_fixed_size 32
		.amdhsa_private_segment_fixed_size 0
		.amdhsa_kernarg_size 64
		.amdhsa_user_sgpr_count 2
		.amdhsa_user_sgpr_dispatch_ptr 0
		.amdhsa_user_sgpr_queue_ptr 0
		.amdhsa_user_sgpr_kernarg_segment_ptr 1
		.amdhsa_user_sgpr_dispatch_id 0
		.amdhsa_user_sgpr_kernarg_preload_length 0
		.amdhsa_user_sgpr_kernarg_preload_offset 0
		.amdhsa_user_sgpr_private_segment_size 0
		.amdhsa_uses_dynamic_stack 0
		.amdhsa_enable_private_segment 0
		.amdhsa_system_sgpr_workgroup_id_x 1
		.amdhsa_system_sgpr_workgroup_id_y 0
		.amdhsa_system_sgpr_workgroup_id_z 0
		.amdhsa_system_sgpr_workgroup_info 0
		.amdhsa_system_vgpr_workitem_id 0
		.amdhsa_next_free_vgpr 12
		.amdhsa_next_free_sgpr 21
		.amdhsa_accum_offset 12
		.amdhsa_reserve_vcc 1
		.amdhsa_float_round_mode_32 0
		.amdhsa_float_round_mode_16_64 0
		.amdhsa_float_denorm_mode_32 3
		.amdhsa_float_denorm_mode_16_64 3
		.amdhsa_dx10_clamp 1
		.amdhsa_ieee_mode 1
		.amdhsa_fp16_overflow 0
		.amdhsa_tg_split 0
		.amdhsa_exception_fp_ieee_invalid_op 0
		.amdhsa_exception_fp_denorm_src 0
		.amdhsa_exception_fp_ieee_div_zero 0
		.amdhsa_exception_fp_ieee_overflow 0
		.amdhsa_exception_fp_ieee_underflow 0
		.amdhsa_exception_fp_ieee_inexact 0
		.amdhsa_exception_int_div_zero 0
	.end_amdhsa_kernel
	.section	.text._ZN7rocprim17ROCPRIM_400000_NS6detail17trampoline_kernelINS0_14default_configENS1_22reduce_config_selectorIfEEZNS1_11reduce_implILb1ES3_PfS7_f9plus_mod3IfEEE10hipError_tPvRmT1_T2_T3_mT4_P12ihipStream_tbEUlT_E0_NS1_11comp_targetILNS1_3genE0ELNS1_11target_archE4294967295ELNS1_3gpuE0ELNS1_3repE0EEENS1_30default_config_static_selectorELNS0_4arch9wavefront6targetE1EEEvSD_,"axG",@progbits,_ZN7rocprim17ROCPRIM_400000_NS6detail17trampoline_kernelINS0_14default_configENS1_22reduce_config_selectorIfEEZNS1_11reduce_implILb1ES3_PfS7_f9plus_mod3IfEEE10hipError_tPvRmT1_T2_T3_mT4_P12ihipStream_tbEUlT_E0_NS1_11comp_targetILNS1_3genE0ELNS1_11target_archE4294967295ELNS1_3gpuE0ELNS1_3repE0EEENS1_30default_config_static_selectorELNS0_4arch9wavefront6targetE1EEEvSD_,comdat
.Lfunc_end731:
	.size	_ZN7rocprim17ROCPRIM_400000_NS6detail17trampoline_kernelINS0_14default_configENS1_22reduce_config_selectorIfEEZNS1_11reduce_implILb1ES3_PfS7_f9plus_mod3IfEEE10hipError_tPvRmT1_T2_T3_mT4_P12ihipStream_tbEUlT_E0_NS1_11comp_targetILNS1_3genE0ELNS1_11target_archE4294967295ELNS1_3gpuE0ELNS1_3repE0EEENS1_30default_config_static_selectorELNS0_4arch9wavefront6targetE1EEEvSD_, .Lfunc_end731-_ZN7rocprim17ROCPRIM_400000_NS6detail17trampoline_kernelINS0_14default_configENS1_22reduce_config_selectorIfEEZNS1_11reduce_implILb1ES3_PfS7_f9plus_mod3IfEEE10hipError_tPvRmT1_T2_T3_mT4_P12ihipStream_tbEUlT_E0_NS1_11comp_targetILNS1_3genE0ELNS1_11target_archE4294967295ELNS1_3gpuE0ELNS1_3repE0EEENS1_30default_config_static_selectorELNS0_4arch9wavefront6targetE1EEEvSD_
                                        ; -- End function
	.set _ZN7rocprim17ROCPRIM_400000_NS6detail17trampoline_kernelINS0_14default_configENS1_22reduce_config_selectorIfEEZNS1_11reduce_implILb1ES3_PfS7_f9plus_mod3IfEEE10hipError_tPvRmT1_T2_T3_mT4_P12ihipStream_tbEUlT_E0_NS1_11comp_targetILNS1_3genE0ELNS1_11target_archE4294967295ELNS1_3gpuE0ELNS1_3repE0EEENS1_30default_config_static_selectorELNS0_4arch9wavefront6targetE1EEEvSD_.num_vgpr, 12
	.set _ZN7rocprim17ROCPRIM_400000_NS6detail17trampoline_kernelINS0_14default_configENS1_22reduce_config_selectorIfEEZNS1_11reduce_implILb1ES3_PfS7_f9plus_mod3IfEEE10hipError_tPvRmT1_T2_T3_mT4_P12ihipStream_tbEUlT_E0_NS1_11comp_targetILNS1_3genE0ELNS1_11target_archE4294967295ELNS1_3gpuE0ELNS1_3repE0EEENS1_30default_config_static_selectorELNS0_4arch9wavefront6targetE1EEEvSD_.num_agpr, 0
	.set _ZN7rocprim17ROCPRIM_400000_NS6detail17trampoline_kernelINS0_14default_configENS1_22reduce_config_selectorIfEEZNS1_11reduce_implILb1ES3_PfS7_f9plus_mod3IfEEE10hipError_tPvRmT1_T2_T3_mT4_P12ihipStream_tbEUlT_E0_NS1_11comp_targetILNS1_3genE0ELNS1_11target_archE4294967295ELNS1_3gpuE0ELNS1_3repE0EEENS1_30default_config_static_selectorELNS0_4arch9wavefront6targetE1EEEvSD_.numbered_sgpr, 21
	.set _ZN7rocprim17ROCPRIM_400000_NS6detail17trampoline_kernelINS0_14default_configENS1_22reduce_config_selectorIfEEZNS1_11reduce_implILb1ES3_PfS7_f9plus_mod3IfEEE10hipError_tPvRmT1_T2_T3_mT4_P12ihipStream_tbEUlT_E0_NS1_11comp_targetILNS1_3genE0ELNS1_11target_archE4294967295ELNS1_3gpuE0ELNS1_3repE0EEENS1_30default_config_static_selectorELNS0_4arch9wavefront6targetE1EEEvSD_.num_named_barrier, 0
	.set _ZN7rocprim17ROCPRIM_400000_NS6detail17trampoline_kernelINS0_14default_configENS1_22reduce_config_selectorIfEEZNS1_11reduce_implILb1ES3_PfS7_f9plus_mod3IfEEE10hipError_tPvRmT1_T2_T3_mT4_P12ihipStream_tbEUlT_E0_NS1_11comp_targetILNS1_3genE0ELNS1_11target_archE4294967295ELNS1_3gpuE0ELNS1_3repE0EEENS1_30default_config_static_selectorELNS0_4arch9wavefront6targetE1EEEvSD_.private_seg_size, 0
	.set _ZN7rocprim17ROCPRIM_400000_NS6detail17trampoline_kernelINS0_14default_configENS1_22reduce_config_selectorIfEEZNS1_11reduce_implILb1ES3_PfS7_f9plus_mod3IfEEE10hipError_tPvRmT1_T2_T3_mT4_P12ihipStream_tbEUlT_E0_NS1_11comp_targetILNS1_3genE0ELNS1_11target_archE4294967295ELNS1_3gpuE0ELNS1_3repE0EEENS1_30default_config_static_selectorELNS0_4arch9wavefront6targetE1EEEvSD_.uses_vcc, 1
	.set _ZN7rocprim17ROCPRIM_400000_NS6detail17trampoline_kernelINS0_14default_configENS1_22reduce_config_selectorIfEEZNS1_11reduce_implILb1ES3_PfS7_f9plus_mod3IfEEE10hipError_tPvRmT1_T2_T3_mT4_P12ihipStream_tbEUlT_E0_NS1_11comp_targetILNS1_3genE0ELNS1_11target_archE4294967295ELNS1_3gpuE0ELNS1_3repE0EEENS1_30default_config_static_selectorELNS0_4arch9wavefront6targetE1EEEvSD_.uses_flat_scratch, 0
	.set _ZN7rocprim17ROCPRIM_400000_NS6detail17trampoline_kernelINS0_14default_configENS1_22reduce_config_selectorIfEEZNS1_11reduce_implILb1ES3_PfS7_f9plus_mod3IfEEE10hipError_tPvRmT1_T2_T3_mT4_P12ihipStream_tbEUlT_E0_NS1_11comp_targetILNS1_3genE0ELNS1_11target_archE4294967295ELNS1_3gpuE0ELNS1_3repE0EEENS1_30default_config_static_selectorELNS0_4arch9wavefront6targetE1EEEvSD_.has_dyn_sized_stack, 0
	.set _ZN7rocprim17ROCPRIM_400000_NS6detail17trampoline_kernelINS0_14default_configENS1_22reduce_config_selectorIfEEZNS1_11reduce_implILb1ES3_PfS7_f9plus_mod3IfEEE10hipError_tPvRmT1_T2_T3_mT4_P12ihipStream_tbEUlT_E0_NS1_11comp_targetILNS1_3genE0ELNS1_11target_archE4294967295ELNS1_3gpuE0ELNS1_3repE0EEENS1_30default_config_static_selectorELNS0_4arch9wavefront6targetE1EEEvSD_.has_recursion, 0
	.set _ZN7rocprim17ROCPRIM_400000_NS6detail17trampoline_kernelINS0_14default_configENS1_22reduce_config_selectorIfEEZNS1_11reduce_implILb1ES3_PfS7_f9plus_mod3IfEEE10hipError_tPvRmT1_T2_T3_mT4_P12ihipStream_tbEUlT_E0_NS1_11comp_targetILNS1_3genE0ELNS1_11target_archE4294967295ELNS1_3gpuE0ELNS1_3repE0EEENS1_30default_config_static_selectorELNS0_4arch9wavefront6targetE1EEEvSD_.has_indirect_call, 0
	.section	.AMDGPU.csdata,"",@progbits
; Kernel info:
; codeLenInByte = 1944
; TotalNumSgprs: 27
; NumVgprs: 12
; NumAgprs: 0
; TotalNumVgprs: 12
; ScratchSize: 0
; MemoryBound: 0
; FloatMode: 240
; IeeeMode: 1
; LDSByteSize: 32 bytes/workgroup (compile time only)
; SGPRBlocks: 3
; VGPRBlocks: 1
; NumSGPRsForWavesPerEU: 27
; NumVGPRsForWavesPerEU: 12
; AccumOffset: 12
; Occupancy: 8
; WaveLimiterHint : 1
; COMPUTE_PGM_RSRC2:SCRATCH_EN: 0
; COMPUTE_PGM_RSRC2:USER_SGPR: 2
; COMPUTE_PGM_RSRC2:TRAP_HANDLER: 0
; COMPUTE_PGM_RSRC2:TGID_X_EN: 1
; COMPUTE_PGM_RSRC2:TGID_Y_EN: 0
; COMPUTE_PGM_RSRC2:TGID_Z_EN: 0
; COMPUTE_PGM_RSRC2:TIDIG_COMP_CNT: 0
; COMPUTE_PGM_RSRC3_GFX90A:ACCUM_OFFSET: 2
; COMPUTE_PGM_RSRC3_GFX90A:TG_SPLIT: 0
	.section	.text._ZN7rocprim17ROCPRIM_400000_NS6detail17trampoline_kernelINS0_14default_configENS1_22reduce_config_selectorIfEEZNS1_11reduce_implILb1ES3_PfS7_f9plus_mod3IfEEE10hipError_tPvRmT1_T2_T3_mT4_P12ihipStream_tbEUlT_E0_NS1_11comp_targetILNS1_3genE5ELNS1_11target_archE942ELNS1_3gpuE9ELNS1_3repE0EEENS1_30default_config_static_selectorELNS0_4arch9wavefront6targetE1EEEvSD_,"axG",@progbits,_ZN7rocprim17ROCPRIM_400000_NS6detail17trampoline_kernelINS0_14default_configENS1_22reduce_config_selectorIfEEZNS1_11reduce_implILb1ES3_PfS7_f9plus_mod3IfEEE10hipError_tPvRmT1_T2_T3_mT4_P12ihipStream_tbEUlT_E0_NS1_11comp_targetILNS1_3genE5ELNS1_11target_archE942ELNS1_3gpuE9ELNS1_3repE0EEENS1_30default_config_static_selectorELNS0_4arch9wavefront6targetE1EEEvSD_,comdat
	.protected	_ZN7rocprim17ROCPRIM_400000_NS6detail17trampoline_kernelINS0_14default_configENS1_22reduce_config_selectorIfEEZNS1_11reduce_implILb1ES3_PfS7_f9plus_mod3IfEEE10hipError_tPvRmT1_T2_T3_mT4_P12ihipStream_tbEUlT_E0_NS1_11comp_targetILNS1_3genE5ELNS1_11target_archE942ELNS1_3gpuE9ELNS1_3repE0EEENS1_30default_config_static_selectorELNS0_4arch9wavefront6targetE1EEEvSD_ ; -- Begin function _ZN7rocprim17ROCPRIM_400000_NS6detail17trampoline_kernelINS0_14default_configENS1_22reduce_config_selectorIfEEZNS1_11reduce_implILb1ES3_PfS7_f9plus_mod3IfEEE10hipError_tPvRmT1_T2_T3_mT4_P12ihipStream_tbEUlT_E0_NS1_11comp_targetILNS1_3genE5ELNS1_11target_archE942ELNS1_3gpuE9ELNS1_3repE0EEENS1_30default_config_static_selectorELNS0_4arch9wavefront6targetE1EEEvSD_
	.globl	_ZN7rocprim17ROCPRIM_400000_NS6detail17trampoline_kernelINS0_14default_configENS1_22reduce_config_selectorIfEEZNS1_11reduce_implILb1ES3_PfS7_f9plus_mod3IfEEE10hipError_tPvRmT1_T2_T3_mT4_P12ihipStream_tbEUlT_E0_NS1_11comp_targetILNS1_3genE5ELNS1_11target_archE942ELNS1_3gpuE9ELNS1_3repE0EEENS1_30default_config_static_selectorELNS0_4arch9wavefront6targetE1EEEvSD_
	.p2align	8
	.type	_ZN7rocprim17ROCPRIM_400000_NS6detail17trampoline_kernelINS0_14default_configENS1_22reduce_config_selectorIfEEZNS1_11reduce_implILb1ES3_PfS7_f9plus_mod3IfEEE10hipError_tPvRmT1_T2_T3_mT4_P12ihipStream_tbEUlT_E0_NS1_11comp_targetILNS1_3genE5ELNS1_11target_archE942ELNS1_3gpuE9ELNS1_3repE0EEENS1_30default_config_static_selectorELNS0_4arch9wavefront6targetE1EEEvSD_,@function
_ZN7rocprim17ROCPRIM_400000_NS6detail17trampoline_kernelINS0_14default_configENS1_22reduce_config_selectorIfEEZNS1_11reduce_implILb1ES3_PfS7_f9plus_mod3IfEEE10hipError_tPvRmT1_T2_T3_mT4_P12ihipStream_tbEUlT_E0_NS1_11comp_targetILNS1_3genE5ELNS1_11target_archE942ELNS1_3gpuE9ELNS1_3repE0EEENS1_30default_config_static_selectorELNS0_4arch9wavefront6targetE1EEEvSD_: ; @_ZN7rocprim17ROCPRIM_400000_NS6detail17trampoline_kernelINS0_14default_configENS1_22reduce_config_selectorIfEEZNS1_11reduce_implILb1ES3_PfS7_f9plus_mod3IfEEE10hipError_tPvRmT1_T2_T3_mT4_P12ihipStream_tbEUlT_E0_NS1_11comp_targetILNS1_3genE5ELNS1_11target_archE942ELNS1_3gpuE9ELNS1_3repE0EEENS1_30default_config_static_selectorELNS0_4arch9wavefront6targetE1EEEvSD_
; %bb.0:
	.section	.rodata,"a",@progbits
	.p2align	6, 0x0
	.amdhsa_kernel _ZN7rocprim17ROCPRIM_400000_NS6detail17trampoline_kernelINS0_14default_configENS1_22reduce_config_selectorIfEEZNS1_11reduce_implILb1ES3_PfS7_f9plus_mod3IfEEE10hipError_tPvRmT1_T2_T3_mT4_P12ihipStream_tbEUlT_E0_NS1_11comp_targetILNS1_3genE5ELNS1_11target_archE942ELNS1_3gpuE9ELNS1_3repE0EEENS1_30default_config_static_selectorELNS0_4arch9wavefront6targetE1EEEvSD_
		.amdhsa_group_segment_fixed_size 0
		.amdhsa_private_segment_fixed_size 0
		.amdhsa_kernarg_size 64
		.amdhsa_user_sgpr_count 2
		.amdhsa_user_sgpr_dispatch_ptr 0
		.amdhsa_user_sgpr_queue_ptr 0
		.amdhsa_user_sgpr_kernarg_segment_ptr 1
		.amdhsa_user_sgpr_dispatch_id 0
		.amdhsa_user_sgpr_kernarg_preload_length 0
		.amdhsa_user_sgpr_kernarg_preload_offset 0
		.amdhsa_user_sgpr_private_segment_size 0
		.amdhsa_uses_dynamic_stack 0
		.amdhsa_enable_private_segment 0
		.amdhsa_system_sgpr_workgroup_id_x 1
		.amdhsa_system_sgpr_workgroup_id_y 0
		.amdhsa_system_sgpr_workgroup_id_z 0
		.amdhsa_system_sgpr_workgroup_info 0
		.amdhsa_system_vgpr_workitem_id 0
		.amdhsa_next_free_vgpr 1
		.amdhsa_next_free_sgpr 0
		.amdhsa_accum_offset 4
		.amdhsa_reserve_vcc 0
		.amdhsa_float_round_mode_32 0
		.amdhsa_float_round_mode_16_64 0
		.amdhsa_float_denorm_mode_32 3
		.amdhsa_float_denorm_mode_16_64 3
		.amdhsa_dx10_clamp 1
		.amdhsa_ieee_mode 1
		.amdhsa_fp16_overflow 0
		.amdhsa_tg_split 0
		.amdhsa_exception_fp_ieee_invalid_op 0
		.amdhsa_exception_fp_denorm_src 0
		.amdhsa_exception_fp_ieee_div_zero 0
		.amdhsa_exception_fp_ieee_overflow 0
		.amdhsa_exception_fp_ieee_underflow 0
		.amdhsa_exception_fp_ieee_inexact 0
		.amdhsa_exception_int_div_zero 0
	.end_amdhsa_kernel
	.section	.text._ZN7rocprim17ROCPRIM_400000_NS6detail17trampoline_kernelINS0_14default_configENS1_22reduce_config_selectorIfEEZNS1_11reduce_implILb1ES3_PfS7_f9plus_mod3IfEEE10hipError_tPvRmT1_T2_T3_mT4_P12ihipStream_tbEUlT_E0_NS1_11comp_targetILNS1_3genE5ELNS1_11target_archE942ELNS1_3gpuE9ELNS1_3repE0EEENS1_30default_config_static_selectorELNS0_4arch9wavefront6targetE1EEEvSD_,"axG",@progbits,_ZN7rocprim17ROCPRIM_400000_NS6detail17trampoline_kernelINS0_14default_configENS1_22reduce_config_selectorIfEEZNS1_11reduce_implILb1ES3_PfS7_f9plus_mod3IfEEE10hipError_tPvRmT1_T2_T3_mT4_P12ihipStream_tbEUlT_E0_NS1_11comp_targetILNS1_3genE5ELNS1_11target_archE942ELNS1_3gpuE9ELNS1_3repE0EEENS1_30default_config_static_selectorELNS0_4arch9wavefront6targetE1EEEvSD_,comdat
.Lfunc_end732:
	.size	_ZN7rocprim17ROCPRIM_400000_NS6detail17trampoline_kernelINS0_14default_configENS1_22reduce_config_selectorIfEEZNS1_11reduce_implILb1ES3_PfS7_f9plus_mod3IfEEE10hipError_tPvRmT1_T2_T3_mT4_P12ihipStream_tbEUlT_E0_NS1_11comp_targetILNS1_3genE5ELNS1_11target_archE942ELNS1_3gpuE9ELNS1_3repE0EEENS1_30default_config_static_selectorELNS0_4arch9wavefront6targetE1EEEvSD_, .Lfunc_end732-_ZN7rocprim17ROCPRIM_400000_NS6detail17trampoline_kernelINS0_14default_configENS1_22reduce_config_selectorIfEEZNS1_11reduce_implILb1ES3_PfS7_f9plus_mod3IfEEE10hipError_tPvRmT1_T2_T3_mT4_P12ihipStream_tbEUlT_E0_NS1_11comp_targetILNS1_3genE5ELNS1_11target_archE942ELNS1_3gpuE9ELNS1_3repE0EEENS1_30default_config_static_selectorELNS0_4arch9wavefront6targetE1EEEvSD_
                                        ; -- End function
	.set _ZN7rocprim17ROCPRIM_400000_NS6detail17trampoline_kernelINS0_14default_configENS1_22reduce_config_selectorIfEEZNS1_11reduce_implILb1ES3_PfS7_f9plus_mod3IfEEE10hipError_tPvRmT1_T2_T3_mT4_P12ihipStream_tbEUlT_E0_NS1_11comp_targetILNS1_3genE5ELNS1_11target_archE942ELNS1_3gpuE9ELNS1_3repE0EEENS1_30default_config_static_selectorELNS0_4arch9wavefront6targetE1EEEvSD_.num_vgpr, 0
	.set _ZN7rocprim17ROCPRIM_400000_NS6detail17trampoline_kernelINS0_14default_configENS1_22reduce_config_selectorIfEEZNS1_11reduce_implILb1ES3_PfS7_f9plus_mod3IfEEE10hipError_tPvRmT1_T2_T3_mT4_P12ihipStream_tbEUlT_E0_NS1_11comp_targetILNS1_3genE5ELNS1_11target_archE942ELNS1_3gpuE9ELNS1_3repE0EEENS1_30default_config_static_selectorELNS0_4arch9wavefront6targetE1EEEvSD_.num_agpr, 0
	.set _ZN7rocprim17ROCPRIM_400000_NS6detail17trampoline_kernelINS0_14default_configENS1_22reduce_config_selectorIfEEZNS1_11reduce_implILb1ES3_PfS7_f9plus_mod3IfEEE10hipError_tPvRmT1_T2_T3_mT4_P12ihipStream_tbEUlT_E0_NS1_11comp_targetILNS1_3genE5ELNS1_11target_archE942ELNS1_3gpuE9ELNS1_3repE0EEENS1_30default_config_static_selectorELNS0_4arch9wavefront6targetE1EEEvSD_.numbered_sgpr, 0
	.set _ZN7rocprim17ROCPRIM_400000_NS6detail17trampoline_kernelINS0_14default_configENS1_22reduce_config_selectorIfEEZNS1_11reduce_implILb1ES3_PfS7_f9plus_mod3IfEEE10hipError_tPvRmT1_T2_T3_mT4_P12ihipStream_tbEUlT_E0_NS1_11comp_targetILNS1_3genE5ELNS1_11target_archE942ELNS1_3gpuE9ELNS1_3repE0EEENS1_30default_config_static_selectorELNS0_4arch9wavefront6targetE1EEEvSD_.num_named_barrier, 0
	.set _ZN7rocprim17ROCPRIM_400000_NS6detail17trampoline_kernelINS0_14default_configENS1_22reduce_config_selectorIfEEZNS1_11reduce_implILb1ES3_PfS7_f9plus_mod3IfEEE10hipError_tPvRmT1_T2_T3_mT4_P12ihipStream_tbEUlT_E0_NS1_11comp_targetILNS1_3genE5ELNS1_11target_archE942ELNS1_3gpuE9ELNS1_3repE0EEENS1_30default_config_static_selectorELNS0_4arch9wavefront6targetE1EEEvSD_.private_seg_size, 0
	.set _ZN7rocprim17ROCPRIM_400000_NS6detail17trampoline_kernelINS0_14default_configENS1_22reduce_config_selectorIfEEZNS1_11reduce_implILb1ES3_PfS7_f9plus_mod3IfEEE10hipError_tPvRmT1_T2_T3_mT4_P12ihipStream_tbEUlT_E0_NS1_11comp_targetILNS1_3genE5ELNS1_11target_archE942ELNS1_3gpuE9ELNS1_3repE0EEENS1_30default_config_static_selectorELNS0_4arch9wavefront6targetE1EEEvSD_.uses_vcc, 0
	.set _ZN7rocprim17ROCPRIM_400000_NS6detail17trampoline_kernelINS0_14default_configENS1_22reduce_config_selectorIfEEZNS1_11reduce_implILb1ES3_PfS7_f9plus_mod3IfEEE10hipError_tPvRmT1_T2_T3_mT4_P12ihipStream_tbEUlT_E0_NS1_11comp_targetILNS1_3genE5ELNS1_11target_archE942ELNS1_3gpuE9ELNS1_3repE0EEENS1_30default_config_static_selectorELNS0_4arch9wavefront6targetE1EEEvSD_.uses_flat_scratch, 0
	.set _ZN7rocprim17ROCPRIM_400000_NS6detail17trampoline_kernelINS0_14default_configENS1_22reduce_config_selectorIfEEZNS1_11reduce_implILb1ES3_PfS7_f9plus_mod3IfEEE10hipError_tPvRmT1_T2_T3_mT4_P12ihipStream_tbEUlT_E0_NS1_11comp_targetILNS1_3genE5ELNS1_11target_archE942ELNS1_3gpuE9ELNS1_3repE0EEENS1_30default_config_static_selectorELNS0_4arch9wavefront6targetE1EEEvSD_.has_dyn_sized_stack, 0
	.set _ZN7rocprim17ROCPRIM_400000_NS6detail17trampoline_kernelINS0_14default_configENS1_22reduce_config_selectorIfEEZNS1_11reduce_implILb1ES3_PfS7_f9plus_mod3IfEEE10hipError_tPvRmT1_T2_T3_mT4_P12ihipStream_tbEUlT_E0_NS1_11comp_targetILNS1_3genE5ELNS1_11target_archE942ELNS1_3gpuE9ELNS1_3repE0EEENS1_30default_config_static_selectorELNS0_4arch9wavefront6targetE1EEEvSD_.has_recursion, 0
	.set _ZN7rocprim17ROCPRIM_400000_NS6detail17trampoline_kernelINS0_14default_configENS1_22reduce_config_selectorIfEEZNS1_11reduce_implILb1ES3_PfS7_f9plus_mod3IfEEE10hipError_tPvRmT1_T2_T3_mT4_P12ihipStream_tbEUlT_E0_NS1_11comp_targetILNS1_3genE5ELNS1_11target_archE942ELNS1_3gpuE9ELNS1_3repE0EEENS1_30default_config_static_selectorELNS0_4arch9wavefront6targetE1EEEvSD_.has_indirect_call, 0
	.section	.AMDGPU.csdata,"",@progbits
; Kernel info:
; codeLenInByte = 0
; TotalNumSgprs: 6
; NumVgprs: 0
; NumAgprs: 0
; TotalNumVgprs: 0
; ScratchSize: 0
; MemoryBound: 0
; FloatMode: 240
; IeeeMode: 1
; LDSByteSize: 0 bytes/workgroup (compile time only)
; SGPRBlocks: 0
; VGPRBlocks: 0
; NumSGPRsForWavesPerEU: 6
; NumVGPRsForWavesPerEU: 1
; AccumOffset: 4
; Occupancy: 8
; WaveLimiterHint : 0
; COMPUTE_PGM_RSRC2:SCRATCH_EN: 0
; COMPUTE_PGM_RSRC2:USER_SGPR: 2
; COMPUTE_PGM_RSRC2:TRAP_HANDLER: 0
; COMPUTE_PGM_RSRC2:TGID_X_EN: 1
; COMPUTE_PGM_RSRC2:TGID_Y_EN: 0
; COMPUTE_PGM_RSRC2:TGID_Z_EN: 0
; COMPUTE_PGM_RSRC2:TIDIG_COMP_CNT: 0
; COMPUTE_PGM_RSRC3_GFX90A:ACCUM_OFFSET: 0
; COMPUTE_PGM_RSRC3_GFX90A:TG_SPLIT: 0
	.section	.text._ZN7rocprim17ROCPRIM_400000_NS6detail17trampoline_kernelINS0_14default_configENS1_22reduce_config_selectorIfEEZNS1_11reduce_implILb1ES3_PfS7_f9plus_mod3IfEEE10hipError_tPvRmT1_T2_T3_mT4_P12ihipStream_tbEUlT_E0_NS1_11comp_targetILNS1_3genE4ELNS1_11target_archE910ELNS1_3gpuE8ELNS1_3repE0EEENS1_30default_config_static_selectorELNS0_4arch9wavefront6targetE1EEEvSD_,"axG",@progbits,_ZN7rocprim17ROCPRIM_400000_NS6detail17trampoline_kernelINS0_14default_configENS1_22reduce_config_selectorIfEEZNS1_11reduce_implILb1ES3_PfS7_f9plus_mod3IfEEE10hipError_tPvRmT1_T2_T3_mT4_P12ihipStream_tbEUlT_E0_NS1_11comp_targetILNS1_3genE4ELNS1_11target_archE910ELNS1_3gpuE8ELNS1_3repE0EEENS1_30default_config_static_selectorELNS0_4arch9wavefront6targetE1EEEvSD_,comdat
	.protected	_ZN7rocprim17ROCPRIM_400000_NS6detail17trampoline_kernelINS0_14default_configENS1_22reduce_config_selectorIfEEZNS1_11reduce_implILb1ES3_PfS7_f9plus_mod3IfEEE10hipError_tPvRmT1_T2_T3_mT4_P12ihipStream_tbEUlT_E0_NS1_11comp_targetILNS1_3genE4ELNS1_11target_archE910ELNS1_3gpuE8ELNS1_3repE0EEENS1_30default_config_static_selectorELNS0_4arch9wavefront6targetE1EEEvSD_ ; -- Begin function _ZN7rocprim17ROCPRIM_400000_NS6detail17trampoline_kernelINS0_14default_configENS1_22reduce_config_selectorIfEEZNS1_11reduce_implILb1ES3_PfS7_f9plus_mod3IfEEE10hipError_tPvRmT1_T2_T3_mT4_P12ihipStream_tbEUlT_E0_NS1_11comp_targetILNS1_3genE4ELNS1_11target_archE910ELNS1_3gpuE8ELNS1_3repE0EEENS1_30default_config_static_selectorELNS0_4arch9wavefront6targetE1EEEvSD_
	.globl	_ZN7rocprim17ROCPRIM_400000_NS6detail17trampoline_kernelINS0_14default_configENS1_22reduce_config_selectorIfEEZNS1_11reduce_implILb1ES3_PfS7_f9plus_mod3IfEEE10hipError_tPvRmT1_T2_T3_mT4_P12ihipStream_tbEUlT_E0_NS1_11comp_targetILNS1_3genE4ELNS1_11target_archE910ELNS1_3gpuE8ELNS1_3repE0EEENS1_30default_config_static_selectorELNS0_4arch9wavefront6targetE1EEEvSD_
	.p2align	8
	.type	_ZN7rocprim17ROCPRIM_400000_NS6detail17trampoline_kernelINS0_14default_configENS1_22reduce_config_selectorIfEEZNS1_11reduce_implILb1ES3_PfS7_f9plus_mod3IfEEE10hipError_tPvRmT1_T2_T3_mT4_P12ihipStream_tbEUlT_E0_NS1_11comp_targetILNS1_3genE4ELNS1_11target_archE910ELNS1_3gpuE8ELNS1_3repE0EEENS1_30default_config_static_selectorELNS0_4arch9wavefront6targetE1EEEvSD_,@function
_ZN7rocprim17ROCPRIM_400000_NS6detail17trampoline_kernelINS0_14default_configENS1_22reduce_config_selectorIfEEZNS1_11reduce_implILb1ES3_PfS7_f9plus_mod3IfEEE10hipError_tPvRmT1_T2_T3_mT4_P12ihipStream_tbEUlT_E0_NS1_11comp_targetILNS1_3genE4ELNS1_11target_archE910ELNS1_3gpuE8ELNS1_3repE0EEENS1_30default_config_static_selectorELNS0_4arch9wavefront6targetE1EEEvSD_: ; @_ZN7rocprim17ROCPRIM_400000_NS6detail17trampoline_kernelINS0_14default_configENS1_22reduce_config_selectorIfEEZNS1_11reduce_implILb1ES3_PfS7_f9plus_mod3IfEEE10hipError_tPvRmT1_T2_T3_mT4_P12ihipStream_tbEUlT_E0_NS1_11comp_targetILNS1_3genE4ELNS1_11target_archE910ELNS1_3gpuE8ELNS1_3repE0EEENS1_30default_config_static_selectorELNS0_4arch9wavefront6targetE1EEEvSD_
; %bb.0:
	.section	.rodata,"a",@progbits
	.p2align	6, 0x0
	.amdhsa_kernel _ZN7rocprim17ROCPRIM_400000_NS6detail17trampoline_kernelINS0_14default_configENS1_22reduce_config_selectorIfEEZNS1_11reduce_implILb1ES3_PfS7_f9plus_mod3IfEEE10hipError_tPvRmT1_T2_T3_mT4_P12ihipStream_tbEUlT_E0_NS1_11comp_targetILNS1_3genE4ELNS1_11target_archE910ELNS1_3gpuE8ELNS1_3repE0EEENS1_30default_config_static_selectorELNS0_4arch9wavefront6targetE1EEEvSD_
		.amdhsa_group_segment_fixed_size 0
		.amdhsa_private_segment_fixed_size 0
		.amdhsa_kernarg_size 64
		.amdhsa_user_sgpr_count 2
		.amdhsa_user_sgpr_dispatch_ptr 0
		.amdhsa_user_sgpr_queue_ptr 0
		.amdhsa_user_sgpr_kernarg_segment_ptr 1
		.amdhsa_user_sgpr_dispatch_id 0
		.amdhsa_user_sgpr_kernarg_preload_length 0
		.amdhsa_user_sgpr_kernarg_preload_offset 0
		.amdhsa_user_sgpr_private_segment_size 0
		.amdhsa_uses_dynamic_stack 0
		.amdhsa_enable_private_segment 0
		.amdhsa_system_sgpr_workgroup_id_x 1
		.amdhsa_system_sgpr_workgroup_id_y 0
		.amdhsa_system_sgpr_workgroup_id_z 0
		.amdhsa_system_sgpr_workgroup_info 0
		.amdhsa_system_vgpr_workitem_id 0
		.amdhsa_next_free_vgpr 1
		.amdhsa_next_free_sgpr 0
		.amdhsa_accum_offset 4
		.amdhsa_reserve_vcc 0
		.amdhsa_float_round_mode_32 0
		.amdhsa_float_round_mode_16_64 0
		.amdhsa_float_denorm_mode_32 3
		.amdhsa_float_denorm_mode_16_64 3
		.amdhsa_dx10_clamp 1
		.amdhsa_ieee_mode 1
		.amdhsa_fp16_overflow 0
		.amdhsa_tg_split 0
		.amdhsa_exception_fp_ieee_invalid_op 0
		.amdhsa_exception_fp_denorm_src 0
		.amdhsa_exception_fp_ieee_div_zero 0
		.amdhsa_exception_fp_ieee_overflow 0
		.amdhsa_exception_fp_ieee_underflow 0
		.amdhsa_exception_fp_ieee_inexact 0
		.amdhsa_exception_int_div_zero 0
	.end_amdhsa_kernel
	.section	.text._ZN7rocprim17ROCPRIM_400000_NS6detail17trampoline_kernelINS0_14default_configENS1_22reduce_config_selectorIfEEZNS1_11reduce_implILb1ES3_PfS7_f9plus_mod3IfEEE10hipError_tPvRmT1_T2_T3_mT4_P12ihipStream_tbEUlT_E0_NS1_11comp_targetILNS1_3genE4ELNS1_11target_archE910ELNS1_3gpuE8ELNS1_3repE0EEENS1_30default_config_static_selectorELNS0_4arch9wavefront6targetE1EEEvSD_,"axG",@progbits,_ZN7rocprim17ROCPRIM_400000_NS6detail17trampoline_kernelINS0_14default_configENS1_22reduce_config_selectorIfEEZNS1_11reduce_implILb1ES3_PfS7_f9plus_mod3IfEEE10hipError_tPvRmT1_T2_T3_mT4_P12ihipStream_tbEUlT_E0_NS1_11comp_targetILNS1_3genE4ELNS1_11target_archE910ELNS1_3gpuE8ELNS1_3repE0EEENS1_30default_config_static_selectorELNS0_4arch9wavefront6targetE1EEEvSD_,comdat
.Lfunc_end733:
	.size	_ZN7rocprim17ROCPRIM_400000_NS6detail17trampoline_kernelINS0_14default_configENS1_22reduce_config_selectorIfEEZNS1_11reduce_implILb1ES3_PfS7_f9plus_mod3IfEEE10hipError_tPvRmT1_T2_T3_mT4_P12ihipStream_tbEUlT_E0_NS1_11comp_targetILNS1_3genE4ELNS1_11target_archE910ELNS1_3gpuE8ELNS1_3repE0EEENS1_30default_config_static_selectorELNS0_4arch9wavefront6targetE1EEEvSD_, .Lfunc_end733-_ZN7rocprim17ROCPRIM_400000_NS6detail17trampoline_kernelINS0_14default_configENS1_22reduce_config_selectorIfEEZNS1_11reduce_implILb1ES3_PfS7_f9plus_mod3IfEEE10hipError_tPvRmT1_T2_T3_mT4_P12ihipStream_tbEUlT_E0_NS1_11comp_targetILNS1_3genE4ELNS1_11target_archE910ELNS1_3gpuE8ELNS1_3repE0EEENS1_30default_config_static_selectorELNS0_4arch9wavefront6targetE1EEEvSD_
                                        ; -- End function
	.set _ZN7rocprim17ROCPRIM_400000_NS6detail17trampoline_kernelINS0_14default_configENS1_22reduce_config_selectorIfEEZNS1_11reduce_implILb1ES3_PfS7_f9plus_mod3IfEEE10hipError_tPvRmT1_T2_T3_mT4_P12ihipStream_tbEUlT_E0_NS1_11comp_targetILNS1_3genE4ELNS1_11target_archE910ELNS1_3gpuE8ELNS1_3repE0EEENS1_30default_config_static_selectorELNS0_4arch9wavefront6targetE1EEEvSD_.num_vgpr, 0
	.set _ZN7rocprim17ROCPRIM_400000_NS6detail17trampoline_kernelINS0_14default_configENS1_22reduce_config_selectorIfEEZNS1_11reduce_implILb1ES3_PfS7_f9plus_mod3IfEEE10hipError_tPvRmT1_T2_T3_mT4_P12ihipStream_tbEUlT_E0_NS1_11comp_targetILNS1_3genE4ELNS1_11target_archE910ELNS1_3gpuE8ELNS1_3repE0EEENS1_30default_config_static_selectorELNS0_4arch9wavefront6targetE1EEEvSD_.num_agpr, 0
	.set _ZN7rocprim17ROCPRIM_400000_NS6detail17trampoline_kernelINS0_14default_configENS1_22reduce_config_selectorIfEEZNS1_11reduce_implILb1ES3_PfS7_f9plus_mod3IfEEE10hipError_tPvRmT1_T2_T3_mT4_P12ihipStream_tbEUlT_E0_NS1_11comp_targetILNS1_3genE4ELNS1_11target_archE910ELNS1_3gpuE8ELNS1_3repE0EEENS1_30default_config_static_selectorELNS0_4arch9wavefront6targetE1EEEvSD_.numbered_sgpr, 0
	.set _ZN7rocprim17ROCPRIM_400000_NS6detail17trampoline_kernelINS0_14default_configENS1_22reduce_config_selectorIfEEZNS1_11reduce_implILb1ES3_PfS7_f9plus_mod3IfEEE10hipError_tPvRmT1_T2_T3_mT4_P12ihipStream_tbEUlT_E0_NS1_11comp_targetILNS1_3genE4ELNS1_11target_archE910ELNS1_3gpuE8ELNS1_3repE0EEENS1_30default_config_static_selectorELNS0_4arch9wavefront6targetE1EEEvSD_.num_named_barrier, 0
	.set _ZN7rocprim17ROCPRIM_400000_NS6detail17trampoline_kernelINS0_14default_configENS1_22reduce_config_selectorIfEEZNS1_11reduce_implILb1ES3_PfS7_f9plus_mod3IfEEE10hipError_tPvRmT1_T2_T3_mT4_P12ihipStream_tbEUlT_E0_NS1_11comp_targetILNS1_3genE4ELNS1_11target_archE910ELNS1_3gpuE8ELNS1_3repE0EEENS1_30default_config_static_selectorELNS0_4arch9wavefront6targetE1EEEvSD_.private_seg_size, 0
	.set _ZN7rocprim17ROCPRIM_400000_NS6detail17trampoline_kernelINS0_14default_configENS1_22reduce_config_selectorIfEEZNS1_11reduce_implILb1ES3_PfS7_f9plus_mod3IfEEE10hipError_tPvRmT1_T2_T3_mT4_P12ihipStream_tbEUlT_E0_NS1_11comp_targetILNS1_3genE4ELNS1_11target_archE910ELNS1_3gpuE8ELNS1_3repE0EEENS1_30default_config_static_selectorELNS0_4arch9wavefront6targetE1EEEvSD_.uses_vcc, 0
	.set _ZN7rocprim17ROCPRIM_400000_NS6detail17trampoline_kernelINS0_14default_configENS1_22reduce_config_selectorIfEEZNS1_11reduce_implILb1ES3_PfS7_f9plus_mod3IfEEE10hipError_tPvRmT1_T2_T3_mT4_P12ihipStream_tbEUlT_E0_NS1_11comp_targetILNS1_3genE4ELNS1_11target_archE910ELNS1_3gpuE8ELNS1_3repE0EEENS1_30default_config_static_selectorELNS0_4arch9wavefront6targetE1EEEvSD_.uses_flat_scratch, 0
	.set _ZN7rocprim17ROCPRIM_400000_NS6detail17trampoline_kernelINS0_14default_configENS1_22reduce_config_selectorIfEEZNS1_11reduce_implILb1ES3_PfS7_f9plus_mod3IfEEE10hipError_tPvRmT1_T2_T3_mT4_P12ihipStream_tbEUlT_E0_NS1_11comp_targetILNS1_3genE4ELNS1_11target_archE910ELNS1_3gpuE8ELNS1_3repE0EEENS1_30default_config_static_selectorELNS0_4arch9wavefront6targetE1EEEvSD_.has_dyn_sized_stack, 0
	.set _ZN7rocprim17ROCPRIM_400000_NS6detail17trampoline_kernelINS0_14default_configENS1_22reduce_config_selectorIfEEZNS1_11reduce_implILb1ES3_PfS7_f9plus_mod3IfEEE10hipError_tPvRmT1_T2_T3_mT4_P12ihipStream_tbEUlT_E0_NS1_11comp_targetILNS1_3genE4ELNS1_11target_archE910ELNS1_3gpuE8ELNS1_3repE0EEENS1_30default_config_static_selectorELNS0_4arch9wavefront6targetE1EEEvSD_.has_recursion, 0
	.set _ZN7rocprim17ROCPRIM_400000_NS6detail17trampoline_kernelINS0_14default_configENS1_22reduce_config_selectorIfEEZNS1_11reduce_implILb1ES3_PfS7_f9plus_mod3IfEEE10hipError_tPvRmT1_T2_T3_mT4_P12ihipStream_tbEUlT_E0_NS1_11comp_targetILNS1_3genE4ELNS1_11target_archE910ELNS1_3gpuE8ELNS1_3repE0EEENS1_30default_config_static_selectorELNS0_4arch9wavefront6targetE1EEEvSD_.has_indirect_call, 0
	.section	.AMDGPU.csdata,"",@progbits
; Kernel info:
; codeLenInByte = 0
; TotalNumSgprs: 6
; NumVgprs: 0
; NumAgprs: 0
; TotalNumVgprs: 0
; ScratchSize: 0
; MemoryBound: 0
; FloatMode: 240
; IeeeMode: 1
; LDSByteSize: 0 bytes/workgroup (compile time only)
; SGPRBlocks: 0
; VGPRBlocks: 0
; NumSGPRsForWavesPerEU: 6
; NumVGPRsForWavesPerEU: 1
; AccumOffset: 4
; Occupancy: 8
; WaveLimiterHint : 0
; COMPUTE_PGM_RSRC2:SCRATCH_EN: 0
; COMPUTE_PGM_RSRC2:USER_SGPR: 2
; COMPUTE_PGM_RSRC2:TRAP_HANDLER: 0
; COMPUTE_PGM_RSRC2:TGID_X_EN: 1
; COMPUTE_PGM_RSRC2:TGID_Y_EN: 0
; COMPUTE_PGM_RSRC2:TGID_Z_EN: 0
; COMPUTE_PGM_RSRC2:TIDIG_COMP_CNT: 0
; COMPUTE_PGM_RSRC3_GFX90A:ACCUM_OFFSET: 0
; COMPUTE_PGM_RSRC3_GFX90A:TG_SPLIT: 0
	.section	.text._ZN7rocprim17ROCPRIM_400000_NS6detail17trampoline_kernelINS0_14default_configENS1_22reduce_config_selectorIfEEZNS1_11reduce_implILb1ES3_PfS7_f9plus_mod3IfEEE10hipError_tPvRmT1_T2_T3_mT4_P12ihipStream_tbEUlT_E0_NS1_11comp_targetILNS1_3genE3ELNS1_11target_archE908ELNS1_3gpuE7ELNS1_3repE0EEENS1_30default_config_static_selectorELNS0_4arch9wavefront6targetE1EEEvSD_,"axG",@progbits,_ZN7rocprim17ROCPRIM_400000_NS6detail17trampoline_kernelINS0_14default_configENS1_22reduce_config_selectorIfEEZNS1_11reduce_implILb1ES3_PfS7_f9plus_mod3IfEEE10hipError_tPvRmT1_T2_T3_mT4_P12ihipStream_tbEUlT_E0_NS1_11comp_targetILNS1_3genE3ELNS1_11target_archE908ELNS1_3gpuE7ELNS1_3repE0EEENS1_30default_config_static_selectorELNS0_4arch9wavefront6targetE1EEEvSD_,comdat
	.protected	_ZN7rocprim17ROCPRIM_400000_NS6detail17trampoline_kernelINS0_14default_configENS1_22reduce_config_selectorIfEEZNS1_11reduce_implILb1ES3_PfS7_f9plus_mod3IfEEE10hipError_tPvRmT1_T2_T3_mT4_P12ihipStream_tbEUlT_E0_NS1_11comp_targetILNS1_3genE3ELNS1_11target_archE908ELNS1_3gpuE7ELNS1_3repE0EEENS1_30default_config_static_selectorELNS0_4arch9wavefront6targetE1EEEvSD_ ; -- Begin function _ZN7rocprim17ROCPRIM_400000_NS6detail17trampoline_kernelINS0_14default_configENS1_22reduce_config_selectorIfEEZNS1_11reduce_implILb1ES3_PfS7_f9plus_mod3IfEEE10hipError_tPvRmT1_T2_T3_mT4_P12ihipStream_tbEUlT_E0_NS1_11comp_targetILNS1_3genE3ELNS1_11target_archE908ELNS1_3gpuE7ELNS1_3repE0EEENS1_30default_config_static_selectorELNS0_4arch9wavefront6targetE1EEEvSD_
	.globl	_ZN7rocprim17ROCPRIM_400000_NS6detail17trampoline_kernelINS0_14default_configENS1_22reduce_config_selectorIfEEZNS1_11reduce_implILb1ES3_PfS7_f9plus_mod3IfEEE10hipError_tPvRmT1_T2_T3_mT4_P12ihipStream_tbEUlT_E0_NS1_11comp_targetILNS1_3genE3ELNS1_11target_archE908ELNS1_3gpuE7ELNS1_3repE0EEENS1_30default_config_static_selectorELNS0_4arch9wavefront6targetE1EEEvSD_
	.p2align	8
	.type	_ZN7rocprim17ROCPRIM_400000_NS6detail17trampoline_kernelINS0_14default_configENS1_22reduce_config_selectorIfEEZNS1_11reduce_implILb1ES3_PfS7_f9plus_mod3IfEEE10hipError_tPvRmT1_T2_T3_mT4_P12ihipStream_tbEUlT_E0_NS1_11comp_targetILNS1_3genE3ELNS1_11target_archE908ELNS1_3gpuE7ELNS1_3repE0EEENS1_30default_config_static_selectorELNS0_4arch9wavefront6targetE1EEEvSD_,@function
_ZN7rocprim17ROCPRIM_400000_NS6detail17trampoline_kernelINS0_14default_configENS1_22reduce_config_selectorIfEEZNS1_11reduce_implILb1ES3_PfS7_f9plus_mod3IfEEE10hipError_tPvRmT1_T2_T3_mT4_P12ihipStream_tbEUlT_E0_NS1_11comp_targetILNS1_3genE3ELNS1_11target_archE908ELNS1_3gpuE7ELNS1_3repE0EEENS1_30default_config_static_selectorELNS0_4arch9wavefront6targetE1EEEvSD_: ; @_ZN7rocprim17ROCPRIM_400000_NS6detail17trampoline_kernelINS0_14default_configENS1_22reduce_config_selectorIfEEZNS1_11reduce_implILb1ES3_PfS7_f9plus_mod3IfEEE10hipError_tPvRmT1_T2_T3_mT4_P12ihipStream_tbEUlT_E0_NS1_11comp_targetILNS1_3genE3ELNS1_11target_archE908ELNS1_3gpuE7ELNS1_3repE0EEENS1_30default_config_static_selectorELNS0_4arch9wavefront6targetE1EEEvSD_
; %bb.0:
	.section	.rodata,"a",@progbits
	.p2align	6, 0x0
	.amdhsa_kernel _ZN7rocprim17ROCPRIM_400000_NS6detail17trampoline_kernelINS0_14default_configENS1_22reduce_config_selectorIfEEZNS1_11reduce_implILb1ES3_PfS7_f9plus_mod3IfEEE10hipError_tPvRmT1_T2_T3_mT4_P12ihipStream_tbEUlT_E0_NS1_11comp_targetILNS1_3genE3ELNS1_11target_archE908ELNS1_3gpuE7ELNS1_3repE0EEENS1_30default_config_static_selectorELNS0_4arch9wavefront6targetE1EEEvSD_
		.amdhsa_group_segment_fixed_size 0
		.amdhsa_private_segment_fixed_size 0
		.amdhsa_kernarg_size 64
		.amdhsa_user_sgpr_count 2
		.amdhsa_user_sgpr_dispatch_ptr 0
		.amdhsa_user_sgpr_queue_ptr 0
		.amdhsa_user_sgpr_kernarg_segment_ptr 1
		.amdhsa_user_sgpr_dispatch_id 0
		.amdhsa_user_sgpr_kernarg_preload_length 0
		.amdhsa_user_sgpr_kernarg_preload_offset 0
		.amdhsa_user_sgpr_private_segment_size 0
		.amdhsa_uses_dynamic_stack 0
		.amdhsa_enable_private_segment 0
		.amdhsa_system_sgpr_workgroup_id_x 1
		.amdhsa_system_sgpr_workgroup_id_y 0
		.amdhsa_system_sgpr_workgroup_id_z 0
		.amdhsa_system_sgpr_workgroup_info 0
		.amdhsa_system_vgpr_workitem_id 0
		.amdhsa_next_free_vgpr 1
		.amdhsa_next_free_sgpr 0
		.amdhsa_accum_offset 4
		.amdhsa_reserve_vcc 0
		.amdhsa_float_round_mode_32 0
		.amdhsa_float_round_mode_16_64 0
		.amdhsa_float_denorm_mode_32 3
		.amdhsa_float_denorm_mode_16_64 3
		.amdhsa_dx10_clamp 1
		.amdhsa_ieee_mode 1
		.amdhsa_fp16_overflow 0
		.amdhsa_tg_split 0
		.amdhsa_exception_fp_ieee_invalid_op 0
		.amdhsa_exception_fp_denorm_src 0
		.amdhsa_exception_fp_ieee_div_zero 0
		.amdhsa_exception_fp_ieee_overflow 0
		.amdhsa_exception_fp_ieee_underflow 0
		.amdhsa_exception_fp_ieee_inexact 0
		.amdhsa_exception_int_div_zero 0
	.end_amdhsa_kernel
	.section	.text._ZN7rocprim17ROCPRIM_400000_NS6detail17trampoline_kernelINS0_14default_configENS1_22reduce_config_selectorIfEEZNS1_11reduce_implILb1ES3_PfS7_f9plus_mod3IfEEE10hipError_tPvRmT1_T2_T3_mT4_P12ihipStream_tbEUlT_E0_NS1_11comp_targetILNS1_3genE3ELNS1_11target_archE908ELNS1_3gpuE7ELNS1_3repE0EEENS1_30default_config_static_selectorELNS0_4arch9wavefront6targetE1EEEvSD_,"axG",@progbits,_ZN7rocprim17ROCPRIM_400000_NS6detail17trampoline_kernelINS0_14default_configENS1_22reduce_config_selectorIfEEZNS1_11reduce_implILb1ES3_PfS7_f9plus_mod3IfEEE10hipError_tPvRmT1_T2_T3_mT4_P12ihipStream_tbEUlT_E0_NS1_11comp_targetILNS1_3genE3ELNS1_11target_archE908ELNS1_3gpuE7ELNS1_3repE0EEENS1_30default_config_static_selectorELNS0_4arch9wavefront6targetE1EEEvSD_,comdat
.Lfunc_end734:
	.size	_ZN7rocprim17ROCPRIM_400000_NS6detail17trampoline_kernelINS0_14default_configENS1_22reduce_config_selectorIfEEZNS1_11reduce_implILb1ES3_PfS7_f9plus_mod3IfEEE10hipError_tPvRmT1_T2_T3_mT4_P12ihipStream_tbEUlT_E0_NS1_11comp_targetILNS1_3genE3ELNS1_11target_archE908ELNS1_3gpuE7ELNS1_3repE0EEENS1_30default_config_static_selectorELNS0_4arch9wavefront6targetE1EEEvSD_, .Lfunc_end734-_ZN7rocprim17ROCPRIM_400000_NS6detail17trampoline_kernelINS0_14default_configENS1_22reduce_config_selectorIfEEZNS1_11reduce_implILb1ES3_PfS7_f9plus_mod3IfEEE10hipError_tPvRmT1_T2_T3_mT4_P12ihipStream_tbEUlT_E0_NS1_11comp_targetILNS1_3genE3ELNS1_11target_archE908ELNS1_3gpuE7ELNS1_3repE0EEENS1_30default_config_static_selectorELNS0_4arch9wavefront6targetE1EEEvSD_
                                        ; -- End function
	.set _ZN7rocprim17ROCPRIM_400000_NS6detail17trampoline_kernelINS0_14default_configENS1_22reduce_config_selectorIfEEZNS1_11reduce_implILb1ES3_PfS7_f9plus_mod3IfEEE10hipError_tPvRmT1_T2_T3_mT4_P12ihipStream_tbEUlT_E0_NS1_11comp_targetILNS1_3genE3ELNS1_11target_archE908ELNS1_3gpuE7ELNS1_3repE0EEENS1_30default_config_static_selectorELNS0_4arch9wavefront6targetE1EEEvSD_.num_vgpr, 0
	.set _ZN7rocprim17ROCPRIM_400000_NS6detail17trampoline_kernelINS0_14default_configENS1_22reduce_config_selectorIfEEZNS1_11reduce_implILb1ES3_PfS7_f9plus_mod3IfEEE10hipError_tPvRmT1_T2_T3_mT4_P12ihipStream_tbEUlT_E0_NS1_11comp_targetILNS1_3genE3ELNS1_11target_archE908ELNS1_3gpuE7ELNS1_3repE0EEENS1_30default_config_static_selectorELNS0_4arch9wavefront6targetE1EEEvSD_.num_agpr, 0
	.set _ZN7rocprim17ROCPRIM_400000_NS6detail17trampoline_kernelINS0_14default_configENS1_22reduce_config_selectorIfEEZNS1_11reduce_implILb1ES3_PfS7_f9plus_mod3IfEEE10hipError_tPvRmT1_T2_T3_mT4_P12ihipStream_tbEUlT_E0_NS1_11comp_targetILNS1_3genE3ELNS1_11target_archE908ELNS1_3gpuE7ELNS1_3repE0EEENS1_30default_config_static_selectorELNS0_4arch9wavefront6targetE1EEEvSD_.numbered_sgpr, 0
	.set _ZN7rocprim17ROCPRIM_400000_NS6detail17trampoline_kernelINS0_14default_configENS1_22reduce_config_selectorIfEEZNS1_11reduce_implILb1ES3_PfS7_f9plus_mod3IfEEE10hipError_tPvRmT1_T2_T3_mT4_P12ihipStream_tbEUlT_E0_NS1_11comp_targetILNS1_3genE3ELNS1_11target_archE908ELNS1_3gpuE7ELNS1_3repE0EEENS1_30default_config_static_selectorELNS0_4arch9wavefront6targetE1EEEvSD_.num_named_barrier, 0
	.set _ZN7rocprim17ROCPRIM_400000_NS6detail17trampoline_kernelINS0_14default_configENS1_22reduce_config_selectorIfEEZNS1_11reduce_implILb1ES3_PfS7_f9plus_mod3IfEEE10hipError_tPvRmT1_T2_T3_mT4_P12ihipStream_tbEUlT_E0_NS1_11comp_targetILNS1_3genE3ELNS1_11target_archE908ELNS1_3gpuE7ELNS1_3repE0EEENS1_30default_config_static_selectorELNS0_4arch9wavefront6targetE1EEEvSD_.private_seg_size, 0
	.set _ZN7rocprim17ROCPRIM_400000_NS6detail17trampoline_kernelINS0_14default_configENS1_22reduce_config_selectorIfEEZNS1_11reduce_implILb1ES3_PfS7_f9plus_mod3IfEEE10hipError_tPvRmT1_T2_T3_mT4_P12ihipStream_tbEUlT_E0_NS1_11comp_targetILNS1_3genE3ELNS1_11target_archE908ELNS1_3gpuE7ELNS1_3repE0EEENS1_30default_config_static_selectorELNS0_4arch9wavefront6targetE1EEEvSD_.uses_vcc, 0
	.set _ZN7rocprim17ROCPRIM_400000_NS6detail17trampoline_kernelINS0_14default_configENS1_22reduce_config_selectorIfEEZNS1_11reduce_implILb1ES3_PfS7_f9plus_mod3IfEEE10hipError_tPvRmT1_T2_T3_mT4_P12ihipStream_tbEUlT_E0_NS1_11comp_targetILNS1_3genE3ELNS1_11target_archE908ELNS1_3gpuE7ELNS1_3repE0EEENS1_30default_config_static_selectorELNS0_4arch9wavefront6targetE1EEEvSD_.uses_flat_scratch, 0
	.set _ZN7rocprim17ROCPRIM_400000_NS6detail17trampoline_kernelINS0_14default_configENS1_22reduce_config_selectorIfEEZNS1_11reduce_implILb1ES3_PfS7_f9plus_mod3IfEEE10hipError_tPvRmT1_T2_T3_mT4_P12ihipStream_tbEUlT_E0_NS1_11comp_targetILNS1_3genE3ELNS1_11target_archE908ELNS1_3gpuE7ELNS1_3repE0EEENS1_30default_config_static_selectorELNS0_4arch9wavefront6targetE1EEEvSD_.has_dyn_sized_stack, 0
	.set _ZN7rocprim17ROCPRIM_400000_NS6detail17trampoline_kernelINS0_14default_configENS1_22reduce_config_selectorIfEEZNS1_11reduce_implILb1ES3_PfS7_f9plus_mod3IfEEE10hipError_tPvRmT1_T2_T3_mT4_P12ihipStream_tbEUlT_E0_NS1_11comp_targetILNS1_3genE3ELNS1_11target_archE908ELNS1_3gpuE7ELNS1_3repE0EEENS1_30default_config_static_selectorELNS0_4arch9wavefront6targetE1EEEvSD_.has_recursion, 0
	.set _ZN7rocprim17ROCPRIM_400000_NS6detail17trampoline_kernelINS0_14default_configENS1_22reduce_config_selectorIfEEZNS1_11reduce_implILb1ES3_PfS7_f9plus_mod3IfEEE10hipError_tPvRmT1_T2_T3_mT4_P12ihipStream_tbEUlT_E0_NS1_11comp_targetILNS1_3genE3ELNS1_11target_archE908ELNS1_3gpuE7ELNS1_3repE0EEENS1_30default_config_static_selectorELNS0_4arch9wavefront6targetE1EEEvSD_.has_indirect_call, 0
	.section	.AMDGPU.csdata,"",@progbits
; Kernel info:
; codeLenInByte = 0
; TotalNumSgprs: 6
; NumVgprs: 0
; NumAgprs: 0
; TotalNumVgprs: 0
; ScratchSize: 0
; MemoryBound: 0
; FloatMode: 240
; IeeeMode: 1
; LDSByteSize: 0 bytes/workgroup (compile time only)
; SGPRBlocks: 0
; VGPRBlocks: 0
; NumSGPRsForWavesPerEU: 6
; NumVGPRsForWavesPerEU: 1
; AccumOffset: 4
; Occupancy: 8
; WaveLimiterHint : 0
; COMPUTE_PGM_RSRC2:SCRATCH_EN: 0
; COMPUTE_PGM_RSRC2:USER_SGPR: 2
; COMPUTE_PGM_RSRC2:TRAP_HANDLER: 0
; COMPUTE_PGM_RSRC2:TGID_X_EN: 1
; COMPUTE_PGM_RSRC2:TGID_Y_EN: 0
; COMPUTE_PGM_RSRC2:TGID_Z_EN: 0
; COMPUTE_PGM_RSRC2:TIDIG_COMP_CNT: 0
; COMPUTE_PGM_RSRC3_GFX90A:ACCUM_OFFSET: 0
; COMPUTE_PGM_RSRC3_GFX90A:TG_SPLIT: 0
	.section	.text._ZN7rocprim17ROCPRIM_400000_NS6detail17trampoline_kernelINS0_14default_configENS1_22reduce_config_selectorIfEEZNS1_11reduce_implILb1ES3_PfS7_f9plus_mod3IfEEE10hipError_tPvRmT1_T2_T3_mT4_P12ihipStream_tbEUlT_E0_NS1_11comp_targetILNS1_3genE2ELNS1_11target_archE906ELNS1_3gpuE6ELNS1_3repE0EEENS1_30default_config_static_selectorELNS0_4arch9wavefront6targetE1EEEvSD_,"axG",@progbits,_ZN7rocprim17ROCPRIM_400000_NS6detail17trampoline_kernelINS0_14default_configENS1_22reduce_config_selectorIfEEZNS1_11reduce_implILb1ES3_PfS7_f9plus_mod3IfEEE10hipError_tPvRmT1_T2_T3_mT4_P12ihipStream_tbEUlT_E0_NS1_11comp_targetILNS1_3genE2ELNS1_11target_archE906ELNS1_3gpuE6ELNS1_3repE0EEENS1_30default_config_static_selectorELNS0_4arch9wavefront6targetE1EEEvSD_,comdat
	.protected	_ZN7rocprim17ROCPRIM_400000_NS6detail17trampoline_kernelINS0_14default_configENS1_22reduce_config_selectorIfEEZNS1_11reduce_implILb1ES3_PfS7_f9plus_mod3IfEEE10hipError_tPvRmT1_T2_T3_mT4_P12ihipStream_tbEUlT_E0_NS1_11comp_targetILNS1_3genE2ELNS1_11target_archE906ELNS1_3gpuE6ELNS1_3repE0EEENS1_30default_config_static_selectorELNS0_4arch9wavefront6targetE1EEEvSD_ ; -- Begin function _ZN7rocprim17ROCPRIM_400000_NS6detail17trampoline_kernelINS0_14default_configENS1_22reduce_config_selectorIfEEZNS1_11reduce_implILb1ES3_PfS7_f9plus_mod3IfEEE10hipError_tPvRmT1_T2_T3_mT4_P12ihipStream_tbEUlT_E0_NS1_11comp_targetILNS1_3genE2ELNS1_11target_archE906ELNS1_3gpuE6ELNS1_3repE0EEENS1_30default_config_static_selectorELNS0_4arch9wavefront6targetE1EEEvSD_
	.globl	_ZN7rocprim17ROCPRIM_400000_NS6detail17trampoline_kernelINS0_14default_configENS1_22reduce_config_selectorIfEEZNS1_11reduce_implILb1ES3_PfS7_f9plus_mod3IfEEE10hipError_tPvRmT1_T2_T3_mT4_P12ihipStream_tbEUlT_E0_NS1_11comp_targetILNS1_3genE2ELNS1_11target_archE906ELNS1_3gpuE6ELNS1_3repE0EEENS1_30default_config_static_selectorELNS0_4arch9wavefront6targetE1EEEvSD_
	.p2align	8
	.type	_ZN7rocprim17ROCPRIM_400000_NS6detail17trampoline_kernelINS0_14default_configENS1_22reduce_config_selectorIfEEZNS1_11reduce_implILb1ES3_PfS7_f9plus_mod3IfEEE10hipError_tPvRmT1_T2_T3_mT4_P12ihipStream_tbEUlT_E0_NS1_11comp_targetILNS1_3genE2ELNS1_11target_archE906ELNS1_3gpuE6ELNS1_3repE0EEENS1_30default_config_static_selectorELNS0_4arch9wavefront6targetE1EEEvSD_,@function
_ZN7rocprim17ROCPRIM_400000_NS6detail17trampoline_kernelINS0_14default_configENS1_22reduce_config_selectorIfEEZNS1_11reduce_implILb1ES3_PfS7_f9plus_mod3IfEEE10hipError_tPvRmT1_T2_T3_mT4_P12ihipStream_tbEUlT_E0_NS1_11comp_targetILNS1_3genE2ELNS1_11target_archE906ELNS1_3gpuE6ELNS1_3repE0EEENS1_30default_config_static_selectorELNS0_4arch9wavefront6targetE1EEEvSD_: ; @_ZN7rocprim17ROCPRIM_400000_NS6detail17trampoline_kernelINS0_14default_configENS1_22reduce_config_selectorIfEEZNS1_11reduce_implILb1ES3_PfS7_f9plus_mod3IfEEE10hipError_tPvRmT1_T2_T3_mT4_P12ihipStream_tbEUlT_E0_NS1_11comp_targetILNS1_3genE2ELNS1_11target_archE906ELNS1_3gpuE6ELNS1_3repE0EEENS1_30default_config_static_selectorELNS0_4arch9wavefront6targetE1EEEvSD_
; %bb.0:
	.section	.rodata,"a",@progbits
	.p2align	6, 0x0
	.amdhsa_kernel _ZN7rocprim17ROCPRIM_400000_NS6detail17trampoline_kernelINS0_14default_configENS1_22reduce_config_selectorIfEEZNS1_11reduce_implILb1ES3_PfS7_f9plus_mod3IfEEE10hipError_tPvRmT1_T2_T3_mT4_P12ihipStream_tbEUlT_E0_NS1_11comp_targetILNS1_3genE2ELNS1_11target_archE906ELNS1_3gpuE6ELNS1_3repE0EEENS1_30default_config_static_selectorELNS0_4arch9wavefront6targetE1EEEvSD_
		.amdhsa_group_segment_fixed_size 0
		.amdhsa_private_segment_fixed_size 0
		.amdhsa_kernarg_size 64
		.amdhsa_user_sgpr_count 2
		.amdhsa_user_sgpr_dispatch_ptr 0
		.amdhsa_user_sgpr_queue_ptr 0
		.amdhsa_user_sgpr_kernarg_segment_ptr 1
		.amdhsa_user_sgpr_dispatch_id 0
		.amdhsa_user_sgpr_kernarg_preload_length 0
		.amdhsa_user_sgpr_kernarg_preload_offset 0
		.amdhsa_user_sgpr_private_segment_size 0
		.amdhsa_uses_dynamic_stack 0
		.amdhsa_enable_private_segment 0
		.amdhsa_system_sgpr_workgroup_id_x 1
		.amdhsa_system_sgpr_workgroup_id_y 0
		.amdhsa_system_sgpr_workgroup_id_z 0
		.amdhsa_system_sgpr_workgroup_info 0
		.amdhsa_system_vgpr_workitem_id 0
		.amdhsa_next_free_vgpr 1
		.amdhsa_next_free_sgpr 0
		.amdhsa_accum_offset 4
		.amdhsa_reserve_vcc 0
		.amdhsa_float_round_mode_32 0
		.amdhsa_float_round_mode_16_64 0
		.amdhsa_float_denorm_mode_32 3
		.amdhsa_float_denorm_mode_16_64 3
		.amdhsa_dx10_clamp 1
		.amdhsa_ieee_mode 1
		.amdhsa_fp16_overflow 0
		.amdhsa_tg_split 0
		.amdhsa_exception_fp_ieee_invalid_op 0
		.amdhsa_exception_fp_denorm_src 0
		.amdhsa_exception_fp_ieee_div_zero 0
		.amdhsa_exception_fp_ieee_overflow 0
		.amdhsa_exception_fp_ieee_underflow 0
		.amdhsa_exception_fp_ieee_inexact 0
		.amdhsa_exception_int_div_zero 0
	.end_amdhsa_kernel
	.section	.text._ZN7rocprim17ROCPRIM_400000_NS6detail17trampoline_kernelINS0_14default_configENS1_22reduce_config_selectorIfEEZNS1_11reduce_implILb1ES3_PfS7_f9plus_mod3IfEEE10hipError_tPvRmT1_T2_T3_mT4_P12ihipStream_tbEUlT_E0_NS1_11comp_targetILNS1_3genE2ELNS1_11target_archE906ELNS1_3gpuE6ELNS1_3repE0EEENS1_30default_config_static_selectorELNS0_4arch9wavefront6targetE1EEEvSD_,"axG",@progbits,_ZN7rocprim17ROCPRIM_400000_NS6detail17trampoline_kernelINS0_14default_configENS1_22reduce_config_selectorIfEEZNS1_11reduce_implILb1ES3_PfS7_f9plus_mod3IfEEE10hipError_tPvRmT1_T2_T3_mT4_P12ihipStream_tbEUlT_E0_NS1_11comp_targetILNS1_3genE2ELNS1_11target_archE906ELNS1_3gpuE6ELNS1_3repE0EEENS1_30default_config_static_selectorELNS0_4arch9wavefront6targetE1EEEvSD_,comdat
.Lfunc_end735:
	.size	_ZN7rocprim17ROCPRIM_400000_NS6detail17trampoline_kernelINS0_14default_configENS1_22reduce_config_selectorIfEEZNS1_11reduce_implILb1ES3_PfS7_f9plus_mod3IfEEE10hipError_tPvRmT1_T2_T3_mT4_P12ihipStream_tbEUlT_E0_NS1_11comp_targetILNS1_3genE2ELNS1_11target_archE906ELNS1_3gpuE6ELNS1_3repE0EEENS1_30default_config_static_selectorELNS0_4arch9wavefront6targetE1EEEvSD_, .Lfunc_end735-_ZN7rocprim17ROCPRIM_400000_NS6detail17trampoline_kernelINS0_14default_configENS1_22reduce_config_selectorIfEEZNS1_11reduce_implILb1ES3_PfS7_f9plus_mod3IfEEE10hipError_tPvRmT1_T2_T3_mT4_P12ihipStream_tbEUlT_E0_NS1_11comp_targetILNS1_3genE2ELNS1_11target_archE906ELNS1_3gpuE6ELNS1_3repE0EEENS1_30default_config_static_selectorELNS0_4arch9wavefront6targetE1EEEvSD_
                                        ; -- End function
	.set _ZN7rocprim17ROCPRIM_400000_NS6detail17trampoline_kernelINS0_14default_configENS1_22reduce_config_selectorIfEEZNS1_11reduce_implILb1ES3_PfS7_f9plus_mod3IfEEE10hipError_tPvRmT1_T2_T3_mT4_P12ihipStream_tbEUlT_E0_NS1_11comp_targetILNS1_3genE2ELNS1_11target_archE906ELNS1_3gpuE6ELNS1_3repE0EEENS1_30default_config_static_selectorELNS0_4arch9wavefront6targetE1EEEvSD_.num_vgpr, 0
	.set _ZN7rocprim17ROCPRIM_400000_NS6detail17trampoline_kernelINS0_14default_configENS1_22reduce_config_selectorIfEEZNS1_11reduce_implILb1ES3_PfS7_f9plus_mod3IfEEE10hipError_tPvRmT1_T2_T3_mT4_P12ihipStream_tbEUlT_E0_NS1_11comp_targetILNS1_3genE2ELNS1_11target_archE906ELNS1_3gpuE6ELNS1_3repE0EEENS1_30default_config_static_selectorELNS0_4arch9wavefront6targetE1EEEvSD_.num_agpr, 0
	.set _ZN7rocprim17ROCPRIM_400000_NS6detail17trampoline_kernelINS0_14default_configENS1_22reduce_config_selectorIfEEZNS1_11reduce_implILb1ES3_PfS7_f9plus_mod3IfEEE10hipError_tPvRmT1_T2_T3_mT4_P12ihipStream_tbEUlT_E0_NS1_11comp_targetILNS1_3genE2ELNS1_11target_archE906ELNS1_3gpuE6ELNS1_3repE0EEENS1_30default_config_static_selectorELNS0_4arch9wavefront6targetE1EEEvSD_.numbered_sgpr, 0
	.set _ZN7rocprim17ROCPRIM_400000_NS6detail17trampoline_kernelINS0_14default_configENS1_22reduce_config_selectorIfEEZNS1_11reduce_implILb1ES3_PfS7_f9plus_mod3IfEEE10hipError_tPvRmT1_T2_T3_mT4_P12ihipStream_tbEUlT_E0_NS1_11comp_targetILNS1_3genE2ELNS1_11target_archE906ELNS1_3gpuE6ELNS1_3repE0EEENS1_30default_config_static_selectorELNS0_4arch9wavefront6targetE1EEEvSD_.num_named_barrier, 0
	.set _ZN7rocprim17ROCPRIM_400000_NS6detail17trampoline_kernelINS0_14default_configENS1_22reduce_config_selectorIfEEZNS1_11reduce_implILb1ES3_PfS7_f9plus_mod3IfEEE10hipError_tPvRmT1_T2_T3_mT4_P12ihipStream_tbEUlT_E0_NS1_11comp_targetILNS1_3genE2ELNS1_11target_archE906ELNS1_3gpuE6ELNS1_3repE0EEENS1_30default_config_static_selectorELNS0_4arch9wavefront6targetE1EEEvSD_.private_seg_size, 0
	.set _ZN7rocprim17ROCPRIM_400000_NS6detail17trampoline_kernelINS0_14default_configENS1_22reduce_config_selectorIfEEZNS1_11reduce_implILb1ES3_PfS7_f9plus_mod3IfEEE10hipError_tPvRmT1_T2_T3_mT4_P12ihipStream_tbEUlT_E0_NS1_11comp_targetILNS1_3genE2ELNS1_11target_archE906ELNS1_3gpuE6ELNS1_3repE0EEENS1_30default_config_static_selectorELNS0_4arch9wavefront6targetE1EEEvSD_.uses_vcc, 0
	.set _ZN7rocprim17ROCPRIM_400000_NS6detail17trampoline_kernelINS0_14default_configENS1_22reduce_config_selectorIfEEZNS1_11reduce_implILb1ES3_PfS7_f9plus_mod3IfEEE10hipError_tPvRmT1_T2_T3_mT4_P12ihipStream_tbEUlT_E0_NS1_11comp_targetILNS1_3genE2ELNS1_11target_archE906ELNS1_3gpuE6ELNS1_3repE0EEENS1_30default_config_static_selectorELNS0_4arch9wavefront6targetE1EEEvSD_.uses_flat_scratch, 0
	.set _ZN7rocprim17ROCPRIM_400000_NS6detail17trampoline_kernelINS0_14default_configENS1_22reduce_config_selectorIfEEZNS1_11reduce_implILb1ES3_PfS7_f9plus_mod3IfEEE10hipError_tPvRmT1_T2_T3_mT4_P12ihipStream_tbEUlT_E0_NS1_11comp_targetILNS1_3genE2ELNS1_11target_archE906ELNS1_3gpuE6ELNS1_3repE0EEENS1_30default_config_static_selectorELNS0_4arch9wavefront6targetE1EEEvSD_.has_dyn_sized_stack, 0
	.set _ZN7rocprim17ROCPRIM_400000_NS6detail17trampoline_kernelINS0_14default_configENS1_22reduce_config_selectorIfEEZNS1_11reduce_implILb1ES3_PfS7_f9plus_mod3IfEEE10hipError_tPvRmT1_T2_T3_mT4_P12ihipStream_tbEUlT_E0_NS1_11comp_targetILNS1_3genE2ELNS1_11target_archE906ELNS1_3gpuE6ELNS1_3repE0EEENS1_30default_config_static_selectorELNS0_4arch9wavefront6targetE1EEEvSD_.has_recursion, 0
	.set _ZN7rocprim17ROCPRIM_400000_NS6detail17trampoline_kernelINS0_14default_configENS1_22reduce_config_selectorIfEEZNS1_11reduce_implILb1ES3_PfS7_f9plus_mod3IfEEE10hipError_tPvRmT1_T2_T3_mT4_P12ihipStream_tbEUlT_E0_NS1_11comp_targetILNS1_3genE2ELNS1_11target_archE906ELNS1_3gpuE6ELNS1_3repE0EEENS1_30default_config_static_selectorELNS0_4arch9wavefront6targetE1EEEvSD_.has_indirect_call, 0
	.section	.AMDGPU.csdata,"",@progbits
; Kernel info:
; codeLenInByte = 0
; TotalNumSgprs: 6
; NumVgprs: 0
; NumAgprs: 0
; TotalNumVgprs: 0
; ScratchSize: 0
; MemoryBound: 0
; FloatMode: 240
; IeeeMode: 1
; LDSByteSize: 0 bytes/workgroup (compile time only)
; SGPRBlocks: 0
; VGPRBlocks: 0
; NumSGPRsForWavesPerEU: 6
; NumVGPRsForWavesPerEU: 1
; AccumOffset: 4
; Occupancy: 8
; WaveLimiterHint : 0
; COMPUTE_PGM_RSRC2:SCRATCH_EN: 0
; COMPUTE_PGM_RSRC2:USER_SGPR: 2
; COMPUTE_PGM_RSRC2:TRAP_HANDLER: 0
; COMPUTE_PGM_RSRC2:TGID_X_EN: 1
; COMPUTE_PGM_RSRC2:TGID_Y_EN: 0
; COMPUTE_PGM_RSRC2:TGID_Z_EN: 0
; COMPUTE_PGM_RSRC2:TIDIG_COMP_CNT: 0
; COMPUTE_PGM_RSRC3_GFX90A:ACCUM_OFFSET: 0
; COMPUTE_PGM_RSRC3_GFX90A:TG_SPLIT: 0
	.section	.text._ZN7rocprim17ROCPRIM_400000_NS6detail17trampoline_kernelINS0_14default_configENS1_22reduce_config_selectorIfEEZNS1_11reduce_implILb1ES3_PfS7_f9plus_mod3IfEEE10hipError_tPvRmT1_T2_T3_mT4_P12ihipStream_tbEUlT_E0_NS1_11comp_targetILNS1_3genE10ELNS1_11target_archE1201ELNS1_3gpuE5ELNS1_3repE0EEENS1_30default_config_static_selectorELNS0_4arch9wavefront6targetE1EEEvSD_,"axG",@progbits,_ZN7rocprim17ROCPRIM_400000_NS6detail17trampoline_kernelINS0_14default_configENS1_22reduce_config_selectorIfEEZNS1_11reduce_implILb1ES3_PfS7_f9plus_mod3IfEEE10hipError_tPvRmT1_T2_T3_mT4_P12ihipStream_tbEUlT_E0_NS1_11comp_targetILNS1_3genE10ELNS1_11target_archE1201ELNS1_3gpuE5ELNS1_3repE0EEENS1_30default_config_static_selectorELNS0_4arch9wavefront6targetE1EEEvSD_,comdat
	.protected	_ZN7rocprim17ROCPRIM_400000_NS6detail17trampoline_kernelINS0_14default_configENS1_22reduce_config_selectorIfEEZNS1_11reduce_implILb1ES3_PfS7_f9plus_mod3IfEEE10hipError_tPvRmT1_T2_T3_mT4_P12ihipStream_tbEUlT_E0_NS1_11comp_targetILNS1_3genE10ELNS1_11target_archE1201ELNS1_3gpuE5ELNS1_3repE0EEENS1_30default_config_static_selectorELNS0_4arch9wavefront6targetE1EEEvSD_ ; -- Begin function _ZN7rocprim17ROCPRIM_400000_NS6detail17trampoline_kernelINS0_14default_configENS1_22reduce_config_selectorIfEEZNS1_11reduce_implILb1ES3_PfS7_f9plus_mod3IfEEE10hipError_tPvRmT1_T2_T3_mT4_P12ihipStream_tbEUlT_E0_NS1_11comp_targetILNS1_3genE10ELNS1_11target_archE1201ELNS1_3gpuE5ELNS1_3repE0EEENS1_30default_config_static_selectorELNS0_4arch9wavefront6targetE1EEEvSD_
	.globl	_ZN7rocprim17ROCPRIM_400000_NS6detail17trampoline_kernelINS0_14default_configENS1_22reduce_config_selectorIfEEZNS1_11reduce_implILb1ES3_PfS7_f9plus_mod3IfEEE10hipError_tPvRmT1_T2_T3_mT4_P12ihipStream_tbEUlT_E0_NS1_11comp_targetILNS1_3genE10ELNS1_11target_archE1201ELNS1_3gpuE5ELNS1_3repE0EEENS1_30default_config_static_selectorELNS0_4arch9wavefront6targetE1EEEvSD_
	.p2align	8
	.type	_ZN7rocprim17ROCPRIM_400000_NS6detail17trampoline_kernelINS0_14default_configENS1_22reduce_config_selectorIfEEZNS1_11reduce_implILb1ES3_PfS7_f9plus_mod3IfEEE10hipError_tPvRmT1_T2_T3_mT4_P12ihipStream_tbEUlT_E0_NS1_11comp_targetILNS1_3genE10ELNS1_11target_archE1201ELNS1_3gpuE5ELNS1_3repE0EEENS1_30default_config_static_selectorELNS0_4arch9wavefront6targetE1EEEvSD_,@function
_ZN7rocprim17ROCPRIM_400000_NS6detail17trampoline_kernelINS0_14default_configENS1_22reduce_config_selectorIfEEZNS1_11reduce_implILb1ES3_PfS7_f9plus_mod3IfEEE10hipError_tPvRmT1_T2_T3_mT4_P12ihipStream_tbEUlT_E0_NS1_11comp_targetILNS1_3genE10ELNS1_11target_archE1201ELNS1_3gpuE5ELNS1_3repE0EEENS1_30default_config_static_selectorELNS0_4arch9wavefront6targetE1EEEvSD_: ; @_ZN7rocprim17ROCPRIM_400000_NS6detail17trampoline_kernelINS0_14default_configENS1_22reduce_config_selectorIfEEZNS1_11reduce_implILb1ES3_PfS7_f9plus_mod3IfEEE10hipError_tPvRmT1_T2_T3_mT4_P12ihipStream_tbEUlT_E0_NS1_11comp_targetILNS1_3genE10ELNS1_11target_archE1201ELNS1_3gpuE5ELNS1_3repE0EEENS1_30default_config_static_selectorELNS0_4arch9wavefront6targetE1EEEvSD_
; %bb.0:
	.section	.rodata,"a",@progbits
	.p2align	6, 0x0
	.amdhsa_kernel _ZN7rocprim17ROCPRIM_400000_NS6detail17trampoline_kernelINS0_14default_configENS1_22reduce_config_selectorIfEEZNS1_11reduce_implILb1ES3_PfS7_f9plus_mod3IfEEE10hipError_tPvRmT1_T2_T3_mT4_P12ihipStream_tbEUlT_E0_NS1_11comp_targetILNS1_3genE10ELNS1_11target_archE1201ELNS1_3gpuE5ELNS1_3repE0EEENS1_30default_config_static_selectorELNS0_4arch9wavefront6targetE1EEEvSD_
		.amdhsa_group_segment_fixed_size 0
		.amdhsa_private_segment_fixed_size 0
		.amdhsa_kernarg_size 64
		.amdhsa_user_sgpr_count 2
		.amdhsa_user_sgpr_dispatch_ptr 0
		.amdhsa_user_sgpr_queue_ptr 0
		.amdhsa_user_sgpr_kernarg_segment_ptr 1
		.amdhsa_user_sgpr_dispatch_id 0
		.amdhsa_user_sgpr_kernarg_preload_length 0
		.amdhsa_user_sgpr_kernarg_preload_offset 0
		.amdhsa_user_sgpr_private_segment_size 0
		.amdhsa_uses_dynamic_stack 0
		.amdhsa_enable_private_segment 0
		.amdhsa_system_sgpr_workgroup_id_x 1
		.amdhsa_system_sgpr_workgroup_id_y 0
		.amdhsa_system_sgpr_workgroup_id_z 0
		.amdhsa_system_sgpr_workgroup_info 0
		.amdhsa_system_vgpr_workitem_id 0
		.amdhsa_next_free_vgpr 1
		.amdhsa_next_free_sgpr 0
		.amdhsa_accum_offset 4
		.amdhsa_reserve_vcc 0
		.amdhsa_float_round_mode_32 0
		.amdhsa_float_round_mode_16_64 0
		.amdhsa_float_denorm_mode_32 3
		.amdhsa_float_denorm_mode_16_64 3
		.amdhsa_dx10_clamp 1
		.amdhsa_ieee_mode 1
		.amdhsa_fp16_overflow 0
		.amdhsa_tg_split 0
		.amdhsa_exception_fp_ieee_invalid_op 0
		.amdhsa_exception_fp_denorm_src 0
		.amdhsa_exception_fp_ieee_div_zero 0
		.amdhsa_exception_fp_ieee_overflow 0
		.amdhsa_exception_fp_ieee_underflow 0
		.amdhsa_exception_fp_ieee_inexact 0
		.amdhsa_exception_int_div_zero 0
	.end_amdhsa_kernel
	.section	.text._ZN7rocprim17ROCPRIM_400000_NS6detail17trampoline_kernelINS0_14default_configENS1_22reduce_config_selectorIfEEZNS1_11reduce_implILb1ES3_PfS7_f9plus_mod3IfEEE10hipError_tPvRmT1_T2_T3_mT4_P12ihipStream_tbEUlT_E0_NS1_11comp_targetILNS1_3genE10ELNS1_11target_archE1201ELNS1_3gpuE5ELNS1_3repE0EEENS1_30default_config_static_selectorELNS0_4arch9wavefront6targetE1EEEvSD_,"axG",@progbits,_ZN7rocprim17ROCPRIM_400000_NS6detail17trampoline_kernelINS0_14default_configENS1_22reduce_config_selectorIfEEZNS1_11reduce_implILb1ES3_PfS7_f9plus_mod3IfEEE10hipError_tPvRmT1_T2_T3_mT4_P12ihipStream_tbEUlT_E0_NS1_11comp_targetILNS1_3genE10ELNS1_11target_archE1201ELNS1_3gpuE5ELNS1_3repE0EEENS1_30default_config_static_selectorELNS0_4arch9wavefront6targetE1EEEvSD_,comdat
.Lfunc_end736:
	.size	_ZN7rocprim17ROCPRIM_400000_NS6detail17trampoline_kernelINS0_14default_configENS1_22reduce_config_selectorIfEEZNS1_11reduce_implILb1ES3_PfS7_f9plus_mod3IfEEE10hipError_tPvRmT1_T2_T3_mT4_P12ihipStream_tbEUlT_E0_NS1_11comp_targetILNS1_3genE10ELNS1_11target_archE1201ELNS1_3gpuE5ELNS1_3repE0EEENS1_30default_config_static_selectorELNS0_4arch9wavefront6targetE1EEEvSD_, .Lfunc_end736-_ZN7rocprim17ROCPRIM_400000_NS6detail17trampoline_kernelINS0_14default_configENS1_22reduce_config_selectorIfEEZNS1_11reduce_implILb1ES3_PfS7_f9plus_mod3IfEEE10hipError_tPvRmT1_T2_T3_mT4_P12ihipStream_tbEUlT_E0_NS1_11comp_targetILNS1_3genE10ELNS1_11target_archE1201ELNS1_3gpuE5ELNS1_3repE0EEENS1_30default_config_static_selectorELNS0_4arch9wavefront6targetE1EEEvSD_
                                        ; -- End function
	.set _ZN7rocprim17ROCPRIM_400000_NS6detail17trampoline_kernelINS0_14default_configENS1_22reduce_config_selectorIfEEZNS1_11reduce_implILb1ES3_PfS7_f9plus_mod3IfEEE10hipError_tPvRmT1_T2_T3_mT4_P12ihipStream_tbEUlT_E0_NS1_11comp_targetILNS1_3genE10ELNS1_11target_archE1201ELNS1_3gpuE5ELNS1_3repE0EEENS1_30default_config_static_selectorELNS0_4arch9wavefront6targetE1EEEvSD_.num_vgpr, 0
	.set _ZN7rocprim17ROCPRIM_400000_NS6detail17trampoline_kernelINS0_14default_configENS1_22reduce_config_selectorIfEEZNS1_11reduce_implILb1ES3_PfS7_f9plus_mod3IfEEE10hipError_tPvRmT1_T2_T3_mT4_P12ihipStream_tbEUlT_E0_NS1_11comp_targetILNS1_3genE10ELNS1_11target_archE1201ELNS1_3gpuE5ELNS1_3repE0EEENS1_30default_config_static_selectorELNS0_4arch9wavefront6targetE1EEEvSD_.num_agpr, 0
	.set _ZN7rocprim17ROCPRIM_400000_NS6detail17trampoline_kernelINS0_14default_configENS1_22reduce_config_selectorIfEEZNS1_11reduce_implILb1ES3_PfS7_f9plus_mod3IfEEE10hipError_tPvRmT1_T2_T3_mT4_P12ihipStream_tbEUlT_E0_NS1_11comp_targetILNS1_3genE10ELNS1_11target_archE1201ELNS1_3gpuE5ELNS1_3repE0EEENS1_30default_config_static_selectorELNS0_4arch9wavefront6targetE1EEEvSD_.numbered_sgpr, 0
	.set _ZN7rocprim17ROCPRIM_400000_NS6detail17trampoline_kernelINS0_14default_configENS1_22reduce_config_selectorIfEEZNS1_11reduce_implILb1ES3_PfS7_f9plus_mod3IfEEE10hipError_tPvRmT1_T2_T3_mT4_P12ihipStream_tbEUlT_E0_NS1_11comp_targetILNS1_3genE10ELNS1_11target_archE1201ELNS1_3gpuE5ELNS1_3repE0EEENS1_30default_config_static_selectorELNS0_4arch9wavefront6targetE1EEEvSD_.num_named_barrier, 0
	.set _ZN7rocprim17ROCPRIM_400000_NS6detail17trampoline_kernelINS0_14default_configENS1_22reduce_config_selectorIfEEZNS1_11reduce_implILb1ES3_PfS7_f9plus_mod3IfEEE10hipError_tPvRmT1_T2_T3_mT4_P12ihipStream_tbEUlT_E0_NS1_11comp_targetILNS1_3genE10ELNS1_11target_archE1201ELNS1_3gpuE5ELNS1_3repE0EEENS1_30default_config_static_selectorELNS0_4arch9wavefront6targetE1EEEvSD_.private_seg_size, 0
	.set _ZN7rocprim17ROCPRIM_400000_NS6detail17trampoline_kernelINS0_14default_configENS1_22reduce_config_selectorIfEEZNS1_11reduce_implILb1ES3_PfS7_f9plus_mod3IfEEE10hipError_tPvRmT1_T2_T3_mT4_P12ihipStream_tbEUlT_E0_NS1_11comp_targetILNS1_3genE10ELNS1_11target_archE1201ELNS1_3gpuE5ELNS1_3repE0EEENS1_30default_config_static_selectorELNS0_4arch9wavefront6targetE1EEEvSD_.uses_vcc, 0
	.set _ZN7rocprim17ROCPRIM_400000_NS6detail17trampoline_kernelINS0_14default_configENS1_22reduce_config_selectorIfEEZNS1_11reduce_implILb1ES3_PfS7_f9plus_mod3IfEEE10hipError_tPvRmT1_T2_T3_mT4_P12ihipStream_tbEUlT_E0_NS1_11comp_targetILNS1_3genE10ELNS1_11target_archE1201ELNS1_3gpuE5ELNS1_3repE0EEENS1_30default_config_static_selectorELNS0_4arch9wavefront6targetE1EEEvSD_.uses_flat_scratch, 0
	.set _ZN7rocprim17ROCPRIM_400000_NS6detail17trampoline_kernelINS0_14default_configENS1_22reduce_config_selectorIfEEZNS1_11reduce_implILb1ES3_PfS7_f9plus_mod3IfEEE10hipError_tPvRmT1_T2_T3_mT4_P12ihipStream_tbEUlT_E0_NS1_11comp_targetILNS1_3genE10ELNS1_11target_archE1201ELNS1_3gpuE5ELNS1_3repE0EEENS1_30default_config_static_selectorELNS0_4arch9wavefront6targetE1EEEvSD_.has_dyn_sized_stack, 0
	.set _ZN7rocprim17ROCPRIM_400000_NS6detail17trampoline_kernelINS0_14default_configENS1_22reduce_config_selectorIfEEZNS1_11reduce_implILb1ES3_PfS7_f9plus_mod3IfEEE10hipError_tPvRmT1_T2_T3_mT4_P12ihipStream_tbEUlT_E0_NS1_11comp_targetILNS1_3genE10ELNS1_11target_archE1201ELNS1_3gpuE5ELNS1_3repE0EEENS1_30default_config_static_selectorELNS0_4arch9wavefront6targetE1EEEvSD_.has_recursion, 0
	.set _ZN7rocprim17ROCPRIM_400000_NS6detail17trampoline_kernelINS0_14default_configENS1_22reduce_config_selectorIfEEZNS1_11reduce_implILb1ES3_PfS7_f9plus_mod3IfEEE10hipError_tPvRmT1_T2_T3_mT4_P12ihipStream_tbEUlT_E0_NS1_11comp_targetILNS1_3genE10ELNS1_11target_archE1201ELNS1_3gpuE5ELNS1_3repE0EEENS1_30default_config_static_selectorELNS0_4arch9wavefront6targetE1EEEvSD_.has_indirect_call, 0
	.section	.AMDGPU.csdata,"",@progbits
; Kernel info:
; codeLenInByte = 0
; TotalNumSgprs: 6
; NumVgprs: 0
; NumAgprs: 0
; TotalNumVgprs: 0
; ScratchSize: 0
; MemoryBound: 0
; FloatMode: 240
; IeeeMode: 1
; LDSByteSize: 0 bytes/workgroup (compile time only)
; SGPRBlocks: 0
; VGPRBlocks: 0
; NumSGPRsForWavesPerEU: 6
; NumVGPRsForWavesPerEU: 1
; AccumOffset: 4
; Occupancy: 8
; WaveLimiterHint : 0
; COMPUTE_PGM_RSRC2:SCRATCH_EN: 0
; COMPUTE_PGM_RSRC2:USER_SGPR: 2
; COMPUTE_PGM_RSRC2:TRAP_HANDLER: 0
; COMPUTE_PGM_RSRC2:TGID_X_EN: 1
; COMPUTE_PGM_RSRC2:TGID_Y_EN: 0
; COMPUTE_PGM_RSRC2:TGID_Z_EN: 0
; COMPUTE_PGM_RSRC2:TIDIG_COMP_CNT: 0
; COMPUTE_PGM_RSRC3_GFX90A:ACCUM_OFFSET: 0
; COMPUTE_PGM_RSRC3_GFX90A:TG_SPLIT: 0
	.section	.text._ZN7rocprim17ROCPRIM_400000_NS6detail17trampoline_kernelINS0_14default_configENS1_22reduce_config_selectorIfEEZNS1_11reduce_implILb1ES3_PfS7_f9plus_mod3IfEEE10hipError_tPvRmT1_T2_T3_mT4_P12ihipStream_tbEUlT_E0_NS1_11comp_targetILNS1_3genE10ELNS1_11target_archE1200ELNS1_3gpuE4ELNS1_3repE0EEENS1_30default_config_static_selectorELNS0_4arch9wavefront6targetE1EEEvSD_,"axG",@progbits,_ZN7rocprim17ROCPRIM_400000_NS6detail17trampoline_kernelINS0_14default_configENS1_22reduce_config_selectorIfEEZNS1_11reduce_implILb1ES3_PfS7_f9plus_mod3IfEEE10hipError_tPvRmT1_T2_T3_mT4_P12ihipStream_tbEUlT_E0_NS1_11comp_targetILNS1_3genE10ELNS1_11target_archE1200ELNS1_3gpuE4ELNS1_3repE0EEENS1_30default_config_static_selectorELNS0_4arch9wavefront6targetE1EEEvSD_,comdat
	.protected	_ZN7rocprim17ROCPRIM_400000_NS6detail17trampoline_kernelINS0_14default_configENS1_22reduce_config_selectorIfEEZNS1_11reduce_implILb1ES3_PfS7_f9plus_mod3IfEEE10hipError_tPvRmT1_T2_T3_mT4_P12ihipStream_tbEUlT_E0_NS1_11comp_targetILNS1_3genE10ELNS1_11target_archE1200ELNS1_3gpuE4ELNS1_3repE0EEENS1_30default_config_static_selectorELNS0_4arch9wavefront6targetE1EEEvSD_ ; -- Begin function _ZN7rocprim17ROCPRIM_400000_NS6detail17trampoline_kernelINS0_14default_configENS1_22reduce_config_selectorIfEEZNS1_11reduce_implILb1ES3_PfS7_f9plus_mod3IfEEE10hipError_tPvRmT1_T2_T3_mT4_P12ihipStream_tbEUlT_E0_NS1_11comp_targetILNS1_3genE10ELNS1_11target_archE1200ELNS1_3gpuE4ELNS1_3repE0EEENS1_30default_config_static_selectorELNS0_4arch9wavefront6targetE1EEEvSD_
	.globl	_ZN7rocprim17ROCPRIM_400000_NS6detail17trampoline_kernelINS0_14default_configENS1_22reduce_config_selectorIfEEZNS1_11reduce_implILb1ES3_PfS7_f9plus_mod3IfEEE10hipError_tPvRmT1_T2_T3_mT4_P12ihipStream_tbEUlT_E0_NS1_11comp_targetILNS1_3genE10ELNS1_11target_archE1200ELNS1_3gpuE4ELNS1_3repE0EEENS1_30default_config_static_selectorELNS0_4arch9wavefront6targetE1EEEvSD_
	.p2align	8
	.type	_ZN7rocprim17ROCPRIM_400000_NS6detail17trampoline_kernelINS0_14default_configENS1_22reduce_config_selectorIfEEZNS1_11reduce_implILb1ES3_PfS7_f9plus_mod3IfEEE10hipError_tPvRmT1_T2_T3_mT4_P12ihipStream_tbEUlT_E0_NS1_11comp_targetILNS1_3genE10ELNS1_11target_archE1200ELNS1_3gpuE4ELNS1_3repE0EEENS1_30default_config_static_selectorELNS0_4arch9wavefront6targetE1EEEvSD_,@function
_ZN7rocprim17ROCPRIM_400000_NS6detail17trampoline_kernelINS0_14default_configENS1_22reduce_config_selectorIfEEZNS1_11reduce_implILb1ES3_PfS7_f9plus_mod3IfEEE10hipError_tPvRmT1_T2_T3_mT4_P12ihipStream_tbEUlT_E0_NS1_11comp_targetILNS1_3genE10ELNS1_11target_archE1200ELNS1_3gpuE4ELNS1_3repE0EEENS1_30default_config_static_selectorELNS0_4arch9wavefront6targetE1EEEvSD_: ; @_ZN7rocprim17ROCPRIM_400000_NS6detail17trampoline_kernelINS0_14default_configENS1_22reduce_config_selectorIfEEZNS1_11reduce_implILb1ES3_PfS7_f9plus_mod3IfEEE10hipError_tPvRmT1_T2_T3_mT4_P12ihipStream_tbEUlT_E0_NS1_11comp_targetILNS1_3genE10ELNS1_11target_archE1200ELNS1_3gpuE4ELNS1_3repE0EEENS1_30default_config_static_selectorELNS0_4arch9wavefront6targetE1EEEvSD_
; %bb.0:
	.section	.rodata,"a",@progbits
	.p2align	6, 0x0
	.amdhsa_kernel _ZN7rocprim17ROCPRIM_400000_NS6detail17trampoline_kernelINS0_14default_configENS1_22reduce_config_selectorIfEEZNS1_11reduce_implILb1ES3_PfS7_f9plus_mod3IfEEE10hipError_tPvRmT1_T2_T3_mT4_P12ihipStream_tbEUlT_E0_NS1_11comp_targetILNS1_3genE10ELNS1_11target_archE1200ELNS1_3gpuE4ELNS1_3repE0EEENS1_30default_config_static_selectorELNS0_4arch9wavefront6targetE1EEEvSD_
		.amdhsa_group_segment_fixed_size 0
		.amdhsa_private_segment_fixed_size 0
		.amdhsa_kernarg_size 64
		.amdhsa_user_sgpr_count 2
		.amdhsa_user_sgpr_dispatch_ptr 0
		.amdhsa_user_sgpr_queue_ptr 0
		.amdhsa_user_sgpr_kernarg_segment_ptr 1
		.amdhsa_user_sgpr_dispatch_id 0
		.amdhsa_user_sgpr_kernarg_preload_length 0
		.amdhsa_user_sgpr_kernarg_preload_offset 0
		.amdhsa_user_sgpr_private_segment_size 0
		.amdhsa_uses_dynamic_stack 0
		.amdhsa_enable_private_segment 0
		.amdhsa_system_sgpr_workgroup_id_x 1
		.amdhsa_system_sgpr_workgroup_id_y 0
		.amdhsa_system_sgpr_workgroup_id_z 0
		.amdhsa_system_sgpr_workgroup_info 0
		.amdhsa_system_vgpr_workitem_id 0
		.amdhsa_next_free_vgpr 1
		.amdhsa_next_free_sgpr 0
		.amdhsa_accum_offset 4
		.amdhsa_reserve_vcc 0
		.amdhsa_float_round_mode_32 0
		.amdhsa_float_round_mode_16_64 0
		.amdhsa_float_denorm_mode_32 3
		.amdhsa_float_denorm_mode_16_64 3
		.amdhsa_dx10_clamp 1
		.amdhsa_ieee_mode 1
		.amdhsa_fp16_overflow 0
		.amdhsa_tg_split 0
		.amdhsa_exception_fp_ieee_invalid_op 0
		.amdhsa_exception_fp_denorm_src 0
		.amdhsa_exception_fp_ieee_div_zero 0
		.amdhsa_exception_fp_ieee_overflow 0
		.amdhsa_exception_fp_ieee_underflow 0
		.amdhsa_exception_fp_ieee_inexact 0
		.amdhsa_exception_int_div_zero 0
	.end_amdhsa_kernel
	.section	.text._ZN7rocprim17ROCPRIM_400000_NS6detail17trampoline_kernelINS0_14default_configENS1_22reduce_config_selectorIfEEZNS1_11reduce_implILb1ES3_PfS7_f9plus_mod3IfEEE10hipError_tPvRmT1_T2_T3_mT4_P12ihipStream_tbEUlT_E0_NS1_11comp_targetILNS1_3genE10ELNS1_11target_archE1200ELNS1_3gpuE4ELNS1_3repE0EEENS1_30default_config_static_selectorELNS0_4arch9wavefront6targetE1EEEvSD_,"axG",@progbits,_ZN7rocprim17ROCPRIM_400000_NS6detail17trampoline_kernelINS0_14default_configENS1_22reduce_config_selectorIfEEZNS1_11reduce_implILb1ES3_PfS7_f9plus_mod3IfEEE10hipError_tPvRmT1_T2_T3_mT4_P12ihipStream_tbEUlT_E0_NS1_11comp_targetILNS1_3genE10ELNS1_11target_archE1200ELNS1_3gpuE4ELNS1_3repE0EEENS1_30default_config_static_selectorELNS0_4arch9wavefront6targetE1EEEvSD_,comdat
.Lfunc_end737:
	.size	_ZN7rocprim17ROCPRIM_400000_NS6detail17trampoline_kernelINS0_14default_configENS1_22reduce_config_selectorIfEEZNS1_11reduce_implILb1ES3_PfS7_f9plus_mod3IfEEE10hipError_tPvRmT1_T2_T3_mT4_P12ihipStream_tbEUlT_E0_NS1_11comp_targetILNS1_3genE10ELNS1_11target_archE1200ELNS1_3gpuE4ELNS1_3repE0EEENS1_30default_config_static_selectorELNS0_4arch9wavefront6targetE1EEEvSD_, .Lfunc_end737-_ZN7rocprim17ROCPRIM_400000_NS6detail17trampoline_kernelINS0_14default_configENS1_22reduce_config_selectorIfEEZNS1_11reduce_implILb1ES3_PfS7_f9plus_mod3IfEEE10hipError_tPvRmT1_T2_T3_mT4_P12ihipStream_tbEUlT_E0_NS1_11comp_targetILNS1_3genE10ELNS1_11target_archE1200ELNS1_3gpuE4ELNS1_3repE0EEENS1_30default_config_static_selectorELNS0_4arch9wavefront6targetE1EEEvSD_
                                        ; -- End function
	.set _ZN7rocprim17ROCPRIM_400000_NS6detail17trampoline_kernelINS0_14default_configENS1_22reduce_config_selectorIfEEZNS1_11reduce_implILb1ES3_PfS7_f9plus_mod3IfEEE10hipError_tPvRmT1_T2_T3_mT4_P12ihipStream_tbEUlT_E0_NS1_11comp_targetILNS1_3genE10ELNS1_11target_archE1200ELNS1_3gpuE4ELNS1_3repE0EEENS1_30default_config_static_selectorELNS0_4arch9wavefront6targetE1EEEvSD_.num_vgpr, 0
	.set _ZN7rocprim17ROCPRIM_400000_NS6detail17trampoline_kernelINS0_14default_configENS1_22reduce_config_selectorIfEEZNS1_11reduce_implILb1ES3_PfS7_f9plus_mod3IfEEE10hipError_tPvRmT1_T2_T3_mT4_P12ihipStream_tbEUlT_E0_NS1_11comp_targetILNS1_3genE10ELNS1_11target_archE1200ELNS1_3gpuE4ELNS1_3repE0EEENS1_30default_config_static_selectorELNS0_4arch9wavefront6targetE1EEEvSD_.num_agpr, 0
	.set _ZN7rocprim17ROCPRIM_400000_NS6detail17trampoline_kernelINS0_14default_configENS1_22reduce_config_selectorIfEEZNS1_11reduce_implILb1ES3_PfS7_f9plus_mod3IfEEE10hipError_tPvRmT1_T2_T3_mT4_P12ihipStream_tbEUlT_E0_NS1_11comp_targetILNS1_3genE10ELNS1_11target_archE1200ELNS1_3gpuE4ELNS1_3repE0EEENS1_30default_config_static_selectorELNS0_4arch9wavefront6targetE1EEEvSD_.numbered_sgpr, 0
	.set _ZN7rocprim17ROCPRIM_400000_NS6detail17trampoline_kernelINS0_14default_configENS1_22reduce_config_selectorIfEEZNS1_11reduce_implILb1ES3_PfS7_f9plus_mod3IfEEE10hipError_tPvRmT1_T2_T3_mT4_P12ihipStream_tbEUlT_E0_NS1_11comp_targetILNS1_3genE10ELNS1_11target_archE1200ELNS1_3gpuE4ELNS1_3repE0EEENS1_30default_config_static_selectorELNS0_4arch9wavefront6targetE1EEEvSD_.num_named_barrier, 0
	.set _ZN7rocprim17ROCPRIM_400000_NS6detail17trampoline_kernelINS0_14default_configENS1_22reduce_config_selectorIfEEZNS1_11reduce_implILb1ES3_PfS7_f9plus_mod3IfEEE10hipError_tPvRmT1_T2_T3_mT4_P12ihipStream_tbEUlT_E0_NS1_11comp_targetILNS1_3genE10ELNS1_11target_archE1200ELNS1_3gpuE4ELNS1_3repE0EEENS1_30default_config_static_selectorELNS0_4arch9wavefront6targetE1EEEvSD_.private_seg_size, 0
	.set _ZN7rocprim17ROCPRIM_400000_NS6detail17trampoline_kernelINS0_14default_configENS1_22reduce_config_selectorIfEEZNS1_11reduce_implILb1ES3_PfS7_f9plus_mod3IfEEE10hipError_tPvRmT1_T2_T3_mT4_P12ihipStream_tbEUlT_E0_NS1_11comp_targetILNS1_3genE10ELNS1_11target_archE1200ELNS1_3gpuE4ELNS1_3repE0EEENS1_30default_config_static_selectorELNS0_4arch9wavefront6targetE1EEEvSD_.uses_vcc, 0
	.set _ZN7rocprim17ROCPRIM_400000_NS6detail17trampoline_kernelINS0_14default_configENS1_22reduce_config_selectorIfEEZNS1_11reduce_implILb1ES3_PfS7_f9plus_mod3IfEEE10hipError_tPvRmT1_T2_T3_mT4_P12ihipStream_tbEUlT_E0_NS1_11comp_targetILNS1_3genE10ELNS1_11target_archE1200ELNS1_3gpuE4ELNS1_3repE0EEENS1_30default_config_static_selectorELNS0_4arch9wavefront6targetE1EEEvSD_.uses_flat_scratch, 0
	.set _ZN7rocprim17ROCPRIM_400000_NS6detail17trampoline_kernelINS0_14default_configENS1_22reduce_config_selectorIfEEZNS1_11reduce_implILb1ES3_PfS7_f9plus_mod3IfEEE10hipError_tPvRmT1_T2_T3_mT4_P12ihipStream_tbEUlT_E0_NS1_11comp_targetILNS1_3genE10ELNS1_11target_archE1200ELNS1_3gpuE4ELNS1_3repE0EEENS1_30default_config_static_selectorELNS0_4arch9wavefront6targetE1EEEvSD_.has_dyn_sized_stack, 0
	.set _ZN7rocprim17ROCPRIM_400000_NS6detail17trampoline_kernelINS0_14default_configENS1_22reduce_config_selectorIfEEZNS1_11reduce_implILb1ES3_PfS7_f9plus_mod3IfEEE10hipError_tPvRmT1_T2_T3_mT4_P12ihipStream_tbEUlT_E0_NS1_11comp_targetILNS1_3genE10ELNS1_11target_archE1200ELNS1_3gpuE4ELNS1_3repE0EEENS1_30default_config_static_selectorELNS0_4arch9wavefront6targetE1EEEvSD_.has_recursion, 0
	.set _ZN7rocprim17ROCPRIM_400000_NS6detail17trampoline_kernelINS0_14default_configENS1_22reduce_config_selectorIfEEZNS1_11reduce_implILb1ES3_PfS7_f9plus_mod3IfEEE10hipError_tPvRmT1_T2_T3_mT4_P12ihipStream_tbEUlT_E0_NS1_11comp_targetILNS1_3genE10ELNS1_11target_archE1200ELNS1_3gpuE4ELNS1_3repE0EEENS1_30default_config_static_selectorELNS0_4arch9wavefront6targetE1EEEvSD_.has_indirect_call, 0
	.section	.AMDGPU.csdata,"",@progbits
; Kernel info:
; codeLenInByte = 0
; TotalNumSgprs: 6
; NumVgprs: 0
; NumAgprs: 0
; TotalNumVgprs: 0
; ScratchSize: 0
; MemoryBound: 0
; FloatMode: 240
; IeeeMode: 1
; LDSByteSize: 0 bytes/workgroup (compile time only)
; SGPRBlocks: 0
; VGPRBlocks: 0
; NumSGPRsForWavesPerEU: 6
; NumVGPRsForWavesPerEU: 1
; AccumOffset: 4
; Occupancy: 8
; WaveLimiterHint : 0
; COMPUTE_PGM_RSRC2:SCRATCH_EN: 0
; COMPUTE_PGM_RSRC2:USER_SGPR: 2
; COMPUTE_PGM_RSRC2:TRAP_HANDLER: 0
; COMPUTE_PGM_RSRC2:TGID_X_EN: 1
; COMPUTE_PGM_RSRC2:TGID_Y_EN: 0
; COMPUTE_PGM_RSRC2:TGID_Z_EN: 0
; COMPUTE_PGM_RSRC2:TIDIG_COMP_CNT: 0
; COMPUTE_PGM_RSRC3_GFX90A:ACCUM_OFFSET: 0
; COMPUTE_PGM_RSRC3_GFX90A:TG_SPLIT: 0
	.section	.text._ZN7rocprim17ROCPRIM_400000_NS6detail17trampoline_kernelINS0_14default_configENS1_22reduce_config_selectorIfEEZNS1_11reduce_implILb1ES3_PfS7_f9plus_mod3IfEEE10hipError_tPvRmT1_T2_T3_mT4_P12ihipStream_tbEUlT_E0_NS1_11comp_targetILNS1_3genE9ELNS1_11target_archE1100ELNS1_3gpuE3ELNS1_3repE0EEENS1_30default_config_static_selectorELNS0_4arch9wavefront6targetE1EEEvSD_,"axG",@progbits,_ZN7rocprim17ROCPRIM_400000_NS6detail17trampoline_kernelINS0_14default_configENS1_22reduce_config_selectorIfEEZNS1_11reduce_implILb1ES3_PfS7_f9plus_mod3IfEEE10hipError_tPvRmT1_T2_T3_mT4_P12ihipStream_tbEUlT_E0_NS1_11comp_targetILNS1_3genE9ELNS1_11target_archE1100ELNS1_3gpuE3ELNS1_3repE0EEENS1_30default_config_static_selectorELNS0_4arch9wavefront6targetE1EEEvSD_,comdat
	.protected	_ZN7rocprim17ROCPRIM_400000_NS6detail17trampoline_kernelINS0_14default_configENS1_22reduce_config_selectorIfEEZNS1_11reduce_implILb1ES3_PfS7_f9plus_mod3IfEEE10hipError_tPvRmT1_T2_T3_mT4_P12ihipStream_tbEUlT_E0_NS1_11comp_targetILNS1_3genE9ELNS1_11target_archE1100ELNS1_3gpuE3ELNS1_3repE0EEENS1_30default_config_static_selectorELNS0_4arch9wavefront6targetE1EEEvSD_ ; -- Begin function _ZN7rocprim17ROCPRIM_400000_NS6detail17trampoline_kernelINS0_14default_configENS1_22reduce_config_selectorIfEEZNS1_11reduce_implILb1ES3_PfS7_f9plus_mod3IfEEE10hipError_tPvRmT1_T2_T3_mT4_P12ihipStream_tbEUlT_E0_NS1_11comp_targetILNS1_3genE9ELNS1_11target_archE1100ELNS1_3gpuE3ELNS1_3repE0EEENS1_30default_config_static_selectorELNS0_4arch9wavefront6targetE1EEEvSD_
	.globl	_ZN7rocprim17ROCPRIM_400000_NS6detail17trampoline_kernelINS0_14default_configENS1_22reduce_config_selectorIfEEZNS1_11reduce_implILb1ES3_PfS7_f9plus_mod3IfEEE10hipError_tPvRmT1_T2_T3_mT4_P12ihipStream_tbEUlT_E0_NS1_11comp_targetILNS1_3genE9ELNS1_11target_archE1100ELNS1_3gpuE3ELNS1_3repE0EEENS1_30default_config_static_selectorELNS0_4arch9wavefront6targetE1EEEvSD_
	.p2align	8
	.type	_ZN7rocprim17ROCPRIM_400000_NS6detail17trampoline_kernelINS0_14default_configENS1_22reduce_config_selectorIfEEZNS1_11reduce_implILb1ES3_PfS7_f9plus_mod3IfEEE10hipError_tPvRmT1_T2_T3_mT4_P12ihipStream_tbEUlT_E0_NS1_11comp_targetILNS1_3genE9ELNS1_11target_archE1100ELNS1_3gpuE3ELNS1_3repE0EEENS1_30default_config_static_selectorELNS0_4arch9wavefront6targetE1EEEvSD_,@function
_ZN7rocprim17ROCPRIM_400000_NS6detail17trampoline_kernelINS0_14default_configENS1_22reduce_config_selectorIfEEZNS1_11reduce_implILb1ES3_PfS7_f9plus_mod3IfEEE10hipError_tPvRmT1_T2_T3_mT4_P12ihipStream_tbEUlT_E0_NS1_11comp_targetILNS1_3genE9ELNS1_11target_archE1100ELNS1_3gpuE3ELNS1_3repE0EEENS1_30default_config_static_selectorELNS0_4arch9wavefront6targetE1EEEvSD_: ; @_ZN7rocprim17ROCPRIM_400000_NS6detail17trampoline_kernelINS0_14default_configENS1_22reduce_config_selectorIfEEZNS1_11reduce_implILb1ES3_PfS7_f9plus_mod3IfEEE10hipError_tPvRmT1_T2_T3_mT4_P12ihipStream_tbEUlT_E0_NS1_11comp_targetILNS1_3genE9ELNS1_11target_archE1100ELNS1_3gpuE3ELNS1_3repE0EEENS1_30default_config_static_selectorELNS0_4arch9wavefront6targetE1EEEvSD_
; %bb.0:
	.section	.rodata,"a",@progbits
	.p2align	6, 0x0
	.amdhsa_kernel _ZN7rocprim17ROCPRIM_400000_NS6detail17trampoline_kernelINS0_14default_configENS1_22reduce_config_selectorIfEEZNS1_11reduce_implILb1ES3_PfS7_f9plus_mod3IfEEE10hipError_tPvRmT1_T2_T3_mT4_P12ihipStream_tbEUlT_E0_NS1_11comp_targetILNS1_3genE9ELNS1_11target_archE1100ELNS1_3gpuE3ELNS1_3repE0EEENS1_30default_config_static_selectorELNS0_4arch9wavefront6targetE1EEEvSD_
		.amdhsa_group_segment_fixed_size 0
		.amdhsa_private_segment_fixed_size 0
		.amdhsa_kernarg_size 64
		.amdhsa_user_sgpr_count 2
		.amdhsa_user_sgpr_dispatch_ptr 0
		.amdhsa_user_sgpr_queue_ptr 0
		.amdhsa_user_sgpr_kernarg_segment_ptr 1
		.amdhsa_user_sgpr_dispatch_id 0
		.amdhsa_user_sgpr_kernarg_preload_length 0
		.amdhsa_user_sgpr_kernarg_preload_offset 0
		.amdhsa_user_sgpr_private_segment_size 0
		.amdhsa_uses_dynamic_stack 0
		.amdhsa_enable_private_segment 0
		.amdhsa_system_sgpr_workgroup_id_x 1
		.amdhsa_system_sgpr_workgroup_id_y 0
		.amdhsa_system_sgpr_workgroup_id_z 0
		.amdhsa_system_sgpr_workgroup_info 0
		.amdhsa_system_vgpr_workitem_id 0
		.amdhsa_next_free_vgpr 1
		.amdhsa_next_free_sgpr 0
		.amdhsa_accum_offset 4
		.amdhsa_reserve_vcc 0
		.amdhsa_float_round_mode_32 0
		.amdhsa_float_round_mode_16_64 0
		.amdhsa_float_denorm_mode_32 3
		.amdhsa_float_denorm_mode_16_64 3
		.amdhsa_dx10_clamp 1
		.amdhsa_ieee_mode 1
		.amdhsa_fp16_overflow 0
		.amdhsa_tg_split 0
		.amdhsa_exception_fp_ieee_invalid_op 0
		.amdhsa_exception_fp_denorm_src 0
		.amdhsa_exception_fp_ieee_div_zero 0
		.amdhsa_exception_fp_ieee_overflow 0
		.amdhsa_exception_fp_ieee_underflow 0
		.amdhsa_exception_fp_ieee_inexact 0
		.amdhsa_exception_int_div_zero 0
	.end_amdhsa_kernel
	.section	.text._ZN7rocprim17ROCPRIM_400000_NS6detail17trampoline_kernelINS0_14default_configENS1_22reduce_config_selectorIfEEZNS1_11reduce_implILb1ES3_PfS7_f9plus_mod3IfEEE10hipError_tPvRmT1_T2_T3_mT4_P12ihipStream_tbEUlT_E0_NS1_11comp_targetILNS1_3genE9ELNS1_11target_archE1100ELNS1_3gpuE3ELNS1_3repE0EEENS1_30default_config_static_selectorELNS0_4arch9wavefront6targetE1EEEvSD_,"axG",@progbits,_ZN7rocprim17ROCPRIM_400000_NS6detail17trampoline_kernelINS0_14default_configENS1_22reduce_config_selectorIfEEZNS1_11reduce_implILb1ES3_PfS7_f9plus_mod3IfEEE10hipError_tPvRmT1_T2_T3_mT4_P12ihipStream_tbEUlT_E0_NS1_11comp_targetILNS1_3genE9ELNS1_11target_archE1100ELNS1_3gpuE3ELNS1_3repE0EEENS1_30default_config_static_selectorELNS0_4arch9wavefront6targetE1EEEvSD_,comdat
.Lfunc_end738:
	.size	_ZN7rocprim17ROCPRIM_400000_NS6detail17trampoline_kernelINS0_14default_configENS1_22reduce_config_selectorIfEEZNS1_11reduce_implILb1ES3_PfS7_f9plus_mod3IfEEE10hipError_tPvRmT1_T2_T3_mT4_P12ihipStream_tbEUlT_E0_NS1_11comp_targetILNS1_3genE9ELNS1_11target_archE1100ELNS1_3gpuE3ELNS1_3repE0EEENS1_30default_config_static_selectorELNS0_4arch9wavefront6targetE1EEEvSD_, .Lfunc_end738-_ZN7rocprim17ROCPRIM_400000_NS6detail17trampoline_kernelINS0_14default_configENS1_22reduce_config_selectorIfEEZNS1_11reduce_implILb1ES3_PfS7_f9plus_mod3IfEEE10hipError_tPvRmT1_T2_T3_mT4_P12ihipStream_tbEUlT_E0_NS1_11comp_targetILNS1_3genE9ELNS1_11target_archE1100ELNS1_3gpuE3ELNS1_3repE0EEENS1_30default_config_static_selectorELNS0_4arch9wavefront6targetE1EEEvSD_
                                        ; -- End function
	.set _ZN7rocprim17ROCPRIM_400000_NS6detail17trampoline_kernelINS0_14default_configENS1_22reduce_config_selectorIfEEZNS1_11reduce_implILb1ES3_PfS7_f9plus_mod3IfEEE10hipError_tPvRmT1_T2_T3_mT4_P12ihipStream_tbEUlT_E0_NS1_11comp_targetILNS1_3genE9ELNS1_11target_archE1100ELNS1_3gpuE3ELNS1_3repE0EEENS1_30default_config_static_selectorELNS0_4arch9wavefront6targetE1EEEvSD_.num_vgpr, 0
	.set _ZN7rocprim17ROCPRIM_400000_NS6detail17trampoline_kernelINS0_14default_configENS1_22reduce_config_selectorIfEEZNS1_11reduce_implILb1ES3_PfS7_f9plus_mod3IfEEE10hipError_tPvRmT1_T2_T3_mT4_P12ihipStream_tbEUlT_E0_NS1_11comp_targetILNS1_3genE9ELNS1_11target_archE1100ELNS1_3gpuE3ELNS1_3repE0EEENS1_30default_config_static_selectorELNS0_4arch9wavefront6targetE1EEEvSD_.num_agpr, 0
	.set _ZN7rocprim17ROCPRIM_400000_NS6detail17trampoline_kernelINS0_14default_configENS1_22reduce_config_selectorIfEEZNS1_11reduce_implILb1ES3_PfS7_f9plus_mod3IfEEE10hipError_tPvRmT1_T2_T3_mT4_P12ihipStream_tbEUlT_E0_NS1_11comp_targetILNS1_3genE9ELNS1_11target_archE1100ELNS1_3gpuE3ELNS1_3repE0EEENS1_30default_config_static_selectorELNS0_4arch9wavefront6targetE1EEEvSD_.numbered_sgpr, 0
	.set _ZN7rocprim17ROCPRIM_400000_NS6detail17trampoline_kernelINS0_14default_configENS1_22reduce_config_selectorIfEEZNS1_11reduce_implILb1ES3_PfS7_f9plus_mod3IfEEE10hipError_tPvRmT1_T2_T3_mT4_P12ihipStream_tbEUlT_E0_NS1_11comp_targetILNS1_3genE9ELNS1_11target_archE1100ELNS1_3gpuE3ELNS1_3repE0EEENS1_30default_config_static_selectorELNS0_4arch9wavefront6targetE1EEEvSD_.num_named_barrier, 0
	.set _ZN7rocprim17ROCPRIM_400000_NS6detail17trampoline_kernelINS0_14default_configENS1_22reduce_config_selectorIfEEZNS1_11reduce_implILb1ES3_PfS7_f9plus_mod3IfEEE10hipError_tPvRmT1_T2_T3_mT4_P12ihipStream_tbEUlT_E0_NS1_11comp_targetILNS1_3genE9ELNS1_11target_archE1100ELNS1_3gpuE3ELNS1_3repE0EEENS1_30default_config_static_selectorELNS0_4arch9wavefront6targetE1EEEvSD_.private_seg_size, 0
	.set _ZN7rocprim17ROCPRIM_400000_NS6detail17trampoline_kernelINS0_14default_configENS1_22reduce_config_selectorIfEEZNS1_11reduce_implILb1ES3_PfS7_f9plus_mod3IfEEE10hipError_tPvRmT1_T2_T3_mT4_P12ihipStream_tbEUlT_E0_NS1_11comp_targetILNS1_3genE9ELNS1_11target_archE1100ELNS1_3gpuE3ELNS1_3repE0EEENS1_30default_config_static_selectorELNS0_4arch9wavefront6targetE1EEEvSD_.uses_vcc, 0
	.set _ZN7rocprim17ROCPRIM_400000_NS6detail17trampoline_kernelINS0_14default_configENS1_22reduce_config_selectorIfEEZNS1_11reduce_implILb1ES3_PfS7_f9plus_mod3IfEEE10hipError_tPvRmT1_T2_T3_mT4_P12ihipStream_tbEUlT_E0_NS1_11comp_targetILNS1_3genE9ELNS1_11target_archE1100ELNS1_3gpuE3ELNS1_3repE0EEENS1_30default_config_static_selectorELNS0_4arch9wavefront6targetE1EEEvSD_.uses_flat_scratch, 0
	.set _ZN7rocprim17ROCPRIM_400000_NS6detail17trampoline_kernelINS0_14default_configENS1_22reduce_config_selectorIfEEZNS1_11reduce_implILb1ES3_PfS7_f9plus_mod3IfEEE10hipError_tPvRmT1_T2_T3_mT4_P12ihipStream_tbEUlT_E0_NS1_11comp_targetILNS1_3genE9ELNS1_11target_archE1100ELNS1_3gpuE3ELNS1_3repE0EEENS1_30default_config_static_selectorELNS0_4arch9wavefront6targetE1EEEvSD_.has_dyn_sized_stack, 0
	.set _ZN7rocprim17ROCPRIM_400000_NS6detail17trampoline_kernelINS0_14default_configENS1_22reduce_config_selectorIfEEZNS1_11reduce_implILb1ES3_PfS7_f9plus_mod3IfEEE10hipError_tPvRmT1_T2_T3_mT4_P12ihipStream_tbEUlT_E0_NS1_11comp_targetILNS1_3genE9ELNS1_11target_archE1100ELNS1_3gpuE3ELNS1_3repE0EEENS1_30default_config_static_selectorELNS0_4arch9wavefront6targetE1EEEvSD_.has_recursion, 0
	.set _ZN7rocprim17ROCPRIM_400000_NS6detail17trampoline_kernelINS0_14default_configENS1_22reduce_config_selectorIfEEZNS1_11reduce_implILb1ES3_PfS7_f9plus_mod3IfEEE10hipError_tPvRmT1_T2_T3_mT4_P12ihipStream_tbEUlT_E0_NS1_11comp_targetILNS1_3genE9ELNS1_11target_archE1100ELNS1_3gpuE3ELNS1_3repE0EEENS1_30default_config_static_selectorELNS0_4arch9wavefront6targetE1EEEvSD_.has_indirect_call, 0
	.section	.AMDGPU.csdata,"",@progbits
; Kernel info:
; codeLenInByte = 0
; TotalNumSgprs: 6
; NumVgprs: 0
; NumAgprs: 0
; TotalNumVgprs: 0
; ScratchSize: 0
; MemoryBound: 0
; FloatMode: 240
; IeeeMode: 1
; LDSByteSize: 0 bytes/workgroup (compile time only)
; SGPRBlocks: 0
; VGPRBlocks: 0
; NumSGPRsForWavesPerEU: 6
; NumVGPRsForWavesPerEU: 1
; AccumOffset: 4
; Occupancy: 8
; WaveLimiterHint : 0
; COMPUTE_PGM_RSRC2:SCRATCH_EN: 0
; COMPUTE_PGM_RSRC2:USER_SGPR: 2
; COMPUTE_PGM_RSRC2:TRAP_HANDLER: 0
; COMPUTE_PGM_RSRC2:TGID_X_EN: 1
; COMPUTE_PGM_RSRC2:TGID_Y_EN: 0
; COMPUTE_PGM_RSRC2:TGID_Z_EN: 0
; COMPUTE_PGM_RSRC2:TIDIG_COMP_CNT: 0
; COMPUTE_PGM_RSRC3_GFX90A:ACCUM_OFFSET: 0
; COMPUTE_PGM_RSRC3_GFX90A:TG_SPLIT: 0
	.section	.text._ZN7rocprim17ROCPRIM_400000_NS6detail17trampoline_kernelINS0_14default_configENS1_22reduce_config_selectorIfEEZNS1_11reduce_implILb1ES3_PfS7_f9plus_mod3IfEEE10hipError_tPvRmT1_T2_T3_mT4_P12ihipStream_tbEUlT_E0_NS1_11comp_targetILNS1_3genE8ELNS1_11target_archE1030ELNS1_3gpuE2ELNS1_3repE0EEENS1_30default_config_static_selectorELNS0_4arch9wavefront6targetE1EEEvSD_,"axG",@progbits,_ZN7rocprim17ROCPRIM_400000_NS6detail17trampoline_kernelINS0_14default_configENS1_22reduce_config_selectorIfEEZNS1_11reduce_implILb1ES3_PfS7_f9plus_mod3IfEEE10hipError_tPvRmT1_T2_T3_mT4_P12ihipStream_tbEUlT_E0_NS1_11comp_targetILNS1_3genE8ELNS1_11target_archE1030ELNS1_3gpuE2ELNS1_3repE0EEENS1_30default_config_static_selectorELNS0_4arch9wavefront6targetE1EEEvSD_,comdat
	.protected	_ZN7rocprim17ROCPRIM_400000_NS6detail17trampoline_kernelINS0_14default_configENS1_22reduce_config_selectorIfEEZNS1_11reduce_implILb1ES3_PfS7_f9plus_mod3IfEEE10hipError_tPvRmT1_T2_T3_mT4_P12ihipStream_tbEUlT_E0_NS1_11comp_targetILNS1_3genE8ELNS1_11target_archE1030ELNS1_3gpuE2ELNS1_3repE0EEENS1_30default_config_static_selectorELNS0_4arch9wavefront6targetE1EEEvSD_ ; -- Begin function _ZN7rocprim17ROCPRIM_400000_NS6detail17trampoline_kernelINS0_14default_configENS1_22reduce_config_selectorIfEEZNS1_11reduce_implILb1ES3_PfS7_f9plus_mod3IfEEE10hipError_tPvRmT1_T2_T3_mT4_P12ihipStream_tbEUlT_E0_NS1_11comp_targetILNS1_3genE8ELNS1_11target_archE1030ELNS1_3gpuE2ELNS1_3repE0EEENS1_30default_config_static_selectorELNS0_4arch9wavefront6targetE1EEEvSD_
	.globl	_ZN7rocprim17ROCPRIM_400000_NS6detail17trampoline_kernelINS0_14default_configENS1_22reduce_config_selectorIfEEZNS1_11reduce_implILb1ES3_PfS7_f9plus_mod3IfEEE10hipError_tPvRmT1_T2_T3_mT4_P12ihipStream_tbEUlT_E0_NS1_11comp_targetILNS1_3genE8ELNS1_11target_archE1030ELNS1_3gpuE2ELNS1_3repE0EEENS1_30default_config_static_selectorELNS0_4arch9wavefront6targetE1EEEvSD_
	.p2align	8
	.type	_ZN7rocprim17ROCPRIM_400000_NS6detail17trampoline_kernelINS0_14default_configENS1_22reduce_config_selectorIfEEZNS1_11reduce_implILb1ES3_PfS7_f9plus_mod3IfEEE10hipError_tPvRmT1_T2_T3_mT4_P12ihipStream_tbEUlT_E0_NS1_11comp_targetILNS1_3genE8ELNS1_11target_archE1030ELNS1_3gpuE2ELNS1_3repE0EEENS1_30default_config_static_selectorELNS0_4arch9wavefront6targetE1EEEvSD_,@function
_ZN7rocprim17ROCPRIM_400000_NS6detail17trampoline_kernelINS0_14default_configENS1_22reduce_config_selectorIfEEZNS1_11reduce_implILb1ES3_PfS7_f9plus_mod3IfEEE10hipError_tPvRmT1_T2_T3_mT4_P12ihipStream_tbEUlT_E0_NS1_11comp_targetILNS1_3genE8ELNS1_11target_archE1030ELNS1_3gpuE2ELNS1_3repE0EEENS1_30default_config_static_selectorELNS0_4arch9wavefront6targetE1EEEvSD_: ; @_ZN7rocprim17ROCPRIM_400000_NS6detail17trampoline_kernelINS0_14default_configENS1_22reduce_config_selectorIfEEZNS1_11reduce_implILb1ES3_PfS7_f9plus_mod3IfEEE10hipError_tPvRmT1_T2_T3_mT4_P12ihipStream_tbEUlT_E0_NS1_11comp_targetILNS1_3genE8ELNS1_11target_archE1030ELNS1_3gpuE2ELNS1_3repE0EEENS1_30default_config_static_selectorELNS0_4arch9wavefront6targetE1EEEvSD_
; %bb.0:
	.section	.rodata,"a",@progbits
	.p2align	6, 0x0
	.amdhsa_kernel _ZN7rocprim17ROCPRIM_400000_NS6detail17trampoline_kernelINS0_14default_configENS1_22reduce_config_selectorIfEEZNS1_11reduce_implILb1ES3_PfS7_f9plus_mod3IfEEE10hipError_tPvRmT1_T2_T3_mT4_P12ihipStream_tbEUlT_E0_NS1_11comp_targetILNS1_3genE8ELNS1_11target_archE1030ELNS1_3gpuE2ELNS1_3repE0EEENS1_30default_config_static_selectorELNS0_4arch9wavefront6targetE1EEEvSD_
		.amdhsa_group_segment_fixed_size 0
		.amdhsa_private_segment_fixed_size 0
		.amdhsa_kernarg_size 64
		.amdhsa_user_sgpr_count 2
		.amdhsa_user_sgpr_dispatch_ptr 0
		.amdhsa_user_sgpr_queue_ptr 0
		.amdhsa_user_sgpr_kernarg_segment_ptr 1
		.amdhsa_user_sgpr_dispatch_id 0
		.amdhsa_user_sgpr_kernarg_preload_length 0
		.amdhsa_user_sgpr_kernarg_preload_offset 0
		.amdhsa_user_sgpr_private_segment_size 0
		.amdhsa_uses_dynamic_stack 0
		.amdhsa_enable_private_segment 0
		.amdhsa_system_sgpr_workgroup_id_x 1
		.amdhsa_system_sgpr_workgroup_id_y 0
		.amdhsa_system_sgpr_workgroup_id_z 0
		.amdhsa_system_sgpr_workgroup_info 0
		.amdhsa_system_vgpr_workitem_id 0
		.amdhsa_next_free_vgpr 1
		.amdhsa_next_free_sgpr 0
		.amdhsa_accum_offset 4
		.amdhsa_reserve_vcc 0
		.amdhsa_float_round_mode_32 0
		.amdhsa_float_round_mode_16_64 0
		.amdhsa_float_denorm_mode_32 3
		.amdhsa_float_denorm_mode_16_64 3
		.amdhsa_dx10_clamp 1
		.amdhsa_ieee_mode 1
		.amdhsa_fp16_overflow 0
		.amdhsa_tg_split 0
		.amdhsa_exception_fp_ieee_invalid_op 0
		.amdhsa_exception_fp_denorm_src 0
		.amdhsa_exception_fp_ieee_div_zero 0
		.amdhsa_exception_fp_ieee_overflow 0
		.amdhsa_exception_fp_ieee_underflow 0
		.amdhsa_exception_fp_ieee_inexact 0
		.amdhsa_exception_int_div_zero 0
	.end_amdhsa_kernel
	.section	.text._ZN7rocprim17ROCPRIM_400000_NS6detail17trampoline_kernelINS0_14default_configENS1_22reduce_config_selectorIfEEZNS1_11reduce_implILb1ES3_PfS7_f9plus_mod3IfEEE10hipError_tPvRmT1_T2_T3_mT4_P12ihipStream_tbEUlT_E0_NS1_11comp_targetILNS1_3genE8ELNS1_11target_archE1030ELNS1_3gpuE2ELNS1_3repE0EEENS1_30default_config_static_selectorELNS0_4arch9wavefront6targetE1EEEvSD_,"axG",@progbits,_ZN7rocprim17ROCPRIM_400000_NS6detail17trampoline_kernelINS0_14default_configENS1_22reduce_config_selectorIfEEZNS1_11reduce_implILb1ES3_PfS7_f9plus_mod3IfEEE10hipError_tPvRmT1_T2_T3_mT4_P12ihipStream_tbEUlT_E0_NS1_11comp_targetILNS1_3genE8ELNS1_11target_archE1030ELNS1_3gpuE2ELNS1_3repE0EEENS1_30default_config_static_selectorELNS0_4arch9wavefront6targetE1EEEvSD_,comdat
.Lfunc_end739:
	.size	_ZN7rocprim17ROCPRIM_400000_NS6detail17trampoline_kernelINS0_14default_configENS1_22reduce_config_selectorIfEEZNS1_11reduce_implILb1ES3_PfS7_f9plus_mod3IfEEE10hipError_tPvRmT1_T2_T3_mT4_P12ihipStream_tbEUlT_E0_NS1_11comp_targetILNS1_3genE8ELNS1_11target_archE1030ELNS1_3gpuE2ELNS1_3repE0EEENS1_30default_config_static_selectorELNS0_4arch9wavefront6targetE1EEEvSD_, .Lfunc_end739-_ZN7rocprim17ROCPRIM_400000_NS6detail17trampoline_kernelINS0_14default_configENS1_22reduce_config_selectorIfEEZNS1_11reduce_implILb1ES3_PfS7_f9plus_mod3IfEEE10hipError_tPvRmT1_T2_T3_mT4_P12ihipStream_tbEUlT_E0_NS1_11comp_targetILNS1_3genE8ELNS1_11target_archE1030ELNS1_3gpuE2ELNS1_3repE0EEENS1_30default_config_static_selectorELNS0_4arch9wavefront6targetE1EEEvSD_
                                        ; -- End function
	.set _ZN7rocprim17ROCPRIM_400000_NS6detail17trampoline_kernelINS0_14default_configENS1_22reduce_config_selectorIfEEZNS1_11reduce_implILb1ES3_PfS7_f9plus_mod3IfEEE10hipError_tPvRmT1_T2_T3_mT4_P12ihipStream_tbEUlT_E0_NS1_11comp_targetILNS1_3genE8ELNS1_11target_archE1030ELNS1_3gpuE2ELNS1_3repE0EEENS1_30default_config_static_selectorELNS0_4arch9wavefront6targetE1EEEvSD_.num_vgpr, 0
	.set _ZN7rocprim17ROCPRIM_400000_NS6detail17trampoline_kernelINS0_14default_configENS1_22reduce_config_selectorIfEEZNS1_11reduce_implILb1ES3_PfS7_f9plus_mod3IfEEE10hipError_tPvRmT1_T2_T3_mT4_P12ihipStream_tbEUlT_E0_NS1_11comp_targetILNS1_3genE8ELNS1_11target_archE1030ELNS1_3gpuE2ELNS1_3repE0EEENS1_30default_config_static_selectorELNS0_4arch9wavefront6targetE1EEEvSD_.num_agpr, 0
	.set _ZN7rocprim17ROCPRIM_400000_NS6detail17trampoline_kernelINS0_14default_configENS1_22reduce_config_selectorIfEEZNS1_11reduce_implILb1ES3_PfS7_f9plus_mod3IfEEE10hipError_tPvRmT1_T2_T3_mT4_P12ihipStream_tbEUlT_E0_NS1_11comp_targetILNS1_3genE8ELNS1_11target_archE1030ELNS1_3gpuE2ELNS1_3repE0EEENS1_30default_config_static_selectorELNS0_4arch9wavefront6targetE1EEEvSD_.numbered_sgpr, 0
	.set _ZN7rocprim17ROCPRIM_400000_NS6detail17trampoline_kernelINS0_14default_configENS1_22reduce_config_selectorIfEEZNS1_11reduce_implILb1ES3_PfS7_f9plus_mod3IfEEE10hipError_tPvRmT1_T2_T3_mT4_P12ihipStream_tbEUlT_E0_NS1_11comp_targetILNS1_3genE8ELNS1_11target_archE1030ELNS1_3gpuE2ELNS1_3repE0EEENS1_30default_config_static_selectorELNS0_4arch9wavefront6targetE1EEEvSD_.num_named_barrier, 0
	.set _ZN7rocprim17ROCPRIM_400000_NS6detail17trampoline_kernelINS0_14default_configENS1_22reduce_config_selectorIfEEZNS1_11reduce_implILb1ES3_PfS7_f9plus_mod3IfEEE10hipError_tPvRmT1_T2_T3_mT4_P12ihipStream_tbEUlT_E0_NS1_11comp_targetILNS1_3genE8ELNS1_11target_archE1030ELNS1_3gpuE2ELNS1_3repE0EEENS1_30default_config_static_selectorELNS0_4arch9wavefront6targetE1EEEvSD_.private_seg_size, 0
	.set _ZN7rocprim17ROCPRIM_400000_NS6detail17trampoline_kernelINS0_14default_configENS1_22reduce_config_selectorIfEEZNS1_11reduce_implILb1ES3_PfS7_f9plus_mod3IfEEE10hipError_tPvRmT1_T2_T3_mT4_P12ihipStream_tbEUlT_E0_NS1_11comp_targetILNS1_3genE8ELNS1_11target_archE1030ELNS1_3gpuE2ELNS1_3repE0EEENS1_30default_config_static_selectorELNS0_4arch9wavefront6targetE1EEEvSD_.uses_vcc, 0
	.set _ZN7rocprim17ROCPRIM_400000_NS6detail17trampoline_kernelINS0_14default_configENS1_22reduce_config_selectorIfEEZNS1_11reduce_implILb1ES3_PfS7_f9plus_mod3IfEEE10hipError_tPvRmT1_T2_T3_mT4_P12ihipStream_tbEUlT_E0_NS1_11comp_targetILNS1_3genE8ELNS1_11target_archE1030ELNS1_3gpuE2ELNS1_3repE0EEENS1_30default_config_static_selectorELNS0_4arch9wavefront6targetE1EEEvSD_.uses_flat_scratch, 0
	.set _ZN7rocprim17ROCPRIM_400000_NS6detail17trampoline_kernelINS0_14default_configENS1_22reduce_config_selectorIfEEZNS1_11reduce_implILb1ES3_PfS7_f9plus_mod3IfEEE10hipError_tPvRmT1_T2_T3_mT4_P12ihipStream_tbEUlT_E0_NS1_11comp_targetILNS1_3genE8ELNS1_11target_archE1030ELNS1_3gpuE2ELNS1_3repE0EEENS1_30default_config_static_selectorELNS0_4arch9wavefront6targetE1EEEvSD_.has_dyn_sized_stack, 0
	.set _ZN7rocprim17ROCPRIM_400000_NS6detail17trampoline_kernelINS0_14default_configENS1_22reduce_config_selectorIfEEZNS1_11reduce_implILb1ES3_PfS7_f9plus_mod3IfEEE10hipError_tPvRmT1_T2_T3_mT4_P12ihipStream_tbEUlT_E0_NS1_11comp_targetILNS1_3genE8ELNS1_11target_archE1030ELNS1_3gpuE2ELNS1_3repE0EEENS1_30default_config_static_selectorELNS0_4arch9wavefront6targetE1EEEvSD_.has_recursion, 0
	.set _ZN7rocprim17ROCPRIM_400000_NS6detail17trampoline_kernelINS0_14default_configENS1_22reduce_config_selectorIfEEZNS1_11reduce_implILb1ES3_PfS7_f9plus_mod3IfEEE10hipError_tPvRmT1_T2_T3_mT4_P12ihipStream_tbEUlT_E0_NS1_11comp_targetILNS1_3genE8ELNS1_11target_archE1030ELNS1_3gpuE2ELNS1_3repE0EEENS1_30default_config_static_selectorELNS0_4arch9wavefront6targetE1EEEvSD_.has_indirect_call, 0
	.section	.AMDGPU.csdata,"",@progbits
; Kernel info:
; codeLenInByte = 0
; TotalNumSgprs: 6
; NumVgprs: 0
; NumAgprs: 0
; TotalNumVgprs: 0
; ScratchSize: 0
; MemoryBound: 0
; FloatMode: 240
; IeeeMode: 1
; LDSByteSize: 0 bytes/workgroup (compile time only)
; SGPRBlocks: 0
; VGPRBlocks: 0
; NumSGPRsForWavesPerEU: 6
; NumVGPRsForWavesPerEU: 1
; AccumOffset: 4
; Occupancy: 8
; WaveLimiterHint : 0
; COMPUTE_PGM_RSRC2:SCRATCH_EN: 0
; COMPUTE_PGM_RSRC2:USER_SGPR: 2
; COMPUTE_PGM_RSRC2:TRAP_HANDLER: 0
; COMPUTE_PGM_RSRC2:TGID_X_EN: 1
; COMPUTE_PGM_RSRC2:TGID_Y_EN: 0
; COMPUTE_PGM_RSRC2:TGID_Z_EN: 0
; COMPUTE_PGM_RSRC2:TIDIG_COMP_CNT: 0
; COMPUTE_PGM_RSRC3_GFX90A:ACCUM_OFFSET: 0
; COMPUTE_PGM_RSRC3_GFX90A:TG_SPLIT: 0
	.section	.text._ZN7rocprim17ROCPRIM_400000_NS6detail17trampoline_kernelINS0_14default_configENS1_22reduce_config_selectorIfEEZNS1_11reduce_implILb1ES3_PfS7_f9plus_mod3IfEEE10hipError_tPvRmT1_T2_T3_mT4_P12ihipStream_tbEUlT_E1_NS1_11comp_targetILNS1_3genE0ELNS1_11target_archE4294967295ELNS1_3gpuE0ELNS1_3repE0EEENS1_30default_config_static_selectorELNS0_4arch9wavefront6targetE1EEEvSD_,"axG",@progbits,_ZN7rocprim17ROCPRIM_400000_NS6detail17trampoline_kernelINS0_14default_configENS1_22reduce_config_selectorIfEEZNS1_11reduce_implILb1ES3_PfS7_f9plus_mod3IfEEE10hipError_tPvRmT1_T2_T3_mT4_P12ihipStream_tbEUlT_E1_NS1_11comp_targetILNS1_3genE0ELNS1_11target_archE4294967295ELNS1_3gpuE0ELNS1_3repE0EEENS1_30default_config_static_selectorELNS0_4arch9wavefront6targetE1EEEvSD_,comdat
	.protected	_ZN7rocprim17ROCPRIM_400000_NS6detail17trampoline_kernelINS0_14default_configENS1_22reduce_config_selectorIfEEZNS1_11reduce_implILb1ES3_PfS7_f9plus_mod3IfEEE10hipError_tPvRmT1_T2_T3_mT4_P12ihipStream_tbEUlT_E1_NS1_11comp_targetILNS1_3genE0ELNS1_11target_archE4294967295ELNS1_3gpuE0ELNS1_3repE0EEENS1_30default_config_static_selectorELNS0_4arch9wavefront6targetE1EEEvSD_ ; -- Begin function _ZN7rocprim17ROCPRIM_400000_NS6detail17trampoline_kernelINS0_14default_configENS1_22reduce_config_selectorIfEEZNS1_11reduce_implILb1ES3_PfS7_f9plus_mod3IfEEE10hipError_tPvRmT1_T2_T3_mT4_P12ihipStream_tbEUlT_E1_NS1_11comp_targetILNS1_3genE0ELNS1_11target_archE4294967295ELNS1_3gpuE0ELNS1_3repE0EEENS1_30default_config_static_selectorELNS0_4arch9wavefront6targetE1EEEvSD_
	.globl	_ZN7rocprim17ROCPRIM_400000_NS6detail17trampoline_kernelINS0_14default_configENS1_22reduce_config_selectorIfEEZNS1_11reduce_implILb1ES3_PfS7_f9plus_mod3IfEEE10hipError_tPvRmT1_T2_T3_mT4_P12ihipStream_tbEUlT_E1_NS1_11comp_targetILNS1_3genE0ELNS1_11target_archE4294967295ELNS1_3gpuE0ELNS1_3repE0EEENS1_30default_config_static_selectorELNS0_4arch9wavefront6targetE1EEEvSD_
	.p2align	8
	.type	_ZN7rocprim17ROCPRIM_400000_NS6detail17trampoline_kernelINS0_14default_configENS1_22reduce_config_selectorIfEEZNS1_11reduce_implILb1ES3_PfS7_f9plus_mod3IfEEE10hipError_tPvRmT1_T2_T3_mT4_P12ihipStream_tbEUlT_E1_NS1_11comp_targetILNS1_3genE0ELNS1_11target_archE4294967295ELNS1_3gpuE0ELNS1_3repE0EEENS1_30default_config_static_selectorELNS0_4arch9wavefront6targetE1EEEvSD_,@function
_ZN7rocprim17ROCPRIM_400000_NS6detail17trampoline_kernelINS0_14default_configENS1_22reduce_config_selectorIfEEZNS1_11reduce_implILb1ES3_PfS7_f9plus_mod3IfEEE10hipError_tPvRmT1_T2_T3_mT4_P12ihipStream_tbEUlT_E1_NS1_11comp_targetILNS1_3genE0ELNS1_11target_archE4294967295ELNS1_3gpuE0ELNS1_3repE0EEENS1_30default_config_static_selectorELNS0_4arch9wavefront6targetE1EEEvSD_: ; @_ZN7rocprim17ROCPRIM_400000_NS6detail17trampoline_kernelINS0_14default_configENS1_22reduce_config_selectorIfEEZNS1_11reduce_implILb1ES3_PfS7_f9plus_mod3IfEEE10hipError_tPvRmT1_T2_T3_mT4_P12ihipStream_tbEUlT_E1_NS1_11comp_targetILNS1_3genE0ELNS1_11target_archE4294967295ELNS1_3gpuE0ELNS1_3repE0EEENS1_30default_config_static_selectorELNS0_4arch9wavefront6targetE1EEEvSD_
; %bb.0:
	s_load_dword s80, s[0:1], 0x4
	s_load_dwordx4 s[68:71], s[0:1], 0x8
	s_load_dword s33, s[0:1], 0x20
	s_load_dwordx2 s[66:67], s[0:1], 0x28
	s_waitcnt lgkmcnt(0)
	s_cmp_lt_i32 s80, 8
	s_cbranch_scc1 .LBB740_10
; %bb.1:
	s_cmp_gt_i32 s80, 15
	s_cbranch_scc0 .LBB740_11
; %bb.2:
	s_cmp_gt_i32 s80, 31
	s_cbranch_scc0 .LBB740_12
; %bb.3:
	s_cmp_eq_u32 s80, 32
	s_mov_b64 s[72:73], 0
	s_cbranch_scc0 .LBB740_13
; %bb.4:
	s_mov_b32 s3, 0
	s_lshl_b32 s4, s2, 13
	s_mov_b32 s5, s3
	s_lshr_b64 s[6:7], s[70:71], 13
	s_lshl_b64 s[8:9], s[4:5], 2
	s_add_u32 s76, s68, s8
	s_addc_u32 s77, s69, s9
	s_cmp_lg_u64 s[6:7], s[2:3]
	s_cbranch_scc0 .LBB740_22
; %bb.5:
	v_lshlrev_b32_e32 v2, 2, v0
	global_load_dword v1, v2, s[76:77]
	global_load_dword v3, v2, s[76:77] offset:1024
	global_load_dword v6, v2, s[76:77] offset:2048
	;; [unrolled: 1-line block ×3, first 2 shown]
	s_waitcnt vmcnt(2)
	v_add_f32_e32 v1, v1, v3
	v_cvt_i32_f32_e32 v4, v1
	v_mov_b32_e32 v3, 0
	v_lshl_add_u64 v[2:3], s[76:77], 0, v[2:3]
	v_ashrrev_i32_e32 v5, 31, v4
	v_lshl_add_u64 v[4:5], v[4:5], 2, s[66:67]
	global_load_dword v1, v[4:5], off
	s_waitcnt vmcnt(0)
	v_add_f32_e32 v1, v6, v1
	v_cvt_i32_f32_e32 v4, v1
	v_ashrrev_i32_e32 v5, 31, v4
	v_lshl_add_u64 v[4:5], v[4:5], 2, s[66:67]
	global_load_dword v1, v[4:5], off
	v_add_co_u32_e32 v4, vcc, 0x1000, v2
	s_waitcnt vmcnt(0)
	v_add_f32_e32 v1, v7, v1
	v_cvt_i32_f32_e32 v6, v1
	v_addc_co_u32_e32 v5, vcc, 0, v3, vcc
	global_load_dword v1, v[4:5], off
	v_ashrrev_i32_e32 v7, 31, v6
	v_lshl_add_u64 v[6:7], v[6:7], 2, s[66:67]
	global_load_dword v8, v[6:7], off
	v_add_co_u32_e32 v6, vcc, 0x2000, v2
	s_waitcnt vmcnt(0)
	v_add_f32_e32 v1, v1, v8
	v_addc_co_u32_e32 v7, vcc, 0, v3, vcc
	global_load_dword v9, v[4:5], off offset:1024
	global_load_dword v10, v[4:5], off offset:2048
	global_load_dword v11, v[4:5], off offset:3072
	global_load_dword v12, v[6:7], off
	global_load_dword v13, v[6:7], off offset:1024
	global_load_dword v14, v[6:7], off offset:2048
	;; [unrolled: 1-line block ×3, first 2 shown]
	v_cvt_i32_f32_e32 v4, v1
	v_ashrrev_i32_e32 v5, 31, v4
	v_lshl_add_u64 v[4:5], v[4:5], 2, s[66:67]
	global_load_dword v1, v[4:5], off
	s_waitcnt vmcnt(0)
	v_add_f32_e32 v1, v9, v1
	v_cvt_i32_f32_e32 v4, v1
	v_ashrrev_i32_e32 v5, 31, v4
	v_lshl_add_u64 v[4:5], v[4:5], 2, s[66:67]
	global_load_dword v1, v[4:5], off
	s_waitcnt vmcnt(0)
	v_add_f32_e32 v1, v10, v1
	;; [unrolled: 6-line block ×6, first 2 shown]
	v_cvt_i32_f32_e32 v4, v1
	v_ashrrev_i32_e32 v5, 31, v4
	v_lshl_add_u64 v[4:5], v[4:5], 2, s[66:67]
	global_load_dword v1, v[4:5], off
	v_add_co_u32_e32 v4, vcc, 0x3000, v2
	s_waitcnt vmcnt(0)
	v_add_f32_e32 v1, v15, v1
	v_cvt_i32_f32_e32 v6, v1
	v_addc_co_u32_e32 v5, vcc, 0, v3, vcc
	global_load_dword v1, v[4:5], off
	v_ashrrev_i32_e32 v7, 31, v6
	v_lshl_add_u64 v[6:7], v[6:7], 2, s[66:67]
	global_load_dword v8, v[6:7], off
	v_add_co_u32_e32 v6, vcc, 0x4000, v2
	s_waitcnt vmcnt(0)
	v_add_f32_e32 v1, v1, v8
	v_addc_co_u32_e32 v7, vcc, 0, v3, vcc
	global_load_dword v9, v[4:5], off offset:1024
	global_load_dword v10, v[4:5], off offset:2048
	;; [unrolled: 1-line block ×3, first 2 shown]
	global_load_dword v12, v[6:7], off
	global_load_dword v13, v[6:7], off offset:1024
	global_load_dword v14, v[6:7], off offset:2048
	;; [unrolled: 1-line block ×3, first 2 shown]
	v_cvt_i32_f32_e32 v4, v1
	v_ashrrev_i32_e32 v5, 31, v4
	v_lshl_add_u64 v[4:5], v[4:5], 2, s[66:67]
	global_load_dword v1, v[4:5], off
	s_waitcnt vmcnt(0)
	v_add_f32_e32 v1, v9, v1
	v_cvt_i32_f32_e32 v4, v1
	v_ashrrev_i32_e32 v5, 31, v4
	v_lshl_add_u64 v[4:5], v[4:5], 2, s[66:67]
	global_load_dword v1, v[4:5], off
	s_waitcnt vmcnt(0)
	v_add_f32_e32 v1, v10, v1
	;; [unrolled: 6-line block ×6, first 2 shown]
	v_cvt_i32_f32_e32 v4, v1
	v_ashrrev_i32_e32 v5, 31, v4
	v_lshl_add_u64 v[4:5], v[4:5], 2, s[66:67]
	global_load_dword v1, v[4:5], off
	v_add_co_u32_e32 v4, vcc, 0x5000, v2
	s_waitcnt vmcnt(0)
	v_add_f32_e32 v1, v15, v1
	v_cvt_i32_f32_e32 v6, v1
	v_addc_co_u32_e32 v5, vcc, 0, v3, vcc
	global_load_dword v1, v[4:5], off
	v_ashrrev_i32_e32 v7, 31, v6
	v_lshl_add_u64 v[6:7], v[6:7], 2, s[66:67]
	global_load_dword v8, v[6:7], off
	v_add_co_u32_e32 v6, vcc, 0x6000, v2
	s_waitcnt vmcnt(0)
	v_add_f32_e32 v1, v1, v8
	v_addc_co_u32_e32 v7, vcc, 0, v3, vcc
	global_load_dword v9, v[4:5], off offset:1024
	global_load_dword v10, v[4:5], off offset:2048
	;; [unrolled: 1-line block ×3, first 2 shown]
	global_load_dword v12, v[6:7], off
	global_load_dword v13, v[6:7], off offset:1024
	global_load_dword v14, v[6:7], off offset:2048
	;; [unrolled: 1-line block ×3, first 2 shown]
	v_cvt_i32_f32_e32 v4, v1
	v_add_co_u32_e32 v2, vcc, 0x7000, v2
	v_ashrrev_i32_e32 v5, 31, v4
	v_lshl_add_u64 v[4:5], v[4:5], 2, s[66:67]
	global_load_dword v1, v[4:5], off
	v_addc_co_u32_e32 v3, vcc, 0, v3, vcc
	s_waitcnt vmcnt(0)
	v_add_f32_e32 v1, v9, v1
	v_cvt_i32_f32_e32 v4, v1
	v_ashrrev_i32_e32 v5, 31, v4
	v_lshl_add_u64 v[4:5], v[4:5], 2, s[66:67]
	global_load_dword v1, v[4:5], off
	s_waitcnt vmcnt(0)
	v_add_f32_e32 v1, v10, v1
	v_cvt_i32_f32_e32 v4, v1
	v_ashrrev_i32_e32 v5, 31, v4
	v_lshl_add_u64 v[4:5], v[4:5], 2, s[66:67]
	global_load_dword v1, v[4:5], off
	;; [unrolled: 6-line block ×7, first 2 shown]
	global_load_dword v6, v[2:3], off
	global_load_dword v7, v[2:3], off offset:1024
	global_load_dword v8, v[2:3], off offset:2048
	;; [unrolled: 1-line block ×3, first 2 shown]
	s_waitcnt vmcnt(3)
	v_add_f32_e32 v1, v6, v1
	v_cvt_i32_f32_e32 v2, v1
	v_ashrrev_i32_e32 v3, 31, v2
	v_lshl_add_u64 v[2:3], v[2:3], 2, s[66:67]
	global_load_dword v1, v[2:3], off
	s_waitcnt vmcnt(0)
	v_add_f32_e32 v1, v7, v1
	v_cvt_i32_f32_e32 v2, v1
	v_ashrrev_i32_e32 v3, 31, v2
	v_lshl_add_u64 v[2:3], v[2:3], 2, s[66:67]
	global_load_dword v1, v[2:3], off
	;; [unrolled: 6-line block ×4, first 2 shown]
	s_waitcnt vmcnt(0)
	s_nop 0
	v_add_f32_dpp v1, v1, v1 quad_perm:[1,0,3,2] row_mask:0xf bank_mask:0xf bound_ctrl:1
	v_cvt_i32_f32_e32 v2, v1
	v_ashrrev_i32_e32 v3, 31, v2
	v_lshl_add_u64 v[2:3], v[2:3], 2, s[66:67]
	global_load_dword v1, v[2:3], off
	s_waitcnt vmcnt(0)
	s_nop 0
	v_add_f32_dpp v1, v1, v1 quad_perm:[2,3,0,1] row_mask:0xf bank_mask:0xf bound_ctrl:1
	v_cvt_i32_f32_e32 v2, v1
	v_ashrrev_i32_e32 v3, 31, v2
	v_lshl_add_u64 v[2:3], v[2:3], 2, s[66:67]
	global_load_dword v1, v[2:3], off
	s_waitcnt vmcnt(0)
	s_nop 0
	v_add_f32_dpp v1, v1, v1 row_ror:4 row_mask:0xf bank_mask:0xf bound_ctrl:1
	v_cvt_i32_f32_e32 v2, v1
	v_ashrrev_i32_e32 v3, 31, v2
	v_lshl_add_u64 v[2:3], v[2:3], 2, s[66:67]
	global_load_dword v1, v[2:3], off
	s_waitcnt vmcnt(0)
	s_nop 0
	v_add_f32_dpp v1, v1, v1 row_ror:8 row_mask:0xf bank_mask:0xf bound_ctrl:1
	v_cvt_i32_f32_e32 v2, v1
	v_ashrrev_i32_e32 v3, 31, v2
	v_lshl_add_u64 v[2:3], v[2:3], 2, s[66:67]
	global_load_dword v1, v[2:3], off
	s_waitcnt vmcnt(0)
	s_nop 0
	v_add_f32_dpp v1, v1, v1 row_bcast:15 row_mask:0xf bank_mask:0xf bound_ctrl:1
	v_cvt_i32_f32_e32 v2, v1
	v_ashrrev_i32_e32 v3, 31, v2
	v_lshl_add_u64 v[2:3], v[2:3], 2, s[66:67]
	global_load_dword v1, v[2:3], off
	s_waitcnt vmcnt(0)
	s_nop 0
	v_add_f32_dpp v1, v1, v1 row_bcast:31 row_mask:0xf bank_mask:0xf bound_ctrl:1
	v_cvt_i32_f32_e32 v2, v1
	v_mbcnt_lo_u32_b32 v1, -1, 0
	v_mbcnt_hi_u32_b32 v4, -1, v1
	v_lshlrev_b32_e32 v1, 2, v4
	v_ashrrev_i32_e32 v3, 31, v2
	v_lshl_add_u64 v[2:3], v[2:3], 2, s[66:67]
	global_load_dword v2, v[2:3], off
	v_or_b32_e32 v3, 0xfc, v1
	v_cmp_eq_u32_e32 vcc, 0, v4
	s_waitcnt vmcnt(0)
	ds_bpermute_b32 v2, v3, v2
	s_and_saveexec_b64 s[6:7], vcc
	s_cbranch_execz .LBB740_7
; %bb.6:
	v_lshrrev_b32_e32 v3, 4, v0
	v_and_b32_e32 v3, 12, v3
	s_waitcnt lgkmcnt(0)
	ds_write_b32 v3, v2 offset:64
.LBB740_7:
	s_or_b64 exec, exec, s[6:7]
	v_cmp_gt_u32_e32 vcc, 64, v0
	s_mov_b64 s[6:7], 0
	s_mov_b64 s[74:75], 0
	s_waitcnt lgkmcnt(0)
	s_barrier
                                        ; implicit-def: $vgpr3
	s_and_saveexec_b64 s[8:9], vcc
	s_xor_b64 s[8:9], exec, s[8:9]
	s_cbranch_execz .LBB740_9
; %bb.8:
	v_and_b32_e32 v2, 3, v4
	v_lshlrev_b32_e32 v3, 2, v2
	ds_read_b32 v3, v3 offset:64
	v_cmp_ne_u32_e32 vcc, 3, v2
	v_or_b32_e32 v1, 8, v1
	s_mov_b64 s[74:75], exec
	v_addc_co_u32_e32 v2, vcc, 0, v4, vcc
	v_lshlrev_b32_e32 v2, 2, v2
	s_waitcnt lgkmcnt(0)
	ds_bpermute_b32 v2, v2, v3
	s_waitcnt lgkmcnt(0)
	v_add_f32_e32 v2, v3, v2
	v_cvt_i32_f32_e32 v2, v2
	v_ashrrev_i32_e32 v3, 31, v2
	v_lshl_add_u64 v[2:3], v[2:3], 2, s[66:67]
	global_load_dword v2, v[2:3], off
	s_waitcnt vmcnt(0)
	ds_bpermute_b32 v3, v1, v2
.LBB740_9:
	s_or_b64 exec, exec, s[8:9]
	s_branch .LBB740_23
.LBB740_10:
	s_mov_b64 s[36:37], 0
	s_mov_b64 s[34:35], 0
                                        ; implicit-def: $vgpr2
	s_cbranch_execnz .LBB740_274
	s_branch .LBB740_379
.LBB740_11:
	s_mov_b64 s[36:37], 0
	s_mov_b64 s[34:35], 0
                                        ; implicit-def: $vgpr2
	s_cbranch_execnz .LBB740_217
	s_branch .LBB740_225
.LBB740_12:
	s_mov_b64 s[72:73], -1
.LBB740_13:
	s_mov_b64 s[36:37], 0
	s_mov_b64 s[34:35], 0
                                        ; implicit-def: $vgpr2
	s_and_b64 vcc, exec, s[72:73]
	s_cbranch_vccz .LBB740_143
.LBB740_14:
	s_cmp_eq_u32 s80, 16
	s_cbranch_scc0 .LBB740_21
; %bb.15:
	s_mov_b32 s3, 0
	s_lshl_b32 s4, s2, 12
	s_mov_b32 s5, s3
	s_lshr_b64 s[6:7], s[70:71], 12
	s_lshl_b64 s[8:9], s[4:5], 2
	s_add_u32 s40, s68, s8
	s_addc_u32 s41, s69, s9
	s_cmp_lg_u64 s[6:7], s[2:3]
	s_cbranch_scc0 .LBB740_144
; %bb.16:
	s_waitcnt vmcnt(0)
	v_lshlrev_b32_e32 v2, 2, v0
	global_load_dword v1, v2, s[40:41]
	s_waitcnt lgkmcnt(0)
	global_load_dword v3, v2, s[40:41] offset:1024
	global_load_dword v6, v2, s[40:41] offset:2048
	;; [unrolled: 1-line block ×3, first 2 shown]
	s_waitcnt vmcnt(2)
	v_add_f32_e32 v1, v1, v3
	v_cvt_i32_f32_e32 v4, v1
	v_mov_b32_e32 v3, 0
	v_lshl_add_u64 v[2:3], s[40:41], 0, v[2:3]
	v_ashrrev_i32_e32 v5, 31, v4
	v_lshl_add_u64 v[4:5], v[4:5], 2, s[66:67]
	global_load_dword v1, v[4:5], off
	s_waitcnt vmcnt(0)
	v_add_f32_e32 v1, v6, v1
	v_cvt_i32_f32_e32 v4, v1
	v_ashrrev_i32_e32 v5, 31, v4
	v_lshl_add_u64 v[4:5], v[4:5], 2, s[66:67]
	global_load_dword v1, v[4:5], off
	v_add_co_u32_e32 v4, vcc, 0x1000, v2
	s_waitcnt vmcnt(0)
	v_add_f32_e32 v1, v7, v1
	v_cvt_i32_f32_e32 v6, v1
	v_addc_co_u32_e32 v5, vcc, 0, v3, vcc
	global_load_dword v1, v[4:5], off
	v_ashrrev_i32_e32 v7, 31, v6
	v_lshl_add_u64 v[6:7], v[6:7], 2, s[66:67]
	global_load_dword v8, v[6:7], off
	v_add_co_u32_e32 v6, vcc, 0x2000, v2
	s_waitcnt vmcnt(0)
	v_add_f32_e32 v1, v1, v8
	v_addc_co_u32_e32 v7, vcc, 0, v3, vcc
	global_load_dword v9, v[4:5], off offset:1024
	global_load_dword v10, v[4:5], off offset:2048
	;; [unrolled: 1-line block ×3, first 2 shown]
	global_load_dword v12, v[6:7], off
	global_load_dword v13, v[6:7], off offset:1024
	global_load_dword v14, v[6:7], off offset:2048
	;; [unrolled: 1-line block ×3, first 2 shown]
	v_cvt_i32_f32_e32 v4, v1
	v_add_co_u32_e32 v2, vcc, 0x3000, v2
	v_ashrrev_i32_e32 v5, 31, v4
	v_lshl_add_u64 v[4:5], v[4:5], 2, s[66:67]
	global_load_dword v1, v[4:5], off
	v_addc_co_u32_e32 v3, vcc, 0, v3, vcc
	s_waitcnt vmcnt(0)
	v_add_f32_e32 v1, v9, v1
	v_cvt_i32_f32_e32 v4, v1
	v_ashrrev_i32_e32 v5, 31, v4
	v_lshl_add_u64 v[4:5], v[4:5], 2, s[66:67]
	global_load_dword v1, v[4:5], off
	s_waitcnt vmcnt(0)
	v_add_f32_e32 v1, v10, v1
	v_cvt_i32_f32_e32 v4, v1
	v_ashrrev_i32_e32 v5, 31, v4
	v_lshl_add_u64 v[4:5], v[4:5], 2, s[66:67]
	global_load_dword v1, v[4:5], off
	;; [unrolled: 6-line block ×7, first 2 shown]
	global_load_dword v6, v[2:3], off
	global_load_dword v7, v[2:3], off offset:1024
	global_load_dword v8, v[2:3], off offset:2048
	;; [unrolled: 1-line block ×3, first 2 shown]
	s_waitcnt vmcnt(3)
	v_add_f32_e32 v1, v6, v1
	v_cvt_i32_f32_e32 v2, v1
	v_ashrrev_i32_e32 v3, 31, v2
	v_lshl_add_u64 v[2:3], v[2:3], 2, s[66:67]
	global_load_dword v1, v[2:3], off
	s_waitcnt vmcnt(0)
	v_add_f32_e32 v1, v7, v1
	v_cvt_i32_f32_e32 v2, v1
	v_ashrrev_i32_e32 v3, 31, v2
	v_lshl_add_u64 v[2:3], v[2:3], 2, s[66:67]
	global_load_dword v1, v[2:3], off
	;; [unrolled: 6-line block ×4, first 2 shown]
	s_waitcnt vmcnt(0)
	s_nop 0
	v_add_f32_dpp v1, v1, v1 quad_perm:[1,0,3,2] row_mask:0xf bank_mask:0xf bound_ctrl:1
	v_cvt_i32_f32_e32 v2, v1
	v_ashrrev_i32_e32 v3, 31, v2
	v_lshl_add_u64 v[2:3], v[2:3], 2, s[66:67]
	global_load_dword v1, v[2:3], off
	s_waitcnt vmcnt(0)
	s_nop 0
	v_add_f32_dpp v1, v1, v1 quad_perm:[2,3,0,1] row_mask:0xf bank_mask:0xf bound_ctrl:1
	v_cvt_i32_f32_e32 v2, v1
	v_ashrrev_i32_e32 v3, 31, v2
	v_lshl_add_u64 v[2:3], v[2:3], 2, s[66:67]
	global_load_dword v1, v[2:3], off
	s_waitcnt vmcnt(0)
	s_nop 0
	v_add_f32_dpp v1, v1, v1 row_ror:4 row_mask:0xf bank_mask:0xf bound_ctrl:1
	v_cvt_i32_f32_e32 v2, v1
	v_ashrrev_i32_e32 v3, 31, v2
	v_lshl_add_u64 v[2:3], v[2:3], 2, s[66:67]
	global_load_dword v1, v[2:3], off
	s_waitcnt vmcnt(0)
	s_nop 0
	v_add_f32_dpp v1, v1, v1 row_ror:8 row_mask:0xf bank_mask:0xf bound_ctrl:1
	v_cvt_i32_f32_e32 v2, v1
	v_ashrrev_i32_e32 v3, 31, v2
	v_lshl_add_u64 v[2:3], v[2:3], 2, s[66:67]
	global_load_dword v1, v[2:3], off
	s_waitcnt vmcnt(0)
	s_nop 0
	v_add_f32_dpp v1, v1, v1 row_bcast:15 row_mask:0xf bank_mask:0xf bound_ctrl:1
	v_cvt_i32_f32_e32 v2, v1
	v_ashrrev_i32_e32 v3, 31, v2
	v_lshl_add_u64 v[2:3], v[2:3], 2, s[66:67]
	global_load_dword v1, v[2:3], off
	s_waitcnt vmcnt(0)
	s_nop 0
	v_add_f32_dpp v1, v1, v1 row_bcast:31 row_mask:0xf bank_mask:0xf bound_ctrl:1
	v_cvt_i32_f32_e32 v2, v1
	v_mbcnt_lo_u32_b32 v1, -1, 0
	v_mbcnt_hi_u32_b32 v4, -1, v1
	v_lshlrev_b32_e32 v1, 2, v4
	v_ashrrev_i32_e32 v3, 31, v2
	v_lshl_add_u64 v[2:3], v[2:3], 2, s[66:67]
	global_load_dword v2, v[2:3], off
	v_or_b32_e32 v3, 0xfc, v1
	v_cmp_eq_u32_e32 vcc, 0, v4
	s_waitcnt vmcnt(0)
	ds_bpermute_b32 v2, v3, v2
	s_and_saveexec_b64 s[6:7], vcc
	s_cbranch_execz .LBB740_18
; %bb.17:
	v_lshrrev_b32_e32 v3, 4, v0
	v_and_b32_e32 v3, 12, v3
	s_waitcnt lgkmcnt(0)
	ds_write_b32 v3, v2 offset:16
.LBB740_18:
	s_or_b64 exec, exec, s[6:7]
	v_cmp_gt_u32_e32 vcc, 64, v0
	s_mov_b64 s[6:7], 0
	s_mov_b64 s[38:39], 0
	s_waitcnt lgkmcnt(0)
	s_barrier
                                        ; implicit-def: $vgpr3
	s_and_saveexec_b64 s[8:9], vcc
	s_xor_b64 s[8:9], exec, s[8:9]
	s_cbranch_execz .LBB740_20
; %bb.19:
	v_and_b32_e32 v2, 3, v4
	v_lshlrev_b32_e32 v3, 2, v2
	ds_read_b32 v3, v3 offset:16
	v_cmp_ne_u32_e32 vcc, 3, v2
	v_or_b32_e32 v1, 8, v1
	s_mov_b64 s[38:39], exec
	v_addc_co_u32_e32 v2, vcc, 0, v4, vcc
	v_lshlrev_b32_e32 v2, 2, v2
	s_waitcnt lgkmcnt(0)
	ds_bpermute_b32 v2, v2, v3
	s_waitcnt lgkmcnt(0)
	v_add_f32_e32 v2, v3, v2
	v_cvt_i32_f32_e32 v2, v2
	v_ashrrev_i32_e32 v3, 31, v2
	v_lshl_add_u64 v[2:3], v[2:3], 2, s[66:67]
	global_load_dword v2, v[2:3], off
	s_waitcnt vmcnt(0)
	ds_bpermute_b32 v3, v1, v2
.LBB740_20:
	s_or_b64 exec, exec, s[8:9]
	s_branch .LBB740_145
.LBB740_21:
                                        ; implicit-def: $vgpr2
	s_branch .LBB740_225
.LBB740_22:
	s_mov_b64 s[6:7], -1
	s_mov_b64 s[74:75], 0
                                        ; implicit-def: $vgpr3
                                        ; implicit-def: $vgpr2
.LBB740_23:
	s_and_b64 vcc, exec, s[6:7]
	s_cbranch_vccz .LBB740_138
; %bb.24:
	s_sub_i32 s81, s70, s4
	v_mov_b32_e32 v2, 0
	v_cmp_gt_u32_e32 vcc, s81, v0
	s_waitcnt lgkmcnt(0)
	v_mov_b32_e32 v3, v2
	v_mov_b32_e32 v4, v2
	;; [unrolled: 1-line block ×31, first 2 shown]
	s_and_saveexec_b64 s[4:5], vcc
	s_cbranch_execz .LBB740_26
; %bb.25:
	v_lshlrev_b32_e32 v1, 2, v0
	global_load_dword v4, v1, s[76:77]
	v_mov_b32_e32 v5, v2
	v_mov_b32_e32 v6, v2
	;; [unrolled: 1-line block ×31, first 2 shown]
	s_waitcnt vmcnt(0)
	v_mov_b64_e32 v[2:3], v[4:5]
	v_mov_b64_e32 v[4:5], v[6:7]
	v_mov_b64_e32 v[6:7], v[8:9]
	v_mov_b64_e32 v[8:9], v[10:11]
	v_mov_b64_e32 v[10:11], v[12:13]
	v_mov_b64_e32 v[12:13], v[14:15]
	v_mov_b64_e32 v[14:15], v[16:17]
	v_mov_b64_e32 v[16:17], v[18:19]
	v_mov_b64_e32 v[18:19], v[20:21]
	v_mov_b64_e32 v[20:21], v[22:23]
	v_mov_b64_e32 v[22:23], v[24:25]
	v_mov_b64_e32 v[24:25], v[26:27]
	v_mov_b64_e32 v[26:27], v[28:29]
	v_mov_b64_e32 v[28:29], v[30:31]
	v_mov_b64_e32 v[30:31], v[32:33]
	v_mov_b64_e32 v[32:33], v[34:35]
.LBB740_26:
	s_or_b64 exec, exec, s[4:5]
	v_or_b32_e32 v1, 0x100, v0
	v_cmp_gt_u32_e64 s[64:65], s81, v1
	s_and_saveexec_b64 s[4:5], s[64:65]
	s_cbranch_execz .LBB740_28
; %bb.27:
	v_lshlrev_b32_e32 v1, 2, v0
	global_load_dword v3, v1, s[76:77] offset:1024
.LBB740_28:
	s_or_b64 exec, exec, s[4:5]
	v_or_b32_e32 v1, 0x200, v0
	v_cmp_gt_u32_e64 s[62:63], s81, v1
	s_and_saveexec_b64 s[4:5], s[62:63]
	s_cbranch_execz .LBB740_30
; %bb.29:
	v_lshlrev_b32_e32 v1, 2, v0
	global_load_dword v4, v1, s[76:77] offset:2048
.LBB740_30:
	;; [unrolled: 9-line block ×3, first 2 shown]
	s_or_b64 exec, exec, s[4:5]
	v_or_b32_e32 v1, 0x400, v0
	v_cmp_gt_u32_e64 s[58:59], s81, v1
	s_and_saveexec_b64 s[4:5], s[58:59]
	s_cbranch_execz .LBB740_34
; %bb.33:
	v_lshlrev_b32_e32 v1, 2, v1
	global_load_dword v6, v1, s[76:77]
.LBB740_34:
	s_or_b64 exec, exec, s[4:5]
	v_or_b32_e32 v1, 0x500, v0
	v_cmp_gt_u32_e64 s[56:57], s81, v1
	s_and_saveexec_b64 s[4:5], s[56:57]
	s_cbranch_execz .LBB740_36
; %bb.35:
	v_lshlrev_b32_e32 v1, 2, v1
	global_load_dword v7, v1, s[76:77]
.LBB740_36:
	;; [unrolled: 9-line block ×27, first 2 shown]
	s_or_b64 exec, exec, s[78:79]
	v_or_b32_e32 v1, 0x1f00, v0
	v_cmp_gt_u32_e32 vcc, s81, v1
	s_and_saveexec_b64 s[78:79], vcc
	s_cbranch_execnz .LBB740_411
; %bb.87:
	s_or_b64 exec, exec, s[78:79]
	s_and_saveexec_b64 s[76:77], s[64:65]
	s_cbranch_execnz .LBB740_412
.LBB740_88:
	s_or_b64 exec, exec, s[76:77]
	s_and_saveexec_b64 s[64:65], s[62:63]
	s_cbranch_execnz .LBB740_413
.LBB740_89:
	s_or_b64 exec, exec, s[64:65]
	s_and_saveexec_b64 s[62:63], s[60:61]
	s_cbranch_execnz .LBB740_414
.LBB740_90:
	s_or_b64 exec, exec, s[62:63]
	s_and_saveexec_b64 s[60:61], s[58:59]
	s_cbranch_execnz .LBB740_415
.LBB740_91:
	s_or_b64 exec, exec, s[60:61]
	s_and_saveexec_b64 s[58:59], s[56:57]
	s_cbranch_execnz .LBB740_416
.LBB740_92:
	s_or_b64 exec, exec, s[58:59]
	s_and_saveexec_b64 s[56:57], s[54:55]
	s_cbranch_execnz .LBB740_417
.LBB740_93:
	s_or_b64 exec, exec, s[56:57]
	s_and_saveexec_b64 s[54:55], s[52:53]
	s_cbranch_execnz .LBB740_418
.LBB740_94:
	s_or_b64 exec, exec, s[54:55]
	s_and_saveexec_b64 s[52:53], s[50:51]
	s_cbranch_execnz .LBB740_419
.LBB740_95:
	s_or_b64 exec, exec, s[52:53]
	s_and_saveexec_b64 s[50:51], s[48:49]
	s_cbranch_execnz .LBB740_420
.LBB740_96:
	s_or_b64 exec, exec, s[50:51]
	s_and_saveexec_b64 s[48:49], s[46:47]
	s_cbranch_execnz .LBB740_421
.LBB740_97:
	s_or_b64 exec, exec, s[48:49]
	s_and_saveexec_b64 s[46:47], s[44:45]
	s_cbranch_execnz .LBB740_422
.LBB740_98:
	s_or_b64 exec, exec, s[46:47]
	s_and_saveexec_b64 s[44:45], s[42:43]
	s_cbranch_execnz .LBB740_423
.LBB740_99:
	s_or_b64 exec, exec, s[44:45]
	s_and_saveexec_b64 s[42:43], s[40:41]
	s_cbranch_execnz .LBB740_424
.LBB740_100:
	s_or_b64 exec, exec, s[42:43]
	s_and_saveexec_b64 s[40:41], s[38:39]
	s_cbranch_execnz .LBB740_425
.LBB740_101:
	s_or_b64 exec, exec, s[40:41]
	s_and_saveexec_b64 s[38:39], s[36:37]
	s_cbranch_execnz .LBB740_426
.LBB740_102:
	s_or_b64 exec, exec, s[38:39]
	s_and_saveexec_b64 s[36:37], s[34:35]
	s_cbranch_execnz .LBB740_427
.LBB740_103:
	s_or_b64 exec, exec, s[36:37]
	s_and_saveexec_b64 s[34:35], s[30:31]
	s_cbranch_execnz .LBB740_428
.LBB740_104:
	s_or_b64 exec, exec, s[34:35]
	s_and_saveexec_b64 s[30:31], s[28:29]
	s_cbranch_execnz .LBB740_429
.LBB740_105:
	s_or_b64 exec, exec, s[30:31]
	s_and_saveexec_b64 s[28:29], s[26:27]
	s_cbranch_execnz .LBB740_430
.LBB740_106:
	s_or_b64 exec, exec, s[28:29]
	s_and_saveexec_b64 s[26:27], s[24:25]
	s_cbranch_execnz .LBB740_431
.LBB740_107:
	s_or_b64 exec, exec, s[26:27]
	s_and_saveexec_b64 s[24:25], s[22:23]
	s_cbranch_execnz .LBB740_432
.LBB740_108:
	s_or_b64 exec, exec, s[24:25]
	s_and_saveexec_b64 s[22:23], s[20:21]
	s_cbranch_execnz .LBB740_433
.LBB740_109:
	s_or_b64 exec, exec, s[22:23]
	s_and_saveexec_b64 s[20:21], s[18:19]
	s_cbranch_execnz .LBB740_434
.LBB740_110:
	s_or_b64 exec, exec, s[20:21]
	s_and_saveexec_b64 s[18:19], s[16:17]
	s_cbranch_execnz .LBB740_435
.LBB740_111:
	s_or_b64 exec, exec, s[18:19]
	s_and_saveexec_b64 s[16:17], s[14:15]
	s_cbranch_execnz .LBB740_436
.LBB740_112:
	s_or_b64 exec, exec, s[16:17]
	s_and_saveexec_b64 s[14:15], s[12:13]
	s_cbranch_execnz .LBB740_437
.LBB740_113:
	s_or_b64 exec, exec, s[14:15]
	s_and_saveexec_b64 s[12:13], s[10:11]
	s_cbranch_execnz .LBB740_438
.LBB740_114:
	s_or_b64 exec, exec, s[12:13]
	s_and_saveexec_b64 s[10:11], s[8:9]
	s_cbranch_execnz .LBB740_439
.LBB740_115:
	s_or_b64 exec, exec, s[10:11]
	s_and_saveexec_b64 s[8:9], s[6:7]
	s_cbranch_execnz .LBB740_440
.LBB740_116:
	s_or_b64 exec, exec, s[8:9]
	s_and_saveexec_b64 s[6:7], s[4:5]
	s_cbranch_execnz .LBB740_441
.LBB740_117:
	s_or_b64 exec, exec, s[6:7]
	s_and_saveexec_b64 s[4:5], vcc
	s_cbranch_execz .LBB740_119
.LBB740_118:
	s_waitcnt vmcnt(0)
	v_add_f32_e32 v1, v33, v2
	v_cvt_i32_f32_e32 v2, v1
	v_ashrrev_i32_e32 v3, 31, v2
	v_lshl_add_u64 v[2:3], v[2:3], 2, s[66:67]
	global_load_dword v2, v[2:3], off
.LBB740_119:
	s_or_b64 exec, exec, s[4:5]
	v_mbcnt_lo_u32_b32 v1, -1, 0
	v_mbcnt_hi_u32_b32 v1, -1, v1
	s_waitcnt vmcnt(0)
	v_and_b32_e32 v3, 63, v1
	v_cmp_ne_u32_e32 vcc, 63, v3
	s_min_u32 s6, s81, 0x100
	v_add_u32_e32 v6, 1, v3
	v_addc_co_u32_e32 v4, vcc, 0, v1, vcc
	v_lshlrev_b32_e32 v4, 2, v4
	ds_bpermute_b32 v5, v4, v2
	v_and_b32_e32 v4, 0xc0, v0
	v_sub_u32_e64 v4, s6, v4 clamp
	v_cmp_lt_u32_e32 vcc, v6, v4
	s_and_saveexec_b64 s[4:5], vcc
	s_xor_b64 s[4:5], exec, s[4:5]
	s_cbranch_execz .LBB740_121
; %bb.120:
	s_waitcnt lgkmcnt(0)
	v_add_f32_e32 v2, v2, v5
	v_cvt_i32_f32_e32 v6, v2
	v_ashrrev_i32_e32 v7, 31, v6
	v_lshl_add_u64 v[6:7], v[6:7], 2, s[66:67]
	global_load_dword v2, v[6:7], off
.LBB740_121:
	s_or_b64 exec, exec, s[4:5]
	v_cmp_gt_u32_e32 vcc, 62, v3
	v_add_u32_e32 v6, 2, v3
	s_waitcnt lgkmcnt(0)
	v_cndmask_b32_e64 v5, 0, 2, vcc
	v_add_lshl_u32 v5, v5, v1, 2
	s_waitcnt vmcnt(0)
	ds_bpermute_b32 v5, v5, v2
	v_cmp_lt_u32_e32 vcc, v6, v4
	s_and_saveexec_b64 s[4:5], vcc
	s_cbranch_execz .LBB740_123
; %bb.122:
	s_waitcnt lgkmcnt(0)
	v_add_f32_e32 v2, v2, v5
	v_cvt_i32_f32_e32 v6, v2
	v_ashrrev_i32_e32 v7, 31, v6
	v_lshl_add_u64 v[6:7], v[6:7], 2, s[66:67]
	global_load_dword v2, v[6:7], off
.LBB740_123:
	s_or_b64 exec, exec, s[4:5]
	v_cmp_gt_u32_e32 vcc, 60, v3
	v_add_u32_e32 v6, 4, v3
	s_waitcnt lgkmcnt(0)
	v_cndmask_b32_e64 v5, 0, 4, vcc
	v_add_lshl_u32 v5, v5, v1, 2
	s_waitcnt vmcnt(0)
	ds_bpermute_b32 v5, v5, v2
	v_cmp_lt_u32_e32 vcc, v6, v4
	s_and_saveexec_b64 s[4:5], vcc
	;; [unrolled: 19-line block ×4, first 2 shown]
	s_cbranch_execz .LBB740_129
; %bb.128:
	s_waitcnt lgkmcnt(0)
	v_add_f32_e32 v2, v2, v5
	v_cvt_i32_f32_e32 v6, v2
	v_ashrrev_i32_e32 v7, 31, v6
	v_lshl_add_u64 v[6:7], v[6:7], 2, s[66:67]
	global_load_dword v2, v[6:7], off
.LBB740_129:
	s_or_b64 exec, exec, s[4:5]
	s_waitcnt lgkmcnt(0)
	v_lshlrev_b32_e32 v5, 2, v1
	v_or_b32_e32 v6, 0x80, v5
	s_waitcnt vmcnt(0)
	ds_bpermute_b32 v6, v6, v2
	v_add_u32_e32 v3, 32, v3
	v_cmp_lt_u32_e32 vcc, v3, v4
	s_and_saveexec_b64 s[4:5], vcc
	s_cbranch_execz .LBB740_131
; %bb.130:
	s_waitcnt lgkmcnt(0)
	v_add_f32_e32 v2, v2, v6
	v_cvt_i32_f32_e32 v2, v2
	v_ashrrev_i32_e32 v3, 31, v2
	v_lshl_add_u64 v[2:3], v[2:3], 2, s[66:67]
	global_load_dword v2, v[2:3], off
.LBB740_131:
	s_or_b64 exec, exec, s[4:5]
	v_cmp_eq_u32_e32 vcc, 0, v1
	s_and_saveexec_b64 s[4:5], vcc
	s_cbranch_execz .LBB740_133
; %bb.132:
	v_lshrrev_b32_e32 v3, 4, v0
	v_and_b32_e32 v3, 12, v3
	s_waitcnt vmcnt(0)
	ds_write_b32 v3, v2
.LBB740_133:
	s_or_b64 exec, exec, s[4:5]
	v_cmp_gt_u32_e32 vcc, 4, v0
	s_waitcnt lgkmcnt(0)
	s_barrier
                                        ; implicit-def: $vgpr3
	s_and_saveexec_b64 s[4:5], vcc
	s_cbranch_execz .LBB740_137
; %bb.134:
	s_waitcnt vmcnt(0)
	ds_read_b32 v2, v5
	v_and_b32_e32 v3, 3, v1
	v_cmp_ne_u32_e32 vcc, 3, v3
	s_add_i32 s6, s6, 63
	s_lshr_b32 s8, s6, 6
	v_addc_co_u32_e32 v1, vcc, 0, v1, vcc
	v_lshlrev_b32_e32 v1, 2, v1
	s_waitcnt lgkmcnt(0)
	ds_bpermute_b32 v1, v1, v2
	v_add_u32_e32 v4, 1, v3
	v_cmp_gt_u32_e32 vcc, s8, v4
	s_and_saveexec_b64 s[6:7], vcc
	s_cbranch_execz .LBB740_136
; %bb.135:
	s_waitcnt lgkmcnt(0)
	v_add_f32_e32 v1, v2, v1
	v_cvt_i32_f32_e32 v6, v1
	v_ashrrev_i32_e32 v7, 31, v6
	v_lshl_add_u64 v[6:7], v[6:7], 2, s[66:67]
	global_load_dword v2, v[6:7], off
.LBB740_136:
	s_or_b64 exec, exec, s[6:7]
	s_waitcnt lgkmcnt(0)
	v_add_u32_e32 v1, 2, v3
	v_or_b32_e32 v3, 8, v5
	s_waitcnt vmcnt(0)
	ds_bpermute_b32 v3, v3, v2
	v_cmp_gt_u32_e32 vcc, s8, v1
	s_andn2_b64 s[6:7], s[74:75], exec
	s_and_b64 s[8:9], vcc, exec
	s_or_b64 s[74:75], s[6:7], s[8:9]
.LBB740_137:
	s_or_b64 exec, exec, s[4:5]
.LBB740_138:
	s_and_saveexec_b64 s[4:5], s[74:75]
	s_cbranch_execz .LBB740_140
; %bb.139:
	s_waitcnt vmcnt(0) lgkmcnt(0)
	v_add_f32_e32 v1, v2, v3
	v_cvt_i32_f32_e32 v2, v1
	v_ashrrev_i32_e32 v3, 31, v2
	v_lshl_add_u64 v[2:3], v[2:3], 2, s[66:67]
	global_load_dword v2, v[2:3], off
.LBB740_140:
	s_or_b64 exec, exec, s[4:5]
	v_cmp_eq_u32_e32 vcc, 0, v0
	s_mov_b64 s[36:37], 0
	s_mov_b64 s[34:35], 0
	s_and_saveexec_b64 s[4:5], vcc
	s_xor_b64 s[4:5], exec, s[4:5]
; %bb.141:
	s_cmp_eq_u64 s[70:71], 0
	s_cselect_b64 s[6:7], -1, 0
	s_cmp_lg_u64 s[70:71], 0
	s_cselect_b64 s[8:9], -1, 0
	s_and_b64 s[34:35], s[6:7], exec
	s_and_b64 s[36:37], s[8:9], exec
; %bb.142:
	s_or_b64 exec, exec, s[4:5]
	s_and_b64 vcc, exec, s[72:73]
	s_cbranch_vccnz .LBB740_14
.LBB740_143:
	s_branch .LBB740_225
.LBB740_144:
	s_mov_b64 s[6:7], -1
	s_mov_b64 s[38:39], 0
                                        ; implicit-def: $vgpr3
                                        ; implicit-def: $vgpr2
.LBB740_145:
	s_and_b64 vcc, exec, s[6:7]
	s_cbranch_vccz .LBB740_212
; %bb.146:
	s_sub_i32 s44, s70, s4
	s_waitcnt vmcnt(0)
	v_mov_b32_e32 v2, 0
	v_cmp_gt_u32_e32 vcc, s44, v0
	s_waitcnt lgkmcnt(0)
	v_mov_b32_e32 v3, v2
	v_mov_b32_e32 v4, v2
	;; [unrolled: 1-line block ×15, first 2 shown]
	s_and_saveexec_b64 s[4:5], vcc
	s_cbranch_execz .LBB740_148
; %bb.147:
	v_lshlrev_b32_e32 v1, 2, v0
	global_load_dword v4, v1, s[40:41]
	v_mov_b32_e32 v5, v2
	v_mov_b32_e32 v6, v2
	;; [unrolled: 1-line block ×15, first 2 shown]
	s_waitcnt vmcnt(0)
	v_mov_b64_e32 v[2:3], v[4:5]
	v_mov_b64_e32 v[4:5], v[6:7]
	;; [unrolled: 1-line block ×8, first 2 shown]
.LBB740_148:
	s_or_b64 exec, exec, s[4:5]
	v_or_b32_e32 v1, 0x100, v0
	v_cmp_gt_u32_e64 s[30:31], s44, v1
	s_and_saveexec_b64 s[4:5], s[30:31]
	s_cbranch_execz .LBB740_150
; %bb.149:
	v_lshlrev_b32_e32 v1, 2, v0
	global_load_dword v3, v1, s[40:41] offset:1024
.LBB740_150:
	s_or_b64 exec, exec, s[4:5]
	v_or_b32_e32 v1, 0x200, v0
	v_cmp_gt_u32_e64 s[28:29], s44, v1
	s_and_saveexec_b64 s[4:5], s[28:29]
	s_cbranch_execz .LBB740_152
; %bb.151:
	v_lshlrev_b32_e32 v1, 2, v0
	global_load_dword v4, v1, s[40:41] offset:2048
.LBB740_152:
	;; [unrolled: 9-line block ×3, first 2 shown]
	s_or_b64 exec, exec, s[4:5]
	v_or_b32_e32 v1, 0x400, v0
	v_cmp_gt_u32_e64 s[24:25], s44, v1
	s_and_saveexec_b64 s[4:5], s[24:25]
	s_cbranch_execz .LBB740_156
; %bb.155:
	v_lshlrev_b32_e32 v1, 2, v1
	global_load_dword v6, v1, s[40:41]
.LBB740_156:
	s_or_b64 exec, exec, s[4:5]
	v_or_b32_e32 v1, 0x500, v0
	v_cmp_gt_u32_e64 s[22:23], s44, v1
	s_and_saveexec_b64 s[4:5], s[22:23]
	s_cbranch_execz .LBB740_158
; %bb.157:
	v_lshlrev_b32_e32 v1, 2, v1
	global_load_dword v7, v1, s[40:41]
.LBB740_158:
	;; [unrolled: 9-line block ×11, first 2 shown]
	s_or_b64 exec, exec, s[42:43]
	v_or_b32_e32 v1, 0xf00, v0
	v_cmp_gt_u32_e32 vcc, s44, v1
	s_and_saveexec_b64 s[42:43], vcc
	s_cbranch_execnz .LBB740_442
; %bb.177:
	s_or_b64 exec, exec, s[42:43]
	s_and_saveexec_b64 s[40:41], s[30:31]
	s_cbranch_execnz .LBB740_443
.LBB740_178:
	s_or_b64 exec, exec, s[40:41]
	s_and_saveexec_b64 s[30:31], s[28:29]
	s_cbranch_execnz .LBB740_444
.LBB740_179:
	s_or_b64 exec, exec, s[30:31]
	s_and_saveexec_b64 s[28:29], s[26:27]
	s_cbranch_execnz .LBB740_445
.LBB740_180:
	s_or_b64 exec, exec, s[28:29]
	s_and_saveexec_b64 s[26:27], s[24:25]
	s_cbranch_execnz .LBB740_446
.LBB740_181:
	s_or_b64 exec, exec, s[26:27]
	s_and_saveexec_b64 s[24:25], s[22:23]
	s_cbranch_execnz .LBB740_447
.LBB740_182:
	s_or_b64 exec, exec, s[24:25]
	s_and_saveexec_b64 s[22:23], s[20:21]
	s_cbranch_execnz .LBB740_448
.LBB740_183:
	s_or_b64 exec, exec, s[22:23]
	s_and_saveexec_b64 s[20:21], s[18:19]
	s_cbranch_execnz .LBB740_449
.LBB740_184:
	s_or_b64 exec, exec, s[20:21]
	s_and_saveexec_b64 s[18:19], s[16:17]
	s_cbranch_execnz .LBB740_450
.LBB740_185:
	s_or_b64 exec, exec, s[18:19]
	s_and_saveexec_b64 s[16:17], s[14:15]
	s_cbranch_execnz .LBB740_451
.LBB740_186:
	s_or_b64 exec, exec, s[16:17]
	s_and_saveexec_b64 s[14:15], s[12:13]
	s_cbranch_execnz .LBB740_452
.LBB740_187:
	s_or_b64 exec, exec, s[14:15]
	s_and_saveexec_b64 s[12:13], s[10:11]
	s_cbranch_execnz .LBB740_453
.LBB740_188:
	s_or_b64 exec, exec, s[12:13]
	s_and_saveexec_b64 s[10:11], s[8:9]
	s_cbranch_execnz .LBB740_454
.LBB740_189:
	s_or_b64 exec, exec, s[10:11]
	s_and_saveexec_b64 s[8:9], s[6:7]
	s_cbranch_execnz .LBB740_455
.LBB740_190:
	s_or_b64 exec, exec, s[8:9]
	s_and_saveexec_b64 s[6:7], s[4:5]
	s_cbranch_execnz .LBB740_456
.LBB740_191:
	s_or_b64 exec, exec, s[6:7]
	s_and_saveexec_b64 s[4:5], vcc
	s_cbranch_execz .LBB740_193
.LBB740_192:
	s_waitcnt vmcnt(0)
	v_add_f32_e32 v1, v17, v2
	v_cvt_i32_f32_e32 v2, v1
	v_ashrrev_i32_e32 v3, 31, v2
	v_lshl_add_u64 v[2:3], v[2:3], 2, s[66:67]
	global_load_dword v2, v[2:3], off
.LBB740_193:
	s_or_b64 exec, exec, s[4:5]
	v_mbcnt_lo_u32_b32 v1, -1, 0
	v_mbcnt_hi_u32_b32 v1, -1, v1
	s_waitcnt vmcnt(0)
	v_and_b32_e32 v3, 63, v1
	v_cmp_ne_u32_e32 vcc, 63, v3
	s_min_u32 s6, s44, 0x100
	v_add_u32_e32 v6, 1, v3
	v_addc_co_u32_e32 v4, vcc, 0, v1, vcc
	v_lshlrev_b32_e32 v4, 2, v4
	ds_bpermute_b32 v5, v4, v2
	v_and_b32_e32 v4, 0xc0, v0
	v_sub_u32_e64 v4, s6, v4 clamp
	v_cmp_lt_u32_e32 vcc, v6, v4
	s_and_saveexec_b64 s[4:5], vcc
	s_xor_b64 s[4:5], exec, s[4:5]
	s_cbranch_execz .LBB740_195
; %bb.194:
	s_waitcnt lgkmcnt(0)
	v_add_f32_e32 v2, v2, v5
	v_cvt_i32_f32_e32 v6, v2
	v_ashrrev_i32_e32 v7, 31, v6
	v_lshl_add_u64 v[6:7], v[6:7], 2, s[66:67]
	global_load_dword v2, v[6:7], off
.LBB740_195:
	s_or_b64 exec, exec, s[4:5]
	v_cmp_gt_u32_e32 vcc, 62, v3
	v_add_u32_e32 v6, 2, v3
	s_waitcnt lgkmcnt(0)
	v_cndmask_b32_e64 v5, 0, 2, vcc
	v_add_lshl_u32 v5, v5, v1, 2
	s_waitcnt vmcnt(0)
	ds_bpermute_b32 v5, v5, v2
	v_cmp_lt_u32_e32 vcc, v6, v4
	s_and_saveexec_b64 s[4:5], vcc
	s_cbranch_execz .LBB740_197
; %bb.196:
	s_waitcnt lgkmcnt(0)
	v_add_f32_e32 v2, v2, v5
	v_cvt_i32_f32_e32 v6, v2
	v_ashrrev_i32_e32 v7, 31, v6
	v_lshl_add_u64 v[6:7], v[6:7], 2, s[66:67]
	global_load_dword v2, v[6:7], off
.LBB740_197:
	s_or_b64 exec, exec, s[4:5]
	v_cmp_gt_u32_e32 vcc, 60, v3
	v_add_u32_e32 v6, 4, v3
	s_waitcnt lgkmcnt(0)
	v_cndmask_b32_e64 v5, 0, 4, vcc
	v_add_lshl_u32 v5, v5, v1, 2
	s_waitcnt vmcnt(0)
	ds_bpermute_b32 v5, v5, v2
	v_cmp_lt_u32_e32 vcc, v6, v4
	s_and_saveexec_b64 s[4:5], vcc
	;; [unrolled: 19-line block ×4, first 2 shown]
	s_cbranch_execz .LBB740_203
; %bb.202:
	s_waitcnt lgkmcnt(0)
	v_add_f32_e32 v2, v2, v5
	v_cvt_i32_f32_e32 v6, v2
	v_ashrrev_i32_e32 v7, 31, v6
	v_lshl_add_u64 v[6:7], v[6:7], 2, s[66:67]
	global_load_dword v2, v[6:7], off
.LBB740_203:
	s_or_b64 exec, exec, s[4:5]
	s_waitcnt lgkmcnt(0)
	v_lshlrev_b32_e32 v5, 2, v1
	v_or_b32_e32 v6, 0x80, v5
	s_waitcnt vmcnt(0)
	ds_bpermute_b32 v6, v6, v2
	v_add_u32_e32 v3, 32, v3
	v_cmp_lt_u32_e32 vcc, v3, v4
	s_and_saveexec_b64 s[4:5], vcc
	s_cbranch_execz .LBB740_205
; %bb.204:
	s_waitcnt lgkmcnt(0)
	v_add_f32_e32 v2, v2, v6
	v_cvt_i32_f32_e32 v2, v2
	v_ashrrev_i32_e32 v3, 31, v2
	v_lshl_add_u64 v[2:3], v[2:3], 2, s[66:67]
	global_load_dword v2, v[2:3], off
.LBB740_205:
	s_or_b64 exec, exec, s[4:5]
	v_cmp_eq_u32_e32 vcc, 0, v1
	s_and_saveexec_b64 s[4:5], vcc
	s_cbranch_execz .LBB740_207
; %bb.206:
	v_lshrrev_b32_e32 v3, 4, v0
	v_and_b32_e32 v3, 12, v3
	s_waitcnt vmcnt(0)
	ds_write_b32 v3, v2
.LBB740_207:
	s_or_b64 exec, exec, s[4:5]
	v_cmp_gt_u32_e32 vcc, 4, v0
	s_waitcnt lgkmcnt(0)
	s_barrier
                                        ; implicit-def: $vgpr3
	s_and_saveexec_b64 s[4:5], vcc
	s_cbranch_execz .LBB740_211
; %bb.208:
	s_waitcnt vmcnt(0)
	ds_read_b32 v2, v5
	v_and_b32_e32 v3, 3, v1
	v_cmp_ne_u32_e32 vcc, 3, v3
	s_add_i32 s6, s6, 63
	s_lshr_b32 s8, s6, 6
	v_addc_co_u32_e32 v1, vcc, 0, v1, vcc
	v_lshlrev_b32_e32 v1, 2, v1
	s_waitcnt lgkmcnt(0)
	ds_bpermute_b32 v1, v1, v2
	v_add_u32_e32 v4, 1, v3
	v_cmp_gt_u32_e32 vcc, s8, v4
	s_and_saveexec_b64 s[6:7], vcc
	s_cbranch_execz .LBB740_210
; %bb.209:
	s_waitcnt lgkmcnt(0)
	v_add_f32_e32 v1, v2, v1
	v_cvt_i32_f32_e32 v6, v1
	v_ashrrev_i32_e32 v7, 31, v6
	v_lshl_add_u64 v[6:7], v[6:7], 2, s[66:67]
	global_load_dword v2, v[6:7], off
.LBB740_210:
	s_or_b64 exec, exec, s[6:7]
	s_waitcnt lgkmcnt(0)
	v_add_u32_e32 v1, 2, v3
	v_or_b32_e32 v3, 8, v5
	s_waitcnt vmcnt(0)
	ds_bpermute_b32 v3, v3, v2
	v_cmp_gt_u32_e32 vcc, s8, v1
	s_andn2_b64 s[6:7], s[38:39], exec
	s_and_b64 s[8:9], vcc, exec
	s_or_b64 s[38:39], s[6:7], s[8:9]
.LBB740_211:
	s_or_b64 exec, exec, s[4:5]
.LBB740_212:
	s_and_saveexec_b64 s[4:5], s[38:39]
	s_cbranch_execz .LBB740_214
; %bb.213:
	s_waitcnt vmcnt(0) lgkmcnt(0)
	v_add_f32_e32 v1, v2, v3
	v_cvt_i32_f32_e32 v2, v1
	v_ashrrev_i32_e32 v3, 31, v2
	v_lshl_add_u64 v[2:3], v[2:3], 2, s[66:67]
	global_load_dword v2, v[2:3], off
.LBB740_214:
	s_or_b64 exec, exec, s[4:5]
	v_cmp_eq_u32_e32 vcc, 0, v0
	s_and_saveexec_b64 s[4:5], vcc
	s_xor_b64 s[4:5], exec, s[4:5]
	s_cbranch_execz .LBB740_216
; %bb.215:
	s_cmp_eq_u64 s[70:71], 0
	s_cselect_b64 s[6:7], -1, 0
	s_cmp_lg_u64 s[70:71], 0
	s_cselect_b64 s[8:9], -1, 0
	s_andn2_b64 s[10:11], s[34:35], exec
	s_and_b64 s[6:7], s[6:7], exec
	s_or_b64 s[34:35], s[10:11], s[6:7]
	s_andn2_b64 s[6:7], s[36:37], exec
	s_and_b64 s[8:9], s[8:9], exec
	s_or_b64 s[36:37], s[6:7], s[8:9]
.LBB740_216:
	s_or_b64 exec, exec, s[4:5]
	s_branch .LBB740_225
.LBB740_217:
	s_cmp_eq_u32 s80, 8
	s_cbranch_scc0 .LBB740_224
; %bb.218:
	s_mov_b32 s3, 0
	s_lshl_b32 s4, s2, 11
	s_mov_b32 s5, s3
	s_lshr_b64 s[6:7], s[70:71], 11
	s_lshl_b64 s[8:9], s[4:5], 2
	s_add_u32 s18, s68, s8
	s_addc_u32 s19, s69, s9
	s_cmp_lg_u64 s[6:7], s[2:3]
	s_cbranch_scc0 .LBB740_226
; %bb.219:
	s_waitcnt vmcnt(0)
	v_lshlrev_b32_e32 v2, 2, v0
	global_load_dword v1, v2, s[18:19]
	s_waitcnt lgkmcnt(0)
	global_load_dword v3, v2, s[18:19] offset:1024
	global_load_dword v6, v2, s[18:19] offset:2048
	;; [unrolled: 1-line block ×3, first 2 shown]
	s_waitcnt vmcnt(2)
	v_add_f32_e32 v1, v1, v3
	v_cvt_i32_f32_e32 v4, v1
	v_mov_b32_e32 v3, 0
	v_lshl_add_u64 v[2:3], s[18:19], 0, v[2:3]
	v_add_co_u32_e32 v2, vcc, 0x1000, v2
	v_ashrrev_i32_e32 v5, 31, v4
	v_lshl_add_u64 v[4:5], v[4:5], 2, s[66:67]
	global_load_dword v1, v[4:5], off
	v_addc_co_u32_e32 v3, vcc, 0, v3, vcc
	s_waitcnt vmcnt(0)
	v_add_f32_e32 v1, v6, v1
	v_cvt_i32_f32_e32 v4, v1
	v_ashrrev_i32_e32 v5, 31, v4
	v_lshl_add_u64 v[4:5], v[4:5], 2, s[66:67]
	global_load_dword v1, v[4:5], off
	s_waitcnt vmcnt(0)
	v_add_f32_e32 v1, v7, v1
	v_cvt_i32_f32_e32 v4, v1
	v_ashrrev_i32_e32 v5, 31, v4
	v_lshl_add_u64 v[4:5], v[4:5], 2, s[66:67]
	global_load_dword v1, v[4:5], off
	global_load_dword v6, v[2:3], off
	global_load_dword v7, v[2:3], off offset:1024
	global_load_dword v8, v[2:3], off offset:2048
	;; [unrolled: 1-line block ×3, first 2 shown]
	s_waitcnt vmcnt(3)
	v_add_f32_e32 v1, v6, v1
	v_cvt_i32_f32_e32 v2, v1
	v_ashrrev_i32_e32 v3, 31, v2
	v_lshl_add_u64 v[2:3], v[2:3], 2, s[66:67]
	global_load_dword v1, v[2:3], off
	s_waitcnt vmcnt(0)
	v_add_f32_e32 v1, v7, v1
	v_cvt_i32_f32_e32 v2, v1
	v_ashrrev_i32_e32 v3, 31, v2
	v_lshl_add_u64 v[2:3], v[2:3], 2, s[66:67]
	global_load_dword v1, v[2:3], off
	;; [unrolled: 6-line block ×4, first 2 shown]
	s_waitcnt vmcnt(0)
	s_nop 0
	v_add_f32_dpp v1, v1, v1 quad_perm:[1,0,3,2] row_mask:0xf bank_mask:0xf bound_ctrl:1
	v_cvt_i32_f32_e32 v2, v1
	v_ashrrev_i32_e32 v3, 31, v2
	v_lshl_add_u64 v[2:3], v[2:3], 2, s[66:67]
	global_load_dword v1, v[2:3], off
	s_waitcnt vmcnt(0)
	s_nop 0
	v_add_f32_dpp v1, v1, v1 quad_perm:[2,3,0,1] row_mask:0xf bank_mask:0xf bound_ctrl:1
	v_cvt_i32_f32_e32 v2, v1
	v_ashrrev_i32_e32 v3, 31, v2
	v_lshl_add_u64 v[2:3], v[2:3], 2, s[66:67]
	global_load_dword v1, v[2:3], off
	s_waitcnt vmcnt(0)
	s_nop 0
	v_add_f32_dpp v1, v1, v1 row_ror:4 row_mask:0xf bank_mask:0xf bound_ctrl:1
	v_cvt_i32_f32_e32 v2, v1
	v_ashrrev_i32_e32 v3, 31, v2
	v_lshl_add_u64 v[2:3], v[2:3], 2, s[66:67]
	global_load_dword v1, v[2:3], off
	s_waitcnt vmcnt(0)
	s_nop 0
	v_add_f32_dpp v1, v1, v1 row_ror:8 row_mask:0xf bank_mask:0xf bound_ctrl:1
	v_cvt_i32_f32_e32 v2, v1
	v_ashrrev_i32_e32 v3, 31, v2
	v_lshl_add_u64 v[2:3], v[2:3], 2, s[66:67]
	global_load_dword v1, v[2:3], off
	s_waitcnt vmcnt(0)
	s_nop 0
	v_add_f32_dpp v1, v1, v1 row_bcast:15 row_mask:0xf bank_mask:0xf bound_ctrl:1
	v_cvt_i32_f32_e32 v2, v1
	v_ashrrev_i32_e32 v3, 31, v2
	v_lshl_add_u64 v[2:3], v[2:3], 2, s[66:67]
	global_load_dword v1, v[2:3], off
	s_waitcnt vmcnt(0)
	s_nop 0
	v_add_f32_dpp v1, v1, v1 row_bcast:31 row_mask:0xf bank_mask:0xf bound_ctrl:1
	v_cvt_i32_f32_e32 v2, v1
	v_mbcnt_lo_u32_b32 v1, -1, 0
	v_mbcnt_hi_u32_b32 v4, -1, v1
	v_lshlrev_b32_e32 v1, 2, v4
	v_ashrrev_i32_e32 v3, 31, v2
	v_lshl_add_u64 v[2:3], v[2:3], 2, s[66:67]
	global_load_dword v2, v[2:3], off
	v_or_b32_e32 v3, 0xfc, v1
	v_cmp_eq_u32_e32 vcc, 0, v4
	s_waitcnt vmcnt(0)
	ds_bpermute_b32 v2, v3, v2
	s_and_saveexec_b64 s[6:7], vcc
	s_cbranch_execz .LBB740_221
; %bb.220:
	v_lshrrev_b32_e32 v3, 4, v0
	v_and_b32_e32 v3, 12, v3
	s_waitcnt lgkmcnt(0)
	ds_write_b32 v3, v2 offset:96
.LBB740_221:
	s_or_b64 exec, exec, s[6:7]
	v_cmp_gt_u32_e32 vcc, 64, v0
	s_mov_b64 s[6:7], 0
	s_mov_b64 s[16:17], 0
	s_waitcnt lgkmcnt(0)
	s_barrier
                                        ; implicit-def: $vgpr3
	s_and_saveexec_b64 s[8:9], vcc
	s_xor_b64 s[8:9], exec, s[8:9]
	s_cbranch_execz .LBB740_223
; %bb.222:
	v_and_b32_e32 v2, 3, v4
	v_lshlrev_b32_e32 v3, 2, v2
	ds_read_b32 v3, v3 offset:96
	v_cmp_ne_u32_e32 vcc, 3, v2
	v_or_b32_e32 v1, 8, v1
	s_mov_b64 s[16:17], exec
	v_addc_co_u32_e32 v2, vcc, 0, v4, vcc
	v_lshlrev_b32_e32 v2, 2, v2
	s_waitcnt lgkmcnt(0)
	ds_bpermute_b32 v2, v2, v3
	s_waitcnt lgkmcnt(0)
	v_add_f32_e32 v2, v3, v2
	v_cvt_i32_f32_e32 v2, v2
	v_ashrrev_i32_e32 v3, 31, v2
	v_lshl_add_u64 v[2:3], v[2:3], 2, s[66:67]
	global_load_dword v2, v[2:3], off
	s_waitcnt vmcnt(0)
	ds_bpermute_b32 v3, v1, v2
.LBB740_223:
	s_or_b64 exec, exec, s[8:9]
	s_and_b64 vcc, exec, s[6:7]
	s_cbranch_vccnz .LBB740_227
	s_branch .LBB740_269
.LBB740_224:
                                        ; implicit-def: $vgpr2
.LBB740_225:
	s_branch .LBB740_379
.LBB740_226:
	s_mov_b64 s[16:17], 0
                                        ; implicit-def: $vgpr3
                                        ; implicit-def: $vgpr2
	s_cbranch_execz .LBB740_269
.LBB740_227:
	s_sub_i32 s22, s70, s4
	s_waitcnt vmcnt(0)
	v_mov_b32_e32 v2, 0
	v_cmp_gt_u32_e32 vcc, s22, v0
	s_waitcnt lgkmcnt(0)
	v_mov_b32_e32 v3, v2
	v_mov_b32_e32 v4, v2
	;; [unrolled: 1-line block ×7, first 2 shown]
	s_and_saveexec_b64 s[4:5], vcc
	s_cbranch_execz .LBB740_229
; %bb.228:
	v_lshlrev_b32_e32 v1, 2, v0
	global_load_dword v4, v1, s[18:19]
	v_mov_b32_e32 v5, v2
	v_mov_b32_e32 v6, v2
	;; [unrolled: 1-line block ×7, first 2 shown]
	s_waitcnt vmcnt(0)
	v_mov_b64_e32 v[2:3], v[4:5]
	v_mov_b64_e32 v[4:5], v[6:7]
	;; [unrolled: 1-line block ×4, first 2 shown]
.LBB740_229:
	s_or_b64 exec, exec, s[4:5]
	v_or_b32_e32 v1, 0x100, v0
	v_cmp_gt_u32_e64 s[14:15], s22, v1
	s_and_saveexec_b64 s[4:5], s[14:15]
	s_cbranch_execz .LBB740_231
; %bb.230:
	v_lshlrev_b32_e32 v1, 2, v0
	global_load_dword v3, v1, s[18:19] offset:1024
.LBB740_231:
	s_or_b64 exec, exec, s[4:5]
	v_or_b32_e32 v1, 0x200, v0
	v_cmp_gt_u32_e64 s[12:13], s22, v1
	s_and_saveexec_b64 s[4:5], s[12:13]
	s_cbranch_execz .LBB740_233
; %bb.232:
	v_lshlrev_b32_e32 v1, 2, v0
	global_load_dword v4, v1, s[18:19] offset:2048
.LBB740_233:
	;; [unrolled: 9-line block ×3, first 2 shown]
	s_or_b64 exec, exec, s[4:5]
	v_or_b32_e32 v1, 0x400, v0
	v_cmp_gt_u32_e64 s[8:9], s22, v1
	s_and_saveexec_b64 s[4:5], s[8:9]
	s_cbranch_execz .LBB740_237
; %bb.236:
	v_lshlrev_b32_e32 v1, 2, v1
	global_load_dword v6, v1, s[18:19]
.LBB740_237:
	s_or_b64 exec, exec, s[4:5]
	v_or_b32_e32 v1, 0x500, v0
	v_cmp_gt_u32_e64 s[6:7], s22, v1
	s_and_saveexec_b64 s[4:5], s[6:7]
	s_cbranch_execz .LBB740_239
; %bb.238:
	v_lshlrev_b32_e32 v1, 2, v1
	global_load_dword v7, v1, s[18:19]
.LBB740_239:
	s_or_b64 exec, exec, s[4:5]
	v_or_b32_e32 v1, 0x600, v0
	v_cmp_gt_u32_e64 s[4:5], s22, v1
	s_and_saveexec_b64 s[20:21], s[4:5]
	s_cbranch_execz .LBB740_241
; %bb.240:
	v_lshlrev_b32_e32 v1, 2, v1
	global_load_dword v8, v1, s[18:19]
.LBB740_241:
	s_or_b64 exec, exec, s[20:21]
	v_or_b32_e32 v1, 0x700, v0
	v_cmp_gt_u32_e32 vcc, s22, v1
	s_and_saveexec_b64 s[20:21], vcc
	s_cbranch_execnz .LBB740_287
; %bb.242:
	s_or_b64 exec, exec, s[20:21]
	s_and_saveexec_b64 s[18:19], s[14:15]
	s_cbranch_execnz .LBB740_288
.LBB740_243:
	s_or_b64 exec, exec, s[18:19]
	s_and_saveexec_b64 s[14:15], s[12:13]
	s_cbranch_execnz .LBB740_289
.LBB740_244:
	s_or_b64 exec, exec, s[14:15]
	s_and_saveexec_b64 s[12:13], s[10:11]
	s_cbranch_execnz .LBB740_290
.LBB740_245:
	s_or_b64 exec, exec, s[12:13]
	s_and_saveexec_b64 s[10:11], s[8:9]
	s_cbranch_execnz .LBB740_291
.LBB740_246:
	s_or_b64 exec, exec, s[10:11]
	s_and_saveexec_b64 s[8:9], s[6:7]
	s_cbranch_execnz .LBB740_292
.LBB740_247:
	s_or_b64 exec, exec, s[8:9]
	s_and_saveexec_b64 s[6:7], s[4:5]
	s_cbranch_execnz .LBB740_293
.LBB740_248:
	s_or_b64 exec, exec, s[6:7]
	s_and_saveexec_b64 s[4:5], vcc
	s_cbranch_execz .LBB740_250
.LBB740_249:
	s_waitcnt vmcnt(0)
	v_add_f32_e32 v1, v9, v2
	v_cvt_i32_f32_e32 v2, v1
	v_ashrrev_i32_e32 v3, 31, v2
	v_lshl_add_u64 v[2:3], v[2:3], 2, s[66:67]
	global_load_dword v2, v[2:3], off
.LBB740_250:
	s_or_b64 exec, exec, s[4:5]
	v_mbcnt_lo_u32_b32 v1, -1, 0
	v_mbcnt_hi_u32_b32 v1, -1, v1
	s_waitcnt vmcnt(0)
	v_and_b32_e32 v3, 63, v1
	v_cmp_ne_u32_e32 vcc, 63, v3
	s_min_u32 s6, s22, 0x100
	v_add_u32_e32 v6, 1, v3
	v_addc_co_u32_e32 v4, vcc, 0, v1, vcc
	v_lshlrev_b32_e32 v4, 2, v4
	ds_bpermute_b32 v5, v4, v2
	v_and_b32_e32 v4, 0xc0, v0
	v_sub_u32_e64 v4, s6, v4 clamp
	v_cmp_lt_u32_e32 vcc, v6, v4
	s_and_saveexec_b64 s[4:5], vcc
	s_xor_b64 s[4:5], exec, s[4:5]
	s_cbranch_execz .LBB740_252
; %bb.251:
	s_waitcnt lgkmcnt(0)
	v_add_f32_e32 v2, v2, v5
	v_cvt_i32_f32_e32 v6, v2
	v_ashrrev_i32_e32 v7, 31, v6
	v_lshl_add_u64 v[6:7], v[6:7], 2, s[66:67]
	global_load_dword v2, v[6:7], off
.LBB740_252:
	s_or_b64 exec, exec, s[4:5]
	v_cmp_gt_u32_e32 vcc, 62, v3
	v_add_u32_e32 v6, 2, v3
	s_waitcnt lgkmcnt(0)
	v_cndmask_b32_e64 v5, 0, 2, vcc
	v_add_lshl_u32 v5, v5, v1, 2
	s_waitcnt vmcnt(0)
	ds_bpermute_b32 v5, v5, v2
	v_cmp_lt_u32_e32 vcc, v6, v4
	s_and_saveexec_b64 s[4:5], vcc
	s_cbranch_execz .LBB740_254
; %bb.253:
	s_waitcnt lgkmcnt(0)
	v_add_f32_e32 v2, v2, v5
	v_cvt_i32_f32_e32 v6, v2
	v_ashrrev_i32_e32 v7, 31, v6
	v_lshl_add_u64 v[6:7], v[6:7], 2, s[66:67]
	global_load_dword v2, v[6:7], off
.LBB740_254:
	s_or_b64 exec, exec, s[4:5]
	v_cmp_gt_u32_e32 vcc, 60, v3
	v_add_u32_e32 v6, 4, v3
	s_waitcnt lgkmcnt(0)
	v_cndmask_b32_e64 v5, 0, 4, vcc
	v_add_lshl_u32 v5, v5, v1, 2
	s_waitcnt vmcnt(0)
	ds_bpermute_b32 v5, v5, v2
	v_cmp_lt_u32_e32 vcc, v6, v4
	s_and_saveexec_b64 s[4:5], vcc
	;; [unrolled: 19-line block ×4, first 2 shown]
	s_cbranch_execz .LBB740_260
; %bb.259:
	s_waitcnt lgkmcnt(0)
	v_add_f32_e32 v2, v2, v5
	v_cvt_i32_f32_e32 v6, v2
	v_ashrrev_i32_e32 v7, 31, v6
	v_lshl_add_u64 v[6:7], v[6:7], 2, s[66:67]
	global_load_dword v2, v[6:7], off
.LBB740_260:
	s_or_b64 exec, exec, s[4:5]
	s_waitcnt lgkmcnt(0)
	v_lshlrev_b32_e32 v5, 2, v1
	v_or_b32_e32 v6, 0x80, v5
	s_waitcnt vmcnt(0)
	ds_bpermute_b32 v6, v6, v2
	v_add_u32_e32 v3, 32, v3
	v_cmp_lt_u32_e32 vcc, v3, v4
	s_and_saveexec_b64 s[4:5], vcc
	s_cbranch_execz .LBB740_262
; %bb.261:
	s_waitcnt lgkmcnt(0)
	v_add_f32_e32 v2, v2, v6
	v_cvt_i32_f32_e32 v2, v2
	v_ashrrev_i32_e32 v3, 31, v2
	v_lshl_add_u64 v[2:3], v[2:3], 2, s[66:67]
	global_load_dword v2, v[2:3], off
.LBB740_262:
	s_or_b64 exec, exec, s[4:5]
	v_cmp_eq_u32_e32 vcc, 0, v1
	s_and_saveexec_b64 s[4:5], vcc
	s_cbranch_execz .LBB740_264
; %bb.263:
	v_lshrrev_b32_e32 v3, 4, v0
	v_and_b32_e32 v3, 12, v3
	s_waitcnt vmcnt(0)
	ds_write_b32 v3, v2
.LBB740_264:
	s_or_b64 exec, exec, s[4:5]
	v_cmp_gt_u32_e32 vcc, 4, v0
	s_waitcnt lgkmcnt(0)
	s_barrier
                                        ; implicit-def: $vgpr3
	s_and_saveexec_b64 s[4:5], vcc
	s_cbranch_execz .LBB740_268
; %bb.265:
	s_waitcnt vmcnt(0)
	ds_read_b32 v2, v5
	v_and_b32_e32 v3, 3, v1
	v_cmp_ne_u32_e32 vcc, 3, v3
	s_add_i32 s6, s6, 63
	s_lshr_b32 s8, s6, 6
	v_addc_co_u32_e32 v1, vcc, 0, v1, vcc
	v_lshlrev_b32_e32 v1, 2, v1
	s_waitcnt lgkmcnt(0)
	ds_bpermute_b32 v1, v1, v2
	v_add_u32_e32 v4, 1, v3
	v_cmp_gt_u32_e32 vcc, s8, v4
	s_and_saveexec_b64 s[6:7], vcc
	s_cbranch_execz .LBB740_267
; %bb.266:
	s_waitcnt lgkmcnt(0)
	v_add_f32_e32 v1, v2, v1
	v_cvt_i32_f32_e32 v6, v1
	v_ashrrev_i32_e32 v7, 31, v6
	v_lshl_add_u64 v[6:7], v[6:7], 2, s[66:67]
	global_load_dword v2, v[6:7], off
.LBB740_267:
	s_or_b64 exec, exec, s[6:7]
	s_waitcnt lgkmcnt(0)
	v_add_u32_e32 v1, 2, v3
	v_or_b32_e32 v3, 8, v5
	s_waitcnt vmcnt(0)
	ds_bpermute_b32 v3, v3, v2
	v_cmp_gt_u32_e32 vcc, s8, v1
	s_andn2_b64 s[6:7], s[16:17], exec
	s_and_b64 s[8:9], vcc, exec
	s_or_b64 s[16:17], s[6:7], s[8:9]
.LBB740_268:
	s_or_b64 exec, exec, s[4:5]
.LBB740_269:
	s_and_saveexec_b64 s[4:5], s[16:17]
	s_cbranch_execz .LBB740_271
; %bb.270:
	s_waitcnt vmcnt(0) lgkmcnt(0)
	v_add_f32_e32 v1, v2, v3
	v_cvt_i32_f32_e32 v2, v1
	v_ashrrev_i32_e32 v3, 31, v2
	v_lshl_add_u64 v[2:3], v[2:3], 2, s[66:67]
	global_load_dword v2, v[2:3], off
.LBB740_271:
	s_or_b64 exec, exec, s[4:5]
	v_cmp_eq_u32_e32 vcc, 0, v0
	s_and_saveexec_b64 s[4:5], vcc
	s_xor_b64 s[4:5], exec, s[4:5]
	s_cbranch_execz .LBB740_273
; %bb.272:
	s_cmp_eq_u64 s[70:71], 0
	s_cselect_b64 s[6:7], -1, 0
	s_cmp_lg_u64 s[70:71], 0
	s_cselect_b64 s[8:9], -1, 0
	s_andn2_b64 s[10:11], s[34:35], exec
	s_and_b64 s[6:7], s[6:7], exec
	s_or_b64 s[34:35], s[10:11], s[6:7]
	s_andn2_b64 s[6:7], s[36:37], exec
	s_and_b64 s[8:9], s[8:9], exec
	s_or_b64 s[36:37], s[6:7], s[8:9]
.LBB740_273:
	s_or_b64 exec, exec, s[4:5]
	s_branch .LBB740_379
.LBB740_274:
	s_cmp_gt_i32 s80, 1
	s_cbranch_scc0 .LBB740_283
; %bb.275:
	s_cmp_gt_i32 s80, 3
	s_cbranch_scc0 .LBB740_284
; %bb.276:
	s_cmp_eq_u32 s80, 4
	s_cbranch_scc0 .LBB740_285
; %bb.277:
	s_mov_b32 s3, 0
	s_lshl_b32 s4, s2, 10
	s_mov_b32 s5, s3
	s_lshr_b64 s[6:7], s[70:71], 10
	s_lshl_b64 s[8:9], s[4:5], 2
	s_add_u32 s10, s68, s8
	s_addc_u32 s11, s69, s9
	s_cmp_lg_u64 s[6:7], s[2:3]
	s_cbranch_scc0 .LBB740_294
; %bb.278:
	v_lshlrev_b32_e32 v1, 2, v0
	global_load_dword v2, v1, s[10:11]
	s_waitcnt lgkmcnt(0)
	global_load_dword v3, v1, s[10:11] offset:1024
	global_load_dword v4, v1, s[10:11] offset:2048
	;; [unrolled: 1-line block ×3, first 2 shown]
	s_waitcnt vmcnt(2)
	v_add_f32_e32 v1, v2, v3
	v_cvt_i32_f32_e32 v2, v1
	v_ashrrev_i32_e32 v3, 31, v2
	v_lshl_add_u64 v[2:3], v[2:3], 2, s[66:67]
	global_load_dword v1, v[2:3], off
	s_waitcnt vmcnt(0)
	v_add_f32_e32 v1, v4, v1
	v_cvt_i32_f32_e32 v2, v1
	v_ashrrev_i32_e32 v3, 31, v2
	v_lshl_add_u64 v[2:3], v[2:3], 2, s[66:67]
	global_load_dword v1, v[2:3], off
	;; [unrolled: 6-line block ×3, first 2 shown]
	s_waitcnt vmcnt(0)
	s_nop 0
	v_add_f32_dpp v1, v1, v1 quad_perm:[1,0,3,2] row_mask:0xf bank_mask:0xf bound_ctrl:1
	v_cvt_i32_f32_e32 v2, v1
	v_ashrrev_i32_e32 v3, 31, v2
	v_lshl_add_u64 v[2:3], v[2:3], 2, s[66:67]
	global_load_dword v1, v[2:3], off
	s_waitcnt vmcnt(0)
	s_nop 0
	v_add_f32_dpp v1, v1, v1 quad_perm:[2,3,0,1] row_mask:0xf bank_mask:0xf bound_ctrl:1
	v_cvt_i32_f32_e32 v2, v1
	v_ashrrev_i32_e32 v3, 31, v2
	v_lshl_add_u64 v[2:3], v[2:3], 2, s[66:67]
	global_load_dword v1, v[2:3], off
	s_waitcnt vmcnt(0)
	s_nop 0
	v_add_f32_dpp v1, v1, v1 row_ror:4 row_mask:0xf bank_mask:0xf bound_ctrl:1
	v_cvt_i32_f32_e32 v2, v1
	v_ashrrev_i32_e32 v3, 31, v2
	v_lshl_add_u64 v[2:3], v[2:3], 2, s[66:67]
	global_load_dword v1, v[2:3], off
	s_waitcnt vmcnt(0)
	s_nop 0
	v_add_f32_dpp v1, v1, v1 row_ror:8 row_mask:0xf bank_mask:0xf bound_ctrl:1
	v_cvt_i32_f32_e32 v2, v1
	v_ashrrev_i32_e32 v3, 31, v2
	v_lshl_add_u64 v[2:3], v[2:3], 2, s[66:67]
	global_load_dword v1, v[2:3], off
	s_waitcnt vmcnt(0)
	s_nop 0
	v_add_f32_dpp v1, v1, v1 row_bcast:15 row_mask:0xf bank_mask:0xf bound_ctrl:1
	v_cvt_i32_f32_e32 v2, v1
	v_ashrrev_i32_e32 v3, 31, v2
	v_lshl_add_u64 v[2:3], v[2:3], 2, s[66:67]
	global_load_dword v1, v[2:3], off
	s_waitcnt vmcnt(0)
	s_nop 0
	v_add_f32_dpp v1, v1, v1 row_bcast:31 row_mask:0xf bank_mask:0xf bound_ctrl:1
	v_cvt_i32_f32_e32 v2, v1
	v_mbcnt_lo_u32_b32 v1, -1, 0
	v_mbcnt_hi_u32_b32 v4, -1, v1
	v_lshlrev_b32_e32 v1, 2, v4
	v_ashrrev_i32_e32 v3, 31, v2
	v_lshl_add_u64 v[2:3], v[2:3], 2, s[66:67]
	global_load_dword v2, v[2:3], off
	v_or_b32_e32 v3, 0xfc, v1
	v_cmp_eq_u32_e32 vcc, 0, v4
	s_waitcnt vmcnt(0)
	ds_bpermute_b32 v2, v3, v2
	s_and_saveexec_b64 s[6:7], vcc
	s_cbranch_execz .LBB740_280
; %bb.279:
	v_lshrrev_b32_e32 v3, 4, v0
	v_and_b32_e32 v3, 12, v3
	s_waitcnt lgkmcnt(0)
	ds_write_b32 v3, v2 offset:80
.LBB740_280:
	s_or_b64 exec, exec, s[6:7]
	v_cmp_gt_u32_e32 vcc, 64, v0
	s_mov_b64 s[6:7], 0
	s_mov_b64 s[8:9], 0
	s_waitcnt lgkmcnt(0)
	s_barrier
                                        ; implicit-def: $vgpr3
	s_and_saveexec_b64 s[12:13], vcc
	s_xor_b64 s[12:13], exec, s[12:13]
	s_cbranch_execz .LBB740_282
; %bb.281:
	v_and_b32_e32 v2, 3, v4
	v_lshlrev_b32_e32 v3, 2, v2
	ds_read_b32 v3, v3 offset:80
	v_cmp_ne_u32_e32 vcc, 3, v2
	v_or_b32_e32 v1, 8, v1
	s_mov_b64 s[8:9], exec
	v_addc_co_u32_e32 v2, vcc, 0, v4, vcc
	v_lshlrev_b32_e32 v2, 2, v2
	s_waitcnt lgkmcnt(0)
	ds_bpermute_b32 v2, v2, v3
	s_waitcnt lgkmcnt(0)
	v_add_f32_e32 v2, v3, v2
	v_cvt_i32_f32_e32 v2, v2
	v_ashrrev_i32_e32 v3, 31, v2
	v_lshl_add_u64 v[2:3], v[2:3], 2, s[66:67]
	global_load_dword v2, v[2:3], off
	s_waitcnt vmcnt(0)
	ds_bpermute_b32 v3, v1, v2
.LBB740_282:
	s_or_b64 exec, exec, s[12:13]
	s_branch .LBB740_295
.LBB740_283:
                                        ; implicit-def: $vgpr2
	s_cbranch_execnz .LBB740_371
	s_branch .LBB740_379
.LBB740_284:
                                        ; implicit-def: $vgpr2
	s_cbranch_execz .LBB740_286
	s_branch .LBB740_331
.LBB740_285:
                                        ; implicit-def: $vgpr2
.LBB740_286:
	s_branch .LBB740_379
.LBB740_287:
	v_lshlrev_b32_e32 v1, 2, v1
	global_load_dword v9, v1, s[18:19]
	s_or_b64 exec, exec, s[20:21]
	s_and_saveexec_b64 s[18:19], s[14:15]
	s_cbranch_execz .LBB740_243
.LBB740_288:
	s_waitcnt vmcnt(0)
	v_add_f32_e32 v1, v2, v3
	v_cvt_i32_f32_e32 v2, v1
	v_ashrrev_i32_e32 v3, 31, v2
	v_lshl_add_u64 v[2:3], v[2:3], 2, s[66:67]
	global_load_dword v2, v[2:3], off
	s_or_b64 exec, exec, s[18:19]
	s_and_saveexec_b64 s[14:15], s[12:13]
	s_cbranch_execz .LBB740_244
.LBB740_289:
	s_waitcnt vmcnt(0)
	v_add_f32_e32 v1, v4, v2
	v_cvt_i32_f32_e32 v2, v1
	v_ashrrev_i32_e32 v3, 31, v2
	v_lshl_add_u64 v[2:3], v[2:3], 2, s[66:67]
	global_load_dword v2, v[2:3], off
	s_or_b64 exec, exec, s[14:15]
	s_and_saveexec_b64 s[12:13], s[10:11]
	s_cbranch_execz .LBB740_245
.LBB740_290:
	s_waitcnt vmcnt(0)
	v_add_f32_e32 v1, v5, v2
	v_cvt_i32_f32_e32 v2, v1
	v_ashrrev_i32_e32 v3, 31, v2
	v_lshl_add_u64 v[2:3], v[2:3], 2, s[66:67]
	global_load_dword v2, v[2:3], off
	s_or_b64 exec, exec, s[12:13]
	s_and_saveexec_b64 s[10:11], s[8:9]
	s_cbranch_execz .LBB740_246
.LBB740_291:
	s_waitcnt vmcnt(0)
	v_add_f32_e32 v1, v6, v2
	v_cvt_i32_f32_e32 v2, v1
	v_ashrrev_i32_e32 v3, 31, v2
	v_lshl_add_u64 v[2:3], v[2:3], 2, s[66:67]
	global_load_dword v2, v[2:3], off
	s_or_b64 exec, exec, s[10:11]
	s_and_saveexec_b64 s[8:9], s[6:7]
	s_cbranch_execz .LBB740_247
.LBB740_292:
	s_waitcnt vmcnt(0)
	v_add_f32_e32 v1, v7, v2
	v_cvt_i32_f32_e32 v2, v1
	v_ashrrev_i32_e32 v3, 31, v2
	v_lshl_add_u64 v[2:3], v[2:3], 2, s[66:67]
	global_load_dword v2, v[2:3], off
	s_or_b64 exec, exec, s[8:9]
	s_and_saveexec_b64 s[6:7], s[4:5]
	s_cbranch_execz .LBB740_248
.LBB740_293:
	s_waitcnt vmcnt(0)
	v_add_f32_e32 v1, v8, v2
	v_cvt_i32_f32_e32 v2, v1
	v_ashrrev_i32_e32 v3, 31, v2
	v_lshl_add_u64 v[2:3], v[2:3], 2, s[66:67]
	global_load_dword v2, v[2:3], off
	s_or_b64 exec, exec, s[6:7]
	s_and_saveexec_b64 s[4:5], vcc
	s_cbranch_execnz .LBB740_249
	s_branch .LBB740_250
.LBB740_294:
	s_mov_b64 s[6:7], -1
	s_mov_b64 s[8:9], 0
                                        ; implicit-def: $vgpr3
                                        ; implicit-def: $vgpr2
.LBB740_295:
	s_and_b64 vcc, exec, s[6:7]
	s_cbranch_vccz .LBB740_326
; %bb.296:
	s_sub_i32 s14, s70, s4
	s_waitcnt vmcnt(0)
	v_mov_b32_e32 v2, 0
	v_cmp_gt_u32_e32 vcc, s14, v0
	s_waitcnt lgkmcnt(0)
	v_mov_b32_e32 v3, v2
	v_mov_b32_e32 v4, v2
	;; [unrolled: 1-line block ×3, first 2 shown]
	s_and_saveexec_b64 s[4:5], vcc
	s_cbranch_execz .LBB740_298
; %bb.297:
	v_lshlrev_b32_e32 v1, 2, v0
	global_load_dword v4, v1, s[10:11]
	v_mov_b32_e32 v5, v2
	v_mov_b32_e32 v6, v2
	v_mov_b32_e32 v7, v2
	s_waitcnt vmcnt(0)
	v_mov_b64_e32 v[2:3], v[4:5]
	v_mov_b64_e32 v[4:5], v[6:7]
.LBB740_298:
	s_or_b64 exec, exec, s[4:5]
	v_or_b32_e32 v1, 0x100, v0
	v_cmp_gt_u32_e64 s[6:7], s14, v1
	s_and_saveexec_b64 s[4:5], s[6:7]
	s_cbranch_execz .LBB740_300
; %bb.299:
	v_lshlrev_b32_e32 v1, 2, v0
	global_load_dword v3, v1, s[10:11] offset:1024
.LBB740_300:
	s_or_b64 exec, exec, s[4:5]
	v_or_b32_e32 v1, 0x200, v0
	v_cmp_gt_u32_e64 s[4:5], s14, v1
	s_and_saveexec_b64 s[12:13], s[4:5]
	s_cbranch_execz .LBB740_302
; %bb.301:
	v_lshlrev_b32_e32 v1, 2, v0
	global_load_dword v4, v1, s[10:11] offset:2048
.LBB740_302:
	s_or_b64 exec, exec, s[12:13]
	v_or_b32_e32 v1, 0x300, v0
	v_cmp_gt_u32_e32 vcc, s14, v1
	s_and_saveexec_b64 s[12:13], vcc
	s_cbranch_execnz .LBB740_457
; %bb.303:
	s_or_b64 exec, exec, s[12:13]
	s_and_saveexec_b64 s[10:11], s[6:7]
	s_cbranch_execnz .LBB740_458
.LBB740_304:
	s_or_b64 exec, exec, s[10:11]
	s_and_saveexec_b64 s[6:7], s[4:5]
	s_cbranch_execnz .LBB740_459
.LBB740_305:
	s_or_b64 exec, exec, s[6:7]
	s_and_saveexec_b64 s[4:5], vcc
	s_cbranch_execz .LBB740_307
.LBB740_306:
	s_waitcnt vmcnt(0)
	v_add_f32_e32 v1, v5, v2
	v_cvt_i32_f32_e32 v2, v1
	v_ashrrev_i32_e32 v3, 31, v2
	v_lshl_add_u64 v[2:3], v[2:3], 2, s[66:67]
	global_load_dword v2, v[2:3], off
.LBB740_307:
	s_or_b64 exec, exec, s[4:5]
	v_mbcnt_lo_u32_b32 v1, -1, 0
	v_mbcnt_hi_u32_b32 v1, -1, v1
	s_waitcnt vmcnt(0)
	v_and_b32_e32 v3, 63, v1
	v_cmp_ne_u32_e32 vcc, 63, v3
	s_min_u32 s6, s14, 0x100
	v_add_u32_e32 v6, 1, v3
	v_addc_co_u32_e32 v4, vcc, 0, v1, vcc
	v_lshlrev_b32_e32 v4, 2, v4
	ds_bpermute_b32 v5, v4, v2
	v_and_b32_e32 v4, 0xc0, v0
	v_sub_u32_e64 v4, s6, v4 clamp
	v_cmp_lt_u32_e32 vcc, v6, v4
	s_and_saveexec_b64 s[4:5], vcc
	s_xor_b64 s[4:5], exec, s[4:5]
	s_cbranch_execz .LBB740_309
; %bb.308:
	s_waitcnt lgkmcnt(0)
	v_add_f32_e32 v2, v2, v5
	v_cvt_i32_f32_e32 v6, v2
	v_ashrrev_i32_e32 v7, 31, v6
	v_lshl_add_u64 v[6:7], v[6:7], 2, s[66:67]
	global_load_dword v2, v[6:7], off
.LBB740_309:
	s_or_b64 exec, exec, s[4:5]
	v_cmp_gt_u32_e32 vcc, 62, v3
	v_add_u32_e32 v6, 2, v3
	s_waitcnt lgkmcnt(0)
	v_cndmask_b32_e64 v5, 0, 2, vcc
	v_add_lshl_u32 v5, v5, v1, 2
	s_waitcnt vmcnt(0)
	ds_bpermute_b32 v5, v5, v2
	v_cmp_lt_u32_e32 vcc, v6, v4
	s_and_saveexec_b64 s[4:5], vcc
	s_cbranch_execz .LBB740_311
; %bb.310:
	s_waitcnt lgkmcnt(0)
	v_add_f32_e32 v2, v2, v5
	v_cvt_i32_f32_e32 v6, v2
	v_ashrrev_i32_e32 v7, 31, v6
	v_lshl_add_u64 v[6:7], v[6:7], 2, s[66:67]
	global_load_dword v2, v[6:7], off
.LBB740_311:
	s_or_b64 exec, exec, s[4:5]
	v_cmp_gt_u32_e32 vcc, 60, v3
	v_add_u32_e32 v6, 4, v3
	s_waitcnt lgkmcnt(0)
	v_cndmask_b32_e64 v5, 0, 4, vcc
	v_add_lshl_u32 v5, v5, v1, 2
	s_waitcnt vmcnt(0)
	ds_bpermute_b32 v5, v5, v2
	v_cmp_lt_u32_e32 vcc, v6, v4
	s_and_saveexec_b64 s[4:5], vcc
	;; [unrolled: 19-line block ×4, first 2 shown]
	s_cbranch_execz .LBB740_317
; %bb.316:
	s_waitcnt lgkmcnt(0)
	v_add_f32_e32 v2, v2, v5
	v_cvt_i32_f32_e32 v6, v2
	v_ashrrev_i32_e32 v7, 31, v6
	v_lshl_add_u64 v[6:7], v[6:7], 2, s[66:67]
	global_load_dword v2, v[6:7], off
.LBB740_317:
	s_or_b64 exec, exec, s[4:5]
	s_waitcnt lgkmcnt(0)
	v_lshlrev_b32_e32 v5, 2, v1
	v_or_b32_e32 v6, 0x80, v5
	s_waitcnt vmcnt(0)
	ds_bpermute_b32 v6, v6, v2
	v_add_u32_e32 v3, 32, v3
	v_cmp_lt_u32_e32 vcc, v3, v4
	s_and_saveexec_b64 s[4:5], vcc
	s_cbranch_execz .LBB740_319
; %bb.318:
	s_waitcnt lgkmcnt(0)
	v_add_f32_e32 v2, v2, v6
	v_cvt_i32_f32_e32 v2, v2
	v_ashrrev_i32_e32 v3, 31, v2
	v_lshl_add_u64 v[2:3], v[2:3], 2, s[66:67]
	global_load_dword v2, v[2:3], off
.LBB740_319:
	s_or_b64 exec, exec, s[4:5]
	v_cmp_eq_u32_e32 vcc, 0, v1
	s_and_saveexec_b64 s[4:5], vcc
	s_cbranch_execz .LBB740_321
; %bb.320:
	v_lshrrev_b32_e32 v3, 4, v0
	v_and_b32_e32 v3, 12, v3
	s_waitcnt vmcnt(0)
	ds_write_b32 v3, v2
.LBB740_321:
	s_or_b64 exec, exec, s[4:5]
	v_cmp_gt_u32_e32 vcc, 4, v0
	s_waitcnt lgkmcnt(0)
	s_barrier
                                        ; implicit-def: $vgpr3
	s_and_saveexec_b64 s[4:5], vcc
	s_cbranch_execz .LBB740_325
; %bb.322:
	s_waitcnt vmcnt(0)
	ds_read_b32 v2, v5
	v_and_b32_e32 v3, 3, v1
	v_cmp_ne_u32_e32 vcc, 3, v3
	s_add_i32 s6, s6, 63
	s_lshr_b32 s10, s6, 6
	v_addc_co_u32_e32 v1, vcc, 0, v1, vcc
	v_lshlrev_b32_e32 v1, 2, v1
	s_waitcnt lgkmcnt(0)
	ds_bpermute_b32 v1, v1, v2
	v_add_u32_e32 v4, 1, v3
	v_cmp_gt_u32_e32 vcc, s10, v4
	s_and_saveexec_b64 s[6:7], vcc
	s_cbranch_execz .LBB740_324
; %bb.323:
	s_waitcnt lgkmcnt(0)
	v_add_f32_e32 v1, v2, v1
	v_cvt_i32_f32_e32 v6, v1
	v_ashrrev_i32_e32 v7, 31, v6
	v_lshl_add_u64 v[6:7], v[6:7], 2, s[66:67]
	global_load_dword v2, v[6:7], off
.LBB740_324:
	s_or_b64 exec, exec, s[6:7]
	s_waitcnt lgkmcnt(0)
	v_add_u32_e32 v1, 2, v3
	v_or_b32_e32 v3, 8, v5
	s_waitcnt vmcnt(0)
	ds_bpermute_b32 v3, v3, v2
	v_cmp_gt_u32_e32 vcc, s10, v1
	s_andn2_b64 s[6:7], s[8:9], exec
	s_and_b64 s[8:9], vcc, exec
	s_or_b64 s[8:9], s[6:7], s[8:9]
.LBB740_325:
	s_or_b64 exec, exec, s[4:5]
.LBB740_326:
	s_and_saveexec_b64 s[4:5], s[8:9]
	s_cbranch_execz .LBB740_328
; %bb.327:
	s_waitcnt vmcnt(0) lgkmcnt(0)
	v_add_f32_e32 v1, v2, v3
	v_cvt_i32_f32_e32 v2, v1
	v_ashrrev_i32_e32 v3, 31, v2
	v_lshl_add_u64 v[2:3], v[2:3], 2, s[66:67]
	global_load_dword v2, v[2:3], off
.LBB740_328:
	s_or_b64 exec, exec, s[4:5]
	v_cmp_eq_u32_e32 vcc, 0, v0
	s_and_saveexec_b64 s[4:5], vcc
	s_xor_b64 s[4:5], exec, s[4:5]
	s_cbranch_execz .LBB740_330
; %bb.329:
	s_cmp_eq_u64 s[70:71], 0
	s_cselect_b64 s[6:7], -1, 0
	s_cmp_lg_u64 s[70:71], 0
	s_cselect_b64 s[8:9], -1, 0
	s_andn2_b64 s[10:11], s[34:35], exec
	s_and_b64 s[6:7], s[6:7], exec
	s_or_b64 s[34:35], s[10:11], s[6:7]
	s_andn2_b64 s[6:7], s[36:37], exec
	s_and_b64 s[8:9], s[8:9], exec
	s_or_b64 s[36:37], s[6:7], s[8:9]
.LBB740_330:
	s_or_b64 exec, exec, s[4:5]
	s_branch .LBB740_286
.LBB740_331:
	s_cmp_eq_u32 s80, 2
	s_cbranch_scc0 .LBB740_338
; %bb.332:
	s_mov_b32 s3, 0
	s_lshl_b32 s8, s2, 9
	s_mov_b32 s9, s3
	s_lshr_b64 s[4:5], s[70:71], 9
	s_lshl_b64 s[6:7], s[8:9], 2
	s_add_u32 s6, s68, s6
	s_addc_u32 s7, s69, s7
	s_cmp_lg_u64 s[4:5], s[2:3]
	s_cbranch_scc0 .LBB740_339
; %bb.333:
	v_lshlrev_b32_e32 v1, 2, v0
	global_load_dword v2, v1, s[6:7]
	s_waitcnt lgkmcnt(0)
	global_load_dword v3, v1, s[6:7] offset:1024
	s_waitcnt vmcnt(0)
	v_add_f32_e32 v1, v2, v3
	v_cvt_i32_f32_e32 v2, v1
	v_ashrrev_i32_e32 v3, 31, v2
	v_lshl_add_u64 v[2:3], v[2:3], 2, s[66:67]
	global_load_dword v1, v[2:3], off
	s_waitcnt vmcnt(0)
	s_nop 0
	v_add_f32_dpp v1, v1, v1 quad_perm:[1,0,3,2] row_mask:0xf bank_mask:0xf bound_ctrl:1
	v_cvt_i32_f32_e32 v2, v1
	v_ashrrev_i32_e32 v3, 31, v2
	v_lshl_add_u64 v[2:3], v[2:3], 2, s[66:67]
	global_load_dword v1, v[2:3], off
	s_waitcnt vmcnt(0)
	s_nop 0
	v_add_f32_dpp v1, v1, v1 quad_perm:[2,3,0,1] row_mask:0xf bank_mask:0xf bound_ctrl:1
	v_cvt_i32_f32_e32 v2, v1
	v_ashrrev_i32_e32 v3, 31, v2
	v_lshl_add_u64 v[2:3], v[2:3], 2, s[66:67]
	global_load_dword v1, v[2:3], off
	s_waitcnt vmcnt(0)
	s_nop 0
	v_add_f32_dpp v1, v1, v1 row_ror:4 row_mask:0xf bank_mask:0xf bound_ctrl:1
	v_cvt_i32_f32_e32 v2, v1
	v_ashrrev_i32_e32 v3, 31, v2
	v_lshl_add_u64 v[2:3], v[2:3], 2, s[66:67]
	global_load_dword v1, v[2:3], off
	s_waitcnt vmcnt(0)
	s_nop 0
	v_add_f32_dpp v1, v1, v1 row_ror:8 row_mask:0xf bank_mask:0xf bound_ctrl:1
	v_cvt_i32_f32_e32 v2, v1
	v_ashrrev_i32_e32 v3, 31, v2
	v_lshl_add_u64 v[2:3], v[2:3], 2, s[66:67]
	global_load_dword v1, v[2:3], off
	s_waitcnt vmcnt(0)
	s_nop 0
	v_add_f32_dpp v1, v1, v1 row_bcast:15 row_mask:0xf bank_mask:0xf bound_ctrl:1
	v_cvt_i32_f32_e32 v2, v1
	v_ashrrev_i32_e32 v3, 31, v2
	v_lshl_add_u64 v[2:3], v[2:3], 2, s[66:67]
	global_load_dword v1, v[2:3], off
	s_waitcnt vmcnt(0)
	s_nop 0
	v_add_f32_dpp v1, v1, v1 row_bcast:31 row_mask:0xf bank_mask:0xf bound_ctrl:1
	v_cvt_i32_f32_e32 v2, v1
	v_mbcnt_lo_u32_b32 v1, -1, 0
	v_mbcnt_hi_u32_b32 v4, -1, v1
	v_lshlrev_b32_e32 v1, 2, v4
	v_ashrrev_i32_e32 v3, 31, v2
	v_lshl_add_u64 v[2:3], v[2:3], 2, s[66:67]
	global_load_dword v2, v[2:3], off
	v_or_b32_e32 v3, 0xfc, v1
	v_cmp_eq_u32_e32 vcc, 0, v4
	s_waitcnt vmcnt(0)
	ds_bpermute_b32 v2, v3, v2
	s_and_saveexec_b64 s[4:5], vcc
	s_cbranch_execz .LBB740_335
; %bb.334:
	v_lshrrev_b32_e32 v3, 4, v0
	v_and_b32_e32 v3, 12, v3
	s_waitcnt lgkmcnt(0)
	ds_write_b32 v3, v2 offset:48
.LBB740_335:
	s_or_b64 exec, exec, s[4:5]
	v_cmp_gt_u32_e32 vcc, 64, v0
	s_mov_b64 s[10:11], 0
	s_mov_b64 s[4:5], 0
	s_waitcnt lgkmcnt(0)
	s_barrier
                                        ; implicit-def: $vgpr3
	s_and_saveexec_b64 s[12:13], vcc
	s_xor_b64 s[12:13], exec, s[12:13]
	s_cbranch_execz .LBB740_337
; %bb.336:
	v_and_b32_e32 v2, 3, v4
	v_lshlrev_b32_e32 v3, 2, v2
	ds_read_b32 v3, v3 offset:48
	v_cmp_ne_u32_e32 vcc, 3, v2
	v_or_b32_e32 v1, 8, v1
	s_mov_b64 s[4:5], exec
	v_addc_co_u32_e32 v2, vcc, 0, v4, vcc
	v_lshlrev_b32_e32 v2, 2, v2
	s_waitcnt lgkmcnt(0)
	ds_bpermute_b32 v2, v2, v3
	s_waitcnt lgkmcnt(0)
	v_add_f32_e32 v2, v3, v2
	v_cvt_i32_f32_e32 v2, v2
	v_ashrrev_i32_e32 v3, 31, v2
	v_lshl_add_u64 v[2:3], v[2:3], 2, s[66:67]
	global_load_dword v2, v[2:3], off
	s_waitcnt vmcnt(0)
	ds_bpermute_b32 v3, v1, v2
.LBB740_337:
	s_or_b64 exec, exec, s[12:13]
	s_branch .LBB740_340
.LBB740_338:
                                        ; implicit-def: $vgpr2
	s_branch .LBB740_379
.LBB740_339:
	s_mov_b64 s[10:11], -1
	s_mov_b64 s[4:5], 0
                                        ; implicit-def: $vgpr3
                                        ; implicit-def: $vgpr2
.LBB740_340:
	s_and_b64 vcc, exec, s[10:11]
	s_cbranch_vccz .LBB740_366
; %bb.341:
	s_sub_i32 s10, s70, s8
	s_waitcnt vmcnt(0)
	v_mov_b32_e32 v2, 0
	v_cmp_gt_u32_e32 vcc, s10, v0
	s_waitcnt lgkmcnt(0)
	v_mov_b32_e32 v3, v2
	s_and_saveexec_b64 s[8:9], vcc
	s_cbranch_execz .LBB740_343
; %bb.342:
	v_lshlrev_b32_e32 v1, 2, v0
	global_load_dword v4, v1, s[6:7]
	v_mov_b32_e32 v5, v2
	s_waitcnt vmcnt(0)
	v_mov_b64_e32 v[2:3], v[4:5]
.LBB740_343:
	s_or_b64 exec, exec, s[8:9]
	v_or_b32_e32 v1, 0x100, v0
	v_cmp_gt_u32_e32 vcc, s10, v1
	s_and_saveexec_b64 s[8:9], vcc
	s_cbranch_execz .LBB740_345
; %bb.344:
	v_lshlrev_b32_e32 v1, 2, v0
	global_load_dword v3, v1, s[6:7] offset:1024
.LBB740_345:
	s_or_b64 exec, exec, s[8:9]
	s_and_saveexec_b64 s[6:7], vcc
	s_cbranch_execz .LBB740_347
; %bb.346:
	s_waitcnt vmcnt(0)
	v_add_f32_e32 v1, v3, v2
	v_cvt_i32_f32_e32 v2, v1
	v_ashrrev_i32_e32 v3, 31, v2
	v_lshl_add_u64 v[2:3], v[2:3], 2, s[66:67]
	global_load_dword v2, v[2:3], off
.LBB740_347:
	s_or_b64 exec, exec, s[6:7]
	v_mbcnt_lo_u32_b32 v1, -1, 0
	v_mbcnt_hi_u32_b32 v1, -1, v1
	s_waitcnt vmcnt(0)
	v_and_b32_e32 v3, 63, v1
	v_cmp_ne_u32_e32 vcc, 63, v3
	s_min_u32 s8, s10, 0x100
	v_add_u32_e32 v6, 1, v3
	v_addc_co_u32_e32 v4, vcc, 0, v1, vcc
	v_lshlrev_b32_e32 v4, 2, v4
	ds_bpermute_b32 v5, v4, v2
	v_and_b32_e32 v4, 0xc0, v0
	v_sub_u32_e64 v4, s8, v4 clamp
	v_cmp_lt_u32_e32 vcc, v6, v4
	s_and_saveexec_b64 s[6:7], vcc
	s_xor_b64 s[6:7], exec, s[6:7]
	s_cbranch_execz .LBB740_349
; %bb.348:
	s_waitcnt lgkmcnt(0)
	v_add_f32_e32 v2, v2, v5
	v_cvt_i32_f32_e32 v6, v2
	v_ashrrev_i32_e32 v7, 31, v6
	v_lshl_add_u64 v[6:7], v[6:7], 2, s[66:67]
	global_load_dword v2, v[6:7], off
.LBB740_349:
	s_or_b64 exec, exec, s[6:7]
	v_cmp_gt_u32_e32 vcc, 62, v3
	v_add_u32_e32 v6, 2, v3
	s_waitcnt lgkmcnt(0)
	v_cndmask_b32_e64 v5, 0, 2, vcc
	v_add_lshl_u32 v5, v5, v1, 2
	s_waitcnt vmcnt(0)
	ds_bpermute_b32 v5, v5, v2
	v_cmp_lt_u32_e32 vcc, v6, v4
	s_and_saveexec_b64 s[6:7], vcc
	s_cbranch_execz .LBB740_351
; %bb.350:
	s_waitcnt lgkmcnt(0)
	v_add_f32_e32 v2, v2, v5
	v_cvt_i32_f32_e32 v6, v2
	v_ashrrev_i32_e32 v7, 31, v6
	v_lshl_add_u64 v[6:7], v[6:7], 2, s[66:67]
	global_load_dword v2, v[6:7], off
.LBB740_351:
	s_or_b64 exec, exec, s[6:7]
	v_cmp_gt_u32_e32 vcc, 60, v3
	v_add_u32_e32 v6, 4, v3
	s_waitcnt lgkmcnt(0)
	v_cndmask_b32_e64 v5, 0, 4, vcc
	v_add_lshl_u32 v5, v5, v1, 2
	s_waitcnt vmcnt(0)
	ds_bpermute_b32 v5, v5, v2
	v_cmp_lt_u32_e32 vcc, v6, v4
	s_and_saveexec_b64 s[6:7], vcc
	;; [unrolled: 19-line block ×4, first 2 shown]
	s_cbranch_execz .LBB740_357
; %bb.356:
	s_waitcnt lgkmcnt(0)
	v_add_f32_e32 v2, v2, v5
	v_cvt_i32_f32_e32 v6, v2
	v_ashrrev_i32_e32 v7, 31, v6
	v_lshl_add_u64 v[6:7], v[6:7], 2, s[66:67]
	global_load_dword v2, v[6:7], off
.LBB740_357:
	s_or_b64 exec, exec, s[6:7]
	s_waitcnt lgkmcnt(0)
	v_lshlrev_b32_e32 v5, 2, v1
	v_or_b32_e32 v6, 0x80, v5
	s_waitcnt vmcnt(0)
	ds_bpermute_b32 v6, v6, v2
	v_add_u32_e32 v3, 32, v3
	v_cmp_lt_u32_e32 vcc, v3, v4
	s_and_saveexec_b64 s[6:7], vcc
	s_cbranch_execz .LBB740_359
; %bb.358:
	s_waitcnt lgkmcnt(0)
	v_add_f32_e32 v2, v2, v6
	v_cvt_i32_f32_e32 v2, v2
	v_ashrrev_i32_e32 v3, 31, v2
	v_lshl_add_u64 v[2:3], v[2:3], 2, s[66:67]
	global_load_dword v2, v[2:3], off
.LBB740_359:
	s_or_b64 exec, exec, s[6:7]
	v_cmp_eq_u32_e32 vcc, 0, v1
	s_and_saveexec_b64 s[6:7], vcc
	s_cbranch_execz .LBB740_361
; %bb.360:
	v_lshrrev_b32_e32 v3, 4, v0
	v_and_b32_e32 v3, 12, v3
	s_waitcnt vmcnt(0)
	ds_write_b32 v3, v2
.LBB740_361:
	s_or_b64 exec, exec, s[6:7]
	v_cmp_gt_u32_e32 vcc, 4, v0
	s_waitcnt lgkmcnt(0)
	s_barrier
                                        ; implicit-def: $vgpr3
	s_and_saveexec_b64 s[6:7], vcc
	s_cbranch_execz .LBB740_365
; %bb.362:
	s_waitcnt vmcnt(0)
	ds_read_b32 v2, v5
	v_and_b32_e32 v3, 3, v1
	v_cmp_ne_u32_e32 vcc, 3, v3
	s_add_i32 s8, s8, 63
	s_lshr_b32 s10, s8, 6
	v_addc_co_u32_e32 v1, vcc, 0, v1, vcc
	v_lshlrev_b32_e32 v1, 2, v1
	s_waitcnt lgkmcnt(0)
	ds_bpermute_b32 v1, v1, v2
	v_add_u32_e32 v4, 1, v3
	v_cmp_gt_u32_e32 vcc, s10, v4
	s_and_saveexec_b64 s[8:9], vcc
	s_cbranch_execz .LBB740_364
; %bb.363:
	s_waitcnt lgkmcnt(0)
	v_add_f32_e32 v1, v2, v1
	v_cvt_i32_f32_e32 v6, v1
	v_ashrrev_i32_e32 v7, 31, v6
	v_lshl_add_u64 v[6:7], v[6:7], 2, s[66:67]
	global_load_dword v2, v[6:7], off
.LBB740_364:
	s_or_b64 exec, exec, s[8:9]
	s_waitcnt lgkmcnt(0)
	v_add_u32_e32 v1, 2, v3
	v_or_b32_e32 v3, 8, v5
	s_waitcnt vmcnt(0)
	ds_bpermute_b32 v3, v3, v2
	v_cmp_gt_u32_e32 vcc, s10, v1
	s_andn2_b64 s[4:5], s[4:5], exec
	s_and_b64 s[8:9], vcc, exec
	s_or_b64 s[4:5], s[4:5], s[8:9]
.LBB740_365:
	s_or_b64 exec, exec, s[6:7]
.LBB740_366:
	s_and_saveexec_b64 s[6:7], s[4:5]
	s_cbranch_execz .LBB740_368
; %bb.367:
	s_waitcnt vmcnt(0) lgkmcnt(0)
	v_add_f32_e32 v1, v2, v3
	v_cvt_i32_f32_e32 v2, v1
	v_ashrrev_i32_e32 v3, 31, v2
	v_lshl_add_u64 v[2:3], v[2:3], 2, s[66:67]
	global_load_dword v2, v[2:3], off
.LBB740_368:
	s_or_b64 exec, exec, s[6:7]
	v_cmp_eq_u32_e32 vcc, 0, v0
	s_and_saveexec_b64 s[4:5], vcc
	s_xor_b64 s[4:5], exec, s[4:5]
	s_cbranch_execz .LBB740_370
; %bb.369:
	s_cmp_eq_u64 s[70:71], 0
	s_cselect_b64 s[6:7], -1, 0
	s_cmp_lg_u64 s[70:71], 0
	s_cselect_b64 s[8:9], -1, 0
	s_andn2_b64 s[10:11], s[34:35], exec
	s_and_b64 s[6:7], s[6:7], exec
	s_or_b64 s[34:35], s[10:11], s[6:7]
	s_andn2_b64 s[6:7], s[36:37], exec
	s_and_b64 s[8:9], s[8:9], exec
	s_or_b64 s[36:37], s[6:7], s[8:9]
.LBB740_370:
	s_or_b64 exec, exec, s[4:5]
	s_branch .LBB740_379
.LBB740_371:
	s_cmp_eq_u32 s80, 1
	s_cbranch_scc0 .LBB740_378
; %bb.372:
	s_mov_b32 s7, 0
	s_lshl_b32 s6, s2, 8
	s_mov_b32 s3, s7
	s_lshr_b64 s[4:5], s[70:71], 8
	s_cmp_lg_u64 s[4:5], s[2:3]
	v_mbcnt_lo_u32_b32 v1, -1, 0
	s_cbranch_scc0 .LBB740_382
; %bb.373:
	s_lshl_b64 s[4:5], s[6:7], 2
	s_add_u32 s4, s68, s4
	s_addc_u32 s5, s69, s5
	s_waitcnt vmcnt(0)
	v_lshlrev_b32_e32 v2, 2, v0
	global_load_dword v2, v2, s[4:5]
	v_mbcnt_hi_u32_b32 v5, -1, v1
	v_lshlrev_b32_e32 v4, 2, v5
	v_cmp_eq_u32_e32 vcc, 0, v5
	s_waitcnt vmcnt(0)
	v_add_f32_dpp v2, v2, v2 quad_perm:[1,0,3,2] row_mask:0xf bank_mask:0xf bound_ctrl:1
	v_cvt_i32_f32_e32 v2, v2
	s_waitcnt lgkmcnt(0)
	v_ashrrev_i32_e32 v3, 31, v2
	v_lshl_add_u64 v[2:3], v[2:3], 2, s[66:67]
	global_load_dword v2, v[2:3], off
	s_waitcnt vmcnt(0)
	s_nop 0
	v_add_f32_dpp v2, v2, v2 quad_perm:[2,3,0,1] row_mask:0xf bank_mask:0xf bound_ctrl:1
	v_cvt_i32_f32_e32 v2, v2
	v_ashrrev_i32_e32 v3, 31, v2
	v_lshl_add_u64 v[2:3], v[2:3], 2, s[66:67]
	global_load_dword v2, v[2:3], off
	s_waitcnt vmcnt(0)
	s_nop 0
	v_add_f32_dpp v2, v2, v2 row_ror:4 row_mask:0xf bank_mask:0xf bound_ctrl:1
	v_cvt_i32_f32_e32 v2, v2
	v_ashrrev_i32_e32 v3, 31, v2
	v_lshl_add_u64 v[2:3], v[2:3], 2, s[66:67]
	global_load_dword v2, v[2:3], off
	s_waitcnt vmcnt(0)
	s_nop 0
	v_add_f32_dpp v2, v2, v2 row_ror:8 row_mask:0xf bank_mask:0xf bound_ctrl:1
	v_cvt_i32_f32_e32 v2, v2
	v_ashrrev_i32_e32 v3, 31, v2
	v_lshl_add_u64 v[2:3], v[2:3], 2, s[66:67]
	global_load_dword v2, v[2:3], off
	s_waitcnt vmcnt(0)
	s_nop 0
	v_add_f32_dpp v2, v2, v2 row_bcast:15 row_mask:0xf bank_mask:0xf bound_ctrl:1
	v_cvt_i32_f32_e32 v2, v2
	v_ashrrev_i32_e32 v3, 31, v2
	v_lshl_add_u64 v[2:3], v[2:3], 2, s[66:67]
	global_load_dword v2, v[2:3], off
	s_waitcnt vmcnt(0)
	s_nop 0
	v_add_f32_dpp v2, v2, v2 row_bcast:31 row_mask:0xf bank_mask:0xf bound_ctrl:1
	v_cvt_i32_f32_e32 v2, v2
	v_ashrrev_i32_e32 v3, 31, v2
	v_lshl_add_u64 v[2:3], v[2:3], 2, s[66:67]
	global_load_dword v2, v[2:3], off
	v_or_b32_e32 v3, 0xfc, v4
	s_waitcnt vmcnt(0)
	ds_bpermute_b32 v2, v3, v2
	s_and_saveexec_b64 s[4:5], vcc
	s_cbranch_execz .LBB740_375
; %bb.374:
	v_lshrrev_b32_e32 v3, 4, v0
	v_and_b32_e32 v3, 12, v3
	s_waitcnt lgkmcnt(0)
	ds_write_b32 v3, v2 offset:32
.LBB740_375:
	s_or_b64 exec, exec, s[4:5]
	v_cmp_gt_u32_e32 vcc, 64, v0
	s_mov_b64 s[8:9], 0
	s_mov_b64 s[4:5], 0
	s_waitcnt lgkmcnt(0)
	s_barrier
                                        ; implicit-def: $vgpr3
	s_and_saveexec_b64 s[10:11], vcc
	s_xor_b64 s[10:11], exec, s[10:11]
	s_cbranch_execz .LBB740_377
; %bb.376:
	v_and_b32_e32 v2, 3, v5
	v_lshlrev_b32_e32 v3, 2, v2
	ds_read_b32 v3, v3 offset:32
	v_cmp_ne_u32_e32 vcc, 3, v2
	s_mov_b64 s[4:5], exec
	s_nop 0
	v_addc_co_u32_e32 v2, vcc, 0, v5, vcc
	v_lshlrev_b32_e32 v2, 2, v2
	s_waitcnt lgkmcnt(0)
	ds_bpermute_b32 v2, v2, v3
	s_waitcnt lgkmcnt(0)
	v_add_f32_e32 v2, v3, v2
	v_cvt_i32_f32_e32 v2, v2
	v_ashrrev_i32_e32 v3, 31, v2
	v_lshl_add_u64 v[2:3], v[2:3], 2, s[66:67]
	global_load_dword v2, v[2:3], off
	v_or_b32_e32 v3, 8, v4
	s_waitcnt vmcnt(0)
	ds_bpermute_b32 v3, v3, v2
.LBB740_377:
	s_or_b64 exec, exec, s[10:11]
	s_and_b64 vcc, exec, s[8:9]
	s_cbranch_vccnz .LBB740_383
	s_branch .LBB740_404
.LBB740_378:
                                        ; implicit-def: $sgpr2_sgpr3
                                        ; implicit-def: $vgpr2
.LBB740_379:
	v_mov_b32_e32 v0, s33
	s_and_saveexec_b64 s[4:5], s[36:37]
	s_cbranch_execnz .LBB740_409
.LBB740_380:
	s_or_b64 exec, exec, s[4:5]
	s_and_saveexec_b64 s[4:5], s[34:35]
	s_cbranch_execnz .LBB740_410
.LBB740_381:
	s_endpgm
.LBB740_382:
	s_mov_b64 s[4:5], 0
                                        ; implicit-def: $vgpr3
                                        ; implicit-def: $vgpr2
	s_cbranch_execz .LBB740_404
.LBB740_383:
	s_sub_i32 s10, s70, s6
	v_cmp_gt_u32_e32 vcc, s10, v0
                                        ; implicit-def: $vgpr2
	s_and_saveexec_b64 s[8:9], vcc
	s_cbranch_execz .LBB740_385
; %bb.384:
	s_lshl_b64 s[6:7], s[6:7], 2
	s_add_u32 s6, s68, s6
	s_addc_u32 s7, s69, s7
	s_waitcnt vmcnt(0)
	v_lshlrev_b32_e32 v2, 2, v0
	global_load_dword v2, v2, s[6:7]
.LBB740_385:
	s_or_b64 exec, exec, s[8:9]
	v_mbcnt_hi_u32_b32 v1, -1, v1
	s_waitcnt lgkmcnt(0)
	v_and_b32_e32 v3, 63, v1
	v_cmp_ne_u32_e32 vcc, 63, v3
	s_min_u32 s8, s10, 0x100
	v_add_u32_e32 v6, 1, v3
	v_addc_co_u32_e32 v4, vcc, 0, v1, vcc
	v_lshlrev_b32_e32 v4, 2, v4
	s_waitcnt vmcnt(0)
	ds_bpermute_b32 v5, v4, v2
	v_and_b32_e32 v4, 0xc0, v0
	v_sub_u32_e64 v4, s8, v4 clamp
	v_cmp_lt_u32_e32 vcc, v6, v4
	s_and_saveexec_b64 s[6:7], vcc
	s_cbranch_execz .LBB740_387
; %bb.386:
	s_waitcnt lgkmcnt(0)
	v_add_f32_e32 v2, v2, v5
	v_cvt_i32_f32_e32 v6, v2
	v_ashrrev_i32_e32 v7, 31, v6
	v_lshl_add_u64 v[6:7], v[6:7], 2, s[66:67]
	global_load_dword v2, v[6:7], off
.LBB740_387:
	s_or_b64 exec, exec, s[6:7]
	v_cmp_gt_u32_e32 vcc, 62, v3
	v_add_u32_e32 v6, 2, v3
	s_waitcnt lgkmcnt(0)
	v_cndmask_b32_e64 v5, 0, 2, vcc
	v_add_lshl_u32 v5, v5, v1, 2
	s_waitcnt vmcnt(0)
	ds_bpermute_b32 v5, v5, v2
	v_cmp_lt_u32_e32 vcc, v6, v4
	s_and_saveexec_b64 s[6:7], vcc
	s_cbranch_execz .LBB740_389
; %bb.388:
	s_waitcnt lgkmcnt(0)
	v_add_f32_e32 v2, v2, v5
	v_cvt_i32_f32_e32 v6, v2
	v_ashrrev_i32_e32 v7, 31, v6
	v_lshl_add_u64 v[6:7], v[6:7], 2, s[66:67]
	global_load_dword v2, v[6:7], off
.LBB740_389:
	s_or_b64 exec, exec, s[6:7]
	v_cmp_gt_u32_e32 vcc, 60, v3
	v_add_u32_e32 v6, 4, v3
	s_waitcnt lgkmcnt(0)
	v_cndmask_b32_e64 v5, 0, 4, vcc
	v_add_lshl_u32 v5, v5, v1, 2
	s_waitcnt vmcnt(0)
	ds_bpermute_b32 v5, v5, v2
	;; [unrolled: 19-line block ×4, first 2 shown]
	v_cmp_lt_u32_e32 vcc, v6, v4
	s_and_saveexec_b64 s[6:7], vcc
	s_cbranch_execz .LBB740_395
; %bb.394:
	s_waitcnt lgkmcnt(0)
	v_add_f32_e32 v2, v2, v5
	v_cvt_i32_f32_e32 v6, v2
	v_ashrrev_i32_e32 v7, 31, v6
	v_lshl_add_u64 v[6:7], v[6:7], 2, s[66:67]
	global_load_dword v2, v[6:7], off
.LBB740_395:
	s_or_b64 exec, exec, s[6:7]
	s_waitcnt lgkmcnt(0)
	v_lshlrev_b32_e32 v5, 2, v1
	v_or_b32_e32 v6, 0x80, v5
	s_waitcnt vmcnt(0)
	ds_bpermute_b32 v6, v6, v2
	v_add_u32_e32 v3, 32, v3
	v_cmp_lt_u32_e32 vcc, v3, v4
	s_and_saveexec_b64 s[6:7], vcc
	s_cbranch_execz .LBB740_397
; %bb.396:
	s_waitcnt lgkmcnt(0)
	v_add_f32_e32 v2, v2, v6
	v_cvt_i32_f32_e32 v2, v2
	v_ashrrev_i32_e32 v3, 31, v2
	v_lshl_add_u64 v[2:3], v[2:3], 2, s[66:67]
	global_load_dword v2, v[2:3], off
.LBB740_397:
	s_or_b64 exec, exec, s[6:7]
	v_cmp_eq_u32_e32 vcc, 0, v1
	s_and_saveexec_b64 s[6:7], vcc
	s_cbranch_execz .LBB740_399
; %bb.398:
	v_lshrrev_b32_e32 v3, 4, v0
	v_and_b32_e32 v3, 12, v3
	s_waitcnt vmcnt(0)
	ds_write_b32 v3, v2
.LBB740_399:
	s_or_b64 exec, exec, s[6:7]
	v_cmp_gt_u32_e32 vcc, 4, v0
	s_waitcnt lgkmcnt(0)
	s_barrier
                                        ; implicit-def: $vgpr3
	s_and_saveexec_b64 s[6:7], vcc
	s_cbranch_execz .LBB740_403
; %bb.400:
	s_waitcnt vmcnt(0)
	ds_read_b32 v2, v5
	v_and_b32_e32 v3, 3, v1
	v_cmp_ne_u32_e32 vcc, 3, v3
	s_add_i32 s8, s8, 63
	s_lshr_b32 s10, s8, 6
	v_addc_co_u32_e32 v1, vcc, 0, v1, vcc
	v_lshlrev_b32_e32 v1, 2, v1
	s_waitcnt lgkmcnt(0)
	ds_bpermute_b32 v1, v1, v2
	v_add_u32_e32 v4, 1, v3
	v_cmp_gt_u32_e32 vcc, s10, v4
	s_and_saveexec_b64 s[8:9], vcc
	s_cbranch_execz .LBB740_402
; %bb.401:
	s_waitcnt lgkmcnt(0)
	v_add_f32_e32 v1, v2, v1
	v_cvt_i32_f32_e32 v6, v1
	v_ashrrev_i32_e32 v7, 31, v6
	v_lshl_add_u64 v[6:7], v[6:7], 2, s[66:67]
	global_load_dword v2, v[6:7], off
.LBB740_402:
	s_or_b64 exec, exec, s[8:9]
	s_waitcnt lgkmcnt(0)
	v_add_u32_e32 v1, 2, v3
	v_or_b32_e32 v3, 8, v5
	s_waitcnt vmcnt(0)
	ds_bpermute_b32 v3, v3, v2
	v_cmp_gt_u32_e32 vcc, s10, v1
	s_andn2_b64 s[4:5], s[4:5], exec
	s_and_b64 s[8:9], vcc, exec
	s_or_b64 s[4:5], s[4:5], s[8:9]
.LBB740_403:
	s_or_b64 exec, exec, s[6:7]
.LBB740_404:
	s_and_saveexec_b64 s[6:7], s[4:5]
	s_cbranch_execz .LBB740_406
; %bb.405:
	s_waitcnt vmcnt(0) lgkmcnt(0)
	v_add_f32_e32 v1, v2, v3
	v_cvt_i32_f32_e32 v2, v1
	v_ashrrev_i32_e32 v3, 31, v2
	v_lshl_add_u64 v[2:3], v[2:3], 2, s[66:67]
	global_load_dword v2, v[2:3], off
.LBB740_406:
	s_or_b64 exec, exec, s[6:7]
	v_cmp_eq_u32_e32 vcc, 0, v0
	s_and_saveexec_b64 s[4:5], vcc
	s_cbranch_execz .LBB740_408
; %bb.407:
	s_cmp_eq_u64 s[70:71], 0
	s_cselect_b64 s[6:7], -1, 0
	s_cmp_lg_u64 s[70:71], 0
	s_cselect_b64 s[8:9], -1, 0
	s_andn2_b64 s[10:11], s[34:35], exec
	s_and_b64 s[6:7], s[6:7], exec
	s_or_b64 s[34:35], s[10:11], s[6:7]
	s_andn2_b64 s[6:7], s[36:37], exec
	s_and_b64 s[8:9], s[8:9], exec
	s_or_b64 s[36:37], s[6:7], s[8:9]
.LBB740_408:
	s_or_b64 exec, exec, s[4:5]
	v_mov_b32_e32 v0, s33
	s_and_saveexec_b64 s[4:5], s[36:37]
	s_cbranch_execz .LBB740_380
.LBB740_409:
	s_waitcnt vmcnt(0)
	v_add_f32_e32 v0, s33, v2
	v_cvt_i32_f32_e32 v0, v0
	s_or_b64 s[34:35], s[34:35], exec
	v_ashrrev_i32_e32 v1, 31, v0
	v_lshl_add_u64 v[0:1], v[0:1], 2, s[66:67]
	global_load_dword v0, v[0:1], off
	s_or_b64 exec, exec, s[4:5]
	s_and_saveexec_b64 s[4:5], s[34:35]
	s_cbranch_execz .LBB740_381
.LBB740_410:
	s_load_dwordx2 s[0:1], s[0:1], 0x18
	s_lshl_b64 s[2:3], s[2:3], 2
	v_mov_b32_e32 v1, 0
	s_waitcnt lgkmcnt(0)
	s_add_u32 s0, s0, s2
	s_addc_u32 s1, s1, s3
	s_waitcnt vmcnt(0)
	global_store_dword v1, v0, s[0:1]
	s_endpgm
.LBB740_411:
	v_lshlrev_b32_e32 v1, 2, v1
	global_load_dword v33, v1, s[76:77]
	s_or_b64 exec, exec, s[78:79]
	s_and_saveexec_b64 s[76:77], s[64:65]
	s_cbranch_execz .LBB740_88
.LBB740_412:
	s_waitcnt vmcnt(0)
	v_add_f32_e32 v1, v2, v3
	v_cvt_i32_f32_e32 v2, v1
	v_ashrrev_i32_e32 v3, 31, v2
	v_lshl_add_u64 v[2:3], v[2:3], 2, s[66:67]
	global_load_dword v2, v[2:3], off
	s_or_b64 exec, exec, s[76:77]
	s_and_saveexec_b64 s[64:65], s[62:63]
	s_cbranch_execz .LBB740_89
.LBB740_413:
	s_waitcnt vmcnt(0)
	v_add_f32_e32 v1, v4, v2
	v_cvt_i32_f32_e32 v2, v1
	v_ashrrev_i32_e32 v3, 31, v2
	v_lshl_add_u64 v[2:3], v[2:3], 2, s[66:67]
	global_load_dword v2, v[2:3], off
	s_or_b64 exec, exec, s[64:65]
	s_and_saveexec_b64 s[62:63], s[60:61]
	s_cbranch_execz .LBB740_90
.LBB740_414:
	s_waitcnt vmcnt(0)
	v_add_f32_e32 v1, v5, v2
	v_cvt_i32_f32_e32 v2, v1
	v_ashrrev_i32_e32 v3, 31, v2
	v_lshl_add_u64 v[2:3], v[2:3], 2, s[66:67]
	global_load_dword v2, v[2:3], off
	s_or_b64 exec, exec, s[62:63]
	s_and_saveexec_b64 s[60:61], s[58:59]
	s_cbranch_execz .LBB740_91
.LBB740_415:
	s_waitcnt vmcnt(0)
	v_add_f32_e32 v1, v6, v2
	v_cvt_i32_f32_e32 v2, v1
	v_ashrrev_i32_e32 v3, 31, v2
	v_lshl_add_u64 v[2:3], v[2:3], 2, s[66:67]
	global_load_dword v2, v[2:3], off
	s_or_b64 exec, exec, s[60:61]
	s_and_saveexec_b64 s[58:59], s[56:57]
	s_cbranch_execz .LBB740_92
.LBB740_416:
	s_waitcnt vmcnt(0)
	v_add_f32_e32 v1, v7, v2
	v_cvt_i32_f32_e32 v2, v1
	v_ashrrev_i32_e32 v3, 31, v2
	v_lshl_add_u64 v[2:3], v[2:3], 2, s[66:67]
	global_load_dword v2, v[2:3], off
	s_or_b64 exec, exec, s[58:59]
	s_and_saveexec_b64 s[56:57], s[54:55]
	s_cbranch_execz .LBB740_93
.LBB740_417:
	s_waitcnt vmcnt(0)
	v_add_f32_e32 v1, v8, v2
	v_cvt_i32_f32_e32 v2, v1
	v_ashrrev_i32_e32 v3, 31, v2
	v_lshl_add_u64 v[2:3], v[2:3], 2, s[66:67]
	global_load_dword v2, v[2:3], off
	s_or_b64 exec, exec, s[56:57]
	s_and_saveexec_b64 s[54:55], s[52:53]
	s_cbranch_execz .LBB740_94
.LBB740_418:
	s_waitcnt vmcnt(0)
	v_add_f32_e32 v1, v9, v2
	v_cvt_i32_f32_e32 v2, v1
	v_ashrrev_i32_e32 v3, 31, v2
	v_lshl_add_u64 v[2:3], v[2:3], 2, s[66:67]
	global_load_dword v2, v[2:3], off
	s_or_b64 exec, exec, s[54:55]
	s_and_saveexec_b64 s[52:53], s[50:51]
	s_cbranch_execz .LBB740_95
.LBB740_419:
	s_waitcnt vmcnt(0)
	v_add_f32_e32 v1, v10, v2
	v_cvt_i32_f32_e32 v2, v1
	v_ashrrev_i32_e32 v3, 31, v2
	v_lshl_add_u64 v[2:3], v[2:3], 2, s[66:67]
	global_load_dword v2, v[2:3], off
	s_or_b64 exec, exec, s[52:53]
	s_and_saveexec_b64 s[50:51], s[48:49]
	s_cbranch_execz .LBB740_96
.LBB740_420:
	s_waitcnt vmcnt(0)
	v_add_f32_e32 v1, v11, v2
	v_cvt_i32_f32_e32 v2, v1
	v_ashrrev_i32_e32 v3, 31, v2
	v_lshl_add_u64 v[2:3], v[2:3], 2, s[66:67]
	global_load_dword v2, v[2:3], off
	s_or_b64 exec, exec, s[50:51]
	s_and_saveexec_b64 s[48:49], s[46:47]
	s_cbranch_execz .LBB740_97
.LBB740_421:
	s_waitcnt vmcnt(0)
	v_add_f32_e32 v1, v12, v2
	v_cvt_i32_f32_e32 v2, v1
	v_ashrrev_i32_e32 v3, 31, v2
	v_lshl_add_u64 v[2:3], v[2:3], 2, s[66:67]
	global_load_dword v2, v[2:3], off
	s_or_b64 exec, exec, s[48:49]
	s_and_saveexec_b64 s[46:47], s[44:45]
	s_cbranch_execz .LBB740_98
.LBB740_422:
	s_waitcnt vmcnt(0)
	v_add_f32_e32 v1, v13, v2
	v_cvt_i32_f32_e32 v2, v1
	v_ashrrev_i32_e32 v3, 31, v2
	v_lshl_add_u64 v[2:3], v[2:3], 2, s[66:67]
	global_load_dword v2, v[2:3], off
	s_or_b64 exec, exec, s[46:47]
	s_and_saveexec_b64 s[44:45], s[42:43]
	s_cbranch_execz .LBB740_99
.LBB740_423:
	s_waitcnt vmcnt(0)
	v_add_f32_e32 v1, v14, v2
	v_cvt_i32_f32_e32 v2, v1
	v_ashrrev_i32_e32 v3, 31, v2
	v_lshl_add_u64 v[2:3], v[2:3], 2, s[66:67]
	global_load_dword v2, v[2:3], off
	s_or_b64 exec, exec, s[44:45]
	s_and_saveexec_b64 s[42:43], s[40:41]
	s_cbranch_execz .LBB740_100
.LBB740_424:
	s_waitcnt vmcnt(0)
	v_add_f32_e32 v1, v15, v2
	v_cvt_i32_f32_e32 v2, v1
	v_ashrrev_i32_e32 v3, 31, v2
	v_lshl_add_u64 v[2:3], v[2:3], 2, s[66:67]
	global_load_dword v2, v[2:3], off
	s_or_b64 exec, exec, s[42:43]
	s_and_saveexec_b64 s[40:41], s[38:39]
	s_cbranch_execz .LBB740_101
.LBB740_425:
	s_waitcnt vmcnt(0)
	v_add_f32_e32 v1, v16, v2
	v_cvt_i32_f32_e32 v2, v1
	v_ashrrev_i32_e32 v3, 31, v2
	v_lshl_add_u64 v[2:3], v[2:3], 2, s[66:67]
	global_load_dword v2, v[2:3], off
	s_or_b64 exec, exec, s[40:41]
	s_and_saveexec_b64 s[38:39], s[36:37]
	s_cbranch_execz .LBB740_102
.LBB740_426:
	s_waitcnt vmcnt(0)
	v_add_f32_e32 v1, v17, v2
	v_cvt_i32_f32_e32 v2, v1
	v_ashrrev_i32_e32 v3, 31, v2
	v_lshl_add_u64 v[2:3], v[2:3], 2, s[66:67]
	global_load_dword v2, v[2:3], off
	s_or_b64 exec, exec, s[38:39]
	s_and_saveexec_b64 s[36:37], s[34:35]
	s_cbranch_execz .LBB740_103
.LBB740_427:
	s_waitcnt vmcnt(0)
	v_add_f32_e32 v1, v18, v2
	v_cvt_i32_f32_e32 v2, v1
	v_ashrrev_i32_e32 v3, 31, v2
	v_lshl_add_u64 v[2:3], v[2:3], 2, s[66:67]
	global_load_dword v2, v[2:3], off
	s_or_b64 exec, exec, s[36:37]
	s_and_saveexec_b64 s[34:35], s[30:31]
	s_cbranch_execz .LBB740_104
.LBB740_428:
	s_waitcnt vmcnt(0)
	v_add_f32_e32 v1, v19, v2
	v_cvt_i32_f32_e32 v2, v1
	v_ashrrev_i32_e32 v3, 31, v2
	v_lshl_add_u64 v[2:3], v[2:3], 2, s[66:67]
	global_load_dword v2, v[2:3], off
	s_or_b64 exec, exec, s[34:35]
	s_and_saveexec_b64 s[30:31], s[28:29]
	s_cbranch_execz .LBB740_105
.LBB740_429:
	s_waitcnt vmcnt(0)
	v_add_f32_e32 v1, v20, v2
	v_cvt_i32_f32_e32 v2, v1
	v_ashrrev_i32_e32 v3, 31, v2
	v_lshl_add_u64 v[2:3], v[2:3], 2, s[66:67]
	global_load_dword v2, v[2:3], off
	s_or_b64 exec, exec, s[30:31]
	s_and_saveexec_b64 s[28:29], s[26:27]
	s_cbranch_execz .LBB740_106
.LBB740_430:
	s_waitcnt vmcnt(0)
	v_add_f32_e32 v1, v21, v2
	v_cvt_i32_f32_e32 v2, v1
	v_ashrrev_i32_e32 v3, 31, v2
	v_lshl_add_u64 v[2:3], v[2:3], 2, s[66:67]
	global_load_dword v2, v[2:3], off
	s_or_b64 exec, exec, s[28:29]
	s_and_saveexec_b64 s[26:27], s[24:25]
	s_cbranch_execz .LBB740_107
.LBB740_431:
	s_waitcnt vmcnt(0)
	v_add_f32_e32 v1, v22, v2
	v_cvt_i32_f32_e32 v2, v1
	v_ashrrev_i32_e32 v3, 31, v2
	v_lshl_add_u64 v[2:3], v[2:3], 2, s[66:67]
	global_load_dword v2, v[2:3], off
	s_or_b64 exec, exec, s[26:27]
	s_and_saveexec_b64 s[24:25], s[22:23]
	s_cbranch_execz .LBB740_108
.LBB740_432:
	s_waitcnt vmcnt(0)
	v_add_f32_e32 v1, v23, v2
	v_cvt_i32_f32_e32 v2, v1
	v_ashrrev_i32_e32 v3, 31, v2
	v_lshl_add_u64 v[2:3], v[2:3], 2, s[66:67]
	global_load_dword v2, v[2:3], off
	s_or_b64 exec, exec, s[24:25]
	s_and_saveexec_b64 s[22:23], s[20:21]
	s_cbranch_execz .LBB740_109
.LBB740_433:
	s_waitcnt vmcnt(0)
	v_add_f32_e32 v1, v24, v2
	v_cvt_i32_f32_e32 v2, v1
	v_ashrrev_i32_e32 v3, 31, v2
	v_lshl_add_u64 v[2:3], v[2:3], 2, s[66:67]
	global_load_dword v2, v[2:3], off
	s_or_b64 exec, exec, s[22:23]
	s_and_saveexec_b64 s[20:21], s[18:19]
	s_cbranch_execz .LBB740_110
.LBB740_434:
	s_waitcnt vmcnt(0)
	v_add_f32_e32 v1, v25, v2
	v_cvt_i32_f32_e32 v2, v1
	v_ashrrev_i32_e32 v3, 31, v2
	v_lshl_add_u64 v[2:3], v[2:3], 2, s[66:67]
	global_load_dword v2, v[2:3], off
	s_or_b64 exec, exec, s[20:21]
	s_and_saveexec_b64 s[18:19], s[16:17]
	s_cbranch_execz .LBB740_111
.LBB740_435:
	s_waitcnt vmcnt(0)
	v_add_f32_e32 v1, v26, v2
	v_cvt_i32_f32_e32 v2, v1
	v_ashrrev_i32_e32 v3, 31, v2
	v_lshl_add_u64 v[2:3], v[2:3], 2, s[66:67]
	global_load_dword v2, v[2:3], off
	s_or_b64 exec, exec, s[18:19]
	s_and_saveexec_b64 s[16:17], s[14:15]
	s_cbranch_execz .LBB740_112
.LBB740_436:
	s_waitcnt vmcnt(0)
	v_add_f32_e32 v1, v27, v2
	v_cvt_i32_f32_e32 v2, v1
	v_ashrrev_i32_e32 v3, 31, v2
	v_lshl_add_u64 v[2:3], v[2:3], 2, s[66:67]
	global_load_dword v2, v[2:3], off
	s_or_b64 exec, exec, s[16:17]
	s_and_saveexec_b64 s[14:15], s[12:13]
	s_cbranch_execz .LBB740_113
.LBB740_437:
	s_waitcnt vmcnt(0)
	v_add_f32_e32 v1, v28, v2
	v_cvt_i32_f32_e32 v2, v1
	v_ashrrev_i32_e32 v3, 31, v2
	v_lshl_add_u64 v[2:3], v[2:3], 2, s[66:67]
	global_load_dword v2, v[2:3], off
	s_or_b64 exec, exec, s[14:15]
	s_and_saveexec_b64 s[12:13], s[10:11]
	s_cbranch_execz .LBB740_114
.LBB740_438:
	s_waitcnt vmcnt(0)
	v_add_f32_e32 v1, v29, v2
	v_cvt_i32_f32_e32 v2, v1
	v_ashrrev_i32_e32 v3, 31, v2
	v_lshl_add_u64 v[2:3], v[2:3], 2, s[66:67]
	global_load_dword v2, v[2:3], off
	s_or_b64 exec, exec, s[12:13]
	s_and_saveexec_b64 s[10:11], s[8:9]
	s_cbranch_execz .LBB740_115
.LBB740_439:
	s_waitcnt vmcnt(0)
	v_add_f32_e32 v1, v30, v2
	v_cvt_i32_f32_e32 v2, v1
	v_ashrrev_i32_e32 v3, 31, v2
	v_lshl_add_u64 v[2:3], v[2:3], 2, s[66:67]
	global_load_dword v2, v[2:3], off
	s_or_b64 exec, exec, s[10:11]
	s_and_saveexec_b64 s[8:9], s[6:7]
	s_cbranch_execz .LBB740_116
.LBB740_440:
	s_waitcnt vmcnt(0)
	v_add_f32_e32 v1, v31, v2
	v_cvt_i32_f32_e32 v2, v1
	v_ashrrev_i32_e32 v3, 31, v2
	v_lshl_add_u64 v[2:3], v[2:3], 2, s[66:67]
	global_load_dword v2, v[2:3], off
	s_or_b64 exec, exec, s[8:9]
	s_and_saveexec_b64 s[6:7], s[4:5]
	s_cbranch_execz .LBB740_117
.LBB740_441:
	s_waitcnt vmcnt(0)
	v_add_f32_e32 v1, v32, v2
	v_cvt_i32_f32_e32 v2, v1
	v_ashrrev_i32_e32 v3, 31, v2
	v_lshl_add_u64 v[2:3], v[2:3], 2, s[66:67]
	global_load_dword v2, v[2:3], off
	s_or_b64 exec, exec, s[6:7]
	s_and_saveexec_b64 s[4:5], vcc
	s_cbranch_execnz .LBB740_118
	s_branch .LBB740_119
.LBB740_442:
	v_lshlrev_b32_e32 v1, 2, v1
	global_load_dword v17, v1, s[40:41]
	s_or_b64 exec, exec, s[42:43]
	s_and_saveexec_b64 s[40:41], s[30:31]
	s_cbranch_execz .LBB740_178
.LBB740_443:
	s_waitcnt vmcnt(0)
	v_add_f32_e32 v1, v2, v3
	v_cvt_i32_f32_e32 v2, v1
	v_ashrrev_i32_e32 v3, 31, v2
	v_lshl_add_u64 v[2:3], v[2:3], 2, s[66:67]
	global_load_dword v2, v[2:3], off
	s_or_b64 exec, exec, s[40:41]
	s_and_saveexec_b64 s[30:31], s[28:29]
	s_cbranch_execz .LBB740_179
.LBB740_444:
	s_waitcnt vmcnt(0)
	v_add_f32_e32 v1, v4, v2
	v_cvt_i32_f32_e32 v2, v1
	v_ashrrev_i32_e32 v3, 31, v2
	v_lshl_add_u64 v[2:3], v[2:3], 2, s[66:67]
	global_load_dword v2, v[2:3], off
	s_or_b64 exec, exec, s[30:31]
	s_and_saveexec_b64 s[28:29], s[26:27]
	s_cbranch_execz .LBB740_180
.LBB740_445:
	s_waitcnt vmcnt(0)
	v_add_f32_e32 v1, v5, v2
	v_cvt_i32_f32_e32 v2, v1
	v_ashrrev_i32_e32 v3, 31, v2
	v_lshl_add_u64 v[2:3], v[2:3], 2, s[66:67]
	global_load_dword v2, v[2:3], off
	s_or_b64 exec, exec, s[28:29]
	s_and_saveexec_b64 s[26:27], s[24:25]
	s_cbranch_execz .LBB740_181
.LBB740_446:
	s_waitcnt vmcnt(0)
	v_add_f32_e32 v1, v6, v2
	v_cvt_i32_f32_e32 v2, v1
	v_ashrrev_i32_e32 v3, 31, v2
	v_lshl_add_u64 v[2:3], v[2:3], 2, s[66:67]
	global_load_dword v2, v[2:3], off
	s_or_b64 exec, exec, s[26:27]
	s_and_saveexec_b64 s[24:25], s[22:23]
	s_cbranch_execz .LBB740_182
.LBB740_447:
	s_waitcnt vmcnt(0)
	v_add_f32_e32 v1, v7, v2
	v_cvt_i32_f32_e32 v2, v1
	v_ashrrev_i32_e32 v3, 31, v2
	v_lshl_add_u64 v[2:3], v[2:3], 2, s[66:67]
	global_load_dword v2, v[2:3], off
	s_or_b64 exec, exec, s[24:25]
	s_and_saveexec_b64 s[22:23], s[20:21]
	s_cbranch_execz .LBB740_183
.LBB740_448:
	s_waitcnt vmcnt(0)
	v_add_f32_e32 v1, v8, v2
	v_cvt_i32_f32_e32 v2, v1
	v_ashrrev_i32_e32 v3, 31, v2
	v_lshl_add_u64 v[2:3], v[2:3], 2, s[66:67]
	global_load_dword v2, v[2:3], off
	s_or_b64 exec, exec, s[22:23]
	s_and_saveexec_b64 s[20:21], s[18:19]
	s_cbranch_execz .LBB740_184
.LBB740_449:
	s_waitcnt vmcnt(0)
	v_add_f32_e32 v1, v9, v2
	v_cvt_i32_f32_e32 v2, v1
	v_ashrrev_i32_e32 v3, 31, v2
	v_lshl_add_u64 v[2:3], v[2:3], 2, s[66:67]
	global_load_dword v2, v[2:3], off
	s_or_b64 exec, exec, s[20:21]
	s_and_saveexec_b64 s[18:19], s[16:17]
	s_cbranch_execz .LBB740_185
.LBB740_450:
	s_waitcnt vmcnt(0)
	v_add_f32_e32 v1, v10, v2
	v_cvt_i32_f32_e32 v2, v1
	v_ashrrev_i32_e32 v3, 31, v2
	v_lshl_add_u64 v[2:3], v[2:3], 2, s[66:67]
	global_load_dword v2, v[2:3], off
	s_or_b64 exec, exec, s[18:19]
	s_and_saveexec_b64 s[16:17], s[14:15]
	s_cbranch_execz .LBB740_186
.LBB740_451:
	s_waitcnt vmcnt(0)
	v_add_f32_e32 v1, v11, v2
	v_cvt_i32_f32_e32 v2, v1
	v_ashrrev_i32_e32 v3, 31, v2
	v_lshl_add_u64 v[2:3], v[2:3], 2, s[66:67]
	global_load_dword v2, v[2:3], off
	s_or_b64 exec, exec, s[16:17]
	s_and_saveexec_b64 s[14:15], s[12:13]
	s_cbranch_execz .LBB740_187
.LBB740_452:
	s_waitcnt vmcnt(0)
	v_add_f32_e32 v1, v12, v2
	v_cvt_i32_f32_e32 v2, v1
	v_ashrrev_i32_e32 v3, 31, v2
	v_lshl_add_u64 v[2:3], v[2:3], 2, s[66:67]
	global_load_dword v2, v[2:3], off
	s_or_b64 exec, exec, s[14:15]
	s_and_saveexec_b64 s[12:13], s[10:11]
	s_cbranch_execz .LBB740_188
.LBB740_453:
	s_waitcnt vmcnt(0)
	v_add_f32_e32 v1, v13, v2
	v_cvt_i32_f32_e32 v2, v1
	v_ashrrev_i32_e32 v3, 31, v2
	v_lshl_add_u64 v[2:3], v[2:3], 2, s[66:67]
	global_load_dword v2, v[2:3], off
	s_or_b64 exec, exec, s[12:13]
	s_and_saveexec_b64 s[10:11], s[8:9]
	s_cbranch_execz .LBB740_189
.LBB740_454:
	s_waitcnt vmcnt(0)
	v_add_f32_e32 v1, v14, v2
	v_cvt_i32_f32_e32 v2, v1
	v_ashrrev_i32_e32 v3, 31, v2
	v_lshl_add_u64 v[2:3], v[2:3], 2, s[66:67]
	global_load_dword v2, v[2:3], off
	s_or_b64 exec, exec, s[10:11]
	s_and_saveexec_b64 s[8:9], s[6:7]
	s_cbranch_execz .LBB740_190
.LBB740_455:
	s_waitcnt vmcnt(0)
	v_add_f32_e32 v1, v15, v2
	v_cvt_i32_f32_e32 v2, v1
	v_ashrrev_i32_e32 v3, 31, v2
	v_lshl_add_u64 v[2:3], v[2:3], 2, s[66:67]
	global_load_dword v2, v[2:3], off
	s_or_b64 exec, exec, s[8:9]
	s_and_saveexec_b64 s[6:7], s[4:5]
	s_cbranch_execz .LBB740_191
.LBB740_456:
	s_waitcnt vmcnt(0)
	v_add_f32_e32 v1, v16, v2
	v_cvt_i32_f32_e32 v2, v1
	v_ashrrev_i32_e32 v3, 31, v2
	v_lshl_add_u64 v[2:3], v[2:3], 2, s[66:67]
	global_load_dword v2, v[2:3], off
	s_or_b64 exec, exec, s[6:7]
	s_and_saveexec_b64 s[4:5], vcc
	s_cbranch_execnz .LBB740_192
	s_branch .LBB740_193
.LBB740_457:
	v_lshlrev_b32_e32 v1, 2, v0
	global_load_dword v5, v1, s[10:11] offset:3072
	s_or_b64 exec, exec, s[12:13]
	s_and_saveexec_b64 s[10:11], s[6:7]
	s_cbranch_execz .LBB740_304
.LBB740_458:
	s_waitcnt vmcnt(0)
	v_add_f32_e32 v1, v2, v3
	v_cvt_i32_f32_e32 v2, v1
	v_ashrrev_i32_e32 v3, 31, v2
	v_lshl_add_u64 v[2:3], v[2:3], 2, s[66:67]
	global_load_dword v2, v[2:3], off
	s_or_b64 exec, exec, s[10:11]
	s_and_saveexec_b64 s[6:7], s[4:5]
	s_cbranch_execz .LBB740_305
.LBB740_459:
	s_waitcnt vmcnt(0)
	v_add_f32_e32 v1, v4, v2
	v_cvt_i32_f32_e32 v2, v1
	v_ashrrev_i32_e32 v3, 31, v2
	v_lshl_add_u64 v[2:3], v[2:3], 2, s[66:67]
	global_load_dword v2, v[2:3], off
	s_or_b64 exec, exec, s[6:7]
	s_and_saveexec_b64 s[4:5], vcc
	s_cbranch_execnz .LBB740_306
	s_branch .LBB740_307
	.section	.rodata,"a",@progbits
	.p2align	6, 0x0
	.amdhsa_kernel _ZN7rocprim17ROCPRIM_400000_NS6detail17trampoline_kernelINS0_14default_configENS1_22reduce_config_selectorIfEEZNS1_11reduce_implILb1ES3_PfS7_f9plus_mod3IfEEE10hipError_tPvRmT1_T2_T3_mT4_P12ihipStream_tbEUlT_E1_NS1_11comp_targetILNS1_3genE0ELNS1_11target_archE4294967295ELNS1_3gpuE0ELNS1_3repE0EEENS1_30default_config_static_selectorELNS0_4arch9wavefront6targetE1EEEvSD_
		.amdhsa_group_segment_fixed_size 112
		.amdhsa_private_segment_fixed_size 0
		.amdhsa_kernarg_size 48
		.amdhsa_user_sgpr_count 2
		.amdhsa_user_sgpr_dispatch_ptr 0
		.amdhsa_user_sgpr_queue_ptr 0
		.amdhsa_user_sgpr_kernarg_segment_ptr 1
		.amdhsa_user_sgpr_dispatch_id 0
		.amdhsa_user_sgpr_kernarg_preload_length 0
		.amdhsa_user_sgpr_kernarg_preload_offset 0
		.amdhsa_user_sgpr_private_segment_size 0
		.amdhsa_uses_dynamic_stack 0
		.amdhsa_enable_private_segment 0
		.amdhsa_system_sgpr_workgroup_id_x 1
		.amdhsa_system_sgpr_workgroup_id_y 0
		.amdhsa_system_sgpr_workgroup_id_z 0
		.amdhsa_system_sgpr_workgroup_info 0
		.amdhsa_system_vgpr_workitem_id 0
		.amdhsa_next_free_vgpr 36
		.amdhsa_next_free_sgpr 82
		.amdhsa_accum_offset 36
		.amdhsa_reserve_vcc 1
		.amdhsa_float_round_mode_32 0
		.amdhsa_float_round_mode_16_64 0
		.amdhsa_float_denorm_mode_32 3
		.amdhsa_float_denorm_mode_16_64 3
		.amdhsa_dx10_clamp 1
		.amdhsa_ieee_mode 1
		.amdhsa_fp16_overflow 0
		.amdhsa_tg_split 0
		.amdhsa_exception_fp_ieee_invalid_op 0
		.amdhsa_exception_fp_denorm_src 0
		.amdhsa_exception_fp_ieee_div_zero 0
		.amdhsa_exception_fp_ieee_overflow 0
		.amdhsa_exception_fp_ieee_underflow 0
		.amdhsa_exception_fp_ieee_inexact 0
		.amdhsa_exception_int_div_zero 0
	.end_amdhsa_kernel
	.section	.text._ZN7rocprim17ROCPRIM_400000_NS6detail17trampoline_kernelINS0_14default_configENS1_22reduce_config_selectorIfEEZNS1_11reduce_implILb1ES3_PfS7_f9plus_mod3IfEEE10hipError_tPvRmT1_T2_T3_mT4_P12ihipStream_tbEUlT_E1_NS1_11comp_targetILNS1_3genE0ELNS1_11target_archE4294967295ELNS1_3gpuE0ELNS1_3repE0EEENS1_30default_config_static_selectorELNS0_4arch9wavefront6targetE1EEEvSD_,"axG",@progbits,_ZN7rocprim17ROCPRIM_400000_NS6detail17trampoline_kernelINS0_14default_configENS1_22reduce_config_selectorIfEEZNS1_11reduce_implILb1ES3_PfS7_f9plus_mod3IfEEE10hipError_tPvRmT1_T2_T3_mT4_P12ihipStream_tbEUlT_E1_NS1_11comp_targetILNS1_3genE0ELNS1_11target_archE4294967295ELNS1_3gpuE0ELNS1_3repE0EEENS1_30default_config_static_selectorELNS0_4arch9wavefront6targetE1EEEvSD_,comdat
.Lfunc_end740:
	.size	_ZN7rocprim17ROCPRIM_400000_NS6detail17trampoline_kernelINS0_14default_configENS1_22reduce_config_selectorIfEEZNS1_11reduce_implILb1ES3_PfS7_f9plus_mod3IfEEE10hipError_tPvRmT1_T2_T3_mT4_P12ihipStream_tbEUlT_E1_NS1_11comp_targetILNS1_3genE0ELNS1_11target_archE4294967295ELNS1_3gpuE0ELNS1_3repE0EEENS1_30default_config_static_selectorELNS0_4arch9wavefront6targetE1EEEvSD_, .Lfunc_end740-_ZN7rocprim17ROCPRIM_400000_NS6detail17trampoline_kernelINS0_14default_configENS1_22reduce_config_selectorIfEEZNS1_11reduce_implILb1ES3_PfS7_f9plus_mod3IfEEE10hipError_tPvRmT1_T2_T3_mT4_P12ihipStream_tbEUlT_E1_NS1_11comp_targetILNS1_3genE0ELNS1_11target_archE4294967295ELNS1_3gpuE0ELNS1_3repE0EEENS1_30default_config_static_selectorELNS0_4arch9wavefront6targetE1EEEvSD_
                                        ; -- End function
	.set _ZN7rocprim17ROCPRIM_400000_NS6detail17trampoline_kernelINS0_14default_configENS1_22reduce_config_selectorIfEEZNS1_11reduce_implILb1ES3_PfS7_f9plus_mod3IfEEE10hipError_tPvRmT1_T2_T3_mT4_P12ihipStream_tbEUlT_E1_NS1_11comp_targetILNS1_3genE0ELNS1_11target_archE4294967295ELNS1_3gpuE0ELNS1_3repE0EEENS1_30default_config_static_selectorELNS0_4arch9wavefront6targetE1EEEvSD_.num_vgpr, 36
	.set _ZN7rocprim17ROCPRIM_400000_NS6detail17trampoline_kernelINS0_14default_configENS1_22reduce_config_selectorIfEEZNS1_11reduce_implILb1ES3_PfS7_f9plus_mod3IfEEE10hipError_tPvRmT1_T2_T3_mT4_P12ihipStream_tbEUlT_E1_NS1_11comp_targetILNS1_3genE0ELNS1_11target_archE4294967295ELNS1_3gpuE0ELNS1_3repE0EEENS1_30default_config_static_selectorELNS0_4arch9wavefront6targetE1EEEvSD_.num_agpr, 0
	.set _ZN7rocprim17ROCPRIM_400000_NS6detail17trampoline_kernelINS0_14default_configENS1_22reduce_config_selectorIfEEZNS1_11reduce_implILb1ES3_PfS7_f9plus_mod3IfEEE10hipError_tPvRmT1_T2_T3_mT4_P12ihipStream_tbEUlT_E1_NS1_11comp_targetILNS1_3genE0ELNS1_11target_archE4294967295ELNS1_3gpuE0ELNS1_3repE0EEENS1_30default_config_static_selectorELNS0_4arch9wavefront6targetE1EEEvSD_.numbered_sgpr, 82
	.set _ZN7rocprim17ROCPRIM_400000_NS6detail17trampoline_kernelINS0_14default_configENS1_22reduce_config_selectorIfEEZNS1_11reduce_implILb1ES3_PfS7_f9plus_mod3IfEEE10hipError_tPvRmT1_T2_T3_mT4_P12ihipStream_tbEUlT_E1_NS1_11comp_targetILNS1_3genE0ELNS1_11target_archE4294967295ELNS1_3gpuE0ELNS1_3repE0EEENS1_30default_config_static_selectorELNS0_4arch9wavefront6targetE1EEEvSD_.num_named_barrier, 0
	.set _ZN7rocprim17ROCPRIM_400000_NS6detail17trampoline_kernelINS0_14default_configENS1_22reduce_config_selectorIfEEZNS1_11reduce_implILb1ES3_PfS7_f9plus_mod3IfEEE10hipError_tPvRmT1_T2_T3_mT4_P12ihipStream_tbEUlT_E1_NS1_11comp_targetILNS1_3genE0ELNS1_11target_archE4294967295ELNS1_3gpuE0ELNS1_3repE0EEENS1_30default_config_static_selectorELNS0_4arch9wavefront6targetE1EEEvSD_.private_seg_size, 0
	.set _ZN7rocprim17ROCPRIM_400000_NS6detail17trampoline_kernelINS0_14default_configENS1_22reduce_config_selectorIfEEZNS1_11reduce_implILb1ES3_PfS7_f9plus_mod3IfEEE10hipError_tPvRmT1_T2_T3_mT4_P12ihipStream_tbEUlT_E1_NS1_11comp_targetILNS1_3genE0ELNS1_11target_archE4294967295ELNS1_3gpuE0ELNS1_3repE0EEENS1_30default_config_static_selectorELNS0_4arch9wavefront6targetE1EEEvSD_.uses_vcc, 1
	.set _ZN7rocprim17ROCPRIM_400000_NS6detail17trampoline_kernelINS0_14default_configENS1_22reduce_config_selectorIfEEZNS1_11reduce_implILb1ES3_PfS7_f9plus_mod3IfEEE10hipError_tPvRmT1_T2_T3_mT4_P12ihipStream_tbEUlT_E1_NS1_11comp_targetILNS1_3genE0ELNS1_11target_archE4294967295ELNS1_3gpuE0ELNS1_3repE0EEENS1_30default_config_static_selectorELNS0_4arch9wavefront6targetE1EEEvSD_.uses_flat_scratch, 0
	.set _ZN7rocprim17ROCPRIM_400000_NS6detail17trampoline_kernelINS0_14default_configENS1_22reduce_config_selectorIfEEZNS1_11reduce_implILb1ES3_PfS7_f9plus_mod3IfEEE10hipError_tPvRmT1_T2_T3_mT4_P12ihipStream_tbEUlT_E1_NS1_11comp_targetILNS1_3genE0ELNS1_11target_archE4294967295ELNS1_3gpuE0ELNS1_3repE0EEENS1_30default_config_static_selectorELNS0_4arch9wavefront6targetE1EEEvSD_.has_dyn_sized_stack, 0
	.set _ZN7rocprim17ROCPRIM_400000_NS6detail17trampoline_kernelINS0_14default_configENS1_22reduce_config_selectorIfEEZNS1_11reduce_implILb1ES3_PfS7_f9plus_mod3IfEEE10hipError_tPvRmT1_T2_T3_mT4_P12ihipStream_tbEUlT_E1_NS1_11comp_targetILNS1_3genE0ELNS1_11target_archE4294967295ELNS1_3gpuE0ELNS1_3repE0EEENS1_30default_config_static_selectorELNS0_4arch9wavefront6targetE1EEEvSD_.has_recursion, 0
	.set _ZN7rocprim17ROCPRIM_400000_NS6detail17trampoline_kernelINS0_14default_configENS1_22reduce_config_selectorIfEEZNS1_11reduce_implILb1ES3_PfS7_f9plus_mod3IfEEE10hipError_tPvRmT1_T2_T3_mT4_P12ihipStream_tbEUlT_E1_NS1_11comp_targetILNS1_3genE0ELNS1_11target_archE4294967295ELNS1_3gpuE0ELNS1_3repE0EEENS1_30default_config_static_selectorELNS0_4arch9wavefront6targetE1EEEvSD_.has_indirect_call, 0
	.section	.AMDGPU.csdata,"",@progbits
; Kernel info:
; codeLenInByte = 17380
; TotalNumSgprs: 88
; NumVgprs: 36
; NumAgprs: 0
; TotalNumVgprs: 36
; ScratchSize: 0
; MemoryBound: 0
; FloatMode: 240
; IeeeMode: 1
; LDSByteSize: 112 bytes/workgroup (compile time only)
; SGPRBlocks: 10
; VGPRBlocks: 4
; NumSGPRsForWavesPerEU: 88
; NumVGPRsForWavesPerEU: 36
; AccumOffset: 36
; Occupancy: 8
; WaveLimiterHint : 1
; COMPUTE_PGM_RSRC2:SCRATCH_EN: 0
; COMPUTE_PGM_RSRC2:USER_SGPR: 2
; COMPUTE_PGM_RSRC2:TRAP_HANDLER: 0
; COMPUTE_PGM_RSRC2:TGID_X_EN: 1
; COMPUTE_PGM_RSRC2:TGID_Y_EN: 0
; COMPUTE_PGM_RSRC2:TGID_Z_EN: 0
; COMPUTE_PGM_RSRC2:TIDIG_COMP_CNT: 0
; COMPUTE_PGM_RSRC3_GFX90A:ACCUM_OFFSET: 8
; COMPUTE_PGM_RSRC3_GFX90A:TG_SPLIT: 0
	.section	.text._ZN7rocprim17ROCPRIM_400000_NS6detail17trampoline_kernelINS0_14default_configENS1_22reduce_config_selectorIfEEZNS1_11reduce_implILb1ES3_PfS7_f9plus_mod3IfEEE10hipError_tPvRmT1_T2_T3_mT4_P12ihipStream_tbEUlT_E1_NS1_11comp_targetILNS1_3genE5ELNS1_11target_archE942ELNS1_3gpuE9ELNS1_3repE0EEENS1_30default_config_static_selectorELNS0_4arch9wavefront6targetE1EEEvSD_,"axG",@progbits,_ZN7rocprim17ROCPRIM_400000_NS6detail17trampoline_kernelINS0_14default_configENS1_22reduce_config_selectorIfEEZNS1_11reduce_implILb1ES3_PfS7_f9plus_mod3IfEEE10hipError_tPvRmT1_T2_T3_mT4_P12ihipStream_tbEUlT_E1_NS1_11comp_targetILNS1_3genE5ELNS1_11target_archE942ELNS1_3gpuE9ELNS1_3repE0EEENS1_30default_config_static_selectorELNS0_4arch9wavefront6targetE1EEEvSD_,comdat
	.protected	_ZN7rocprim17ROCPRIM_400000_NS6detail17trampoline_kernelINS0_14default_configENS1_22reduce_config_selectorIfEEZNS1_11reduce_implILb1ES3_PfS7_f9plus_mod3IfEEE10hipError_tPvRmT1_T2_T3_mT4_P12ihipStream_tbEUlT_E1_NS1_11comp_targetILNS1_3genE5ELNS1_11target_archE942ELNS1_3gpuE9ELNS1_3repE0EEENS1_30default_config_static_selectorELNS0_4arch9wavefront6targetE1EEEvSD_ ; -- Begin function _ZN7rocprim17ROCPRIM_400000_NS6detail17trampoline_kernelINS0_14default_configENS1_22reduce_config_selectorIfEEZNS1_11reduce_implILb1ES3_PfS7_f9plus_mod3IfEEE10hipError_tPvRmT1_T2_T3_mT4_P12ihipStream_tbEUlT_E1_NS1_11comp_targetILNS1_3genE5ELNS1_11target_archE942ELNS1_3gpuE9ELNS1_3repE0EEENS1_30default_config_static_selectorELNS0_4arch9wavefront6targetE1EEEvSD_
	.globl	_ZN7rocprim17ROCPRIM_400000_NS6detail17trampoline_kernelINS0_14default_configENS1_22reduce_config_selectorIfEEZNS1_11reduce_implILb1ES3_PfS7_f9plus_mod3IfEEE10hipError_tPvRmT1_T2_T3_mT4_P12ihipStream_tbEUlT_E1_NS1_11comp_targetILNS1_3genE5ELNS1_11target_archE942ELNS1_3gpuE9ELNS1_3repE0EEENS1_30default_config_static_selectorELNS0_4arch9wavefront6targetE1EEEvSD_
	.p2align	8
	.type	_ZN7rocprim17ROCPRIM_400000_NS6detail17trampoline_kernelINS0_14default_configENS1_22reduce_config_selectorIfEEZNS1_11reduce_implILb1ES3_PfS7_f9plus_mod3IfEEE10hipError_tPvRmT1_T2_T3_mT4_P12ihipStream_tbEUlT_E1_NS1_11comp_targetILNS1_3genE5ELNS1_11target_archE942ELNS1_3gpuE9ELNS1_3repE0EEENS1_30default_config_static_selectorELNS0_4arch9wavefront6targetE1EEEvSD_,@function
_ZN7rocprim17ROCPRIM_400000_NS6detail17trampoline_kernelINS0_14default_configENS1_22reduce_config_selectorIfEEZNS1_11reduce_implILb1ES3_PfS7_f9plus_mod3IfEEE10hipError_tPvRmT1_T2_T3_mT4_P12ihipStream_tbEUlT_E1_NS1_11comp_targetILNS1_3genE5ELNS1_11target_archE942ELNS1_3gpuE9ELNS1_3repE0EEENS1_30default_config_static_selectorELNS0_4arch9wavefront6targetE1EEEvSD_: ; @_ZN7rocprim17ROCPRIM_400000_NS6detail17trampoline_kernelINS0_14default_configENS1_22reduce_config_selectorIfEEZNS1_11reduce_implILb1ES3_PfS7_f9plus_mod3IfEEE10hipError_tPvRmT1_T2_T3_mT4_P12ihipStream_tbEUlT_E1_NS1_11comp_targetILNS1_3genE5ELNS1_11target_archE942ELNS1_3gpuE9ELNS1_3repE0EEENS1_30default_config_static_selectorELNS0_4arch9wavefront6targetE1EEEvSD_
; %bb.0:
	.section	.rodata,"a",@progbits
	.p2align	6, 0x0
	.amdhsa_kernel _ZN7rocprim17ROCPRIM_400000_NS6detail17trampoline_kernelINS0_14default_configENS1_22reduce_config_selectorIfEEZNS1_11reduce_implILb1ES3_PfS7_f9plus_mod3IfEEE10hipError_tPvRmT1_T2_T3_mT4_P12ihipStream_tbEUlT_E1_NS1_11comp_targetILNS1_3genE5ELNS1_11target_archE942ELNS1_3gpuE9ELNS1_3repE0EEENS1_30default_config_static_selectorELNS0_4arch9wavefront6targetE1EEEvSD_
		.amdhsa_group_segment_fixed_size 0
		.amdhsa_private_segment_fixed_size 0
		.amdhsa_kernarg_size 48
		.amdhsa_user_sgpr_count 2
		.amdhsa_user_sgpr_dispatch_ptr 0
		.amdhsa_user_sgpr_queue_ptr 0
		.amdhsa_user_sgpr_kernarg_segment_ptr 1
		.amdhsa_user_sgpr_dispatch_id 0
		.amdhsa_user_sgpr_kernarg_preload_length 0
		.amdhsa_user_sgpr_kernarg_preload_offset 0
		.amdhsa_user_sgpr_private_segment_size 0
		.amdhsa_uses_dynamic_stack 0
		.amdhsa_enable_private_segment 0
		.amdhsa_system_sgpr_workgroup_id_x 1
		.amdhsa_system_sgpr_workgroup_id_y 0
		.amdhsa_system_sgpr_workgroup_id_z 0
		.amdhsa_system_sgpr_workgroup_info 0
		.amdhsa_system_vgpr_workitem_id 0
		.amdhsa_next_free_vgpr 1
		.amdhsa_next_free_sgpr 0
		.amdhsa_accum_offset 4
		.amdhsa_reserve_vcc 0
		.amdhsa_float_round_mode_32 0
		.amdhsa_float_round_mode_16_64 0
		.amdhsa_float_denorm_mode_32 3
		.amdhsa_float_denorm_mode_16_64 3
		.amdhsa_dx10_clamp 1
		.amdhsa_ieee_mode 1
		.amdhsa_fp16_overflow 0
		.amdhsa_tg_split 0
		.amdhsa_exception_fp_ieee_invalid_op 0
		.amdhsa_exception_fp_denorm_src 0
		.amdhsa_exception_fp_ieee_div_zero 0
		.amdhsa_exception_fp_ieee_overflow 0
		.amdhsa_exception_fp_ieee_underflow 0
		.amdhsa_exception_fp_ieee_inexact 0
		.amdhsa_exception_int_div_zero 0
	.end_amdhsa_kernel
	.section	.text._ZN7rocprim17ROCPRIM_400000_NS6detail17trampoline_kernelINS0_14default_configENS1_22reduce_config_selectorIfEEZNS1_11reduce_implILb1ES3_PfS7_f9plus_mod3IfEEE10hipError_tPvRmT1_T2_T3_mT4_P12ihipStream_tbEUlT_E1_NS1_11comp_targetILNS1_3genE5ELNS1_11target_archE942ELNS1_3gpuE9ELNS1_3repE0EEENS1_30default_config_static_selectorELNS0_4arch9wavefront6targetE1EEEvSD_,"axG",@progbits,_ZN7rocprim17ROCPRIM_400000_NS6detail17trampoline_kernelINS0_14default_configENS1_22reduce_config_selectorIfEEZNS1_11reduce_implILb1ES3_PfS7_f9plus_mod3IfEEE10hipError_tPvRmT1_T2_T3_mT4_P12ihipStream_tbEUlT_E1_NS1_11comp_targetILNS1_3genE5ELNS1_11target_archE942ELNS1_3gpuE9ELNS1_3repE0EEENS1_30default_config_static_selectorELNS0_4arch9wavefront6targetE1EEEvSD_,comdat
.Lfunc_end741:
	.size	_ZN7rocprim17ROCPRIM_400000_NS6detail17trampoline_kernelINS0_14default_configENS1_22reduce_config_selectorIfEEZNS1_11reduce_implILb1ES3_PfS7_f9plus_mod3IfEEE10hipError_tPvRmT1_T2_T3_mT4_P12ihipStream_tbEUlT_E1_NS1_11comp_targetILNS1_3genE5ELNS1_11target_archE942ELNS1_3gpuE9ELNS1_3repE0EEENS1_30default_config_static_selectorELNS0_4arch9wavefront6targetE1EEEvSD_, .Lfunc_end741-_ZN7rocprim17ROCPRIM_400000_NS6detail17trampoline_kernelINS0_14default_configENS1_22reduce_config_selectorIfEEZNS1_11reduce_implILb1ES3_PfS7_f9plus_mod3IfEEE10hipError_tPvRmT1_T2_T3_mT4_P12ihipStream_tbEUlT_E1_NS1_11comp_targetILNS1_3genE5ELNS1_11target_archE942ELNS1_3gpuE9ELNS1_3repE0EEENS1_30default_config_static_selectorELNS0_4arch9wavefront6targetE1EEEvSD_
                                        ; -- End function
	.set _ZN7rocprim17ROCPRIM_400000_NS6detail17trampoline_kernelINS0_14default_configENS1_22reduce_config_selectorIfEEZNS1_11reduce_implILb1ES3_PfS7_f9plus_mod3IfEEE10hipError_tPvRmT1_T2_T3_mT4_P12ihipStream_tbEUlT_E1_NS1_11comp_targetILNS1_3genE5ELNS1_11target_archE942ELNS1_3gpuE9ELNS1_3repE0EEENS1_30default_config_static_selectorELNS0_4arch9wavefront6targetE1EEEvSD_.num_vgpr, 0
	.set _ZN7rocprim17ROCPRIM_400000_NS6detail17trampoline_kernelINS0_14default_configENS1_22reduce_config_selectorIfEEZNS1_11reduce_implILb1ES3_PfS7_f9plus_mod3IfEEE10hipError_tPvRmT1_T2_T3_mT4_P12ihipStream_tbEUlT_E1_NS1_11comp_targetILNS1_3genE5ELNS1_11target_archE942ELNS1_3gpuE9ELNS1_3repE0EEENS1_30default_config_static_selectorELNS0_4arch9wavefront6targetE1EEEvSD_.num_agpr, 0
	.set _ZN7rocprim17ROCPRIM_400000_NS6detail17trampoline_kernelINS0_14default_configENS1_22reduce_config_selectorIfEEZNS1_11reduce_implILb1ES3_PfS7_f9plus_mod3IfEEE10hipError_tPvRmT1_T2_T3_mT4_P12ihipStream_tbEUlT_E1_NS1_11comp_targetILNS1_3genE5ELNS1_11target_archE942ELNS1_3gpuE9ELNS1_3repE0EEENS1_30default_config_static_selectorELNS0_4arch9wavefront6targetE1EEEvSD_.numbered_sgpr, 0
	.set _ZN7rocprim17ROCPRIM_400000_NS6detail17trampoline_kernelINS0_14default_configENS1_22reduce_config_selectorIfEEZNS1_11reduce_implILb1ES3_PfS7_f9plus_mod3IfEEE10hipError_tPvRmT1_T2_T3_mT4_P12ihipStream_tbEUlT_E1_NS1_11comp_targetILNS1_3genE5ELNS1_11target_archE942ELNS1_3gpuE9ELNS1_3repE0EEENS1_30default_config_static_selectorELNS0_4arch9wavefront6targetE1EEEvSD_.num_named_barrier, 0
	.set _ZN7rocprim17ROCPRIM_400000_NS6detail17trampoline_kernelINS0_14default_configENS1_22reduce_config_selectorIfEEZNS1_11reduce_implILb1ES3_PfS7_f9plus_mod3IfEEE10hipError_tPvRmT1_T2_T3_mT4_P12ihipStream_tbEUlT_E1_NS1_11comp_targetILNS1_3genE5ELNS1_11target_archE942ELNS1_3gpuE9ELNS1_3repE0EEENS1_30default_config_static_selectorELNS0_4arch9wavefront6targetE1EEEvSD_.private_seg_size, 0
	.set _ZN7rocprim17ROCPRIM_400000_NS6detail17trampoline_kernelINS0_14default_configENS1_22reduce_config_selectorIfEEZNS1_11reduce_implILb1ES3_PfS7_f9plus_mod3IfEEE10hipError_tPvRmT1_T2_T3_mT4_P12ihipStream_tbEUlT_E1_NS1_11comp_targetILNS1_3genE5ELNS1_11target_archE942ELNS1_3gpuE9ELNS1_3repE0EEENS1_30default_config_static_selectorELNS0_4arch9wavefront6targetE1EEEvSD_.uses_vcc, 0
	.set _ZN7rocprim17ROCPRIM_400000_NS6detail17trampoline_kernelINS0_14default_configENS1_22reduce_config_selectorIfEEZNS1_11reduce_implILb1ES3_PfS7_f9plus_mod3IfEEE10hipError_tPvRmT1_T2_T3_mT4_P12ihipStream_tbEUlT_E1_NS1_11comp_targetILNS1_3genE5ELNS1_11target_archE942ELNS1_3gpuE9ELNS1_3repE0EEENS1_30default_config_static_selectorELNS0_4arch9wavefront6targetE1EEEvSD_.uses_flat_scratch, 0
	.set _ZN7rocprim17ROCPRIM_400000_NS6detail17trampoline_kernelINS0_14default_configENS1_22reduce_config_selectorIfEEZNS1_11reduce_implILb1ES3_PfS7_f9plus_mod3IfEEE10hipError_tPvRmT1_T2_T3_mT4_P12ihipStream_tbEUlT_E1_NS1_11comp_targetILNS1_3genE5ELNS1_11target_archE942ELNS1_3gpuE9ELNS1_3repE0EEENS1_30default_config_static_selectorELNS0_4arch9wavefront6targetE1EEEvSD_.has_dyn_sized_stack, 0
	.set _ZN7rocprim17ROCPRIM_400000_NS6detail17trampoline_kernelINS0_14default_configENS1_22reduce_config_selectorIfEEZNS1_11reduce_implILb1ES3_PfS7_f9plus_mod3IfEEE10hipError_tPvRmT1_T2_T3_mT4_P12ihipStream_tbEUlT_E1_NS1_11comp_targetILNS1_3genE5ELNS1_11target_archE942ELNS1_3gpuE9ELNS1_3repE0EEENS1_30default_config_static_selectorELNS0_4arch9wavefront6targetE1EEEvSD_.has_recursion, 0
	.set _ZN7rocprim17ROCPRIM_400000_NS6detail17trampoline_kernelINS0_14default_configENS1_22reduce_config_selectorIfEEZNS1_11reduce_implILb1ES3_PfS7_f9plus_mod3IfEEE10hipError_tPvRmT1_T2_T3_mT4_P12ihipStream_tbEUlT_E1_NS1_11comp_targetILNS1_3genE5ELNS1_11target_archE942ELNS1_3gpuE9ELNS1_3repE0EEENS1_30default_config_static_selectorELNS0_4arch9wavefront6targetE1EEEvSD_.has_indirect_call, 0
	.section	.AMDGPU.csdata,"",@progbits
; Kernel info:
; codeLenInByte = 0
; TotalNumSgprs: 6
; NumVgprs: 0
; NumAgprs: 0
; TotalNumVgprs: 0
; ScratchSize: 0
; MemoryBound: 0
; FloatMode: 240
; IeeeMode: 1
; LDSByteSize: 0 bytes/workgroup (compile time only)
; SGPRBlocks: 0
; VGPRBlocks: 0
; NumSGPRsForWavesPerEU: 6
; NumVGPRsForWavesPerEU: 1
; AccumOffset: 4
; Occupancy: 8
; WaveLimiterHint : 0
; COMPUTE_PGM_RSRC2:SCRATCH_EN: 0
; COMPUTE_PGM_RSRC2:USER_SGPR: 2
; COMPUTE_PGM_RSRC2:TRAP_HANDLER: 0
; COMPUTE_PGM_RSRC2:TGID_X_EN: 1
; COMPUTE_PGM_RSRC2:TGID_Y_EN: 0
; COMPUTE_PGM_RSRC2:TGID_Z_EN: 0
; COMPUTE_PGM_RSRC2:TIDIG_COMP_CNT: 0
; COMPUTE_PGM_RSRC3_GFX90A:ACCUM_OFFSET: 0
; COMPUTE_PGM_RSRC3_GFX90A:TG_SPLIT: 0
	.section	.text._ZN7rocprim17ROCPRIM_400000_NS6detail17trampoline_kernelINS0_14default_configENS1_22reduce_config_selectorIfEEZNS1_11reduce_implILb1ES3_PfS7_f9plus_mod3IfEEE10hipError_tPvRmT1_T2_T3_mT4_P12ihipStream_tbEUlT_E1_NS1_11comp_targetILNS1_3genE4ELNS1_11target_archE910ELNS1_3gpuE8ELNS1_3repE0EEENS1_30default_config_static_selectorELNS0_4arch9wavefront6targetE1EEEvSD_,"axG",@progbits,_ZN7rocprim17ROCPRIM_400000_NS6detail17trampoline_kernelINS0_14default_configENS1_22reduce_config_selectorIfEEZNS1_11reduce_implILb1ES3_PfS7_f9plus_mod3IfEEE10hipError_tPvRmT1_T2_T3_mT4_P12ihipStream_tbEUlT_E1_NS1_11comp_targetILNS1_3genE4ELNS1_11target_archE910ELNS1_3gpuE8ELNS1_3repE0EEENS1_30default_config_static_selectorELNS0_4arch9wavefront6targetE1EEEvSD_,comdat
	.protected	_ZN7rocprim17ROCPRIM_400000_NS6detail17trampoline_kernelINS0_14default_configENS1_22reduce_config_selectorIfEEZNS1_11reduce_implILb1ES3_PfS7_f9plus_mod3IfEEE10hipError_tPvRmT1_T2_T3_mT4_P12ihipStream_tbEUlT_E1_NS1_11comp_targetILNS1_3genE4ELNS1_11target_archE910ELNS1_3gpuE8ELNS1_3repE0EEENS1_30default_config_static_selectorELNS0_4arch9wavefront6targetE1EEEvSD_ ; -- Begin function _ZN7rocprim17ROCPRIM_400000_NS6detail17trampoline_kernelINS0_14default_configENS1_22reduce_config_selectorIfEEZNS1_11reduce_implILb1ES3_PfS7_f9plus_mod3IfEEE10hipError_tPvRmT1_T2_T3_mT4_P12ihipStream_tbEUlT_E1_NS1_11comp_targetILNS1_3genE4ELNS1_11target_archE910ELNS1_3gpuE8ELNS1_3repE0EEENS1_30default_config_static_selectorELNS0_4arch9wavefront6targetE1EEEvSD_
	.globl	_ZN7rocprim17ROCPRIM_400000_NS6detail17trampoline_kernelINS0_14default_configENS1_22reduce_config_selectorIfEEZNS1_11reduce_implILb1ES3_PfS7_f9plus_mod3IfEEE10hipError_tPvRmT1_T2_T3_mT4_P12ihipStream_tbEUlT_E1_NS1_11comp_targetILNS1_3genE4ELNS1_11target_archE910ELNS1_3gpuE8ELNS1_3repE0EEENS1_30default_config_static_selectorELNS0_4arch9wavefront6targetE1EEEvSD_
	.p2align	8
	.type	_ZN7rocprim17ROCPRIM_400000_NS6detail17trampoline_kernelINS0_14default_configENS1_22reduce_config_selectorIfEEZNS1_11reduce_implILb1ES3_PfS7_f9plus_mod3IfEEE10hipError_tPvRmT1_T2_T3_mT4_P12ihipStream_tbEUlT_E1_NS1_11comp_targetILNS1_3genE4ELNS1_11target_archE910ELNS1_3gpuE8ELNS1_3repE0EEENS1_30default_config_static_selectorELNS0_4arch9wavefront6targetE1EEEvSD_,@function
_ZN7rocprim17ROCPRIM_400000_NS6detail17trampoline_kernelINS0_14default_configENS1_22reduce_config_selectorIfEEZNS1_11reduce_implILb1ES3_PfS7_f9plus_mod3IfEEE10hipError_tPvRmT1_T2_T3_mT4_P12ihipStream_tbEUlT_E1_NS1_11comp_targetILNS1_3genE4ELNS1_11target_archE910ELNS1_3gpuE8ELNS1_3repE0EEENS1_30default_config_static_selectorELNS0_4arch9wavefront6targetE1EEEvSD_: ; @_ZN7rocprim17ROCPRIM_400000_NS6detail17trampoline_kernelINS0_14default_configENS1_22reduce_config_selectorIfEEZNS1_11reduce_implILb1ES3_PfS7_f9plus_mod3IfEEE10hipError_tPvRmT1_T2_T3_mT4_P12ihipStream_tbEUlT_E1_NS1_11comp_targetILNS1_3genE4ELNS1_11target_archE910ELNS1_3gpuE8ELNS1_3repE0EEENS1_30default_config_static_selectorELNS0_4arch9wavefront6targetE1EEEvSD_
; %bb.0:
	.section	.rodata,"a",@progbits
	.p2align	6, 0x0
	.amdhsa_kernel _ZN7rocprim17ROCPRIM_400000_NS6detail17trampoline_kernelINS0_14default_configENS1_22reduce_config_selectorIfEEZNS1_11reduce_implILb1ES3_PfS7_f9plus_mod3IfEEE10hipError_tPvRmT1_T2_T3_mT4_P12ihipStream_tbEUlT_E1_NS1_11comp_targetILNS1_3genE4ELNS1_11target_archE910ELNS1_3gpuE8ELNS1_3repE0EEENS1_30default_config_static_selectorELNS0_4arch9wavefront6targetE1EEEvSD_
		.amdhsa_group_segment_fixed_size 0
		.amdhsa_private_segment_fixed_size 0
		.amdhsa_kernarg_size 48
		.amdhsa_user_sgpr_count 2
		.amdhsa_user_sgpr_dispatch_ptr 0
		.amdhsa_user_sgpr_queue_ptr 0
		.amdhsa_user_sgpr_kernarg_segment_ptr 1
		.amdhsa_user_sgpr_dispatch_id 0
		.amdhsa_user_sgpr_kernarg_preload_length 0
		.amdhsa_user_sgpr_kernarg_preload_offset 0
		.amdhsa_user_sgpr_private_segment_size 0
		.amdhsa_uses_dynamic_stack 0
		.amdhsa_enable_private_segment 0
		.amdhsa_system_sgpr_workgroup_id_x 1
		.amdhsa_system_sgpr_workgroup_id_y 0
		.amdhsa_system_sgpr_workgroup_id_z 0
		.amdhsa_system_sgpr_workgroup_info 0
		.amdhsa_system_vgpr_workitem_id 0
		.amdhsa_next_free_vgpr 1
		.amdhsa_next_free_sgpr 0
		.amdhsa_accum_offset 4
		.amdhsa_reserve_vcc 0
		.amdhsa_float_round_mode_32 0
		.amdhsa_float_round_mode_16_64 0
		.amdhsa_float_denorm_mode_32 3
		.amdhsa_float_denorm_mode_16_64 3
		.amdhsa_dx10_clamp 1
		.amdhsa_ieee_mode 1
		.amdhsa_fp16_overflow 0
		.amdhsa_tg_split 0
		.amdhsa_exception_fp_ieee_invalid_op 0
		.amdhsa_exception_fp_denorm_src 0
		.amdhsa_exception_fp_ieee_div_zero 0
		.amdhsa_exception_fp_ieee_overflow 0
		.amdhsa_exception_fp_ieee_underflow 0
		.amdhsa_exception_fp_ieee_inexact 0
		.amdhsa_exception_int_div_zero 0
	.end_amdhsa_kernel
	.section	.text._ZN7rocprim17ROCPRIM_400000_NS6detail17trampoline_kernelINS0_14default_configENS1_22reduce_config_selectorIfEEZNS1_11reduce_implILb1ES3_PfS7_f9plus_mod3IfEEE10hipError_tPvRmT1_T2_T3_mT4_P12ihipStream_tbEUlT_E1_NS1_11comp_targetILNS1_3genE4ELNS1_11target_archE910ELNS1_3gpuE8ELNS1_3repE0EEENS1_30default_config_static_selectorELNS0_4arch9wavefront6targetE1EEEvSD_,"axG",@progbits,_ZN7rocprim17ROCPRIM_400000_NS6detail17trampoline_kernelINS0_14default_configENS1_22reduce_config_selectorIfEEZNS1_11reduce_implILb1ES3_PfS7_f9plus_mod3IfEEE10hipError_tPvRmT1_T2_T3_mT4_P12ihipStream_tbEUlT_E1_NS1_11comp_targetILNS1_3genE4ELNS1_11target_archE910ELNS1_3gpuE8ELNS1_3repE0EEENS1_30default_config_static_selectorELNS0_4arch9wavefront6targetE1EEEvSD_,comdat
.Lfunc_end742:
	.size	_ZN7rocprim17ROCPRIM_400000_NS6detail17trampoline_kernelINS0_14default_configENS1_22reduce_config_selectorIfEEZNS1_11reduce_implILb1ES3_PfS7_f9plus_mod3IfEEE10hipError_tPvRmT1_T2_T3_mT4_P12ihipStream_tbEUlT_E1_NS1_11comp_targetILNS1_3genE4ELNS1_11target_archE910ELNS1_3gpuE8ELNS1_3repE0EEENS1_30default_config_static_selectorELNS0_4arch9wavefront6targetE1EEEvSD_, .Lfunc_end742-_ZN7rocprim17ROCPRIM_400000_NS6detail17trampoline_kernelINS0_14default_configENS1_22reduce_config_selectorIfEEZNS1_11reduce_implILb1ES3_PfS7_f9plus_mod3IfEEE10hipError_tPvRmT1_T2_T3_mT4_P12ihipStream_tbEUlT_E1_NS1_11comp_targetILNS1_3genE4ELNS1_11target_archE910ELNS1_3gpuE8ELNS1_3repE0EEENS1_30default_config_static_selectorELNS0_4arch9wavefront6targetE1EEEvSD_
                                        ; -- End function
	.set _ZN7rocprim17ROCPRIM_400000_NS6detail17trampoline_kernelINS0_14default_configENS1_22reduce_config_selectorIfEEZNS1_11reduce_implILb1ES3_PfS7_f9plus_mod3IfEEE10hipError_tPvRmT1_T2_T3_mT4_P12ihipStream_tbEUlT_E1_NS1_11comp_targetILNS1_3genE4ELNS1_11target_archE910ELNS1_3gpuE8ELNS1_3repE0EEENS1_30default_config_static_selectorELNS0_4arch9wavefront6targetE1EEEvSD_.num_vgpr, 0
	.set _ZN7rocprim17ROCPRIM_400000_NS6detail17trampoline_kernelINS0_14default_configENS1_22reduce_config_selectorIfEEZNS1_11reduce_implILb1ES3_PfS7_f9plus_mod3IfEEE10hipError_tPvRmT1_T2_T3_mT4_P12ihipStream_tbEUlT_E1_NS1_11comp_targetILNS1_3genE4ELNS1_11target_archE910ELNS1_3gpuE8ELNS1_3repE0EEENS1_30default_config_static_selectorELNS0_4arch9wavefront6targetE1EEEvSD_.num_agpr, 0
	.set _ZN7rocprim17ROCPRIM_400000_NS6detail17trampoline_kernelINS0_14default_configENS1_22reduce_config_selectorIfEEZNS1_11reduce_implILb1ES3_PfS7_f9plus_mod3IfEEE10hipError_tPvRmT1_T2_T3_mT4_P12ihipStream_tbEUlT_E1_NS1_11comp_targetILNS1_3genE4ELNS1_11target_archE910ELNS1_3gpuE8ELNS1_3repE0EEENS1_30default_config_static_selectorELNS0_4arch9wavefront6targetE1EEEvSD_.numbered_sgpr, 0
	.set _ZN7rocprim17ROCPRIM_400000_NS6detail17trampoline_kernelINS0_14default_configENS1_22reduce_config_selectorIfEEZNS1_11reduce_implILb1ES3_PfS7_f9plus_mod3IfEEE10hipError_tPvRmT1_T2_T3_mT4_P12ihipStream_tbEUlT_E1_NS1_11comp_targetILNS1_3genE4ELNS1_11target_archE910ELNS1_3gpuE8ELNS1_3repE0EEENS1_30default_config_static_selectorELNS0_4arch9wavefront6targetE1EEEvSD_.num_named_barrier, 0
	.set _ZN7rocprim17ROCPRIM_400000_NS6detail17trampoline_kernelINS0_14default_configENS1_22reduce_config_selectorIfEEZNS1_11reduce_implILb1ES3_PfS7_f9plus_mod3IfEEE10hipError_tPvRmT1_T2_T3_mT4_P12ihipStream_tbEUlT_E1_NS1_11comp_targetILNS1_3genE4ELNS1_11target_archE910ELNS1_3gpuE8ELNS1_3repE0EEENS1_30default_config_static_selectorELNS0_4arch9wavefront6targetE1EEEvSD_.private_seg_size, 0
	.set _ZN7rocprim17ROCPRIM_400000_NS6detail17trampoline_kernelINS0_14default_configENS1_22reduce_config_selectorIfEEZNS1_11reduce_implILb1ES3_PfS7_f9plus_mod3IfEEE10hipError_tPvRmT1_T2_T3_mT4_P12ihipStream_tbEUlT_E1_NS1_11comp_targetILNS1_3genE4ELNS1_11target_archE910ELNS1_3gpuE8ELNS1_3repE0EEENS1_30default_config_static_selectorELNS0_4arch9wavefront6targetE1EEEvSD_.uses_vcc, 0
	.set _ZN7rocprim17ROCPRIM_400000_NS6detail17trampoline_kernelINS0_14default_configENS1_22reduce_config_selectorIfEEZNS1_11reduce_implILb1ES3_PfS7_f9plus_mod3IfEEE10hipError_tPvRmT1_T2_T3_mT4_P12ihipStream_tbEUlT_E1_NS1_11comp_targetILNS1_3genE4ELNS1_11target_archE910ELNS1_3gpuE8ELNS1_3repE0EEENS1_30default_config_static_selectorELNS0_4arch9wavefront6targetE1EEEvSD_.uses_flat_scratch, 0
	.set _ZN7rocprim17ROCPRIM_400000_NS6detail17trampoline_kernelINS0_14default_configENS1_22reduce_config_selectorIfEEZNS1_11reduce_implILb1ES3_PfS7_f9plus_mod3IfEEE10hipError_tPvRmT1_T2_T3_mT4_P12ihipStream_tbEUlT_E1_NS1_11comp_targetILNS1_3genE4ELNS1_11target_archE910ELNS1_3gpuE8ELNS1_3repE0EEENS1_30default_config_static_selectorELNS0_4arch9wavefront6targetE1EEEvSD_.has_dyn_sized_stack, 0
	.set _ZN7rocprim17ROCPRIM_400000_NS6detail17trampoline_kernelINS0_14default_configENS1_22reduce_config_selectorIfEEZNS1_11reduce_implILb1ES3_PfS7_f9plus_mod3IfEEE10hipError_tPvRmT1_T2_T3_mT4_P12ihipStream_tbEUlT_E1_NS1_11comp_targetILNS1_3genE4ELNS1_11target_archE910ELNS1_3gpuE8ELNS1_3repE0EEENS1_30default_config_static_selectorELNS0_4arch9wavefront6targetE1EEEvSD_.has_recursion, 0
	.set _ZN7rocprim17ROCPRIM_400000_NS6detail17trampoline_kernelINS0_14default_configENS1_22reduce_config_selectorIfEEZNS1_11reduce_implILb1ES3_PfS7_f9plus_mod3IfEEE10hipError_tPvRmT1_T2_T3_mT4_P12ihipStream_tbEUlT_E1_NS1_11comp_targetILNS1_3genE4ELNS1_11target_archE910ELNS1_3gpuE8ELNS1_3repE0EEENS1_30default_config_static_selectorELNS0_4arch9wavefront6targetE1EEEvSD_.has_indirect_call, 0
	.section	.AMDGPU.csdata,"",@progbits
; Kernel info:
; codeLenInByte = 0
; TotalNumSgprs: 6
; NumVgprs: 0
; NumAgprs: 0
; TotalNumVgprs: 0
; ScratchSize: 0
; MemoryBound: 0
; FloatMode: 240
; IeeeMode: 1
; LDSByteSize: 0 bytes/workgroup (compile time only)
; SGPRBlocks: 0
; VGPRBlocks: 0
; NumSGPRsForWavesPerEU: 6
; NumVGPRsForWavesPerEU: 1
; AccumOffset: 4
; Occupancy: 8
; WaveLimiterHint : 0
; COMPUTE_PGM_RSRC2:SCRATCH_EN: 0
; COMPUTE_PGM_RSRC2:USER_SGPR: 2
; COMPUTE_PGM_RSRC2:TRAP_HANDLER: 0
; COMPUTE_PGM_RSRC2:TGID_X_EN: 1
; COMPUTE_PGM_RSRC2:TGID_Y_EN: 0
; COMPUTE_PGM_RSRC2:TGID_Z_EN: 0
; COMPUTE_PGM_RSRC2:TIDIG_COMP_CNT: 0
; COMPUTE_PGM_RSRC3_GFX90A:ACCUM_OFFSET: 0
; COMPUTE_PGM_RSRC3_GFX90A:TG_SPLIT: 0
	.section	.text._ZN7rocprim17ROCPRIM_400000_NS6detail17trampoline_kernelINS0_14default_configENS1_22reduce_config_selectorIfEEZNS1_11reduce_implILb1ES3_PfS7_f9plus_mod3IfEEE10hipError_tPvRmT1_T2_T3_mT4_P12ihipStream_tbEUlT_E1_NS1_11comp_targetILNS1_3genE3ELNS1_11target_archE908ELNS1_3gpuE7ELNS1_3repE0EEENS1_30default_config_static_selectorELNS0_4arch9wavefront6targetE1EEEvSD_,"axG",@progbits,_ZN7rocprim17ROCPRIM_400000_NS6detail17trampoline_kernelINS0_14default_configENS1_22reduce_config_selectorIfEEZNS1_11reduce_implILb1ES3_PfS7_f9plus_mod3IfEEE10hipError_tPvRmT1_T2_T3_mT4_P12ihipStream_tbEUlT_E1_NS1_11comp_targetILNS1_3genE3ELNS1_11target_archE908ELNS1_3gpuE7ELNS1_3repE0EEENS1_30default_config_static_selectorELNS0_4arch9wavefront6targetE1EEEvSD_,comdat
	.protected	_ZN7rocprim17ROCPRIM_400000_NS6detail17trampoline_kernelINS0_14default_configENS1_22reduce_config_selectorIfEEZNS1_11reduce_implILb1ES3_PfS7_f9plus_mod3IfEEE10hipError_tPvRmT1_T2_T3_mT4_P12ihipStream_tbEUlT_E1_NS1_11comp_targetILNS1_3genE3ELNS1_11target_archE908ELNS1_3gpuE7ELNS1_3repE0EEENS1_30default_config_static_selectorELNS0_4arch9wavefront6targetE1EEEvSD_ ; -- Begin function _ZN7rocprim17ROCPRIM_400000_NS6detail17trampoline_kernelINS0_14default_configENS1_22reduce_config_selectorIfEEZNS1_11reduce_implILb1ES3_PfS7_f9plus_mod3IfEEE10hipError_tPvRmT1_T2_T3_mT4_P12ihipStream_tbEUlT_E1_NS1_11comp_targetILNS1_3genE3ELNS1_11target_archE908ELNS1_3gpuE7ELNS1_3repE0EEENS1_30default_config_static_selectorELNS0_4arch9wavefront6targetE1EEEvSD_
	.globl	_ZN7rocprim17ROCPRIM_400000_NS6detail17trampoline_kernelINS0_14default_configENS1_22reduce_config_selectorIfEEZNS1_11reduce_implILb1ES3_PfS7_f9plus_mod3IfEEE10hipError_tPvRmT1_T2_T3_mT4_P12ihipStream_tbEUlT_E1_NS1_11comp_targetILNS1_3genE3ELNS1_11target_archE908ELNS1_3gpuE7ELNS1_3repE0EEENS1_30default_config_static_selectorELNS0_4arch9wavefront6targetE1EEEvSD_
	.p2align	8
	.type	_ZN7rocprim17ROCPRIM_400000_NS6detail17trampoline_kernelINS0_14default_configENS1_22reduce_config_selectorIfEEZNS1_11reduce_implILb1ES3_PfS7_f9plus_mod3IfEEE10hipError_tPvRmT1_T2_T3_mT4_P12ihipStream_tbEUlT_E1_NS1_11comp_targetILNS1_3genE3ELNS1_11target_archE908ELNS1_3gpuE7ELNS1_3repE0EEENS1_30default_config_static_selectorELNS0_4arch9wavefront6targetE1EEEvSD_,@function
_ZN7rocprim17ROCPRIM_400000_NS6detail17trampoline_kernelINS0_14default_configENS1_22reduce_config_selectorIfEEZNS1_11reduce_implILb1ES3_PfS7_f9plus_mod3IfEEE10hipError_tPvRmT1_T2_T3_mT4_P12ihipStream_tbEUlT_E1_NS1_11comp_targetILNS1_3genE3ELNS1_11target_archE908ELNS1_3gpuE7ELNS1_3repE0EEENS1_30default_config_static_selectorELNS0_4arch9wavefront6targetE1EEEvSD_: ; @_ZN7rocprim17ROCPRIM_400000_NS6detail17trampoline_kernelINS0_14default_configENS1_22reduce_config_selectorIfEEZNS1_11reduce_implILb1ES3_PfS7_f9plus_mod3IfEEE10hipError_tPvRmT1_T2_T3_mT4_P12ihipStream_tbEUlT_E1_NS1_11comp_targetILNS1_3genE3ELNS1_11target_archE908ELNS1_3gpuE7ELNS1_3repE0EEENS1_30default_config_static_selectorELNS0_4arch9wavefront6targetE1EEEvSD_
; %bb.0:
	.section	.rodata,"a",@progbits
	.p2align	6, 0x0
	.amdhsa_kernel _ZN7rocprim17ROCPRIM_400000_NS6detail17trampoline_kernelINS0_14default_configENS1_22reduce_config_selectorIfEEZNS1_11reduce_implILb1ES3_PfS7_f9plus_mod3IfEEE10hipError_tPvRmT1_T2_T3_mT4_P12ihipStream_tbEUlT_E1_NS1_11comp_targetILNS1_3genE3ELNS1_11target_archE908ELNS1_3gpuE7ELNS1_3repE0EEENS1_30default_config_static_selectorELNS0_4arch9wavefront6targetE1EEEvSD_
		.amdhsa_group_segment_fixed_size 0
		.amdhsa_private_segment_fixed_size 0
		.amdhsa_kernarg_size 48
		.amdhsa_user_sgpr_count 2
		.amdhsa_user_sgpr_dispatch_ptr 0
		.amdhsa_user_sgpr_queue_ptr 0
		.amdhsa_user_sgpr_kernarg_segment_ptr 1
		.amdhsa_user_sgpr_dispatch_id 0
		.amdhsa_user_sgpr_kernarg_preload_length 0
		.amdhsa_user_sgpr_kernarg_preload_offset 0
		.amdhsa_user_sgpr_private_segment_size 0
		.amdhsa_uses_dynamic_stack 0
		.amdhsa_enable_private_segment 0
		.amdhsa_system_sgpr_workgroup_id_x 1
		.amdhsa_system_sgpr_workgroup_id_y 0
		.amdhsa_system_sgpr_workgroup_id_z 0
		.amdhsa_system_sgpr_workgroup_info 0
		.amdhsa_system_vgpr_workitem_id 0
		.amdhsa_next_free_vgpr 1
		.amdhsa_next_free_sgpr 0
		.amdhsa_accum_offset 4
		.amdhsa_reserve_vcc 0
		.amdhsa_float_round_mode_32 0
		.amdhsa_float_round_mode_16_64 0
		.amdhsa_float_denorm_mode_32 3
		.amdhsa_float_denorm_mode_16_64 3
		.amdhsa_dx10_clamp 1
		.amdhsa_ieee_mode 1
		.amdhsa_fp16_overflow 0
		.amdhsa_tg_split 0
		.amdhsa_exception_fp_ieee_invalid_op 0
		.amdhsa_exception_fp_denorm_src 0
		.amdhsa_exception_fp_ieee_div_zero 0
		.amdhsa_exception_fp_ieee_overflow 0
		.amdhsa_exception_fp_ieee_underflow 0
		.amdhsa_exception_fp_ieee_inexact 0
		.amdhsa_exception_int_div_zero 0
	.end_amdhsa_kernel
	.section	.text._ZN7rocprim17ROCPRIM_400000_NS6detail17trampoline_kernelINS0_14default_configENS1_22reduce_config_selectorIfEEZNS1_11reduce_implILb1ES3_PfS7_f9plus_mod3IfEEE10hipError_tPvRmT1_T2_T3_mT4_P12ihipStream_tbEUlT_E1_NS1_11comp_targetILNS1_3genE3ELNS1_11target_archE908ELNS1_3gpuE7ELNS1_3repE0EEENS1_30default_config_static_selectorELNS0_4arch9wavefront6targetE1EEEvSD_,"axG",@progbits,_ZN7rocprim17ROCPRIM_400000_NS6detail17trampoline_kernelINS0_14default_configENS1_22reduce_config_selectorIfEEZNS1_11reduce_implILb1ES3_PfS7_f9plus_mod3IfEEE10hipError_tPvRmT1_T2_T3_mT4_P12ihipStream_tbEUlT_E1_NS1_11comp_targetILNS1_3genE3ELNS1_11target_archE908ELNS1_3gpuE7ELNS1_3repE0EEENS1_30default_config_static_selectorELNS0_4arch9wavefront6targetE1EEEvSD_,comdat
.Lfunc_end743:
	.size	_ZN7rocprim17ROCPRIM_400000_NS6detail17trampoline_kernelINS0_14default_configENS1_22reduce_config_selectorIfEEZNS1_11reduce_implILb1ES3_PfS7_f9plus_mod3IfEEE10hipError_tPvRmT1_T2_T3_mT4_P12ihipStream_tbEUlT_E1_NS1_11comp_targetILNS1_3genE3ELNS1_11target_archE908ELNS1_3gpuE7ELNS1_3repE0EEENS1_30default_config_static_selectorELNS0_4arch9wavefront6targetE1EEEvSD_, .Lfunc_end743-_ZN7rocprim17ROCPRIM_400000_NS6detail17trampoline_kernelINS0_14default_configENS1_22reduce_config_selectorIfEEZNS1_11reduce_implILb1ES3_PfS7_f9plus_mod3IfEEE10hipError_tPvRmT1_T2_T3_mT4_P12ihipStream_tbEUlT_E1_NS1_11comp_targetILNS1_3genE3ELNS1_11target_archE908ELNS1_3gpuE7ELNS1_3repE0EEENS1_30default_config_static_selectorELNS0_4arch9wavefront6targetE1EEEvSD_
                                        ; -- End function
	.set _ZN7rocprim17ROCPRIM_400000_NS6detail17trampoline_kernelINS0_14default_configENS1_22reduce_config_selectorIfEEZNS1_11reduce_implILb1ES3_PfS7_f9plus_mod3IfEEE10hipError_tPvRmT1_T2_T3_mT4_P12ihipStream_tbEUlT_E1_NS1_11comp_targetILNS1_3genE3ELNS1_11target_archE908ELNS1_3gpuE7ELNS1_3repE0EEENS1_30default_config_static_selectorELNS0_4arch9wavefront6targetE1EEEvSD_.num_vgpr, 0
	.set _ZN7rocprim17ROCPRIM_400000_NS6detail17trampoline_kernelINS0_14default_configENS1_22reduce_config_selectorIfEEZNS1_11reduce_implILb1ES3_PfS7_f9plus_mod3IfEEE10hipError_tPvRmT1_T2_T3_mT4_P12ihipStream_tbEUlT_E1_NS1_11comp_targetILNS1_3genE3ELNS1_11target_archE908ELNS1_3gpuE7ELNS1_3repE0EEENS1_30default_config_static_selectorELNS0_4arch9wavefront6targetE1EEEvSD_.num_agpr, 0
	.set _ZN7rocprim17ROCPRIM_400000_NS6detail17trampoline_kernelINS0_14default_configENS1_22reduce_config_selectorIfEEZNS1_11reduce_implILb1ES3_PfS7_f9plus_mod3IfEEE10hipError_tPvRmT1_T2_T3_mT4_P12ihipStream_tbEUlT_E1_NS1_11comp_targetILNS1_3genE3ELNS1_11target_archE908ELNS1_3gpuE7ELNS1_3repE0EEENS1_30default_config_static_selectorELNS0_4arch9wavefront6targetE1EEEvSD_.numbered_sgpr, 0
	.set _ZN7rocprim17ROCPRIM_400000_NS6detail17trampoline_kernelINS0_14default_configENS1_22reduce_config_selectorIfEEZNS1_11reduce_implILb1ES3_PfS7_f9plus_mod3IfEEE10hipError_tPvRmT1_T2_T3_mT4_P12ihipStream_tbEUlT_E1_NS1_11comp_targetILNS1_3genE3ELNS1_11target_archE908ELNS1_3gpuE7ELNS1_3repE0EEENS1_30default_config_static_selectorELNS0_4arch9wavefront6targetE1EEEvSD_.num_named_barrier, 0
	.set _ZN7rocprim17ROCPRIM_400000_NS6detail17trampoline_kernelINS0_14default_configENS1_22reduce_config_selectorIfEEZNS1_11reduce_implILb1ES3_PfS7_f9plus_mod3IfEEE10hipError_tPvRmT1_T2_T3_mT4_P12ihipStream_tbEUlT_E1_NS1_11comp_targetILNS1_3genE3ELNS1_11target_archE908ELNS1_3gpuE7ELNS1_3repE0EEENS1_30default_config_static_selectorELNS0_4arch9wavefront6targetE1EEEvSD_.private_seg_size, 0
	.set _ZN7rocprim17ROCPRIM_400000_NS6detail17trampoline_kernelINS0_14default_configENS1_22reduce_config_selectorIfEEZNS1_11reduce_implILb1ES3_PfS7_f9plus_mod3IfEEE10hipError_tPvRmT1_T2_T3_mT4_P12ihipStream_tbEUlT_E1_NS1_11comp_targetILNS1_3genE3ELNS1_11target_archE908ELNS1_3gpuE7ELNS1_3repE0EEENS1_30default_config_static_selectorELNS0_4arch9wavefront6targetE1EEEvSD_.uses_vcc, 0
	.set _ZN7rocprim17ROCPRIM_400000_NS6detail17trampoline_kernelINS0_14default_configENS1_22reduce_config_selectorIfEEZNS1_11reduce_implILb1ES3_PfS7_f9plus_mod3IfEEE10hipError_tPvRmT1_T2_T3_mT4_P12ihipStream_tbEUlT_E1_NS1_11comp_targetILNS1_3genE3ELNS1_11target_archE908ELNS1_3gpuE7ELNS1_3repE0EEENS1_30default_config_static_selectorELNS0_4arch9wavefront6targetE1EEEvSD_.uses_flat_scratch, 0
	.set _ZN7rocprim17ROCPRIM_400000_NS6detail17trampoline_kernelINS0_14default_configENS1_22reduce_config_selectorIfEEZNS1_11reduce_implILb1ES3_PfS7_f9plus_mod3IfEEE10hipError_tPvRmT1_T2_T3_mT4_P12ihipStream_tbEUlT_E1_NS1_11comp_targetILNS1_3genE3ELNS1_11target_archE908ELNS1_3gpuE7ELNS1_3repE0EEENS1_30default_config_static_selectorELNS0_4arch9wavefront6targetE1EEEvSD_.has_dyn_sized_stack, 0
	.set _ZN7rocprim17ROCPRIM_400000_NS6detail17trampoline_kernelINS0_14default_configENS1_22reduce_config_selectorIfEEZNS1_11reduce_implILb1ES3_PfS7_f9plus_mod3IfEEE10hipError_tPvRmT1_T2_T3_mT4_P12ihipStream_tbEUlT_E1_NS1_11comp_targetILNS1_3genE3ELNS1_11target_archE908ELNS1_3gpuE7ELNS1_3repE0EEENS1_30default_config_static_selectorELNS0_4arch9wavefront6targetE1EEEvSD_.has_recursion, 0
	.set _ZN7rocprim17ROCPRIM_400000_NS6detail17trampoline_kernelINS0_14default_configENS1_22reduce_config_selectorIfEEZNS1_11reduce_implILb1ES3_PfS7_f9plus_mod3IfEEE10hipError_tPvRmT1_T2_T3_mT4_P12ihipStream_tbEUlT_E1_NS1_11comp_targetILNS1_3genE3ELNS1_11target_archE908ELNS1_3gpuE7ELNS1_3repE0EEENS1_30default_config_static_selectorELNS0_4arch9wavefront6targetE1EEEvSD_.has_indirect_call, 0
	.section	.AMDGPU.csdata,"",@progbits
; Kernel info:
; codeLenInByte = 0
; TotalNumSgprs: 6
; NumVgprs: 0
; NumAgprs: 0
; TotalNumVgprs: 0
; ScratchSize: 0
; MemoryBound: 0
; FloatMode: 240
; IeeeMode: 1
; LDSByteSize: 0 bytes/workgroup (compile time only)
; SGPRBlocks: 0
; VGPRBlocks: 0
; NumSGPRsForWavesPerEU: 6
; NumVGPRsForWavesPerEU: 1
; AccumOffset: 4
; Occupancy: 8
; WaveLimiterHint : 0
; COMPUTE_PGM_RSRC2:SCRATCH_EN: 0
; COMPUTE_PGM_RSRC2:USER_SGPR: 2
; COMPUTE_PGM_RSRC2:TRAP_HANDLER: 0
; COMPUTE_PGM_RSRC2:TGID_X_EN: 1
; COMPUTE_PGM_RSRC2:TGID_Y_EN: 0
; COMPUTE_PGM_RSRC2:TGID_Z_EN: 0
; COMPUTE_PGM_RSRC2:TIDIG_COMP_CNT: 0
; COMPUTE_PGM_RSRC3_GFX90A:ACCUM_OFFSET: 0
; COMPUTE_PGM_RSRC3_GFX90A:TG_SPLIT: 0
	.section	.text._ZN7rocprim17ROCPRIM_400000_NS6detail17trampoline_kernelINS0_14default_configENS1_22reduce_config_selectorIfEEZNS1_11reduce_implILb1ES3_PfS7_f9plus_mod3IfEEE10hipError_tPvRmT1_T2_T3_mT4_P12ihipStream_tbEUlT_E1_NS1_11comp_targetILNS1_3genE2ELNS1_11target_archE906ELNS1_3gpuE6ELNS1_3repE0EEENS1_30default_config_static_selectorELNS0_4arch9wavefront6targetE1EEEvSD_,"axG",@progbits,_ZN7rocprim17ROCPRIM_400000_NS6detail17trampoline_kernelINS0_14default_configENS1_22reduce_config_selectorIfEEZNS1_11reduce_implILb1ES3_PfS7_f9plus_mod3IfEEE10hipError_tPvRmT1_T2_T3_mT4_P12ihipStream_tbEUlT_E1_NS1_11comp_targetILNS1_3genE2ELNS1_11target_archE906ELNS1_3gpuE6ELNS1_3repE0EEENS1_30default_config_static_selectorELNS0_4arch9wavefront6targetE1EEEvSD_,comdat
	.protected	_ZN7rocprim17ROCPRIM_400000_NS6detail17trampoline_kernelINS0_14default_configENS1_22reduce_config_selectorIfEEZNS1_11reduce_implILb1ES3_PfS7_f9plus_mod3IfEEE10hipError_tPvRmT1_T2_T3_mT4_P12ihipStream_tbEUlT_E1_NS1_11comp_targetILNS1_3genE2ELNS1_11target_archE906ELNS1_3gpuE6ELNS1_3repE0EEENS1_30default_config_static_selectorELNS0_4arch9wavefront6targetE1EEEvSD_ ; -- Begin function _ZN7rocprim17ROCPRIM_400000_NS6detail17trampoline_kernelINS0_14default_configENS1_22reduce_config_selectorIfEEZNS1_11reduce_implILb1ES3_PfS7_f9plus_mod3IfEEE10hipError_tPvRmT1_T2_T3_mT4_P12ihipStream_tbEUlT_E1_NS1_11comp_targetILNS1_3genE2ELNS1_11target_archE906ELNS1_3gpuE6ELNS1_3repE0EEENS1_30default_config_static_selectorELNS0_4arch9wavefront6targetE1EEEvSD_
	.globl	_ZN7rocprim17ROCPRIM_400000_NS6detail17trampoline_kernelINS0_14default_configENS1_22reduce_config_selectorIfEEZNS1_11reduce_implILb1ES3_PfS7_f9plus_mod3IfEEE10hipError_tPvRmT1_T2_T3_mT4_P12ihipStream_tbEUlT_E1_NS1_11comp_targetILNS1_3genE2ELNS1_11target_archE906ELNS1_3gpuE6ELNS1_3repE0EEENS1_30default_config_static_selectorELNS0_4arch9wavefront6targetE1EEEvSD_
	.p2align	8
	.type	_ZN7rocprim17ROCPRIM_400000_NS6detail17trampoline_kernelINS0_14default_configENS1_22reduce_config_selectorIfEEZNS1_11reduce_implILb1ES3_PfS7_f9plus_mod3IfEEE10hipError_tPvRmT1_T2_T3_mT4_P12ihipStream_tbEUlT_E1_NS1_11comp_targetILNS1_3genE2ELNS1_11target_archE906ELNS1_3gpuE6ELNS1_3repE0EEENS1_30default_config_static_selectorELNS0_4arch9wavefront6targetE1EEEvSD_,@function
_ZN7rocprim17ROCPRIM_400000_NS6detail17trampoline_kernelINS0_14default_configENS1_22reduce_config_selectorIfEEZNS1_11reduce_implILb1ES3_PfS7_f9plus_mod3IfEEE10hipError_tPvRmT1_T2_T3_mT4_P12ihipStream_tbEUlT_E1_NS1_11comp_targetILNS1_3genE2ELNS1_11target_archE906ELNS1_3gpuE6ELNS1_3repE0EEENS1_30default_config_static_selectorELNS0_4arch9wavefront6targetE1EEEvSD_: ; @_ZN7rocprim17ROCPRIM_400000_NS6detail17trampoline_kernelINS0_14default_configENS1_22reduce_config_selectorIfEEZNS1_11reduce_implILb1ES3_PfS7_f9plus_mod3IfEEE10hipError_tPvRmT1_T2_T3_mT4_P12ihipStream_tbEUlT_E1_NS1_11comp_targetILNS1_3genE2ELNS1_11target_archE906ELNS1_3gpuE6ELNS1_3repE0EEENS1_30default_config_static_selectorELNS0_4arch9wavefront6targetE1EEEvSD_
; %bb.0:
	.section	.rodata,"a",@progbits
	.p2align	6, 0x0
	.amdhsa_kernel _ZN7rocprim17ROCPRIM_400000_NS6detail17trampoline_kernelINS0_14default_configENS1_22reduce_config_selectorIfEEZNS1_11reduce_implILb1ES3_PfS7_f9plus_mod3IfEEE10hipError_tPvRmT1_T2_T3_mT4_P12ihipStream_tbEUlT_E1_NS1_11comp_targetILNS1_3genE2ELNS1_11target_archE906ELNS1_3gpuE6ELNS1_3repE0EEENS1_30default_config_static_selectorELNS0_4arch9wavefront6targetE1EEEvSD_
		.amdhsa_group_segment_fixed_size 0
		.amdhsa_private_segment_fixed_size 0
		.amdhsa_kernarg_size 48
		.amdhsa_user_sgpr_count 2
		.amdhsa_user_sgpr_dispatch_ptr 0
		.amdhsa_user_sgpr_queue_ptr 0
		.amdhsa_user_sgpr_kernarg_segment_ptr 1
		.amdhsa_user_sgpr_dispatch_id 0
		.amdhsa_user_sgpr_kernarg_preload_length 0
		.amdhsa_user_sgpr_kernarg_preload_offset 0
		.amdhsa_user_sgpr_private_segment_size 0
		.amdhsa_uses_dynamic_stack 0
		.amdhsa_enable_private_segment 0
		.amdhsa_system_sgpr_workgroup_id_x 1
		.amdhsa_system_sgpr_workgroup_id_y 0
		.amdhsa_system_sgpr_workgroup_id_z 0
		.amdhsa_system_sgpr_workgroup_info 0
		.amdhsa_system_vgpr_workitem_id 0
		.amdhsa_next_free_vgpr 1
		.amdhsa_next_free_sgpr 0
		.amdhsa_accum_offset 4
		.amdhsa_reserve_vcc 0
		.amdhsa_float_round_mode_32 0
		.amdhsa_float_round_mode_16_64 0
		.amdhsa_float_denorm_mode_32 3
		.amdhsa_float_denorm_mode_16_64 3
		.amdhsa_dx10_clamp 1
		.amdhsa_ieee_mode 1
		.amdhsa_fp16_overflow 0
		.amdhsa_tg_split 0
		.amdhsa_exception_fp_ieee_invalid_op 0
		.amdhsa_exception_fp_denorm_src 0
		.amdhsa_exception_fp_ieee_div_zero 0
		.amdhsa_exception_fp_ieee_overflow 0
		.amdhsa_exception_fp_ieee_underflow 0
		.amdhsa_exception_fp_ieee_inexact 0
		.amdhsa_exception_int_div_zero 0
	.end_amdhsa_kernel
	.section	.text._ZN7rocprim17ROCPRIM_400000_NS6detail17trampoline_kernelINS0_14default_configENS1_22reduce_config_selectorIfEEZNS1_11reduce_implILb1ES3_PfS7_f9plus_mod3IfEEE10hipError_tPvRmT1_T2_T3_mT4_P12ihipStream_tbEUlT_E1_NS1_11comp_targetILNS1_3genE2ELNS1_11target_archE906ELNS1_3gpuE6ELNS1_3repE0EEENS1_30default_config_static_selectorELNS0_4arch9wavefront6targetE1EEEvSD_,"axG",@progbits,_ZN7rocprim17ROCPRIM_400000_NS6detail17trampoline_kernelINS0_14default_configENS1_22reduce_config_selectorIfEEZNS1_11reduce_implILb1ES3_PfS7_f9plus_mod3IfEEE10hipError_tPvRmT1_T2_T3_mT4_P12ihipStream_tbEUlT_E1_NS1_11comp_targetILNS1_3genE2ELNS1_11target_archE906ELNS1_3gpuE6ELNS1_3repE0EEENS1_30default_config_static_selectorELNS0_4arch9wavefront6targetE1EEEvSD_,comdat
.Lfunc_end744:
	.size	_ZN7rocprim17ROCPRIM_400000_NS6detail17trampoline_kernelINS0_14default_configENS1_22reduce_config_selectorIfEEZNS1_11reduce_implILb1ES3_PfS7_f9plus_mod3IfEEE10hipError_tPvRmT1_T2_T3_mT4_P12ihipStream_tbEUlT_E1_NS1_11comp_targetILNS1_3genE2ELNS1_11target_archE906ELNS1_3gpuE6ELNS1_3repE0EEENS1_30default_config_static_selectorELNS0_4arch9wavefront6targetE1EEEvSD_, .Lfunc_end744-_ZN7rocprim17ROCPRIM_400000_NS6detail17trampoline_kernelINS0_14default_configENS1_22reduce_config_selectorIfEEZNS1_11reduce_implILb1ES3_PfS7_f9plus_mod3IfEEE10hipError_tPvRmT1_T2_T3_mT4_P12ihipStream_tbEUlT_E1_NS1_11comp_targetILNS1_3genE2ELNS1_11target_archE906ELNS1_3gpuE6ELNS1_3repE0EEENS1_30default_config_static_selectorELNS0_4arch9wavefront6targetE1EEEvSD_
                                        ; -- End function
	.set _ZN7rocprim17ROCPRIM_400000_NS6detail17trampoline_kernelINS0_14default_configENS1_22reduce_config_selectorIfEEZNS1_11reduce_implILb1ES3_PfS7_f9plus_mod3IfEEE10hipError_tPvRmT1_T2_T3_mT4_P12ihipStream_tbEUlT_E1_NS1_11comp_targetILNS1_3genE2ELNS1_11target_archE906ELNS1_3gpuE6ELNS1_3repE0EEENS1_30default_config_static_selectorELNS0_4arch9wavefront6targetE1EEEvSD_.num_vgpr, 0
	.set _ZN7rocprim17ROCPRIM_400000_NS6detail17trampoline_kernelINS0_14default_configENS1_22reduce_config_selectorIfEEZNS1_11reduce_implILb1ES3_PfS7_f9plus_mod3IfEEE10hipError_tPvRmT1_T2_T3_mT4_P12ihipStream_tbEUlT_E1_NS1_11comp_targetILNS1_3genE2ELNS1_11target_archE906ELNS1_3gpuE6ELNS1_3repE0EEENS1_30default_config_static_selectorELNS0_4arch9wavefront6targetE1EEEvSD_.num_agpr, 0
	.set _ZN7rocprim17ROCPRIM_400000_NS6detail17trampoline_kernelINS0_14default_configENS1_22reduce_config_selectorIfEEZNS1_11reduce_implILb1ES3_PfS7_f9plus_mod3IfEEE10hipError_tPvRmT1_T2_T3_mT4_P12ihipStream_tbEUlT_E1_NS1_11comp_targetILNS1_3genE2ELNS1_11target_archE906ELNS1_3gpuE6ELNS1_3repE0EEENS1_30default_config_static_selectorELNS0_4arch9wavefront6targetE1EEEvSD_.numbered_sgpr, 0
	.set _ZN7rocprim17ROCPRIM_400000_NS6detail17trampoline_kernelINS0_14default_configENS1_22reduce_config_selectorIfEEZNS1_11reduce_implILb1ES3_PfS7_f9plus_mod3IfEEE10hipError_tPvRmT1_T2_T3_mT4_P12ihipStream_tbEUlT_E1_NS1_11comp_targetILNS1_3genE2ELNS1_11target_archE906ELNS1_3gpuE6ELNS1_3repE0EEENS1_30default_config_static_selectorELNS0_4arch9wavefront6targetE1EEEvSD_.num_named_barrier, 0
	.set _ZN7rocprim17ROCPRIM_400000_NS6detail17trampoline_kernelINS0_14default_configENS1_22reduce_config_selectorIfEEZNS1_11reduce_implILb1ES3_PfS7_f9plus_mod3IfEEE10hipError_tPvRmT1_T2_T3_mT4_P12ihipStream_tbEUlT_E1_NS1_11comp_targetILNS1_3genE2ELNS1_11target_archE906ELNS1_3gpuE6ELNS1_3repE0EEENS1_30default_config_static_selectorELNS0_4arch9wavefront6targetE1EEEvSD_.private_seg_size, 0
	.set _ZN7rocprim17ROCPRIM_400000_NS6detail17trampoline_kernelINS0_14default_configENS1_22reduce_config_selectorIfEEZNS1_11reduce_implILb1ES3_PfS7_f9plus_mod3IfEEE10hipError_tPvRmT1_T2_T3_mT4_P12ihipStream_tbEUlT_E1_NS1_11comp_targetILNS1_3genE2ELNS1_11target_archE906ELNS1_3gpuE6ELNS1_3repE0EEENS1_30default_config_static_selectorELNS0_4arch9wavefront6targetE1EEEvSD_.uses_vcc, 0
	.set _ZN7rocprim17ROCPRIM_400000_NS6detail17trampoline_kernelINS0_14default_configENS1_22reduce_config_selectorIfEEZNS1_11reduce_implILb1ES3_PfS7_f9plus_mod3IfEEE10hipError_tPvRmT1_T2_T3_mT4_P12ihipStream_tbEUlT_E1_NS1_11comp_targetILNS1_3genE2ELNS1_11target_archE906ELNS1_3gpuE6ELNS1_3repE0EEENS1_30default_config_static_selectorELNS0_4arch9wavefront6targetE1EEEvSD_.uses_flat_scratch, 0
	.set _ZN7rocprim17ROCPRIM_400000_NS6detail17trampoline_kernelINS0_14default_configENS1_22reduce_config_selectorIfEEZNS1_11reduce_implILb1ES3_PfS7_f9plus_mod3IfEEE10hipError_tPvRmT1_T2_T3_mT4_P12ihipStream_tbEUlT_E1_NS1_11comp_targetILNS1_3genE2ELNS1_11target_archE906ELNS1_3gpuE6ELNS1_3repE0EEENS1_30default_config_static_selectorELNS0_4arch9wavefront6targetE1EEEvSD_.has_dyn_sized_stack, 0
	.set _ZN7rocprim17ROCPRIM_400000_NS6detail17trampoline_kernelINS0_14default_configENS1_22reduce_config_selectorIfEEZNS1_11reduce_implILb1ES3_PfS7_f9plus_mod3IfEEE10hipError_tPvRmT1_T2_T3_mT4_P12ihipStream_tbEUlT_E1_NS1_11comp_targetILNS1_3genE2ELNS1_11target_archE906ELNS1_3gpuE6ELNS1_3repE0EEENS1_30default_config_static_selectorELNS0_4arch9wavefront6targetE1EEEvSD_.has_recursion, 0
	.set _ZN7rocprim17ROCPRIM_400000_NS6detail17trampoline_kernelINS0_14default_configENS1_22reduce_config_selectorIfEEZNS1_11reduce_implILb1ES3_PfS7_f9plus_mod3IfEEE10hipError_tPvRmT1_T2_T3_mT4_P12ihipStream_tbEUlT_E1_NS1_11comp_targetILNS1_3genE2ELNS1_11target_archE906ELNS1_3gpuE6ELNS1_3repE0EEENS1_30default_config_static_selectorELNS0_4arch9wavefront6targetE1EEEvSD_.has_indirect_call, 0
	.section	.AMDGPU.csdata,"",@progbits
; Kernel info:
; codeLenInByte = 0
; TotalNumSgprs: 6
; NumVgprs: 0
; NumAgprs: 0
; TotalNumVgprs: 0
; ScratchSize: 0
; MemoryBound: 0
; FloatMode: 240
; IeeeMode: 1
; LDSByteSize: 0 bytes/workgroup (compile time only)
; SGPRBlocks: 0
; VGPRBlocks: 0
; NumSGPRsForWavesPerEU: 6
; NumVGPRsForWavesPerEU: 1
; AccumOffset: 4
; Occupancy: 8
; WaveLimiterHint : 0
; COMPUTE_PGM_RSRC2:SCRATCH_EN: 0
; COMPUTE_PGM_RSRC2:USER_SGPR: 2
; COMPUTE_PGM_RSRC2:TRAP_HANDLER: 0
; COMPUTE_PGM_RSRC2:TGID_X_EN: 1
; COMPUTE_PGM_RSRC2:TGID_Y_EN: 0
; COMPUTE_PGM_RSRC2:TGID_Z_EN: 0
; COMPUTE_PGM_RSRC2:TIDIG_COMP_CNT: 0
; COMPUTE_PGM_RSRC3_GFX90A:ACCUM_OFFSET: 0
; COMPUTE_PGM_RSRC3_GFX90A:TG_SPLIT: 0
	.section	.text._ZN7rocprim17ROCPRIM_400000_NS6detail17trampoline_kernelINS0_14default_configENS1_22reduce_config_selectorIfEEZNS1_11reduce_implILb1ES3_PfS7_f9plus_mod3IfEEE10hipError_tPvRmT1_T2_T3_mT4_P12ihipStream_tbEUlT_E1_NS1_11comp_targetILNS1_3genE10ELNS1_11target_archE1201ELNS1_3gpuE5ELNS1_3repE0EEENS1_30default_config_static_selectorELNS0_4arch9wavefront6targetE1EEEvSD_,"axG",@progbits,_ZN7rocprim17ROCPRIM_400000_NS6detail17trampoline_kernelINS0_14default_configENS1_22reduce_config_selectorIfEEZNS1_11reduce_implILb1ES3_PfS7_f9plus_mod3IfEEE10hipError_tPvRmT1_T2_T3_mT4_P12ihipStream_tbEUlT_E1_NS1_11comp_targetILNS1_3genE10ELNS1_11target_archE1201ELNS1_3gpuE5ELNS1_3repE0EEENS1_30default_config_static_selectorELNS0_4arch9wavefront6targetE1EEEvSD_,comdat
	.protected	_ZN7rocprim17ROCPRIM_400000_NS6detail17trampoline_kernelINS0_14default_configENS1_22reduce_config_selectorIfEEZNS1_11reduce_implILb1ES3_PfS7_f9plus_mod3IfEEE10hipError_tPvRmT1_T2_T3_mT4_P12ihipStream_tbEUlT_E1_NS1_11comp_targetILNS1_3genE10ELNS1_11target_archE1201ELNS1_3gpuE5ELNS1_3repE0EEENS1_30default_config_static_selectorELNS0_4arch9wavefront6targetE1EEEvSD_ ; -- Begin function _ZN7rocprim17ROCPRIM_400000_NS6detail17trampoline_kernelINS0_14default_configENS1_22reduce_config_selectorIfEEZNS1_11reduce_implILb1ES3_PfS7_f9plus_mod3IfEEE10hipError_tPvRmT1_T2_T3_mT4_P12ihipStream_tbEUlT_E1_NS1_11comp_targetILNS1_3genE10ELNS1_11target_archE1201ELNS1_3gpuE5ELNS1_3repE0EEENS1_30default_config_static_selectorELNS0_4arch9wavefront6targetE1EEEvSD_
	.globl	_ZN7rocprim17ROCPRIM_400000_NS6detail17trampoline_kernelINS0_14default_configENS1_22reduce_config_selectorIfEEZNS1_11reduce_implILb1ES3_PfS7_f9plus_mod3IfEEE10hipError_tPvRmT1_T2_T3_mT4_P12ihipStream_tbEUlT_E1_NS1_11comp_targetILNS1_3genE10ELNS1_11target_archE1201ELNS1_3gpuE5ELNS1_3repE0EEENS1_30default_config_static_selectorELNS0_4arch9wavefront6targetE1EEEvSD_
	.p2align	8
	.type	_ZN7rocprim17ROCPRIM_400000_NS6detail17trampoline_kernelINS0_14default_configENS1_22reduce_config_selectorIfEEZNS1_11reduce_implILb1ES3_PfS7_f9plus_mod3IfEEE10hipError_tPvRmT1_T2_T3_mT4_P12ihipStream_tbEUlT_E1_NS1_11comp_targetILNS1_3genE10ELNS1_11target_archE1201ELNS1_3gpuE5ELNS1_3repE0EEENS1_30default_config_static_selectorELNS0_4arch9wavefront6targetE1EEEvSD_,@function
_ZN7rocprim17ROCPRIM_400000_NS6detail17trampoline_kernelINS0_14default_configENS1_22reduce_config_selectorIfEEZNS1_11reduce_implILb1ES3_PfS7_f9plus_mod3IfEEE10hipError_tPvRmT1_T2_T3_mT4_P12ihipStream_tbEUlT_E1_NS1_11comp_targetILNS1_3genE10ELNS1_11target_archE1201ELNS1_3gpuE5ELNS1_3repE0EEENS1_30default_config_static_selectorELNS0_4arch9wavefront6targetE1EEEvSD_: ; @_ZN7rocprim17ROCPRIM_400000_NS6detail17trampoline_kernelINS0_14default_configENS1_22reduce_config_selectorIfEEZNS1_11reduce_implILb1ES3_PfS7_f9plus_mod3IfEEE10hipError_tPvRmT1_T2_T3_mT4_P12ihipStream_tbEUlT_E1_NS1_11comp_targetILNS1_3genE10ELNS1_11target_archE1201ELNS1_3gpuE5ELNS1_3repE0EEENS1_30default_config_static_selectorELNS0_4arch9wavefront6targetE1EEEvSD_
; %bb.0:
	.section	.rodata,"a",@progbits
	.p2align	6, 0x0
	.amdhsa_kernel _ZN7rocprim17ROCPRIM_400000_NS6detail17trampoline_kernelINS0_14default_configENS1_22reduce_config_selectorIfEEZNS1_11reduce_implILb1ES3_PfS7_f9plus_mod3IfEEE10hipError_tPvRmT1_T2_T3_mT4_P12ihipStream_tbEUlT_E1_NS1_11comp_targetILNS1_3genE10ELNS1_11target_archE1201ELNS1_3gpuE5ELNS1_3repE0EEENS1_30default_config_static_selectorELNS0_4arch9wavefront6targetE1EEEvSD_
		.amdhsa_group_segment_fixed_size 0
		.amdhsa_private_segment_fixed_size 0
		.amdhsa_kernarg_size 48
		.amdhsa_user_sgpr_count 2
		.amdhsa_user_sgpr_dispatch_ptr 0
		.amdhsa_user_sgpr_queue_ptr 0
		.amdhsa_user_sgpr_kernarg_segment_ptr 1
		.amdhsa_user_sgpr_dispatch_id 0
		.amdhsa_user_sgpr_kernarg_preload_length 0
		.amdhsa_user_sgpr_kernarg_preload_offset 0
		.amdhsa_user_sgpr_private_segment_size 0
		.amdhsa_uses_dynamic_stack 0
		.amdhsa_enable_private_segment 0
		.amdhsa_system_sgpr_workgroup_id_x 1
		.amdhsa_system_sgpr_workgroup_id_y 0
		.amdhsa_system_sgpr_workgroup_id_z 0
		.amdhsa_system_sgpr_workgroup_info 0
		.amdhsa_system_vgpr_workitem_id 0
		.amdhsa_next_free_vgpr 1
		.amdhsa_next_free_sgpr 0
		.amdhsa_accum_offset 4
		.amdhsa_reserve_vcc 0
		.amdhsa_float_round_mode_32 0
		.amdhsa_float_round_mode_16_64 0
		.amdhsa_float_denorm_mode_32 3
		.amdhsa_float_denorm_mode_16_64 3
		.amdhsa_dx10_clamp 1
		.amdhsa_ieee_mode 1
		.amdhsa_fp16_overflow 0
		.amdhsa_tg_split 0
		.amdhsa_exception_fp_ieee_invalid_op 0
		.amdhsa_exception_fp_denorm_src 0
		.amdhsa_exception_fp_ieee_div_zero 0
		.amdhsa_exception_fp_ieee_overflow 0
		.amdhsa_exception_fp_ieee_underflow 0
		.amdhsa_exception_fp_ieee_inexact 0
		.amdhsa_exception_int_div_zero 0
	.end_amdhsa_kernel
	.section	.text._ZN7rocprim17ROCPRIM_400000_NS6detail17trampoline_kernelINS0_14default_configENS1_22reduce_config_selectorIfEEZNS1_11reduce_implILb1ES3_PfS7_f9plus_mod3IfEEE10hipError_tPvRmT1_T2_T3_mT4_P12ihipStream_tbEUlT_E1_NS1_11comp_targetILNS1_3genE10ELNS1_11target_archE1201ELNS1_3gpuE5ELNS1_3repE0EEENS1_30default_config_static_selectorELNS0_4arch9wavefront6targetE1EEEvSD_,"axG",@progbits,_ZN7rocprim17ROCPRIM_400000_NS6detail17trampoline_kernelINS0_14default_configENS1_22reduce_config_selectorIfEEZNS1_11reduce_implILb1ES3_PfS7_f9plus_mod3IfEEE10hipError_tPvRmT1_T2_T3_mT4_P12ihipStream_tbEUlT_E1_NS1_11comp_targetILNS1_3genE10ELNS1_11target_archE1201ELNS1_3gpuE5ELNS1_3repE0EEENS1_30default_config_static_selectorELNS0_4arch9wavefront6targetE1EEEvSD_,comdat
.Lfunc_end745:
	.size	_ZN7rocprim17ROCPRIM_400000_NS6detail17trampoline_kernelINS0_14default_configENS1_22reduce_config_selectorIfEEZNS1_11reduce_implILb1ES3_PfS7_f9plus_mod3IfEEE10hipError_tPvRmT1_T2_T3_mT4_P12ihipStream_tbEUlT_E1_NS1_11comp_targetILNS1_3genE10ELNS1_11target_archE1201ELNS1_3gpuE5ELNS1_3repE0EEENS1_30default_config_static_selectorELNS0_4arch9wavefront6targetE1EEEvSD_, .Lfunc_end745-_ZN7rocprim17ROCPRIM_400000_NS6detail17trampoline_kernelINS0_14default_configENS1_22reduce_config_selectorIfEEZNS1_11reduce_implILb1ES3_PfS7_f9plus_mod3IfEEE10hipError_tPvRmT1_T2_T3_mT4_P12ihipStream_tbEUlT_E1_NS1_11comp_targetILNS1_3genE10ELNS1_11target_archE1201ELNS1_3gpuE5ELNS1_3repE0EEENS1_30default_config_static_selectorELNS0_4arch9wavefront6targetE1EEEvSD_
                                        ; -- End function
	.set _ZN7rocprim17ROCPRIM_400000_NS6detail17trampoline_kernelINS0_14default_configENS1_22reduce_config_selectorIfEEZNS1_11reduce_implILb1ES3_PfS7_f9plus_mod3IfEEE10hipError_tPvRmT1_T2_T3_mT4_P12ihipStream_tbEUlT_E1_NS1_11comp_targetILNS1_3genE10ELNS1_11target_archE1201ELNS1_3gpuE5ELNS1_3repE0EEENS1_30default_config_static_selectorELNS0_4arch9wavefront6targetE1EEEvSD_.num_vgpr, 0
	.set _ZN7rocprim17ROCPRIM_400000_NS6detail17trampoline_kernelINS0_14default_configENS1_22reduce_config_selectorIfEEZNS1_11reduce_implILb1ES3_PfS7_f9plus_mod3IfEEE10hipError_tPvRmT1_T2_T3_mT4_P12ihipStream_tbEUlT_E1_NS1_11comp_targetILNS1_3genE10ELNS1_11target_archE1201ELNS1_3gpuE5ELNS1_3repE0EEENS1_30default_config_static_selectorELNS0_4arch9wavefront6targetE1EEEvSD_.num_agpr, 0
	.set _ZN7rocprim17ROCPRIM_400000_NS6detail17trampoline_kernelINS0_14default_configENS1_22reduce_config_selectorIfEEZNS1_11reduce_implILb1ES3_PfS7_f9plus_mod3IfEEE10hipError_tPvRmT1_T2_T3_mT4_P12ihipStream_tbEUlT_E1_NS1_11comp_targetILNS1_3genE10ELNS1_11target_archE1201ELNS1_3gpuE5ELNS1_3repE0EEENS1_30default_config_static_selectorELNS0_4arch9wavefront6targetE1EEEvSD_.numbered_sgpr, 0
	.set _ZN7rocprim17ROCPRIM_400000_NS6detail17trampoline_kernelINS0_14default_configENS1_22reduce_config_selectorIfEEZNS1_11reduce_implILb1ES3_PfS7_f9plus_mod3IfEEE10hipError_tPvRmT1_T2_T3_mT4_P12ihipStream_tbEUlT_E1_NS1_11comp_targetILNS1_3genE10ELNS1_11target_archE1201ELNS1_3gpuE5ELNS1_3repE0EEENS1_30default_config_static_selectorELNS0_4arch9wavefront6targetE1EEEvSD_.num_named_barrier, 0
	.set _ZN7rocprim17ROCPRIM_400000_NS6detail17trampoline_kernelINS0_14default_configENS1_22reduce_config_selectorIfEEZNS1_11reduce_implILb1ES3_PfS7_f9plus_mod3IfEEE10hipError_tPvRmT1_T2_T3_mT4_P12ihipStream_tbEUlT_E1_NS1_11comp_targetILNS1_3genE10ELNS1_11target_archE1201ELNS1_3gpuE5ELNS1_3repE0EEENS1_30default_config_static_selectorELNS0_4arch9wavefront6targetE1EEEvSD_.private_seg_size, 0
	.set _ZN7rocprim17ROCPRIM_400000_NS6detail17trampoline_kernelINS0_14default_configENS1_22reduce_config_selectorIfEEZNS1_11reduce_implILb1ES3_PfS7_f9plus_mod3IfEEE10hipError_tPvRmT1_T2_T3_mT4_P12ihipStream_tbEUlT_E1_NS1_11comp_targetILNS1_3genE10ELNS1_11target_archE1201ELNS1_3gpuE5ELNS1_3repE0EEENS1_30default_config_static_selectorELNS0_4arch9wavefront6targetE1EEEvSD_.uses_vcc, 0
	.set _ZN7rocprim17ROCPRIM_400000_NS6detail17trampoline_kernelINS0_14default_configENS1_22reduce_config_selectorIfEEZNS1_11reduce_implILb1ES3_PfS7_f9plus_mod3IfEEE10hipError_tPvRmT1_T2_T3_mT4_P12ihipStream_tbEUlT_E1_NS1_11comp_targetILNS1_3genE10ELNS1_11target_archE1201ELNS1_3gpuE5ELNS1_3repE0EEENS1_30default_config_static_selectorELNS0_4arch9wavefront6targetE1EEEvSD_.uses_flat_scratch, 0
	.set _ZN7rocprim17ROCPRIM_400000_NS6detail17trampoline_kernelINS0_14default_configENS1_22reduce_config_selectorIfEEZNS1_11reduce_implILb1ES3_PfS7_f9plus_mod3IfEEE10hipError_tPvRmT1_T2_T3_mT4_P12ihipStream_tbEUlT_E1_NS1_11comp_targetILNS1_3genE10ELNS1_11target_archE1201ELNS1_3gpuE5ELNS1_3repE0EEENS1_30default_config_static_selectorELNS0_4arch9wavefront6targetE1EEEvSD_.has_dyn_sized_stack, 0
	.set _ZN7rocprim17ROCPRIM_400000_NS6detail17trampoline_kernelINS0_14default_configENS1_22reduce_config_selectorIfEEZNS1_11reduce_implILb1ES3_PfS7_f9plus_mod3IfEEE10hipError_tPvRmT1_T2_T3_mT4_P12ihipStream_tbEUlT_E1_NS1_11comp_targetILNS1_3genE10ELNS1_11target_archE1201ELNS1_3gpuE5ELNS1_3repE0EEENS1_30default_config_static_selectorELNS0_4arch9wavefront6targetE1EEEvSD_.has_recursion, 0
	.set _ZN7rocprim17ROCPRIM_400000_NS6detail17trampoline_kernelINS0_14default_configENS1_22reduce_config_selectorIfEEZNS1_11reduce_implILb1ES3_PfS7_f9plus_mod3IfEEE10hipError_tPvRmT1_T2_T3_mT4_P12ihipStream_tbEUlT_E1_NS1_11comp_targetILNS1_3genE10ELNS1_11target_archE1201ELNS1_3gpuE5ELNS1_3repE0EEENS1_30default_config_static_selectorELNS0_4arch9wavefront6targetE1EEEvSD_.has_indirect_call, 0
	.section	.AMDGPU.csdata,"",@progbits
; Kernel info:
; codeLenInByte = 0
; TotalNumSgprs: 6
; NumVgprs: 0
; NumAgprs: 0
; TotalNumVgprs: 0
; ScratchSize: 0
; MemoryBound: 0
; FloatMode: 240
; IeeeMode: 1
; LDSByteSize: 0 bytes/workgroup (compile time only)
; SGPRBlocks: 0
; VGPRBlocks: 0
; NumSGPRsForWavesPerEU: 6
; NumVGPRsForWavesPerEU: 1
; AccumOffset: 4
; Occupancy: 8
; WaveLimiterHint : 0
; COMPUTE_PGM_RSRC2:SCRATCH_EN: 0
; COMPUTE_PGM_RSRC2:USER_SGPR: 2
; COMPUTE_PGM_RSRC2:TRAP_HANDLER: 0
; COMPUTE_PGM_RSRC2:TGID_X_EN: 1
; COMPUTE_PGM_RSRC2:TGID_Y_EN: 0
; COMPUTE_PGM_RSRC2:TGID_Z_EN: 0
; COMPUTE_PGM_RSRC2:TIDIG_COMP_CNT: 0
; COMPUTE_PGM_RSRC3_GFX90A:ACCUM_OFFSET: 0
; COMPUTE_PGM_RSRC3_GFX90A:TG_SPLIT: 0
	.section	.text._ZN7rocprim17ROCPRIM_400000_NS6detail17trampoline_kernelINS0_14default_configENS1_22reduce_config_selectorIfEEZNS1_11reduce_implILb1ES3_PfS7_f9plus_mod3IfEEE10hipError_tPvRmT1_T2_T3_mT4_P12ihipStream_tbEUlT_E1_NS1_11comp_targetILNS1_3genE10ELNS1_11target_archE1200ELNS1_3gpuE4ELNS1_3repE0EEENS1_30default_config_static_selectorELNS0_4arch9wavefront6targetE1EEEvSD_,"axG",@progbits,_ZN7rocprim17ROCPRIM_400000_NS6detail17trampoline_kernelINS0_14default_configENS1_22reduce_config_selectorIfEEZNS1_11reduce_implILb1ES3_PfS7_f9plus_mod3IfEEE10hipError_tPvRmT1_T2_T3_mT4_P12ihipStream_tbEUlT_E1_NS1_11comp_targetILNS1_3genE10ELNS1_11target_archE1200ELNS1_3gpuE4ELNS1_3repE0EEENS1_30default_config_static_selectorELNS0_4arch9wavefront6targetE1EEEvSD_,comdat
	.protected	_ZN7rocprim17ROCPRIM_400000_NS6detail17trampoline_kernelINS0_14default_configENS1_22reduce_config_selectorIfEEZNS1_11reduce_implILb1ES3_PfS7_f9plus_mod3IfEEE10hipError_tPvRmT1_T2_T3_mT4_P12ihipStream_tbEUlT_E1_NS1_11comp_targetILNS1_3genE10ELNS1_11target_archE1200ELNS1_3gpuE4ELNS1_3repE0EEENS1_30default_config_static_selectorELNS0_4arch9wavefront6targetE1EEEvSD_ ; -- Begin function _ZN7rocprim17ROCPRIM_400000_NS6detail17trampoline_kernelINS0_14default_configENS1_22reduce_config_selectorIfEEZNS1_11reduce_implILb1ES3_PfS7_f9plus_mod3IfEEE10hipError_tPvRmT1_T2_T3_mT4_P12ihipStream_tbEUlT_E1_NS1_11comp_targetILNS1_3genE10ELNS1_11target_archE1200ELNS1_3gpuE4ELNS1_3repE0EEENS1_30default_config_static_selectorELNS0_4arch9wavefront6targetE1EEEvSD_
	.globl	_ZN7rocprim17ROCPRIM_400000_NS6detail17trampoline_kernelINS0_14default_configENS1_22reduce_config_selectorIfEEZNS1_11reduce_implILb1ES3_PfS7_f9plus_mod3IfEEE10hipError_tPvRmT1_T2_T3_mT4_P12ihipStream_tbEUlT_E1_NS1_11comp_targetILNS1_3genE10ELNS1_11target_archE1200ELNS1_3gpuE4ELNS1_3repE0EEENS1_30default_config_static_selectorELNS0_4arch9wavefront6targetE1EEEvSD_
	.p2align	8
	.type	_ZN7rocprim17ROCPRIM_400000_NS6detail17trampoline_kernelINS0_14default_configENS1_22reduce_config_selectorIfEEZNS1_11reduce_implILb1ES3_PfS7_f9plus_mod3IfEEE10hipError_tPvRmT1_T2_T3_mT4_P12ihipStream_tbEUlT_E1_NS1_11comp_targetILNS1_3genE10ELNS1_11target_archE1200ELNS1_3gpuE4ELNS1_3repE0EEENS1_30default_config_static_selectorELNS0_4arch9wavefront6targetE1EEEvSD_,@function
_ZN7rocprim17ROCPRIM_400000_NS6detail17trampoline_kernelINS0_14default_configENS1_22reduce_config_selectorIfEEZNS1_11reduce_implILb1ES3_PfS7_f9plus_mod3IfEEE10hipError_tPvRmT1_T2_T3_mT4_P12ihipStream_tbEUlT_E1_NS1_11comp_targetILNS1_3genE10ELNS1_11target_archE1200ELNS1_3gpuE4ELNS1_3repE0EEENS1_30default_config_static_selectorELNS0_4arch9wavefront6targetE1EEEvSD_: ; @_ZN7rocprim17ROCPRIM_400000_NS6detail17trampoline_kernelINS0_14default_configENS1_22reduce_config_selectorIfEEZNS1_11reduce_implILb1ES3_PfS7_f9plus_mod3IfEEE10hipError_tPvRmT1_T2_T3_mT4_P12ihipStream_tbEUlT_E1_NS1_11comp_targetILNS1_3genE10ELNS1_11target_archE1200ELNS1_3gpuE4ELNS1_3repE0EEENS1_30default_config_static_selectorELNS0_4arch9wavefront6targetE1EEEvSD_
; %bb.0:
	.section	.rodata,"a",@progbits
	.p2align	6, 0x0
	.amdhsa_kernel _ZN7rocprim17ROCPRIM_400000_NS6detail17trampoline_kernelINS0_14default_configENS1_22reduce_config_selectorIfEEZNS1_11reduce_implILb1ES3_PfS7_f9plus_mod3IfEEE10hipError_tPvRmT1_T2_T3_mT4_P12ihipStream_tbEUlT_E1_NS1_11comp_targetILNS1_3genE10ELNS1_11target_archE1200ELNS1_3gpuE4ELNS1_3repE0EEENS1_30default_config_static_selectorELNS0_4arch9wavefront6targetE1EEEvSD_
		.amdhsa_group_segment_fixed_size 0
		.amdhsa_private_segment_fixed_size 0
		.amdhsa_kernarg_size 48
		.amdhsa_user_sgpr_count 2
		.amdhsa_user_sgpr_dispatch_ptr 0
		.amdhsa_user_sgpr_queue_ptr 0
		.amdhsa_user_sgpr_kernarg_segment_ptr 1
		.amdhsa_user_sgpr_dispatch_id 0
		.amdhsa_user_sgpr_kernarg_preload_length 0
		.amdhsa_user_sgpr_kernarg_preload_offset 0
		.amdhsa_user_sgpr_private_segment_size 0
		.amdhsa_uses_dynamic_stack 0
		.amdhsa_enable_private_segment 0
		.amdhsa_system_sgpr_workgroup_id_x 1
		.amdhsa_system_sgpr_workgroup_id_y 0
		.amdhsa_system_sgpr_workgroup_id_z 0
		.amdhsa_system_sgpr_workgroup_info 0
		.amdhsa_system_vgpr_workitem_id 0
		.amdhsa_next_free_vgpr 1
		.amdhsa_next_free_sgpr 0
		.amdhsa_accum_offset 4
		.amdhsa_reserve_vcc 0
		.amdhsa_float_round_mode_32 0
		.amdhsa_float_round_mode_16_64 0
		.amdhsa_float_denorm_mode_32 3
		.amdhsa_float_denorm_mode_16_64 3
		.amdhsa_dx10_clamp 1
		.amdhsa_ieee_mode 1
		.amdhsa_fp16_overflow 0
		.amdhsa_tg_split 0
		.amdhsa_exception_fp_ieee_invalid_op 0
		.amdhsa_exception_fp_denorm_src 0
		.amdhsa_exception_fp_ieee_div_zero 0
		.amdhsa_exception_fp_ieee_overflow 0
		.amdhsa_exception_fp_ieee_underflow 0
		.amdhsa_exception_fp_ieee_inexact 0
		.amdhsa_exception_int_div_zero 0
	.end_amdhsa_kernel
	.section	.text._ZN7rocprim17ROCPRIM_400000_NS6detail17trampoline_kernelINS0_14default_configENS1_22reduce_config_selectorIfEEZNS1_11reduce_implILb1ES3_PfS7_f9plus_mod3IfEEE10hipError_tPvRmT1_T2_T3_mT4_P12ihipStream_tbEUlT_E1_NS1_11comp_targetILNS1_3genE10ELNS1_11target_archE1200ELNS1_3gpuE4ELNS1_3repE0EEENS1_30default_config_static_selectorELNS0_4arch9wavefront6targetE1EEEvSD_,"axG",@progbits,_ZN7rocprim17ROCPRIM_400000_NS6detail17trampoline_kernelINS0_14default_configENS1_22reduce_config_selectorIfEEZNS1_11reduce_implILb1ES3_PfS7_f9plus_mod3IfEEE10hipError_tPvRmT1_T2_T3_mT4_P12ihipStream_tbEUlT_E1_NS1_11comp_targetILNS1_3genE10ELNS1_11target_archE1200ELNS1_3gpuE4ELNS1_3repE0EEENS1_30default_config_static_selectorELNS0_4arch9wavefront6targetE1EEEvSD_,comdat
.Lfunc_end746:
	.size	_ZN7rocprim17ROCPRIM_400000_NS6detail17trampoline_kernelINS0_14default_configENS1_22reduce_config_selectorIfEEZNS1_11reduce_implILb1ES3_PfS7_f9plus_mod3IfEEE10hipError_tPvRmT1_T2_T3_mT4_P12ihipStream_tbEUlT_E1_NS1_11comp_targetILNS1_3genE10ELNS1_11target_archE1200ELNS1_3gpuE4ELNS1_3repE0EEENS1_30default_config_static_selectorELNS0_4arch9wavefront6targetE1EEEvSD_, .Lfunc_end746-_ZN7rocprim17ROCPRIM_400000_NS6detail17trampoline_kernelINS0_14default_configENS1_22reduce_config_selectorIfEEZNS1_11reduce_implILb1ES3_PfS7_f9plus_mod3IfEEE10hipError_tPvRmT1_T2_T3_mT4_P12ihipStream_tbEUlT_E1_NS1_11comp_targetILNS1_3genE10ELNS1_11target_archE1200ELNS1_3gpuE4ELNS1_3repE0EEENS1_30default_config_static_selectorELNS0_4arch9wavefront6targetE1EEEvSD_
                                        ; -- End function
	.set _ZN7rocprim17ROCPRIM_400000_NS6detail17trampoline_kernelINS0_14default_configENS1_22reduce_config_selectorIfEEZNS1_11reduce_implILb1ES3_PfS7_f9plus_mod3IfEEE10hipError_tPvRmT1_T2_T3_mT4_P12ihipStream_tbEUlT_E1_NS1_11comp_targetILNS1_3genE10ELNS1_11target_archE1200ELNS1_3gpuE4ELNS1_3repE0EEENS1_30default_config_static_selectorELNS0_4arch9wavefront6targetE1EEEvSD_.num_vgpr, 0
	.set _ZN7rocprim17ROCPRIM_400000_NS6detail17trampoline_kernelINS0_14default_configENS1_22reduce_config_selectorIfEEZNS1_11reduce_implILb1ES3_PfS7_f9plus_mod3IfEEE10hipError_tPvRmT1_T2_T3_mT4_P12ihipStream_tbEUlT_E1_NS1_11comp_targetILNS1_3genE10ELNS1_11target_archE1200ELNS1_3gpuE4ELNS1_3repE0EEENS1_30default_config_static_selectorELNS0_4arch9wavefront6targetE1EEEvSD_.num_agpr, 0
	.set _ZN7rocprim17ROCPRIM_400000_NS6detail17trampoline_kernelINS0_14default_configENS1_22reduce_config_selectorIfEEZNS1_11reduce_implILb1ES3_PfS7_f9plus_mod3IfEEE10hipError_tPvRmT1_T2_T3_mT4_P12ihipStream_tbEUlT_E1_NS1_11comp_targetILNS1_3genE10ELNS1_11target_archE1200ELNS1_3gpuE4ELNS1_3repE0EEENS1_30default_config_static_selectorELNS0_4arch9wavefront6targetE1EEEvSD_.numbered_sgpr, 0
	.set _ZN7rocprim17ROCPRIM_400000_NS6detail17trampoline_kernelINS0_14default_configENS1_22reduce_config_selectorIfEEZNS1_11reduce_implILb1ES3_PfS7_f9plus_mod3IfEEE10hipError_tPvRmT1_T2_T3_mT4_P12ihipStream_tbEUlT_E1_NS1_11comp_targetILNS1_3genE10ELNS1_11target_archE1200ELNS1_3gpuE4ELNS1_3repE0EEENS1_30default_config_static_selectorELNS0_4arch9wavefront6targetE1EEEvSD_.num_named_barrier, 0
	.set _ZN7rocprim17ROCPRIM_400000_NS6detail17trampoline_kernelINS0_14default_configENS1_22reduce_config_selectorIfEEZNS1_11reduce_implILb1ES3_PfS7_f9plus_mod3IfEEE10hipError_tPvRmT1_T2_T3_mT4_P12ihipStream_tbEUlT_E1_NS1_11comp_targetILNS1_3genE10ELNS1_11target_archE1200ELNS1_3gpuE4ELNS1_3repE0EEENS1_30default_config_static_selectorELNS0_4arch9wavefront6targetE1EEEvSD_.private_seg_size, 0
	.set _ZN7rocprim17ROCPRIM_400000_NS6detail17trampoline_kernelINS0_14default_configENS1_22reduce_config_selectorIfEEZNS1_11reduce_implILb1ES3_PfS7_f9plus_mod3IfEEE10hipError_tPvRmT1_T2_T3_mT4_P12ihipStream_tbEUlT_E1_NS1_11comp_targetILNS1_3genE10ELNS1_11target_archE1200ELNS1_3gpuE4ELNS1_3repE0EEENS1_30default_config_static_selectorELNS0_4arch9wavefront6targetE1EEEvSD_.uses_vcc, 0
	.set _ZN7rocprim17ROCPRIM_400000_NS6detail17trampoline_kernelINS0_14default_configENS1_22reduce_config_selectorIfEEZNS1_11reduce_implILb1ES3_PfS7_f9plus_mod3IfEEE10hipError_tPvRmT1_T2_T3_mT4_P12ihipStream_tbEUlT_E1_NS1_11comp_targetILNS1_3genE10ELNS1_11target_archE1200ELNS1_3gpuE4ELNS1_3repE0EEENS1_30default_config_static_selectorELNS0_4arch9wavefront6targetE1EEEvSD_.uses_flat_scratch, 0
	.set _ZN7rocprim17ROCPRIM_400000_NS6detail17trampoline_kernelINS0_14default_configENS1_22reduce_config_selectorIfEEZNS1_11reduce_implILb1ES3_PfS7_f9plus_mod3IfEEE10hipError_tPvRmT1_T2_T3_mT4_P12ihipStream_tbEUlT_E1_NS1_11comp_targetILNS1_3genE10ELNS1_11target_archE1200ELNS1_3gpuE4ELNS1_3repE0EEENS1_30default_config_static_selectorELNS0_4arch9wavefront6targetE1EEEvSD_.has_dyn_sized_stack, 0
	.set _ZN7rocprim17ROCPRIM_400000_NS6detail17trampoline_kernelINS0_14default_configENS1_22reduce_config_selectorIfEEZNS1_11reduce_implILb1ES3_PfS7_f9plus_mod3IfEEE10hipError_tPvRmT1_T2_T3_mT4_P12ihipStream_tbEUlT_E1_NS1_11comp_targetILNS1_3genE10ELNS1_11target_archE1200ELNS1_3gpuE4ELNS1_3repE0EEENS1_30default_config_static_selectorELNS0_4arch9wavefront6targetE1EEEvSD_.has_recursion, 0
	.set _ZN7rocprim17ROCPRIM_400000_NS6detail17trampoline_kernelINS0_14default_configENS1_22reduce_config_selectorIfEEZNS1_11reduce_implILb1ES3_PfS7_f9plus_mod3IfEEE10hipError_tPvRmT1_T2_T3_mT4_P12ihipStream_tbEUlT_E1_NS1_11comp_targetILNS1_3genE10ELNS1_11target_archE1200ELNS1_3gpuE4ELNS1_3repE0EEENS1_30default_config_static_selectorELNS0_4arch9wavefront6targetE1EEEvSD_.has_indirect_call, 0
	.section	.AMDGPU.csdata,"",@progbits
; Kernel info:
; codeLenInByte = 0
; TotalNumSgprs: 6
; NumVgprs: 0
; NumAgprs: 0
; TotalNumVgprs: 0
; ScratchSize: 0
; MemoryBound: 0
; FloatMode: 240
; IeeeMode: 1
; LDSByteSize: 0 bytes/workgroup (compile time only)
; SGPRBlocks: 0
; VGPRBlocks: 0
; NumSGPRsForWavesPerEU: 6
; NumVGPRsForWavesPerEU: 1
; AccumOffset: 4
; Occupancy: 8
; WaveLimiterHint : 0
; COMPUTE_PGM_RSRC2:SCRATCH_EN: 0
; COMPUTE_PGM_RSRC2:USER_SGPR: 2
; COMPUTE_PGM_RSRC2:TRAP_HANDLER: 0
; COMPUTE_PGM_RSRC2:TGID_X_EN: 1
; COMPUTE_PGM_RSRC2:TGID_Y_EN: 0
; COMPUTE_PGM_RSRC2:TGID_Z_EN: 0
; COMPUTE_PGM_RSRC2:TIDIG_COMP_CNT: 0
; COMPUTE_PGM_RSRC3_GFX90A:ACCUM_OFFSET: 0
; COMPUTE_PGM_RSRC3_GFX90A:TG_SPLIT: 0
	.section	.text._ZN7rocprim17ROCPRIM_400000_NS6detail17trampoline_kernelINS0_14default_configENS1_22reduce_config_selectorIfEEZNS1_11reduce_implILb1ES3_PfS7_f9plus_mod3IfEEE10hipError_tPvRmT1_T2_T3_mT4_P12ihipStream_tbEUlT_E1_NS1_11comp_targetILNS1_3genE9ELNS1_11target_archE1100ELNS1_3gpuE3ELNS1_3repE0EEENS1_30default_config_static_selectorELNS0_4arch9wavefront6targetE1EEEvSD_,"axG",@progbits,_ZN7rocprim17ROCPRIM_400000_NS6detail17trampoline_kernelINS0_14default_configENS1_22reduce_config_selectorIfEEZNS1_11reduce_implILb1ES3_PfS7_f9plus_mod3IfEEE10hipError_tPvRmT1_T2_T3_mT4_P12ihipStream_tbEUlT_E1_NS1_11comp_targetILNS1_3genE9ELNS1_11target_archE1100ELNS1_3gpuE3ELNS1_3repE0EEENS1_30default_config_static_selectorELNS0_4arch9wavefront6targetE1EEEvSD_,comdat
	.protected	_ZN7rocprim17ROCPRIM_400000_NS6detail17trampoline_kernelINS0_14default_configENS1_22reduce_config_selectorIfEEZNS1_11reduce_implILb1ES3_PfS7_f9plus_mod3IfEEE10hipError_tPvRmT1_T2_T3_mT4_P12ihipStream_tbEUlT_E1_NS1_11comp_targetILNS1_3genE9ELNS1_11target_archE1100ELNS1_3gpuE3ELNS1_3repE0EEENS1_30default_config_static_selectorELNS0_4arch9wavefront6targetE1EEEvSD_ ; -- Begin function _ZN7rocprim17ROCPRIM_400000_NS6detail17trampoline_kernelINS0_14default_configENS1_22reduce_config_selectorIfEEZNS1_11reduce_implILb1ES3_PfS7_f9plus_mod3IfEEE10hipError_tPvRmT1_T2_T3_mT4_P12ihipStream_tbEUlT_E1_NS1_11comp_targetILNS1_3genE9ELNS1_11target_archE1100ELNS1_3gpuE3ELNS1_3repE0EEENS1_30default_config_static_selectorELNS0_4arch9wavefront6targetE1EEEvSD_
	.globl	_ZN7rocprim17ROCPRIM_400000_NS6detail17trampoline_kernelINS0_14default_configENS1_22reduce_config_selectorIfEEZNS1_11reduce_implILb1ES3_PfS7_f9plus_mod3IfEEE10hipError_tPvRmT1_T2_T3_mT4_P12ihipStream_tbEUlT_E1_NS1_11comp_targetILNS1_3genE9ELNS1_11target_archE1100ELNS1_3gpuE3ELNS1_3repE0EEENS1_30default_config_static_selectorELNS0_4arch9wavefront6targetE1EEEvSD_
	.p2align	8
	.type	_ZN7rocprim17ROCPRIM_400000_NS6detail17trampoline_kernelINS0_14default_configENS1_22reduce_config_selectorIfEEZNS1_11reduce_implILb1ES3_PfS7_f9plus_mod3IfEEE10hipError_tPvRmT1_T2_T3_mT4_P12ihipStream_tbEUlT_E1_NS1_11comp_targetILNS1_3genE9ELNS1_11target_archE1100ELNS1_3gpuE3ELNS1_3repE0EEENS1_30default_config_static_selectorELNS0_4arch9wavefront6targetE1EEEvSD_,@function
_ZN7rocprim17ROCPRIM_400000_NS6detail17trampoline_kernelINS0_14default_configENS1_22reduce_config_selectorIfEEZNS1_11reduce_implILb1ES3_PfS7_f9plus_mod3IfEEE10hipError_tPvRmT1_T2_T3_mT4_P12ihipStream_tbEUlT_E1_NS1_11comp_targetILNS1_3genE9ELNS1_11target_archE1100ELNS1_3gpuE3ELNS1_3repE0EEENS1_30default_config_static_selectorELNS0_4arch9wavefront6targetE1EEEvSD_: ; @_ZN7rocprim17ROCPRIM_400000_NS6detail17trampoline_kernelINS0_14default_configENS1_22reduce_config_selectorIfEEZNS1_11reduce_implILb1ES3_PfS7_f9plus_mod3IfEEE10hipError_tPvRmT1_T2_T3_mT4_P12ihipStream_tbEUlT_E1_NS1_11comp_targetILNS1_3genE9ELNS1_11target_archE1100ELNS1_3gpuE3ELNS1_3repE0EEENS1_30default_config_static_selectorELNS0_4arch9wavefront6targetE1EEEvSD_
; %bb.0:
	.section	.rodata,"a",@progbits
	.p2align	6, 0x0
	.amdhsa_kernel _ZN7rocprim17ROCPRIM_400000_NS6detail17trampoline_kernelINS0_14default_configENS1_22reduce_config_selectorIfEEZNS1_11reduce_implILb1ES3_PfS7_f9plus_mod3IfEEE10hipError_tPvRmT1_T2_T3_mT4_P12ihipStream_tbEUlT_E1_NS1_11comp_targetILNS1_3genE9ELNS1_11target_archE1100ELNS1_3gpuE3ELNS1_3repE0EEENS1_30default_config_static_selectorELNS0_4arch9wavefront6targetE1EEEvSD_
		.amdhsa_group_segment_fixed_size 0
		.amdhsa_private_segment_fixed_size 0
		.amdhsa_kernarg_size 48
		.amdhsa_user_sgpr_count 2
		.amdhsa_user_sgpr_dispatch_ptr 0
		.amdhsa_user_sgpr_queue_ptr 0
		.amdhsa_user_sgpr_kernarg_segment_ptr 1
		.amdhsa_user_sgpr_dispatch_id 0
		.amdhsa_user_sgpr_kernarg_preload_length 0
		.amdhsa_user_sgpr_kernarg_preload_offset 0
		.amdhsa_user_sgpr_private_segment_size 0
		.amdhsa_uses_dynamic_stack 0
		.amdhsa_enable_private_segment 0
		.amdhsa_system_sgpr_workgroup_id_x 1
		.amdhsa_system_sgpr_workgroup_id_y 0
		.amdhsa_system_sgpr_workgroup_id_z 0
		.amdhsa_system_sgpr_workgroup_info 0
		.amdhsa_system_vgpr_workitem_id 0
		.amdhsa_next_free_vgpr 1
		.amdhsa_next_free_sgpr 0
		.amdhsa_accum_offset 4
		.amdhsa_reserve_vcc 0
		.amdhsa_float_round_mode_32 0
		.amdhsa_float_round_mode_16_64 0
		.amdhsa_float_denorm_mode_32 3
		.amdhsa_float_denorm_mode_16_64 3
		.amdhsa_dx10_clamp 1
		.amdhsa_ieee_mode 1
		.amdhsa_fp16_overflow 0
		.amdhsa_tg_split 0
		.amdhsa_exception_fp_ieee_invalid_op 0
		.amdhsa_exception_fp_denorm_src 0
		.amdhsa_exception_fp_ieee_div_zero 0
		.amdhsa_exception_fp_ieee_overflow 0
		.amdhsa_exception_fp_ieee_underflow 0
		.amdhsa_exception_fp_ieee_inexact 0
		.amdhsa_exception_int_div_zero 0
	.end_amdhsa_kernel
	.section	.text._ZN7rocprim17ROCPRIM_400000_NS6detail17trampoline_kernelINS0_14default_configENS1_22reduce_config_selectorIfEEZNS1_11reduce_implILb1ES3_PfS7_f9plus_mod3IfEEE10hipError_tPvRmT1_T2_T3_mT4_P12ihipStream_tbEUlT_E1_NS1_11comp_targetILNS1_3genE9ELNS1_11target_archE1100ELNS1_3gpuE3ELNS1_3repE0EEENS1_30default_config_static_selectorELNS0_4arch9wavefront6targetE1EEEvSD_,"axG",@progbits,_ZN7rocprim17ROCPRIM_400000_NS6detail17trampoline_kernelINS0_14default_configENS1_22reduce_config_selectorIfEEZNS1_11reduce_implILb1ES3_PfS7_f9plus_mod3IfEEE10hipError_tPvRmT1_T2_T3_mT4_P12ihipStream_tbEUlT_E1_NS1_11comp_targetILNS1_3genE9ELNS1_11target_archE1100ELNS1_3gpuE3ELNS1_3repE0EEENS1_30default_config_static_selectorELNS0_4arch9wavefront6targetE1EEEvSD_,comdat
.Lfunc_end747:
	.size	_ZN7rocprim17ROCPRIM_400000_NS6detail17trampoline_kernelINS0_14default_configENS1_22reduce_config_selectorIfEEZNS1_11reduce_implILb1ES3_PfS7_f9plus_mod3IfEEE10hipError_tPvRmT1_T2_T3_mT4_P12ihipStream_tbEUlT_E1_NS1_11comp_targetILNS1_3genE9ELNS1_11target_archE1100ELNS1_3gpuE3ELNS1_3repE0EEENS1_30default_config_static_selectorELNS0_4arch9wavefront6targetE1EEEvSD_, .Lfunc_end747-_ZN7rocprim17ROCPRIM_400000_NS6detail17trampoline_kernelINS0_14default_configENS1_22reduce_config_selectorIfEEZNS1_11reduce_implILb1ES3_PfS7_f9plus_mod3IfEEE10hipError_tPvRmT1_T2_T3_mT4_P12ihipStream_tbEUlT_E1_NS1_11comp_targetILNS1_3genE9ELNS1_11target_archE1100ELNS1_3gpuE3ELNS1_3repE0EEENS1_30default_config_static_selectorELNS0_4arch9wavefront6targetE1EEEvSD_
                                        ; -- End function
	.set _ZN7rocprim17ROCPRIM_400000_NS6detail17trampoline_kernelINS0_14default_configENS1_22reduce_config_selectorIfEEZNS1_11reduce_implILb1ES3_PfS7_f9plus_mod3IfEEE10hipError_tPvRmT1_T2_T3_mT4_P12ihipStream_tbEUlT_E1_NS1_11comp_targetILNS1_3genE9ELNS1_11target_archE1100ELNS1_3gpuE3ELNS1_3repE0EEENS1_30default_config_static_selectorELNS0_4arch9wavefront6targetE1EEEvSD_.num_vgpr, 0
	.set _ZN7rocprim17ROCPRIM_400000_NS6detail17trampoline_kernelINS0_14default_configENS1_22reduce_config_selectorIfEEZNS1_11reduce_implILb1ES3_PfS7_f9plus_mod3IfEEE10hipError_tPvRmT1_T2_T3_mT4_P12ihipStream_tbEUlT_E1_NS1_11comp_targetILNS1_3genE9ELNS1_11target_archE1100ELNS1_3gpuE3ELNS1_3repE0EEENS1_30default_config_static_selectorELNS0_4arch9wavefront6targetE1EEEvSD_.num_agpr, 0
	.set _ZN7rocprim17ROCPRIM_400000_NS6detail17trampoline_kernelINS0_14default_configENS1_22reduce_config_selectorIfEEZNS1_11reduce_implILb1ES3_PfS7_f9plus_mod3IfEEE10hipError_tPvRmT1_T2_T3_mT4_P12ihipStream_tbEUlT_E1_NS1_11comp_targetILNS1_3genE9ELNS1_11target_archE1100ELNS1_3gpuE3ELNS1_3repE0EEENS1_30default_config_static_selectorELNS0_4arch9wavefront6targetE1EEEvSD_.numbered_sgpr, 0
	.set _ZN7rocprim17ROCPRIM_400000_NS6detail17trampoline_kernelINS0_14default_configENS1_22reduce_config_selectorIfEEZNS1_11reduce_implILb1ES3_PfS7_f9plus_mod3IfEEE10hipError_tPvRmT1_T2_T3_mT4_P12ihipStream_tbEUlT_E1_NS1_11comp_targetILNS1_3genE9ELNS1_11target_archE1100ELNS1_3gpuE3ELNS1_3repE0EEENS1_30default_config_static_selectorELNS0_4arch9wavefront6targetE1EEEvSD_.num_named_barrier, 0
	.set _ZN7rocprim17ROCPRIM_400000_NS6detail17trampoline_kernelINS0_14default_configENS1_22reduce_config_selectorIfEEZNS1_11reduce_implILb1ES3_PfS7_f9plus_mod3IfEEE10hipError_tPvRmT1_T2_T3_mT4_P12ihipStream_tbEUlT_E1_NS1_11comp_targetILNS1_3genE9ELNS1_11target_archE1100ELNS1_3gpuE3ELNS1_3repE0EEENS1_30default_config_static_selectorELNS0_4arch9wavefront6targetE1EEEvSD_.private_seg_size, 0
	.set _ZN7rocprim17ROCPRIM_400000_NS6detail17trampoline_kernelINS0_14default_configENS1_22reduce_config_selectorIfEEZNS1_11reduce_implILb1ES3_PfS7_f9plus_mod3IfEEE10hipError_tPvRmT1_T2_T3_mT4_P12ihipStream_tbEUlT_E1_NS1_11comp_targetILNS1_3genE9ELNS1_11target_archE1100ELNS1_3gpuE3ELNS1_3repE0EEENS1_30default_config_static_selectorELNS0_4arch9wavefront6targetE1EEEvSD_.uses_vcc, 0
	.set _ZN7rocprim17ROCPRIM_400000_NS6detail17trampoline_kernelINS0_14default_configENS1_22reduce_config_selectorIfEEZNS1_11reduce_implILb1ES3_PfS7_f9plus_mod3IfEEE10hipError_tPvRmT1_T2_T3_mT4_P12ihipStream_tbEUlT_E1_NS1_11comp_targetILNS1_3genE9ELNS1_11target_archE1100ELNS1_3gpuE3ELNS1_3repE0EEENS1_30default_config_static_selectorELNS0_4arch9wavefront6targetE1EEEvSD_.uses_flat_scratch, 0
	.set _ZN7rocprim17ROCPRIM_400000_NS6detail17trampoline_kernelINS0_14default_configENS1_22reduce_config_selectorIfEEZNS1_11reduce_implILb1ES3_PfS7_f9plus_mod3IfEEE10hipError_tPvRmT1_T2_T3_mT4_P12ihipStream_tbEUlT_E1_NS1_11comp_targetILNS1_3genE9ELNS1_11target_archE1100ELNS1_3gpuE3ELNS1_3repE0EEENS1_30default_config_static_selectorELNS0_4arch9wavefront6targetE1EEEvSD_.has_dyn_sized_stack, 0
	.set _ZN7rocprim17ROCPRIM_400000_NS6detail17trampoline_kernelINS0_14default_configENS1_22reduce_config_selectorIfEEZNS1_11reduce_implILb1ES3_PfS7_f9plus_mod3IfEEE10hipError_tPvRmT1_T2_T3_mT4_P12ihipStream_tbEUlT_E1_NS1_11comp_targetILNS1_3genE9ELNS1_11target_archE1100ELNS1_3gpuE3ELNS1_3repE0EEENS1_30default_config_static_selectorELNS0_4arch9wavefront6targetE1EEEvSD_.has_recursion, 0
	.set _ZN7rocprim17ROCPRIM_400000_NS6detail17trampoline_kernelINS0_14default_configENS1_22reduce_config_selectorIfEEZNS1_11reduce_implILb1ES3_PfS7_f9plus_mod3IfEEE10hipError_tPvRmT1_T2_T3_mT4_P12ihipStream_tbEUlT_E1_NS1_11comp_targetILNS1_3genE9ELNS1_11target_archE1100ELNS1_3gpuE3ELNS1_3repE0EEENS1_30default_config_static_selectorELNS0_4arch9wavefront6targetE1EEEvSD_.has_indirect_call, 0
	.section	.AMDGPU.csdata,"",@progbits
; Kernel info:
; codeLenInByte = 0
; TotalNumSgprs: 6
; NumVgprs: 0
; NumAgprs: 0
; TotalNumVgprs: 0
; ScratchSize: 0
; MemoryBound: 0
; FloatMode: 240
; IeeeMode: 1
; LDSByteSize: 0 bytes/workgroup (compile time only)
; SGPRBlocks: 0
; VGPRBlocks: 0
; NumSGPRsForWavesPerEU: 6
; NumVGPRsForWavesPerEU: 1
; AccumOffset: 4
; Occupancy: 8
; WaveLimiterHint : 0
; COMPUTE_PGM_RSRC2:SCRATCH_EN: 0
; COMPUTE_PGM_RSRC2:USER_SGPR: 2
; COMPUTE_PGM_RSRC2:TRAP_HANDLER: 0
; COMPUTE_PGM_RSRC2:TGID_X_EN: 1
; COMPUTE_PGM_RSRC2:TGID_Y_EN: 0
; COMPUTE_PGM_RSRC2:TGID_Z_EN: 0
; COMPUTE_PGM_RSRC2:TIDIG_COMP_CNT: 0
; COMPUTE_PGM_RSRC3_GFX90A:ACCUM_OFFSET: 0
; COMPUTE_PGM_RSRC3_GFX90A:TG_SPLIT: 0
	.section	.text._ZN7rocprim17ROCPRIM_400000_NS6detail17trampoline_kernelINS0_14default_configENS1_22reduce_config_selectorIfEEZNS1_11reduce_implILb1ES3_PfS7_f9plus_mod3IfEEE10hipError_tPvRmT1_T2_T3_mT4_P12ihipStream_tbEUlT_E1_NS1_11comp_targetILNS1_3genE8ELNS1_11target_archE1030ELNS1_3gpuE2ELNS1_3repE0EEENS1_30default_config_static_selectorELNS0_4arch9wavefront6targetE1EEEvSD_,"axG",@progbits,_ZN7rocprim17ROCPRIM_400000_NS6detail17trampoline_kernelINS0_14default_configENS1_22reduce_config_selectorIfEEZNS1_11reduce_implILb1ES3_PfS7_f9plus_mod3IfEEE10hipError_tPvRmT1_T2_T3_mT4_P12ihipStream_tbEUlT_E1_NS1_11comp_targetILNS1_3genE8ELNS1_11target_archE1030ELNS1_3gpuE2ELNS1_3repE0EEENS1_30default_config_static_selectorELNS0_4arch9wavefront6targetE1EEEvSD_,comdat
	.protected	_ZN7rocprim17ROCPRIM_400000_NS6detail17trampoline_kernelINS0_14default_configENS1_22reduce_config_selectorIfEEZNS1_11reduce_implILb1ES3_PfS7_f9plus_mod3IfEEE10hipError_tPvRmT1_T2_T3_mT4_P12ihipStream_tbEUlT_E1_NS1_11comp_targetILNS1_3genE8ELNS1_11target_archE1030ELNS1_3gpuE2ELNS1_3repE0EEENS1_30default_config_static_selectorELNS0_4arch9wavefront6targetE1EEEvSD_ ; -- Begin function _ZN7rocprim17ROCPRIM_400000_NS6detail17trampoline_kernelINS0_14default_configENS1_22reduce_config_selectorIfEEZNS1_11reduce_implILb1ES3_PfS7_f9plus_mod3IfEEE10hipError_tPvRmT1_T2_T3_mT4_P12ihipStream_tbEUlT_E1_NS1_11comp_targetILNS1_3genE8ELNS1_11target_archE1030ELNS1_3gpuE2ELNS1_3repE0EEENS1_30default_config_static_selectorELNS0_4arch9wavefront6targetE1EEEvSD_
	.globl	_ZN7rocprim17ROCPRIM_400000_NS6detail17trampoline_kernelINS0_14default_configENS1_22reduce_config_selectorIfEEZNS1_11reduce_implILb1ES3_PfS7_f9plus_mod3IfEEE10hipError_tPvRmT1_T2_T3_mT4_P12ihipStream_tbEUlT_E1_NS1_11comp_targetILNS1_3genE8ELNS1_11target_archE1030ELNS1_3gpuE2ELNS1_3repE0EEENS1_30default_config_static_selectorELNS0_4arch9wavefront6targetE1EEEvSD_
	.p2align	8
	.type	_ZN7rocprim17ROCPRIM_400000_NS6detail17trampoline_kernelINS0_14default_configENS1_22reduce_config_selectorIfEEZNS1_11reduce_implILb1ES3_PfS7_f9plus_mod3IfEEE10hipError_tPvRmT1_T2_T3_mT4_P12ihipStream_tbEUlT_E1_NS1_11comp_targetILNS1_3genE8ELNS1_11target_archE1030ELNS1_3gpuE2ELNS1_3repE0EEENS1_30default_config_static_selectorELNS0_4arch9wavefront6targetE1EEEvSD_,@function
_ZN7rocprim17ROCPRIM_400000_NS6detail17trampoline_kernelINS0_14default_configENS1_22reduce_config_selectorIfEEZNS1_11reduce_implILb1ES3_PfS7_f9plus_mod3IfEEE10hipError_tPvRmT1_T2_T3_mT4_P12ihipStream_tbEUlT_E1_NS1_11comp_targetILNS1_3genE8ELNS1_11target_archE1030ELNS1_3gpuE2ELNS1_3repE0EEENS1_30default_config_static_selectorELNS0_4arch9wavefront6targetE1EEEvSD_: ; @_ZN7rocprim17ROCPRIM_400000_NS6detail17trampoline_kernelINS0_14default_configENS1_22reduce_config_selectorIfEEZNS1_11reduce_implILb1ES3_PfS7_f9plus_mod3IfEEE10hipError_tPvRmT1_T2_T3_mT4_P12ihipStream_tbEUlT_E1_NS1_11comp_targetILNS1_3genE8ELNS1_11target_archE1030ELNS1_3gpuE2ELNS1_3repE0EEENS1_30default_config_static_selectorELNS0_4arch9wavefront6targetE1EEEvSD_
; %bb.0:
	.section	.rodata,"a",@progbits
	.p2align	6, 0x0
	.amdhsa_kernel _ZN7rocprim17ROCPRIM_400000_NS6detail17trampoline_kernelINS0_14default_configENS1_22reduce_config_selectorIfEEZNS1_11reduce_implILb1ES3_PfS7_f9plus_mod3IfEEE10hipError_tPvRmT1_T2_T3_mT4_P12ihipStream_tbEUlT_E1_NS1_11comp_targetILNS1_3genE8ELNS1_11target_archE1030ELNS1_3gpuE2ELNS1_3repE0EEENS1_30default_config_static_selectorELNS0_4arch9wavefront6targetE1EEEvSD_
		.amdhsa_group_segment_fixed_size 0
		.amdhsa_private_segment_fixed_size 0
		.amdhsa_kernarg_size 48
		.amdhsa_user_sgpr_count 2
		.amdhsa_user_sgpr_dispatch_ptr 0
		.amdhsa_user_sgpr_queue_ptr 0
		.amdhsa_user_sgpr_kernarg_segment_ptr 1
		.amdhsa_user_sgpr_dispatch_id 0
		.amdhsa_user_sgpr_kernarg_preload_length 0
		.amdhsa_user_sgpr_kernarg_preload_offset 0
		.amdhsa_user_sgpr_private_segment_size 0
		.amdhsa_uses_dynamic_stack 0
		.amdhsa_enable_private_segment 0
		.amdhsa_system_sgpr_workgroup_id_x 1
		.amdhsa_system_sgpr_workgroup_id_y 0
		.amdhsa_system_sgpr_workgroup_id_z 0
		.amdhsa_system_sgpr_workgroup_info 0
		.amdhsa_system_vgpr_workitem_id 0
		.amdhsa_next_free_vgpr 1
		.amdhsa_next_free_sgpr 0
		.amdhsa_accum_offset 4
		.amdhsa_reserve_vcc 0
		.amdhsa_float_round_mode_32 0
		.amdhsa_float_round_mode_16_64 0
		.amdhsa_float_denorm_mode_32 3
		.amdhsa_float_denorm_mode_16_64 3
		.amdhsa_dx10_clamp 1
		.amdhsa_ieee_mode 1
		.amdhsa_fp16_overflow 0
		.amdhsa_tg_split 0
		.amdhsa_exception_fp_ieee_invalid_op 0
		.amdhsa_exception_fp_denorm_src 0
		.amdhsa_exception_fp_ieee_div_zero 0
		.amdhsa_exception_fp_ieee_overflow 0
		.amdhsa_exception_fp_ieee_underflow 0
		.amdhsa_exception_fp_ieee_inexact 0
		.amdhsa_exception_int_div_zero 0
	.end_amdhsa_kernel
	.section	.text._ZN7rocprim17ROCPRIM_400000_NS6detail17trampoline_kernelINS0_14default_configENS1_22reduce_config_selectorIfEEZNS1_11reduce_implILb1ES3_PfS7_f9plus_mod3IfEEE10hipError_tPvRmT1_T2_T3_mT4_P12ihipStream_tbEUlT_E1_NS1_11comp_targetILNS1_3genE8ELNS1_11target_archE1030ELNS1_3gpuE2ELNS1_3repE0EEENS1_30default_config_static_selectorELNS0_4arch9wavefront6targetE1EEEvSD_,"axG",@progbits,_ZN7rocprim17ROCPRIM_400000_NS6detail17trampoline_kernelINS0_14default_configENS1_22reduce_config_selectorIfEEZNS1_11reduce_implILb1ES3_PfS7_f9plus_mod3IfEEE10hipError_tPvRmT1_T2_T3_mT4_P12ihipStream_tbEUlT_E1_NS1_11comp_targetILNS1_3genE8ELNS1_11target_archE1030ELNS1_3gpuE2ELNS1_3repE0EEENS1_30default_config_static_selectorELNS0_4arch9wavefront6targetE1EEEvSD_,comdat
.Lfunc_end748:
	.size	_ZN7rocprim17ROCPRIM_400000_NS6detail17trampoline_kernelINS0_14default_configENS1_22reduce_config_selectorIfEEZNS1_11reduce_implILb1ES3_PfS7_f9plus_mod3IfEEE10hipError_tPvRmT1_T2_T3_mT4_P12ihipStream_tbEUlT_E1_NS1_11comp_targetILNS1_3genE8ELNS1_11target_archE1030ELNS1_3gpuE2ELNS1_3repE0EEENS1_30default_config_static_selectorELNS0_4arch9wavefront6targetE1EEEvSD_, .Lfunc_end748-_ZN7rocprim17ROCPRIM_400000_NS6detail17trampoline_kernelINS0_14default_configENS1_22reduce_config_selectorIfEEZNS1_11reduce_implILb1ES3_PfS7_f9plus_mod3IfEEE10hipError_tPvRmT1_T2_T3_mT4_P12ihipStream_tbEUlT_E1_NS1_11comp_targetILNS1_3genE8ELNS1_11target_archE1030ELNS1_3gpuE2ELNS1_3repE0EEENS1_30default_config_static_selectorELNS0_4arch9wavefront6targetE1EEEvSD_
                                        ; -- End function
	.set _ZN7rocprim17ROCPRIM_400000_NS6detail17trampoline_kernelINS0_14default_configENS1_22reduce_config_selectorIfEEZNS1_11reduce_implILb1ES3_PfS7_f9plus_mod3IfEEE10hipError_tPvRmT1_T2_T3_mT4_P12ihipStream_tbEUlT_E1_NS1_11comp_targetILNS1_3genE8ELNS1_11target_archE1030ELNS1_3gpuE2ELNS1_3repE0EEENS1_30default_config_static_selectorELNS0_4arch9wavefront6targetE1EEEvSD_.num_vgpr, 0
	.set _ZN7rocprim17ROCPRIM_400000_NS6detail17trampoline_kernelINS0_14default_configENS1_22reduce_config_selectorIfEEZNS1_11reduce_implILb1ES3_PfS7_f9plus_mod3IfEEE10hipError_tPvRmT1_T2_T3_mT4_P12ihipStream_tbEUlT_E1_NS1_11comp_targetILNS1_3genE8ELNS1_11target_archE1030ELNS1_3gpuE2ELNS1_3repE0EEENS1_30default_config_static_selectorELNS0_4arch9wavefront6targetE1EEEvSD_.num_agpr, 0
	.set _ZN7rocprim17ROCPRIM_400000_NS6detail17trampoline_kernelINS0_14default_configENS1_22reduce_config_selectorIfEEZNS1_11reduce_implILb1ES3_PfS7_f9plus_mod3IfEEE10hipError_tPvRmT1_T2_T3_mT4_P12ihipStream_tbEUlT_E1_NS1_11comp_targetILNS1_3genE8ELNS1_11target_archE1030ELNS1_3gpuE2ELNS1_3repE0EEENS1_30default_config_static_selectorELNS0_4arch9wavefront6targetE1EEEvSD_.numbered_sgpr, 0
	.set _ZN7rocprim17ROCPRIM_400000_NS6detail17trampoline_kernelINS0_14default_configENS1_22reduce_config_selectorIfEEZNS1_11reduce_implILb1ES3_PfS7_f9plus_mod3IfEEE10hipError_tPvRmT1_T2_T3_mT4_P12ihipStream_tbEUlT_E1_NS1_11comp_targetILNS1_3genE8ELNS1_11target_archE1030ELNS1_3gpuE2ELNS1_3repE0EEENS1_30default_config_static_selectorELNS0_4arch9wavefront6targetE1EEEvSD_.num_named_barrier, 0
	.set _ZN7rocprim17ROCPRIM_400000_NS6detail17trampoline_kernelINS0_14default_configENS1_22reduce_config_selectorIfEEZNS1_11reduce_implILb1ES3_PfS7_f9plus_mod3IfEEE10hipError_tPvRmT1_T2_T3_mT4_P12ihipStream_tbEUlT_E1_NS1_11comp_targetILNS1_3genE8ELNS1_11target_archE1030ELNS1_3gpuE2ELNS1_3repE0EEENS1_30default_config_static_selectorELNS0_4arch9wavefront6targetE1EEEvSD_.private_seg_size, 0
	.set _ZN7rocprim17ROCPRIM_400000_NS6detail17trampoline_kernelINS0_14default_configENS1_22reduce_config_selectorIfEEZNS1_11reduce_implILb1ES3_PfS7_f9plus_mod3IfEEE10hipError_tPvRmT1_T2_T3_mT4_P12ihipStream_tbEUlT_E1_NS1_11comp_targetILNS1_3genE8ELNS1_11target_archE1030ELNS1_3gpuE2ELNS1_3repE0EEENS1_30default_config_static_selectorELNS0_4arch9wavefront6targetE1EEEvSD_.uses_vcc, 0
	.set _ZN7rocprim17ROCPRIM_400000_NS6detail17trampoline_kernelINS0_14default_configENS1_22reduce_config_selectorIfEEZNS1_11reduce_implILb1ES3_PfS7_f9plus_mod3IfEEE10hipError_tPvRmT1_T2_T3_mT4_P12ihipStream_tbEUlT_E1_NS1_11comp_targetILNS1_3genE8ELNS1_11target_archE1030ELNS1_3gpuE2ELNS1_3repE0EEENS1_30default_config_static_selectorELNS0_4arch9wavefront6targetE1EEEvSD_.uses_flat_scratch, 0
	.set _ZN7rocprim17ROCPRIM_400000_NS6detail17trampoline_kernelINS0_14default_configENS1_22reduce_config_selectorIfEEZNS1_11reduce_implILb1ES3_PfS7_f9plus_mod3IfEEE10hipError_tPvRmT1_T2_T3_mT4_P12ihipStream_tbEUlT_E1_NS1_11comp_targetILNS1_3genE8ELNS1_11target_archE1030ELNS1_3gpuE2ELNS1_3repE0EEENS1_30default_config_static_selectorELNS0_4arch9wavefront6targetE1EEEvSD_.has_dyn_sized_stack, 0
	.set _ZN7rocprim17ROCPRIM_400000_NS6detail17trampoline_kernelINS0_14default_configENS1_22reduce_config_selectorIfEEZNS1_11reduce_implILb1ES3_PfS7_f9plus_mod3IfEEE10hipError_tPvRmT1_T2_T3_mT4_P12ihipStream_tbEUlT_E1_NS1_11comp_targetILNS1_3genE8ELNS1_11target_archE1030ELNS1_3gpuE2ELNS1_3repE0EEENS1_30default_config_static_selectorELNS0_4arch9wavefront6targetE1EEEvSD_.has_recursion, 0
	.set _ZN7rocprim17ROCPRIM_400000_NS6detail17trampoline_kernelINS0_14default_configENS1_22reduce_config_selectorIfEEZNS1_11reduce_implILb1ES3_PfS7_f9plus_mod3IfEEE10hipError_tPvRmT1_T2_T3_mT4_P12ihipStream_tbEUlT_E1_NS1_11comp_targetILNS1_3genE8ELNS1_11target_archE1030ELNS1_3gpuE2ELNS1_3repE0EEENS1_30default_config_static_selectorELNS0_4arch9wavefront6targetE1EEEvSD_.has_indirect_call, 0
	.section	.AMDGPU.csdata,"",@progbits
; Kernel info:
; codeLenInByte = 0
; TotalNumSgprs: 6
; NumVgprs: 0
; NumAgprs: 0
; TotalNumVgprs: 0
; ScratchSize: 0
; MemoryBound: 0
; FloatMode: 240
; IeeeMode: 1
; LDSByteSize: 0 bytes/workgroup (compile time only)
; SGPRBlocks: 0
; VGPRBlocks: 0
; NumSGPRsForWavesPerEU: 6
; NumVGPRsForWavesPerEU: 1
; AccumOffset: 4
; Occupancy: 8
; WaveLimiterHint : 0
; COMPUTE_PGM_RSRC2:SCRATCH_EN: 0
; COMPUTE_PGM_RSRC2:USER_SGPR: 2
; COMPUTE_PGM_RSRC2:TRAP_HANDLER: 0
; COMPUTE_PGM_RSRC2:TGID_X_EN: 1
; COMPUTE_PGM_RSRC2:TGID_Y_EN: 0
; COMPUTE_PGM_RSRC2:TGID_Z_EN: 0
; COMPUTE_PGM_RSRC2:TIDIG_COMP_CNT: 0
; COMPUTE_PGM_RSRC3_GFX90A:ACCUM_OFFSET: 0
; COMPUTE_PGM_RSRC3_GFX90A:TG_SPLIT: 0
	.section	.text._ZN7rocprim17ROCPRIM_400000_NS6detail17trampoline_kernelINS0_14default_configENS1_22reduce_config_selectorIfEEZNS1_11reduce_implILb1ES3_N6thrust23THRUST_200600_302600_NS6detail15normal_iteratorINS8_10device_ptrIfEEEEPff9plus_mod3IfEEE10hipError_tPvRmT1_T2_T3_mT4_P12ihipStream_tbEUlT_E0_NS1_11comp_targetILNS1_3genE0ELNS1_11target_archE4294967295ELNS1_3gpuE0ELNS1_3repE0EEENS1_30default_config_static_selectorELNS0_4arch9wavefront6targetE1EEEvSK_,"axG",@progbits,_ZN7rocprim17ROCPRIM_400000_NS6detail17trampoline_kernelINS0_14default_configENS1_22reduce_config_selectorIfEEZNS1_11reduce_implILb1ES3_N6thrust23THRUST_200600_302600_NS6detail15normal_iteratorINS8_10device_ptrIfEEEEPff9plus_mod3IfEEE10hipError_tPvRmT1_T2_T3_mT4_P12ihipStream_tbEUlT_E0_NS1_11comp_targetILNS1_3genE0ELNS1_11target_archE4294967295ELNS1_3gpuE0ELNS1_3repE0EEENS1_30default_config_static_selectorELNS0_4arch9wavefront6targetE1EEEvSK_,comdat
	.protected	_ZN7rocprim17ROCPRIM_400000_NS6detail17trampoline_kernelINS0_14default_configENS1_22reduce_config_selectorIfEEZNS1_11reduce_implILb1ES3_N6thrust23THRUST_200600_302600_NS6detail15normal_iteratorINS8_10device_ptrIfEEEEPff9plus_mod3IfEEE10hipError_tPvRmT1_T2_T3_mT4_P12ihipStream_tbEUlT_E0_NS1_11comp_targetILNS1_3genE0ELNS1_11target_archE4294967295ELNS1_3gpuE0ELNS1_3repE0EEENS1_30default_config_static_selectorELNS0_4arch9wavefront6targetE1EEEvSK_ ; -- Begin function _ZN7rocprim17ROCPRIM_400000_NS6detail17trampoline_kernelINS0_14default_configENS1_22reduce_config_selectorIfEEZNS1_11reduce_implILb1ES3_N6thrust23THRUST_200600_302600_NS6detail15normal_iteratorINS8_10device_ptrIfEEEEPff9plus_mod3IfEEE10hipError_tPvRmT1_T2_T3_mT4_P12ihipStream_tbEUlT_E0_NS1_11comp_targetILNS1_3genE0ELNS1_11target_archE4294967295ELNS1_3gpuE0ELNS1_3repE0EEENS1_30default_config_static_selectorELNS0_4arch9wavefront6targetE1EEEvSK_
	.globl	_ZN7rocprim17ROCPRIM_400000_NS6detail17trampoline_kernelINS0_14default_configENS1_22reduce_config_selectorIfEEZNS1_11reduce_implILb1ES3_N6thrust23THRUST_200600_302600_NS6detail15normal_iteratorINS8_10device_ptrIfEEEEPff9plus_mod3IfEEE10hipError_tPvRmT1_T2_T3_mT4_P12ihipStream_tbEUlT_E0_NS1_11comp_targetILNS1_3genE0ELNS1_11target_archE4294967295ELNS1_3gpuE0ELNS1_3repE0EEENS1_30default_config_static_selectorELNS0_4arch9wavefront6targetE1EEEvSK_
	.p2align	8
	.type	_ZN7rocprim17ROCPRIM_400000_NS6detail17trampoline_kernelINS0_14default_configENS1_22reduce_config_selectorIfEEZNS1_11reduce_implILb1ES3_N6thrust23THRUST_200600_302600_NS6detail15normal_iteratorINS8_10device_ptrIfEEEEPff9plus_mod3IfEEE10hipError_tPvRmT1_T2_T3_mT4_P12ihipStream_tbEUlT_E0_NS1_11comp_targetILNS1_3genE0ELNS1_11target_archE4294967295ELNS1_3gpuE0ELNS1_3repE0EEENS1_30default_config_static_selectorELNS0_4arch9wavefront6targetE1EEEvSK_,@function
_ZN7rocprim17ROCPRIM_400000_NS6detail17trampoline_kernelINS0_14default_configENS1_22reduce_config_selectorIfEEZNS1_11reduce_implILb1ES3_N6thrust23THRUST_200600_302600_NS6detail15normal_iteratorINS8_10device_ptrIfEEEEPff9plus_mod3IfEEE10hipError_tPvRmT1_T2_T3_mT4_P12ihipStream_tbEUlT_E0_NS1_11comp_targetILNS1_3genE0ELNS1_11target_archE4294967295ELNS1_3gpuE0ELNS1_3repE0EEENS1_30default_config_static_selectorELNS0_4arch9wavefront6targetE1EEEvSK_: ; @_ZN7rocprim17ROCPRIM_400000_NS6detail17trampoline_kernelINS0_14default_configENS1_22reduce_config_selectorIfEEZNS1_11reduce_implILb1ES3_N6thrust23THRUST_200600_302600_NS6detail15normal_iteratorINS8_10device_ptrIfEEEEPff9plus_mod3IfEEE10hipError_tPvRmT1_T2_T3_mT4_P12ihipStream_tbEUlT_E0_NS1_11comp_targetILNS1_3genE0ELNS1_11target_archE4294967295ELNS1_3gpuE0ELNS1_3repE0EEENS1_30default_config_static_selectorELNS0_4arch9wavefront6targetE1EEEvSK_
; %bb.0:
	s_load_dwordx8 s[4:11], s[0:1], 0x0
	s_load_dwordx2 s[12:13], s[0:1], 0x38
	v_lshlrev_b32_e32 v6, 2, v0
	v_mbcnt_lo_u32_b32 v1, -1, 0
	s_waitcnt lgkmcnt(0)
	s_lshl_b64 s[6:7], s[6:7], 2
	s_add_u32 s16, s4, s6
	s_addc_u32 s17, s5, s7
	s_lshl_b32 s4, s2, 10
	s_mov_b32 s5, 0
	s_lshr_b64 s[6:7], s[8:9], 10
	s_lshl_b64 s[14:15], s[4:5], 2
	s_add_u32 s16, s16, s14
	s_mov_b32 s3, s5
	s_addc_u32 s17, s17, s15
	s_cmp_lg_u64 s[6:7], s[2:3]
	s_cbranch_scc0 .LBB749_6
; %bb.1:
	v_mov_b32_e32 v7, 0
	v_lshl_add_u64 v[2:3], s[16:17], 0, v[6:7]
	flat_load_dword v4, v[2:3]
	flat_load_dword v5, v[2:3] offset:1024
	flat_load_dword v7, v[2:3] offset:2048
	;; [unrolled: 1-line block ×3, first 2 shown]
	s_waitcnt vmcnt(0) lgkmcnt(0)
	v_add_f32_e32 v2, v4, v5
	v_cvt_i32_f32_e32 v2, v2
	v_mbcnt_hi_u32_b32 v5, -1, v1
	v_lshlrev_b32_e32 v4, 2, v5
	v_cmp_eq_u32_e32 vcc, 0, v5
	v_ashrrev_i32_e32 v3, 31, v2
	v_lshl_add_u64 v[2:3], v[2:3], 2, s[12:13]
	global_load_dword v2, v[2:3], off
	s_waitcnt vmcnt(0)
	v_add_f32_e32 v2, v7, v2
	v_cvt_i32_f32_e32 v2, v2
	v_ashrrev_i32_e32 v3, 31, v2
	v_lshl_add_u64 v[2:3], v[2:3], 2, s[12:13]
	global_load_dword v2, v[2:3], off
	s_waitcnt vmcnt(0)
	v_add_f32_e32 v2, v8, v2
	v_cvt_i32_f32_e32 v2, v2
	v_ashrrev_i32_e32 v3, 31, v2
	v_lshl_add_u64 v[2:3], v[2:3], 2, s[12:13]
	global_load_dword v2, v[2:3], off
	s_waitcnt vmcnt(0)
	s_nop 0
	v_add_f32_dpp v2, v2, v2 quad_perm:[1,0,3,2] row_mask:0xf bank_mask:0xf bound_ctrl:1
	v_cvt_i32_f32_e32 v2, v2
	v_ashrrev_i32_e32 v3, 31, v2
	v_lshl_add_u64 v[2:3], v[2:3], 2, s[12:13]
	global_load_dword v2, v[2:3], off
	s_waitcnt vmcnt(0)
	s_nop 0
	v_add_f32_dpp v2, v2, v2 quad_perm:[2,3,0,1] row_mask:0xf bank_mask:0xf bound_ctrl:1
	v_cvt_i32_f32_e32 v2, v2
	v_ashrrev_i32_e32 v3, 31, v2
	v_lshl_add_u64 v[2:3], v[2:3], 2, s[12:13]
	global_load_dword v2, v[2:3], off
	s_waitcnt vmcnt(0)
	s_nop 0
	v_add_f32_dpp v2, v2, v2 row_ror:4 row_mask:0xf bank_mask:0xf bound_ctrl:1
	v_cvt_i32_f32_e32 v2, v2
	v_ashrrev_i32_e32 v3, 31, v2
	v_lshl_add_u64 v[2:3], v[2:3], 2, s[12:13]
	global_load_dword v2, v[2:3], off
	s_waitcnt vmcnt(0)
	s_nop 0
	v_add_f32_dpp v2, v2, v2 row_ror:8 row_mask:0xf bank_mask:0xf bound_ctrl:1
	v_cvt_i32_f32_e32 v2, v2
	v_ashrrev_i32_e32 v3, 31, v2
	v_lshl_add_u64 v[2:3], v[2:3], 2, s[12:13]
	global_load_dword v2, v[2:3], off
	s_waitcnt vmcnt(0)
	s_nop 0
	v_add_f32_dpp v2, v2, v2 row_bcast:15 row_mask:0xf bank_mask:0xf bound_ctrl:1
	v_cvt_i32_f32_e32 v2, v2
	v_ashrrev_i32_e32 v3, 31, v2
	v_lshl_add_u64 v[2:3], v[2:3], 2, s[12:13]
	global_load_dword v2, v[2:3], off
	s_waitcnt vmcnt(0)
	s_nop 0
	v_add_f32_dpp v2, v2, v2 row_bcast:31 row_mask:0xf bank_mask:0xf bound_ctrl:1
	v_cvt_i32_f32_e32 v2, v2
	v_ashrrev_i32_e32 v3, 31, v2
	v_lshl_add_u64 v[2:3], v[2:3], 2, s[12:13]
	global_load_dword v2, v[2:3], off
	v_or_b32_e32 v3, 0xfc, v4
	s_waitcnt vmcnt(0)
	ds_bpermute_b32 v2, v3, v2
	s_and_saveexec_b64 s[6:7], vcc
	s_cbranch_execz .LBB749_3
; %bb.2:
	v_lshrrev_b32_e32 v3, 4, v0
	v_and_b32_e32 v3, 12, v3
	s_waitcnt lgkmcnt(0)
	ds_write_b32 v3, v2 offset:16
.LBB749_3:
	s_or_b64 exec, exec, s[6:7]
	v_cmp_gt_u32_e32 vcc, 64, v0
	s_mov_b64 s[6:7], 0
	s_mov_b64 s[14:15], 0
	s_waitcnt lgkmcnt(0)
	s_barrier
                                        ; implicit-def: $vgpr3
	s_and_saveexec_b64 s[18:19], vcc
	s_xor_b64 s[18:19], exec, s[18:19]
	s_cbranch_execz .LBB749_5
; %bb.4:
	v_and_b32_e32 v2, 3, v5
	v_lshlrev_b32_e32 v3, 2, v2
	ds_read_b32 v3, v3 offset:16
	v_cmp_ne_u32_e32 vcc, 3, v2
	s_mov_b64 s[14:15], exec
	s_nop 0
	v_addc_co_u32_e32 v2, vcc, 0, v5, vcc
	v_lshlrev_b32_e32 v2, 2, v2
	s_waitcnt lgkmcnt(0)
	ds_bpermute_b32 v2, v2, v3
	s_waitcnt lgkmcnt(0)
	v_add_f32_e32 v2, v3, v2
	v_cvt_i32_f32_e32 v2, v2
	v_ashrrev_i32_e32 v3, 31, v2
	v_lshl_add_u64 v[2:3], v[2:3], 2, s[12:13]
	global_load_dword v2, v[2:3], off
	v_or_b32_e32 v3, 8, v4
	s_waitcnt vmcnt(0)
	ds_bpermute_b32 v3, v3, v2
.LBB749_5:
	s_or_b64 exec, exec, s[18:19]
	s_and_b64 vcc, exec, s[6:7]
	s_cbranch_vccnz .LBB749_7
	s_branch .LBB749_37
.LBB749_6:
	s_mov_b64 s[14:15], 0
                                        ; implicit-def: $vgpr3
                                        ; implicit-def: $vgpr2
	s_cbranch_execz .LBB749_37
.LBB749_7:
	s_sub_i32 s20, s8, s4
	v_mov_b32_e32 v2, 0
	v_cmp_gt_u32_e32 vcc, s20, v0
	s_waitcnt lgkmcnt(0)
	v_mov_b32_e32 v3, v2
	v_mov_b32_e32 v4, v2
	;; [unrolled: 1-line block ×3, first 2 shown]
	s_and_saveexec_b64 s[4:5], vcc
	s_cbranch_execz .LBB749_9
; %bb.8:
	v_mov_b32_e32 v7, v2
	v_lshl_add_u64 v[4:5], s[16:17], 0, v[6:7]
	flat_load_dword v8, v[4:5]
	v_mov_b32_e32 v9, v2
	v_mov_b32_e32 v10, v2
	v_mov_b32_e32 v11, v2
	s_waitcnt vmcnt(0) lgkmcnt(0)
	v_mov_b64_e32 v[2:3], v[8:9]
	v_mov_b64_e32 v[4:5], v[10:11]
.LBB749_9:
	s_or_b64 exec, exec, s[4:5]
	v_or_b32_e32 v7, 0x100, v0
	v_cmp_gt_u32_e32 vcc, s20, v7
	s_and_saveexec_b64 s[4:5], vcc
	s_cbranch_execz .LBB749_11
; %bb.10:
	v_mov_b32_e32 v7, 0
	v_lshl_add_u64 v[8:9], s[16:17], 0, v[6:7]
	flat_load_dword v3, v[8:9] offset:1024
.LBB749_11:
	s_or_b64 exec, exec, s[4:5]
	v_or_b32_e32 v7, 0x200, v0
	v_cmp_gt_u32_e64 s[4:5], s20, v7
	s_and_saveexec_b64 s[6:7], s[4:5]
	s_cbranch_execz .LBB749_13
; %bb.12:
	v_mov_b32_e32 v7, 0
	v_lshl_add_u64 v[8:9], s[16:17], 0, v[6:7]
	flat_load_dword v4, v[8:9] offset:2048
.LBB749_13:
	s_or_b64 exec, exec, s[6:7]
	v_or_b32_e32 v7, 0x300, v0
	v_cmp_gt_u32_e64 s[6:7], s20, v7
	s_and_saveexec_b64 s[18:19], s[6:7]
	s_cbranch_execnz .LBB749_42
; %bb.14:
	s_or_b64 exec, exec, s[18:19]
	s_and_saveexec_b64 s[16:17], vcc
	s_cbranch_execnz .LBB749_43
.LBB749_15:
	s_or_b64 exec, exec, s[16:17]
	s_and_saveexec_b64 s[16:17], s[4:5]
	s_cbranch_execnz .LBB749_44
.LBB749_16:
	s_or_b64 exec, exec, s[16:17]
	s_and_saveexec_b64 s[4:5], s[6:7]
	s_cbranch_execz .LBB749_18
.LBB749_17:
	s_waitcnt vmcnt(0) lgkmcnt(0)
	v_add_f32_e32 v2, v5, v2
	v_cvt_i32_f32_e32 v2, v2
	v_ashrrev_i32_e32 v3, 31, v2
	v_lshl_add_u64 v[2:3], v[2:3], 2, s[12:13]
	global_load_dword v2, v[2:3], off
.LBB749_18:
	s_or_b64 exec, exec, s[4:5]
	v_mbcnt_hi_u32_b32 v1, -1, v1
	s_waitcnt vmcnt(0) lgkmcnt(0)
	v_and_b32_e32 v3, 63, v1
	v_cmp_ne_u32_e32 vcc, 63, v3
	s_min_u32 s6, s20, 0x100
	v_add_u32_e32 v6, 1, v3
	v_addc_co_u32_e32 v4, vcc, 0, v1, vcc
	v_lshlrev_b32_e32 v4, 2, v4
	ds_bpermute_b32 v5, v4, v2
	v_and_b32_e32 v4, 0xc0, v0
	v_sub_u32_e64 v4, s6, v4 clamp
	v_cmp_lt_u32_e32 vcc, v6, v4
	s_and_saveexec_b64 s[4:5], vcc
	s_xor_b64 s[4:5], exec, s[4:5]
	s_cbranch_execz .LBB749_20
; %bb.19:
	s_waitcnt lgkmcnt(0)
	v_add_f32_e32 v2, v2, v5
	v_cvt_i32_f32_e32 v6, v2
	v_ashrrev_i32_e32 v7, 31, v6
	v_lshl_add_u64 v[6:7], v[6:7], 2, s[12:13]
	global_load_dword v2, v[6:7], off
.LBB749_20:
	s_or_b64 exec, exec, s[4:5]
	v_cmp_gt_u32_e32 vcc, 62, v3
	v_add_u32_e32 v6, 2, v3
	s_waitcnt lgkmcnt(0)
	v_cndmask_b32_e64 v5, 0, 2, vcc
	v_add_lshl_u32 v5, v5, v1, 2
	s_waitcnt vmcnt(0)
	ds_bpermute_b32 v5, v5, v2
	v_cmp_lt_u32_e32 vcc, v6, v4
	s_and_saveexec_b64 s[4:5], vcc
	s_cbranch_execz .LBB749_22
; %bb.21:
	s_waitcnt lgkmcnt(0)
	v_add_f32_e32 v2, v2, v5
	v_cvt_i32_f32_e32 v6, v2
	v_ashrrev_i32_e32 v7, 31, v6
	v_lshl_add_u64 v[6:7], v[6:7], 2, s[12:13]
	global_load_dword v2, v[6:7], off
.LBB749_22:
	s_or_b64 exec, exec, s[4:5]
	v_cmp_gt_u32_e32 vcc, 60, v3
	v_add_u32_e32 v6, 4, v3
	s_waitcnt lgkmcnt(0)
	v_cndmask_b32_e64 v5, 0, 4, vcc
	v_add_lshl_u32 v5, v5, v1, 2
	s_waitcnt vmcnt(0)
	ds_bpermute_b32 v5, v5, v2
	v_cmp_lt_u32_e32 vcc, v6, v4
	s_and_saveexec_b64 s[4:5], vcc
	;; [unrolled: 19-line block ×4, first 2 shown]
	s_cbranch_execz .LBB749_28
; %bb.27:
	s_waitcnt lgkmcnt(0)
	v_add_f32_e32 v2, v2, v5
	v_cvt_i32_f32_e32 v6, v2
	v_ashrrev_i32_e32 v7, 31, v6
	v_lshl_add_u64 v[6:7], v[6:7], 2, s[12:13]
	global_load_dword v2, v[6:7], off
.LBB749_28:
	s_or_b64 exec, exec, s[4:5]
	s_waitcnt lgkmcnt(0)
	v_lshlrev_b32_e32 v5, 2, v1
	v_or_b32_e32 v6, 0x80, v5
	s_waitcnt vmcnt(0)
	ds_bpermute_b32 v6, v6, v2
	v_add_u32_e32 v3, 32, v3
	v_cmp_lt_u32_e32 vcc, v3, v4
	s_and_saveexec_b64 s[4:5], vcc
	s_cbranch_execz .LBB749_30
; %bb.29:
	s_waitcnt lgkmcnt(0)
	v_add_f32_e32 v2, v2, v6
	v_cvt_i32_f32_e32 v2, v2
	v_ashrrev_i32_e32 v3, 31, v2
	v_lshl_add_u64 v[2:3], v[2:3], 2, s[12:13]
	global_load_dword v2, v[2:3], off
.LBB749_30:
	s_or_b64 exec, exec, s[4:5]
	v_cmp_eq_u32_e32 vcc, 0, v1
	s_and_saveexec_b64 s[4:5], vcc
	s_cbranch_execz .LBB749_32
; %bb.31:
	v_lshrrev_b32_e32 v3, 4, v0
	v_and_b32_e32 v3, 12, v3
	s_waitcnt vmcnt(0)
	ds_write_b32 v3, v2
.LBB749_32:
	s_or_b64 exec, exec, s[4:5]
	v_cmp_gt_u32_e32 vcc, 4, v0
	s_waitcnt lgkmcnt(0)
	s_barrier
                                        ; implicit-def: $vgpr3
	s_and_saveexec_b64 s[4:5], vcc
	s_cbranch_execz .LBB749_36
; %bb.33:
	s_waitcnt vmcnt(0)
	ds_read_b32 v2, v5
	v_and_b32_e32 v3, 3, v1
	v_cmp_ne_u32_e32 vcc, 3, v3
	s_add_i32 s6, s6, 63
	s_lshr_b32 s16, s6, 6
	v_addc_co_u32_e32 v1, vcc, 0, v1, vcc
	v_lshlrev_b32_e32 v1, 2, v1
	s_waitcnt lgkmcnt(0)
	ds_bpermute_b32 v1, v1, v2
	v_add_u32_e32 v4, 1, v3
	v_cmp_gt_u32_e32 vcc, s16, v4
	s_and_saveexec_b64 s[6:7], vcc
	s_cbranch_execz .LBB749_35
; %bb.34:
	s_waitcnt lgkmcnt(0)
	v_add_f32_e32 v1, v2, v1
	v_cvt_i32_f32_e32 v6, v1
	v_ashrrev_i32_e32 v7, 31, v6
	v_lshl_add_u64 v[6:7], v[6:7], 2, s[12:13]
	global_load_dword v2, v[6:7], off
.LBB749_35:
	s_or_b64 exec, exec, s[6:7]
	s_waitcnt lgkmcnt(0)
	v_add_u32_e32 v1, 2, v3
	v_or_b32_e32 v3, 8, v5
	s_waitcnt vmcnt(0)
	ds_bpermute_b32 v3, v3, v2
	v_cmp_gt_u32_e32 vcc, s16, v1
	s_andn2_b64 s[6:7], s[14:15], exec
	s_and_b64 s[14:15], vcc, exec
	s_or_b64 s[14:15], s[6:7], s[14:15]
.LBB749_36:
	s_or_b64 exec, exec, s[4:5]
.LBB749_37:
	s_and_saveexec_b64 s[4:5], s[14:15]
	s_cbranch_execnz .LBB749_40
; %bb.38:
	s_or_b64 exec, exec, s[4:5]
	v_cmp_eq_u32_e32 vcc, 0, v0
	s_and_saveexec_b64 s[4:5], vcc
	s_cbranch_execnz .LBB749_41
.LBB749_39:
	s_endpgm
.LBB749_40:
	s_waitcnt vmcnt(0) lgkmcnt(0)
	v_add_f32_e32 v1, v2, v3
	v_cvt_i32_f32_e32 v2, v1
	v_ashrrev_i32_e32 v3, 31, v2
	v_lshl_add_u64 v[2:3], v[2:3], 2, s[12:13]
	global_load_dword v2, v[2:3], off
	s_or_b64 exec, exec, s[4:5]
	v_cmp_eq_u32_e32 vcc, 0, v0
	s_and_saveexec_b64 s[4:5], vcc
	s_cbranch_execz .LBB749_39
.LBB749_41:
	s_load_dwordx4 s[4:7], s[0:1], 0x20
	s_load_dword s12, s[0:1], 0x30
	v_mov_b32_e32 v1, 0
	s_waitcnt lgkmcnt(0)
	s_mul_i32 s1, s6, s5
	s_mul_hi_u32 s5, s6, s4
	s_mul_i32 s7, s7, s4
	s_add_i32 s1, s5, s1
	s_mul_i32 s0, s6, s4
	s_add_i32 s1, s1, s7
	s_lshl_b64 s[0:1], s[0:1], 2
	s_add_u32 s4, s10, s0
	s_addc_u32 s5, s11, s1
	s_cmp_eq_u64 s[8:9], 0
	s_cselect_b64 vcc, -1, 0
	s_lshl_b64 s[0:1], s[2:3], 2
	v_mov_b32_e32 v0, s12
	s_add_u32 s0, s4, s0
	s_waitcnt vmcnt(0)
	v_cndmask_b32_e32 v0, v2, v0, vcc
	s_addc_u32 s1, s5, s1
	global_store_dword v1, v0, s[0:1]
	s_endpgm
.LBB749_42:
	v_mov_b32_e32 v7, 0
	v_lshl_add_u64 v[6:7], s[16:17], 0, v[6:7]
	flat_load_dword v5, v[6:7] offset:3072
	s_or_b64 exec, exec, s[18:19]
	s_and_saveexec_b64 s[16:17], vcc
	s_cbranch_execz .LBB749_15
.LBB749_43:
	s_waitcnt vmcnt(0) lgkmcnt(0)
	v_add_f32_e32 v2, v2, v3
	v_cvt_i32_f32_e32 v2, v2
	v_ashrrev_i32_e32 v3, 31, v2
	v_lshl_add_u64 v[2:3], v[2:3], 2, s[12:13]
	global_load_dword v2, v[2:3], off
	s_or_b64 exec, exec, s[16:17]
	s_and_saveexec_b64 s[16:17], s[4:5]
	s_cbranch_execz .LBB749_16
.LBB749_44:
	s_waitcnt vmcnt(0) lgkmcnt(0)
	v_add_f32_e32 v2, v4, v2
	v_cvt_i32_f32_e32 v2, v2
	v_ashrrev_i32_e32 v3, 31, v2
	v_lshl_add_u64 v[2:3], v[2:3], 2, s[12:13]
	global_load_dword v2, v[2:3], off
	s_or_b64 exec, exec, s[16:17]
	s_and_saveexec_b64 s[4:5], s[6:7]
	s_cbranch_execnz .LBB749_17
	s_branch .LBB749_18
	.section	.rodata,"a",@progbits
	.p2align	6, 0x0
	.amdhsa_kernel _ZN7rocprim17ROCPRIM_400000_NS6detail17trampoline_kernelINS0_14default_configENS1_22reduce_config_selectorIfEEZNS1_11reduce_implILb1ES3_N6thrust23THRUST_200600_302600_NS6detail15normal_iteratorINS8_10device_ptrIfEEEEPff9plus_mod3IfEEE10hipError_tPvRmT1_T2_T3_mT4_P12ihipStream_tbEUlT_E0_NS1_11comp_targetILNS1_3genE0ELNS1_11target_archE4294967295ELNS1_3gpuE0ELNS1_3repE0EEENS1_30default_config_static_selectorELNS0_4arch9wavefront6targetE1EEEvSK_
		.amdhsa_group_segment_fixed_size 32
		.amdhsa_private_segment_fixed_size 0
		.amdhsa_kernarg_size 64
		.amdhsa_user_sgpr_count 2
		.amdhsa_user_sgpr_dispatch_ptr 0
		.amdhsa_user_sgpr_queue_ptr 0
		.amdhsa_user_sgpr_kernarg_segment_ptr 1
		.amdhsa_user_sgpr_dispatch_id 0
		.amdhsa_user_sgpr_kernarg_preload_length 0
		.amdhsa_user_sgpr_kernarg_preload_offset 0
		.amdhsa_user_sgpr_private_segment_size 0
		.amdhsa_uses_dynamic_stack 0
		.amdhsa_enable_private_segment 0
		.amdhsa_system_sgpr_workgroup_id_x 1
		.amdhsa_system_sgpr_workgroup_id_y 0
		.amdhsa_system_sgpr_workgroup_id_z 0
		.amdhsa_system_sgpr_workgroup_info 0
		.amdhsa_system_vgpr_workitem_id 0
		.amdhsa_next_free_vgpr 12
		.amdhsa_next_free_sgpr 21
		.amdhsa_accum_offset 12
		.amdhsa_reserve_vcc 1
		.amdhsa_float_round_mode_32 0
		.amdhsa_float_round_mode_16_64 0
		.amdhsa_float_denorm_mode_32 3
		.amdhsa_float_denorm_mode_16_64 3
		.amdhsa_dx10_clamp 1
		.amdhsa_ieee_mode 1
		.amdhsa_fp16_overflow 0
		.amdhsa_tg_split 0
		.amdhsa_exception_fp_ieee_invalid_op 0
		.amdhsa_exception_fp_denorm_src 0
		.amdhsa_exception_fp_ieee_div_zero 0
		.amdhsa_exception_fp_ieee_overflow 0
		.amdhsa_exception_fp_ieee_underflow 0
		.amdhsa_exception_fp_ieee_inexact 0
		.amdhsa_exception_int_div_zero 0
	.end_amdhsa_kernel
	.section	.text._ZN7rocprim17ROCPRIM_400000_NS6detail17trampoline_kernelINS0_14default_configENS1_22reduce_config_selectorIfEEZNS1_11reduce_implILb1ES3_N6thrust23THRUST_200600_302600_NS6detail15normal_iteratorINS8_10device_ptrIfEEEEPff9plus_mod3IfEEE10hipError_tPvRmT1_T2_T3_mT4_P12ihipStream_tbEUlT_E0_NS1_11comp_targetILNS1_3genE0ELNS1_11target_archE4294967295ELNS1_3gpuE0ELNS1_3repE0EEENS1_30default_config_static_selectorELNS0_4arch9wavefront6targetE1EEEvSK_,"axG",@progbits,_ZN7rocprim17ROCPRIM_400000_NS6detail17trampoline_kernelINS0_14default_configENS1_22reduce_config_selectorIfEEZNS1_11reduce_implILb1ES3_N6thrust23THRUST_200600_302600_NS6detail15normal_iteratorINS8_10device_ptrIfEEEEPff9plus_mod3IfEEE10hipError_tPvRmT1_T2_T3_mT4_P12ihipStream_tbEUlT_E0_NS1_11comp_targetILNS1_3genE0ELNS1_11target_archE4294967295ELNS1_3gpuE0ELNS1_3repE0EEENS1_30default_config_static_selectorELNS0_4arch9wavefront6targetE1EEEvSK_,comdat
.Lfunc_end749:
	.size	_ZN7rocprim17ROCPRIM_400000_NS6detail17trampoline_kernelINS0_14default_configENS1_22reduce_config_selectorIfEEZNS1_11reduce_implILb1ES3_N6thrust23THRUST_200600_302600_NS6detail15normal_iteratorINS8_10device_ptrIfEEEEPff9plus_mod3IfEEE10hipError_tPvRmT1_T2_T3_mT4_P12ihipStream_tbEUlT_E0_NS1_11comp_targetILNS1_3genE0ELNS1_11target_archE4294967295ELNS1_3gpuE0ELNS1_3repE0EEENS1_30default_config_static_selectorELNS0_4arch9wavefront6targetE1EEEvSK_, .Lfunc_end749-_ZN7rocprim17ROCPRIM_400000_NS6detail17trampoline_kernelINS0_14default_configENS1_22reduce_config_selectorIfEEZNS1_11reduce_implILb1ES3_N6thrust23THRUST_200600_302600_NS6detail15normal_iteratorINS8_10device_ptrIfEEEEPff9plus_mod3IfEEE10hipError_tPvRmT1_T2_T3_mT4_P12ihipStream_tbEUlT_E0_NS1_11comp_targetILNS1_3genE0ELNS1_11target_archE4294967295ELNS1_3gpuE0ELNS1_3repE0EEENS1_30default_config_static_selectorELNS0_4arch9wavefront6targetE1EEEvSK_
                                        ; -- End function
	.set _ZN7rocprim17ROCPRIM_400000_NS6detail17trampoline_kernelINS0_14default_configENS1_22reduce_config_selectorIfEEZNS1_11reduce_implILb1ES3_N6thrust23THRUST_200600_302600_NS6detail15normal_iteratorINS8_10device_ptrIfEEEEPff9plus_mod3IfEEE10hipError_tPvRmT1_T2_T3_mT4_P12ihipStream_tbEUlT_E0_NS1_11comp_targetILNS1_3genE0ELNS1_11target_archE4294967295ELNS1_3gpuE0ELNS1_3repE0EEENS1_30default_config_static_selectorELNS0_4arch9wavefront6targetE1EEEvSK_.num_vgpr, 12
	.set _ZN7rocprim17ROCPRIM_400000_NS6detail17trampoline_kernelINS0_14default_configENS1_22reduce_config_selectorIfEEZNS1_11reduce_implILb1ES3_N6thrust23THRUST_200600_302600_NS6detail15normal_iteratorINS8_10device_ptrIfEEEEPff9plus_mod3IfEEE10hipError_tPvRmT1_T2_T3_mT4_P12ihipStream_tbEUlT_E0_NS1_11comp_targetILNS1_3genE0ELNS1_11target_archE4294967295ELNS1_3gpuE0ELNS1_3repE0EEENS1_30default_config_static_selectorELNS0_4arch9wavefront6targetE1EEEvSK_.num_agpr, 0
	.set _ZN7rocprim17ROCPRIM_400000_NS6detail17trampoline_kernelINS0_14default_configENS1_22reduce_config_selectorIfEEZNS1_11reduce_implILb1ES3_N6thrust23THRUST_200600_302600_NS6detail15normal_iteratorINS8_10device_ptrIfEEEEPff9plus_mod3IfEEE10hipError_tPvRmT1_T2_T3_mT4_P12ihipStream_tbEUlT_E0_NS1_11comp_targetILNS1_3genE0ELNS1_11target_archE4294967295ELNS1_3gpuE0ELNS1_3repE0EEENS1_30default_config_static_selectorELNS0_4arch9wavefront6targetE1EEEvSK_.numbered_sgpr, 21
	.set _ZN7rocprim17ROCPRIM_400000_NS6detail17trampoline_kernelINS0_14default_configENS1_22reduce_config_selectorIfEEZNS1_11reduce_implILb1ES3_N6thrust23THRUST_200600_302600_NS6detail15normal_iteratorINS8_10device_ptrIfEEEEPff9plus_mod3IfEEE10hipError_tPvRmT1_T2_T3_mT4_P12ihipStream_tbEUlT_E0_NS1_11comp_targetILNS1_3genE0ELNS1_11target_archE4294967295ELNS1_3gpuE0ELNS1_3repE0EEENS1_30default_config_static_selectorELNS0_4arch9wavefront6targetE1EEEvSK_.num_named_barrier, 0
	.set _ZN7rocprim17ROCPRIM_400000_NS6detail17trampoline_kernelINS0_14default_configENS1_22reduce_config_selectorIfEEZNS1_11reduce_implILb1ES3_N6thrust23THRUST_200600_302600_NS6detail15normal_iteratorINS8_10device_ptrIfEEEEPff9plus_mod3IfEEE10hipError_tPvRmT1_T2_T3_mT4_P12ihipStream_tbEUlT_E0_NS1_11comp_targetILNS1_3genE0ELNS1_11target_archE4294967295ELNS1_3gpuE0ELNS1_3repE0EEENS1_30default_config_static_selectorELNS0_4arch9wavefront6targetE1EEEvSK_.private_seg_size, 0
	.set _ZN7rocprim17ROCPRIM_400000_NS6detail17trampoline_kernelINS0_14default_configENS1_22reduce_config_selectorIfEEZNS1_11reduce_implILb1ES3_N6thrust23THRUST_200600_302600_NS6detail15normal_iteratorINS8_10device_ptrIfEEEEPff9plus_mod3IfEEE10hipError_tPvRmT1_T2_T3_mT4_P12ihipStream_tbEUlT_E0_NS1_11comp_targetILNS1_3genE0ELNS1_11target_archE4294967295ELNS1_3gpuE0ELNS1_3repE0EEENS1_30default_config_static_selectorELNS0_4arch9wavefront6targetE1EEEvSK_.uses_vcc, 1
	.set _ZN7rocprim17ROCPRIM_400000_NS6detail17trampoline_kernelINS0_14default_configENS1_22reduce_config_selectorIfEEZNS1_11reduce_implILb1ES3_N6thrust23THRUST_200600_302600_NS6detail15normal_iteratorINS8_10device_ptrIfEEEEPff9plus_mod3IfEEE10hipError_tPvRmT1_T2_T3_mT4_P12ihipStream_tbEUlT_E0_NS1_11comp_targetILNS1_3genE0ELNS1_11target_archE4294967295ELNS1_3gpuE0ELNS1_3repE0EEENS1_30default_config_static_selectorELNS0_4arch9wavefront6targetE1EEEvSK_.uses_flat_scratch, 0
	.set _ZN7rocprim17ROCPRIM_400000_NS6detail17trampoline_kernelINS0_14default_configENS1_22reduce_config_selectorIfEEZNS1_11reduce_implILb1ES3_N6thrust23THRUST_200600_302600_NS6detail15normal_iteratorINS8_10device_ptrIfEEEEPff9plus_mod3IfEEE10hipError_tPvRmT1_T2_T3_mT4_P12ihipStream_tbEUlT_E0_NS1_11comp_targetILNS1_3genE0ELNS1_11target_archE4294967295ELNS1_3gpuE0ELNS1_3repE0EEENS1_30default_config_static_selectorELNS0_4arch9wavefront6targetE1EEEvSK_.has_dyn_sized_stack, 0
	.set _ZN7rocprim17ROCPRIM_400000_NS6detail17trampoline_kernelINS0_14default_configENS1_22reduce_config_selectorIfEEZNS1_11reduce_implILb1ES3_N6thrust23THRUST_200600_302600_NS6detail15normal_iteratorINS8_10device_ptrIfEEEEPff9plus_mod3IfEEE10hipError_tPvRmT1_T2_T3_mT4_P12ihipStream_tbEUlT_E0_NS1_11comp_targetILNS1_3genE0ELNS1_11target_archE4294967295ELNS1_3gpuE0ELNS1_3repE0EEENS1_30default_config_static_selectorELNS0_4arch9wavefront6targetE1EEEvSK_.has_recursion, 0
	.set _ZN7rocprim17ROCPRIM_400000_NS6detail17trampoline_kernelINS0_14default_configENS1_22reduce_config_selectorIfEEZNS1_11reduce_implILb1ES3_N6thrust23THRUST_200600_302600_NS6detail15normal_iteratorINS8_10device_ptrIfEEEEPff9plus_mod3IfEEE10hipError_tPvRmT1_T2_T3_mT4_P12ihipStream_tbEUlT_E0_NS1_11comp_targetILNS1_3genE0ELNS1_11target_archE4294967295ELNS1_3gpuE0ELNS1_3repE0EEENS1_30default_config_static_selectorELNS0_4arch9wavefront6targetE1EEEvSK_.has_indirect_call, 0
	.section	.AMDGPU.csdata,"",@progbits
; Kernel info:
; codeLenInByte = 2004
; TotalNumSgprs: 27
; NumVgprs: 12
; NumAgprs: 0
; TotalNumVgprs: 12
; ScratchSize: 0
; MemoryBound: 0
; FloatMode: 240
; IeeeMode: 1
; LDSByteSize: 32 bytes/workgroup (compile time only)
; SGPRBlocks: 3
; VGPRBlocks: 1
; NumSGPRsForWavesPerEU: 27
; NumVGPRsForWavesPerEU: 12
; AccumOffset: 12
; Occupancy: 8
; WaveLimiterHint : 1
; COMPUTE_PGM_RSRC2:SCRATCH_EN: 0
; COMPUTE_PGM_RSRC2:USER_SGPR: 2
; COMPUTE_PGM_RSRC2:TRAP_HANDLER: 0
; COMPUTE_PGM_RSRC2:TGID_X_EN: 1
; COMPUTE_PGM_RSRC2:TGID_Y_EN: 0
; COMPUTE_PGM_RSRC2:TGID_Z_EN: 0
; COMPUTE_PGM_RSRC2:TIDIG_COMP_CNT: 0
; COMPUTE_PGM_RSRC3_GFX90A:ACCUM_OFFSET: 2
; COMPUTE_PGM_RSRC3_GFX90A:TG_SPLIT: 0
	.section	.text._ZN7rocprim17ROCPRIM_400000_NS6detail17trampoline_kernelINS0_14default_configENS1_22reduce_config_selectorIfEEZNS1_11reduce_implILb1ES3_N6thrust23THRUST_200600_302600_NS6detail15normal_iteratorINS8_10device_ptrIfEEEEPff9plus_mod3IfEEE10hipError_tPvRmT1_T2_T3_mT4_P12ihipStream_tbEUlT_E0_NS1_11comp_targetILNS1_3genE5ELNS1_11target_archE942ELNS1_3gpuE9ELNS1_3repE0EEENS1_30default_config_static_selectorELNS0_4arch9wavefront6targetE1EEEvSK_,"axG",@progbits,_ZN7rocprim17ROCPRIM_400000_NS6detail17trampoline_kernelINS0_14default_configENS1_22reduce_config_selectorIfEEZNS1_11reduce_implILb1ES3_N6thrust23THRUST_200600_302600_NS6detail15normal_iteratorINS8_10device_ptrIfEEEEPff9plus_mod3IfEEE10hipError_tPvRmT1_T2_T3_mT4_P12ihipStream_tbEUlT_E0_NS1_11comp_targetILNS1_3genE5ELNS1_11target_archE942ELNS1_3gpuE9ELNS1_3repE0EEENS1_30default_config_static_selectorELNS0_4arch9wavefront6targetE1EEEvSK_,comdat
	.protected	_ZN7rocprim17ROCPRIM_400000_NS6detail17trampoline_kernelINS0_14default_configENS1_22reduce_config_selectorIfEEZNS1_11reduce_implILb1ES3_N6thrust23THRUST_200600_302600_NS6detail15normal_iteratorINS8_10device_ptrIfEEEEPff9plus_mod3IfEEE10hipError_tPvRmT1_T2_T3_mT4_P12ihipStream_tbEUlT_E0_NS1_11comp_targetILNS1_3genE5ELNS1_11target_archE942ELNS1_3gpuE9ELNS1_3repE0EEENS1_30default_config_static_selectorELNS0_4arch9wavefront6targetE1EEEvSK_ ; -- Begin function _ZN7rocprim17ROCPRIM_400000_NS6detail17trampoline_kernelINS0_14default_configENS1_22reduce_config_selectorIfEEZNS1_11reduce_implILb1ES3_N6thrust23THRUST_200600_302600_NS6detail15normal_iteratorINS8_10device_ptrIfEEEEPff9plus_mod3IfEEE10hipError_tPvRmT1_T2_T3_mT4_P12ihipStream_tbEUlT_E0_NS1_11comp_targetILNS1_3genE5ELNS1_11target_archE942ELNS1_3gpuE9ELNS1_3repE0EEENS1_30default_config_static_selectorELNS0_4arch9wavefront6targetE1EEEvSK_
	.globl	_ZN7rocprim17ROCPRIM_400000_NS6detail17trampoline_kernelINS0_14default_configENS1_22reduce_config_selectorIfEEZNS1_11reduce_implILb1ES3_N6thrust23THRUST_200600_302600_NS6detail15normal_iteratorINS8_10device_ptrIfEEEEPff9plus_mod3IfEEE10hipError_tPvRmT1_T2_T3_mT4_P12ihipStream_tbEUlT_E0_NS1_11comp_targetILNS1_3genE5ELNS1_11target_archE942ELNS1_3gpuE9ELNS1_3repE0EEENS1_30default_config_static_selectorELNS0_4arch9wavefront6targetE1EEEvSK_
	.p2align	8
	.type	_ZN7rocprim17ROCPRIM_400000_NS6detail17trampoline_kernelINS0_14default_configENS1_22reduce_config_selectorIfEEZNS1_11reduce_implILb1ES3_N6thrust23THRUST_200600_302600_NS6detail15normal_iteratorINS8_10device_ptrIfEEEEPff9plus_mod3IfEEE10hipError_tPvRmT1_T2_T3_mT4_P12ihipStream_tbEUlT_E0_NS1_11comp_targetILNS1_3genE5ELNS1_11target_archE942ELNS1_3gpuE9ELNS1_3repE0EEENS1_30default_config_static_selectorELNS0_4arch9wavefront6targetE1EEEvSK_,@function
_ZN7rocprim17ROCPRIM_400000_NS6detail17trampoline_kernelINS0_14default_configENS1_22reduce_config_selectorIfEEZNS1_11reduce_implILb1ES3_N6thrust23THRUST_200600_302600_NS6detail15normal_iteratorINS8_10device_ptrIfEEEEPff9plus_mod3IfEEE10hipError_tPvRmT1_T2_T3_mT4_P12ihipStream_tbEUlT_E0_NS1_11comp_targetILNS1_3genE5ELNS1_11target_archE942ELNS1_3gpuE9ELNS1_3repE0EEENS1_30default_config_static_selectorELNS0_4arch9wavefront6targetE1EEEvSK_: ; @_ZN7rocprim17ROCPRIM_400000_NS6detail17trampoline_kernelINS0_14default_configENS1_22reduce_config_selectorIfEEZNS1_11reduce_implILb1ES3_N6thrust23THRUST_200600_302600_NS6detail15normal_iteratorINS8_10device_ptrIfEEEEPff9plus_mod3IfEEE10hipError_tPvRmT1_T2_T3_mT4_P12ihipStream_tbEUlT_E0_NS1_11comp_targetILNS1_3genE5ELNS1_11target_archE942ELNS1_3gpuE9ELNS1_3repE0EEENS1_30default_config_static_selectorELNS0_4arch9wavefront6targetE1EEEvSK_
; %bb.0:
	.section	.rodata,"a",@progbits
	.p2align	6, 0x0
	.amdhsa_kernel _ZN7rocprim17ROCPRIM_400000_NS6detail17trampoline_kernelINS0_14default_configENS1_22reduce_config_selectorIfEEZNS1_11reduce_implILb1ES3_N6thrust23THRUST_200600_302600_NS6detail15normal_iteratorINS8_10device_ptrIfEEEEPff9plus_mod3IfEEE10hipError_tPvRmT1_T2_T3_mT4_P12ihipStream_tbEUlT_E0_NS1_11comp_targetILNS1_3genE5ELNS1_11target_archE942ELNS1_3gpuE9ELNS1_3repE0EEENS1_30default_config_static_selectorELNS0_4arch9wavefront6targetE1EEEvSK_
		.amdhsa_group_segment_fixed_size 0
		.amdhsa_private_segment_fixed_size 0
		.amdhsa_kernarg_size 64
		.amdhsa_user_sgpr_count 2
		.amdhsa_user_sgpr_dispatch_ptr 0
		.amdhsa_user_sgpr_queue_ptr 0
		.amdhsa_user_sgpr_kernarg_segment_ptr 1
		.amdhsa_user_sgpr_dispatch_id 0
		.amdhsa_user_sgpr_kernarg_preload_length 0
		.amdhsa_user_sgpr_kernarg_preload_offset 0
		.amdhsa_user_sgpr_private_segment_size 0
		.amdhsa_uses_dynamic_stack 0
		.amdhsa_enable_private_segment 0
		.amdhsa_system_sgpr_workgroup_id_x 1
		.amdhsa_system_sgpr_workgroup_id_y 0
		.amdhsa_system_sgpr_workgroup_id_z 0
		.amdhsa_system_sgpr_workgroup_info 0
		.amdhsa_system_vgpr_workitem_id 0
		.amdhsa_next_free_vgpr 1
		.amdhsa_next_free_sgpr 0
		.amdhsa_accum_offset 4
		.amdhsa_reserve_vcc 0
		.amdhsa_float_round_mode_32 0
		.amdhsa_float_round_mode_16_64 0
		.amdhsa_float_denorm_mode_32 3
		.amdhsa_float_denorm_mode_16_64 3
		.amdhsa_dx10_clamp 1
		.amdhsa_ieee_mode 1
		.amdhsa_fp16_overflow 0
		.amdhsa_tg_split 0
		.amdhsa_exception_fp_ieee_invalid_op 0
		.amdhsa_exception_fp_denorm_src 0
		.amdhsa_exception_fp_ieee_div_zero 0
		.amdhsa_exception_fp_ieee_overflow 0
		.amdhsa_exception_fp_ieee_underflow 0
		.amdhsa_exception_fp_ieee_inexact 0
		.amdhsa_exception_int_div_zero 0
	.end_amdhsa_kernel
	.section	.text._ZN7rocprim17ROCPRIM_400000_NS6detail17trampoline_kernelINS0_14default_configENS1_22reduce_config_selectorIfEEZNS1_11reduce_implILb1ES3_N6thrust23THRUST_200600_302600_NS6detail15normal_iteratorINS8_10device_ptrIfEEEEPff9plus_mod3IfEEE10hipError_tPvRmT1_T2_T3_mT4_P12ihipStream_tbEUlT_E0_NS1_11comp_targetILNS1_3genE5ELNS1_11target_archE942ELNS1_3gpuE9ELNS1_3repE0EEENS1_30default_config_static_selectorELNS0_4arch9wavefront6targetE1EEEvSK_,"axG",@progbits,_ZN7rocprim17ROCPRIM_400000_NS6detail17trampoline_kernelINS0_14default_configENS1_22reduce_config_selectorIfEEZNS1_11reduce_implILb1ES3_N6thrust23THRUST_200600_302600_NS6detail15normal_iteratorINS8_10device_ptrIfEEEEPff9plus_mod3IfEEE10hipError_tPvRmT1_T2_T3_mT4_P12ihipStream_tbEUlT_E0_NS1_11comp_targetILNS1_3genE5ELNS1_11target_archE942ELNS1_3gpuE9ELNS1_3repE0EEENS1_30default_config_static_selectorELNS0_4arch9wavefront6targetE1EEEvSK_,comdat
.Lfunc_end750:
	.size	_ZN7rocprim17ROCPRIM_400000_NS6detail17trampoline_kernelINS0_14default_configENS1_22reduce_config_selectorIfEEZNS1_11reduce_implILb1ES3_N6thrust23THRUST_200600_302600_NS6detail15normal_iteratorINS8_10device_ptrIfEEEEPff9plus_mod3IfEEE10hipError_tPvRmT1_T2_T3_mT4_P12ihipStream_tbEUlT_E0_NS1_11comp_targetILNS1_3genE5ELNS1_11target_archE942ELNS1_3gpuE9ELNS1_3repE0EEENS1_30default_config_static_selectorELNS0_4arch9wavefront6targetE1EEEvSK_, .Lfunc_end750-_ZN7rocprim17ROCPRIM_400000_NS6detail17trampoline_kernelINS0_14default_configENS1_22reduce_config_selectorIfEEZNS1_11reduce_implILb1ES3_N6thrust23THRUST_200600_302600_NS6detail15normal_iteratorINS8_10device_ptrIfEEEEPff9plus_mod3IfEEE10hipError_tPvRmT1_T2_T3_mT4_P12ihipStream_tbEUlT_E0_NS1_11comp_targetILNS1_3genE5ELNS1_11target_archE942ELNS1_3gpuE9ELNS1_3repE0EEENS1_30default_config_static_selectorELNS0_4arch9wavefront6targetE1EEEvSK_
                                        ; -- End function
	.set _ZN7rocprim17ROCPRIM_400000_NS6detail17trampoline_kernelINS0_14default_configENS1_22reduce_config_selectorIfEEZNS1_11reduce_implILb1ES3_N6thrust23THRUST_200600_302600_NS6detail15normal_iteratorINS8_10device_ptrIfEEEEPff9plus_mod3IfEEE10hipError_tPvRmT1_T2_T3_mT4_P12ihipStream_tbEUlT_E0_NS1_11comp_targetILNS1_3genE5ELNS1_11target_archE942ELNS1_3gpuE9ELNS1_3repE0EEENS1_30default_config_static_selectorELNS0_4arch9wavefront6targetE1EEEvSK_.num_vgpr, 0
	.set _ZN7rocprim17ROCPRIM_400000_NS6detail17trampoline_kernelINS0_14default_configENS1_22reduce_config_selectorIfEEZNS1_11reduce_implILb1ES3_N6thrust23THRUST_200600_302600_NS6detail15normal_iteratorINS8_10device_ptrIfEEEEPff9plus_mod3IfEEE10hipError_tPvRmT1_T2_T3_mT4_P12ihipStream_tbEUlT_E0_NS1_11comp_targetILNS1_3genE5ELNS1_11target_archE942ELNS1_3gpuE9ELNS1_3repE0EEENS1_30default_config_static_selectorELNS0_4arch9wavefront6targetE1EEEvSK_.num_agpr, 0
	.set _ZN7rocprim17ROCPRIM_400000_NS6detail17trampoline_kernelINS0_14default_configENS1_22reduce_config_selectorIfEEZNS1_11reduce_implILb1ES3_N6thrust23THRUST_200600_302600_NS6detail15normal_iteratorINS8_10device_ptrIfEEEEPff9plus_mod3IfEEE10hipError_tPvRmT1_T2_T3_mT4_P12ihipStream_tbEUlT_E0_NS1_11comp_targetILNS1_3genE5ELNS1_11target_archE942ELNS1_3gpuE9ELNS1_3repE0EEENS1_30default_config_static_selectorELNS0_4arch9wavefront6targetE1EEEvSK_.numbered_sgpr, 0
	.set _ZN7rocprim17ROCPRIM_400000_NS6detail17trampoline_kernelINS0_14default_configENS1_22reduce_config_selectorIfEEZNS1_11reduce_implILb1ES3_N6thrust23THRUST_200600_302600_NS6detail15normal_iteratorINS8_10device_ptrIfEEEEPff9plus_mod3IfEEE10hipError_tPvRmT1_T2_T3_mT4_P12ihipStream_tbEUlT_E0_NS1_11comp_targetILNS1_3genE5ELNS1_11target_archE942ELNS1_3gpuE9ELNS1_3repE0EEENS1_30default_config_static_selectorELNS0_4arch9wavefront6targetE1EEEvSK_.num_named_barrier, 0
	.set _ZN7rocprim17ROCPRIM_400000_NS6detail17trampoline_kernelINS0_14default_configENS1_22reduce_config_selectorIfEEZNS1_11reduce_implILb1ES3_N6thrust23THRUST_200600_302600_NS6detail15normal_iteratorINS8_10device_ptrIfEEEEPff9plus_mod3IfEEE10hipError_tPvRmT1_T2_T3_mT4_P12ihipStream_tbEUlT_E0_NS1_11comp_targetILNS1_3genE5ELNS1_11target_archE942ELNS1_3gpuE9ELNS1_3repE0EEENS1_30default_config_static_selectorELNS0_4arch9wavefront6targetE1EEEvSK_.private_seg_size, 0
	.set _ZN7rocprim17ROCPRIM_400000_NS6detail17trampoline_kernelINS0_14default_configENS1_22reduce_config_selectorIfEEZNS1_11reduce_implILb1ES3_N6thrust23THRUST_200600_302600_NS6detail15normal_iteratorINS8_10device_ptrIfEEEEPff9plus_mod3IfEEE10hipError_tPvRmT1_T2_T3_mT4_P12ihipStream_tbEUlT_E0_NS1_11comp_targetILNS1_3genE5ELNS1_11target_archE942ELNS1_3gpuE9ELNS1_3repE0EEENS1_30default_config_static_selectorELNS0_4arch9wavefront6targetE1EEEvSK_.uses_vcc, 0
	.set _ZN7rocprim17ROCPRIM_400000_NS6detail17trampoline_kernelINS0_14default_configENS1_22reduce_config_selectorIfEEZNS1_11reduce_implILb1ES3_N6thrust23THRUST_200600_302600_NS6detail15normal_iteratorINS8_10device_ptrIfEEEEPff9plus_mod3IfEEE10hipError_tPvRmT1_T2_T3_mT4_P12ihipStream_tbEUlT_E0_NS1_11comp_targetILNS1_3genE5ELNS1_11target_archE942ELNS1_3gpuE9ELNS1_3repE0EEENS1_30default_config_static_selectorELNS0_4arch9wavefront6targetE1EEEvSK_.uses_flat_scratch, 0
	.set _ZN7rocprim17ROCPRIM_400000_NS6detail17trampoline_kernelINS0_14default_configENS1_22reduce_config_selectorIfEEZNS1_11reduce_implILb1ES3_N6thrust23THRUST_200600_302600_NS6detail15normal_iteratorINS8_10device_ptrIfEEEEPff9plus_mod3IfEEE10hipError_tPvRmT1_T2_T3_mT4_P12ihipStream_tbEUlT_E0_NS1_11comp_targetILNS1_3genE5ELNS1_11target_archE942ELNS1_3gpuE9ELNS1_3repE0EEENS1_30default_config_static_selectorELNS0_4arch9wavefront6targetE1EEEvSK_.has_dyn_sized_stack, 0
	.set _ZN7rocprim17ROCPRIM_400000_NS6detail17trampoline_kernelINS0_14default_configENS1_22reduce_config_selectorIfEEZNS1_11reduce_implILb1ES3_N6thrust23THRUST_200600_302600_NS6detail15normal_iteratorINS8_10device_ptrIfEEEEPff9plus_mod3IfEEE10hipError_tPvRmT1_T2_T3_mT4_P12ihipStream_tbEUlT_E0_NS1_11comp_targetILNS1_3genE5ELNS1_11target_archE942ELNS1_3gpuE9ELNS1_3repE0EEENS1_30default_config_static_selectorELNS0_4arch9wavefront6targetE1EEEvSK_.has_recursion, 0
	.set _ZN7rocprim17ROCPRIM_400000_NS6detail17trampoline_kernelINS0_14default_configENS1_22reduce_config_selectorIfEEZNS1_11reduce_implILb1ES3_N6thrust23THRUST_200600_302600_NS6detail15normal_iteratorINS8_10device_ptrIfEEEEPff9plus_mod3IfEEE10hipError_tPvRmT1_T2_T3_mT4_P12ihipStream_tbEUlT_E0_NS1_11comp_targetILNS1_3genE5ELNS1_11target_archE942ELNS1_3gpuE9ELNS1_3repE0EEENS1_30default_config_static_selectorELNS0_4arch9wavefront6targetE1EEEvSK_.has_indirect_call, 0
	.section	.AMDGPU.csdata,"",@progbits
; Kernel info:
; codeLenInByte = 0
; TotalNumSgprs: 6
; NumVgprs: 0
; NumAgprs: 0
; TotalNumVgprs: 0
; ScratchSize: 0
; MemoryBound: 0
; FloatMode: 240
; IeeeMode: 1
; LDSByteSize: 0 bytes/workgroup (compile time only)
; SGPRBlocks: 0
; VGPRBlocks: 0
; NumSGPRsForWavesPerEU: 6
; NumVGPRsForWavesPerEU: 1
; AccumOffset: 4
; Occupancy: 8
; WaveLimiterHint : 0
; COMPUTE_PGM_RSRC2:SCRATCH_EN: 0
; COMPUTE_PGM_RSRC2:USER_SGPR: 2
; COMPUTE_PGM_RSRC2:TRAP_HANDLER: 0
; COMPUTE_PGM_RSRC2:TGID_X_EN: 1
; COMPUTE_PGM_RSRC2:TGID_Y_EN: 0
; COMPUTE_PGM_RSRC2:TGID_Z_EN: 0
; COMPUTE_PGM_RSRC2:TIDIG_COMP_CNT: 0
; COMPUTE_PGM_RSRC3_GFX90A:ACCUM_OFFSET: 0
; COMPUTE_PGM_RSRC3_GFX90A:TG_SPLIT: 0
	.section	.text._ZN7rocprim17ROCPRIM_400000_NS6detail17trampoline_kernelINS0_14default_configENS1_22reduce_config_selectorIfEEZNS1_11reduce_implILb1ES3_N6thrust23THRUST_200600_302600_NS6detail15normal_iteratorINS8_10device_ptrIfEEEEPff9plus_mod3IfEEE10hipError_tPvRmT1_T2_T3_mT4_P12ihipStream_tbEUlT_E0_NS1_11comp_targetILNS1_3genE4ELNS1_11target_archE910ELNS1_3gpuE8ELNS1_3repE0EEENS1_30default_config_static_selectorELNS0_4arch9wavefront6targetE1EEEvSK_,"axG",@progbits,_ZN7rocprim17ROCPRIM_400000_NS6detail17trampoline_kernelINS0_14default_configENS1_22reduce_config_selectorIfEEZNS1_11reduce_implILb1ES3_N6thrust23THRUST_200600_302600_NS6detail15normal_iteratorINS8_10device_ptrIfEEEEPff9plus_mod3IfEEE10hipError_tPvRmT1_T2_T3_mT4_P12ihipStream_tbEUlT_E0_NS1_11comp_targetILNS1_3genE4ELNS1_11target_archE910ELNS1_3gpuE8ELNS1_3repE0EEENS1_30default_config_static_selectorELNS0_4arch9wavefront6targetE1EEEvSK_,comdat
	.protected	_ZN7rocprim17ROCPRIM_400000_NS6detail17trampoline_kernelINS0_14default_configENS1_22reduce_config_selectorIfEEZNS1_11reduce_implILb1ES3_N6thrust23THRUST_200600_302600_NS6detail15normal_iteratorINS8_10device_ptrIfEEEEPff9plus_mod3IfEEE10hipError_tPvRmT1_T2_T3_mT4_P12ihipStream_tbEUlT_E0_NS1_11comp_targetILNS1_3genE4ELNS1_11target_archE910ELNS1_3gpuE8ELNS1_3repE0EEENS1_30default_config_static_selectorELNS0_4arch9wavefront6targetE1EEEvSK_ ; -- Begin function _ZN7rocprim17ROCPRIM_400000_NS6detail17trampoline_kernelINS0_14default_configENS1_22reduce_config_selectorIfEEZNS1_11reduce_implILb1ES3_N6thrust23THRUST_200600_302600_NS6detail15normal_iteratorINS8_10device_ptrIfEEEEPff9plus_mod3IfEEE10hipError_tPvRmT1_T2_T3_mT4_P12ihipStream_tbEUlT_E0_NS1_11comp_targetILNS1_3genE4ELNS1_11target_archE910ELNS1_3gpuE8ELNS1_3repE0EEENS1_30default_config_static_selectorELNS0_4arch9wavefront6targetE1EEEvSK_
	.globl	_ZN7rocprim17ROCPRIM_400000_NS6detail17trampoline_kernelINS0_14default_configENS1_22reduce_config_selectorIfEEZNS1_11reduce_implILb1ES3_N6thrust23THRUST_200600_302600_NS6detail15normal_iteratorINS8_10device_ptrIfEEEEPff9plus_mod3IfEEE10hipError_tPvRmT1_T2_T3_mT4_P12ihipStream_tbEUlT_E0_NS1_11comp_targetILNS1_3genE4ELNS1_11target_archE910ELNS1_3gpuE8ELNS1_3repE0EEENS1_30default_config_static_selectorELNS0_4arch9wavefront6targetE1EEEvSK_
	.p2align	8
	.type	_ZN7rocprim17ROCPRIM_400000_NS6detail17trampoline_kernelINS0_14default_configENS1_22reduce_config_selectorIfEEZNS1_11reduce_implILb1ES3_N6thrust23THRUST_200600_302600_NS6detail15normal_iteratorINS8_10device_ptrIfEEEEPff9plus_mod3IfEEE10hipError_tPvRmT1_T2_T3_mT4_P12ihipStream_tbEUlT_E0_NS1_11comp_targetILNS1_3genE4ELNS1_11target_archE910ELNS1_3gpuE8ELNS1_3repE0EEENS1_30default_config_static_selectorELNS0_4arch9wavefront6targetE1EEEvSK_,@function
_ZN7rocprim17ROCPRIM_400000_NS6detail17trampoline_kernelINS0_14default_configENS1_22reduce_config_selectorIfEEZNS1_11reduce_implILb1ES3_N6thrust23THRUST_200600_302600_NS6detail15normal_iteratorINS8_10device_ptrIfEEEEPff9plus_mod3IfEEE10hipError_tPvRmT1_T2_T3_mT4_P12ihipStream_tbEUlT_E0_NS1_11comp_targetILNS1_3genE4ELNS1_11target_archE910ELNS1_3gpuE8ELNS1_3repE0EEENS1_30default_config_static_selectorELNS0_4arch9wavefront6targetE1EEEvSK_: ; @_ZN7rocprim17ROCPRIM_400000_NS6detail17trampoline_kernelINS0_14default_configENS1_22reduce_config_selectorIfEEZNS1_11reduce_implILb1ES3_N6thrust23THRUST_200600_302600_NS6detail15normal_iteratorINS8_10device_ptrIfEEEEPff9plus_mod3IfEEE10hipError_tPvRmT1_T2_T3_mT4_P12ihipStream_tbEUlT_E0_NS1_11comp_targetILNS1_3genE4ELNS1_11target_archE910ELNS1_3gpuE8ELNS1_3repE0EEENS1_30default_config_static_selectorELNS0_4arch9wavefront6targetE1EEEvSK_
; %bb.0:
	.section	.rodata,"a",@progbits
	.p2align	6, 0x0
	.amdhsa_kernel _ZN7rocprim17ROCPRIM_400000_NS6detail17trampoline_kernelINS0_14default_configENS1_22reduce_config_selectorIfEEZNS1_11reduce_implILb1ES3_N6thrust23THRUST_200600_302600_NS6detail15normal_iteratorINS8_10device_ptrIfEEEEPff9plus_mod3IfEEE10hipError_tPvRmT1_T2_T3_mT4_P12ihipStream_tbEUlT_E0_NS1_11comp_targetILNS1_3genE4ELNS1_11target_archE910ELNS1_3gpuE8ELNS1_3repE0EEENS1_30default_config_static_selectorELNS0_4arch9wavefront6targetE1EEEvSK_
		.amdhsa_group_segment_fixed_size 0
		.amdhsa_private_segment_fixed_size 0
		.amdhsa_kernarg_size 64
		.amdhsa_user_sgpr_count 2
		.amdhsa_user_sgpr_dispatch_ptr 0
		.amdhsa_user_sgpr_queue_ptr 0
		.amdhsa_user_sgpr_kernarg_segment_ptr 1
		.amdhsa_user_sgpr_dispatch_id 0
		.amdhsa_user_sgpr_kernarg_preload_length 0
		.amdhsa_user_sgpr_kernarg_preload_offset 0
		.amdhsa_user_sgpr_private_segment_size 0
		.amdhsa_uses_dynamic_stack 0
		.amdhsa_enable_private_segment 0
		.amdhsa_system_sgpr_workgroup_id_x 1
		.amdhsa_system_sgpr_workgroup_id_y 0
		.amdhsa_system_sgpr_workgroup_id_z 0
		.amdhsa_system_sgpr_workgroup_info 0
		.amdhsa_system_vgpr_workitem_id 0
		.amdhsa_next_free_vgpr 1
		.amdhsa_next_free_sgpr 0
		.amdhsa_accum_offset 4
		.amdhsa_reserve_vcc 0
		.amdhsa_float_round_mode_32 0
		.amdhsa_float_round_mode_16_64 0
		.amdhsa_float_denorm_mode_32 3
		.amdhsa_float_denorm_mode_16_64 3
		.amdhsa_dx10_clamp 1
		.amdhsa_ieee_mode 1
		.amdhsa_fp16_overflow 0
		.amdhsa_tg_split 0
		.amdhsa_exception_fp_ieee_invalid_op 0
		.amdhsa_exception_fp_denorm_src 0
		.amdhsa_exception_fp_ieee_div_zero 0
		.amdhsa_exception_fp_ieee_overflow 0
		.amdhsa_exception_fp_ieee_underflow 0
		.amdhsa_exception_fp_ieee_inexact 0
		.amdhsa_exception_int_div_zero 0
	.end_amdhsa_kernel
	.section	.text._ZN7rocprim17ROCPRIM_400000_NS6detail17trampoline_kernelINS0_14default_configENS1_22reduce_config_selectorIfEEZNS1_11reduce_implILb1ES3_N6thrust23THRUST_200600_302600_NS6detail15normal_iteratorINS8_10device_ptrIfEEEEPff9plus_mod3IfEEE10hipError_tPvRmT1_T2_T3_mT4_P12ihipStream_tbEUlT_E0_NS1_11comp_targetILNS1_3genE4ELNS1_11target_archE910ELNS1_3gpuE8ELNS1_3repE0EEENS1_30default_config_static_selectorELNS0_4arch9wavefront6targetE1EEEvSK_,"axG",@progbits,_ZN7rocprim17ROCPRIM_400000_NS6detail17trampoline_kernelINS0_14default_configENS1_22reduce_config_selectorIfEEZNS1_11reduce_implILb1ES3_N6thrust23THRUST_200600_302600_NS6detail15normal_iteratorINS8_10device_ptrIfEEEEPff9plus_mod3IfEEE10hipError_tPvRmT1_T2_T3_mT4_P12ihipStream_tbEUlT_E0_NS1_11comp_targetILNS1_3genE4ELNS1_11target_archE910ELNS1_3gpuE8ELNS1_3repE0EEENS1_30default_config_static_selectorELNS0_4arch9wavefront6targetE1EEEvSK_,comdat
.Lfunc_end751:
	.size	_ZN7rocprim17ROCPRIM_400000_NS6detail17trampoline_kernelINS0_14default_configENS1_22reduce_config_selectorIfEEZNS1_11reduce_implILb1ES3_N6thrust23THRUST_200600_302600_NS6detail15normal_iteratorINS8_10device_ptrIfEEEEPff9plus_mod3IfEEE10hipError_tPvRmT1_T2_T3_mT4_P12ihipStream_tbEUlT_E0_NS1_11comp_targetILNS1_3genE4ELNS1_11target_archE910ELNS1_3gpuE8ELNS1_3repE0EEENS1_30default_config_static_selectorELNS0_4arch9wavefront6targetE1EEEvSK_, .Lfunc_end751-_ZN7rocprim17ROCPRIM_400000_NS6detail17trampoline_kernelINS0_14default_configENS1_22reduce_config_selectorIfEEZNS1_11reduce_implILb1ES3_N6thrust23THRUST_200600_302600_NS6detail15normal_iteratorINS8_10device_ptrIfEEEEPff9plus_mod3IfEEE10hipError_tPvRmT1_T2_T3_mT4_P12ihipStream_tbEUlT_E0_NS1_11comp_targetILNS1_3genE4ELNS1_11target_archE910ELNS1_3gpuE8ELNS1_3repE0EEENS1_30default_config_static_selectorELNS0_4arch9wavefront6targetE1EEEvSK_
                                        ; -- End function
	.set _ZN7rocprim17ROCPRIM_400000_NS6detail17trampoline_kernelINS0_14default_configENS1_22reduce_config_selectorIfEEZNS1_11reduce_implILb1ES3_N6thrust23THRUST_200600_302600_NS6detail15normal_iteratorINS8_10device_ptrIfEEEEPff9plus_mod3IfEEE10hipError_tPvRmT1_T2_T3_mT4_P12ihipStream_tbEUlT_E0_NS1_11comp_targetILNS1_3genE4ELNS1_11target_archE910ELNS1_3gpuE8ELNS1_3repE0EEENS1_30default_config_static_selectorELNS0_4arch9wavefront6targetE1EEEvSK_.num_vgpr, 0
	.set _ZN7rocprim17ROCPRIM_400000_NS6detail17trampoline_kernelINS0_14default_configENS1_22reduce_config_selectorIfEEZNS1_11reduce_implILb1ES3_N6thrust23THRUST_200600_302600_NS6detail15normal_iteratorINS8_10device_ptrIfEEEEPff9plus_mod3IfEEE10hipError_tPvRmT1_T2_T3_mT4_P12ihipStream_tbEUlT_E0_NS1_11comp_targetILNS1_3genE4ELNS1_11target_archE910ELNS1_3gpuE8ELNS1_3repE0EEENS1_30default_config_static_selectorELNS0_4arch9wavefront6targetE1EEEvSK_.num_agpr, 0
	.set _ZN7rocprim17ROCPRIM_400000_NS6detail17trampoline_kernelINS0_14default_configENS1_22reduce_config_selectorIfEEZNS1_11reduce_implILb1ES3_N6thrust23THRUST_200600_302600_NS6detail15normal_iteratorINS8_10device_ptrIfEEEEPff9plus_mod3IfEEE10hipError_tPvRmT1_T2_T3_mT4_P12ihipStream_tbEUlT_E0_NS1_11comp_targetILNS1_3genE4ELNS1_11target_archE910ELNS1_3gpuE8ELNS1_3repE0EEENS1_30default_config_static_selectorELNS0_4arch9wavefront6targetE1EEEvSK_.numbered_sgpr, 0
	.set _ZN7rocprim17ROCPRIM_400000_NS6detail17trampoline_kernelINS0_14default_configENS1_22reduce_config_selectorIfEEZNS1_11reduce_implILb1ES3_N6thrust23THRUST_200600_302600_NS6detail15normal_iteratorINS8_10device_ptrIfEEEEPff9plus_mod3IfEEE10hipError_tPvRmT1_T2_T3_mT4_P12ihipStream_tbEUlT_E0_NS1_11comp_targetILNS1_3genE4ELNS1_11target_archE910ELNS1_3gpuE8ELNS1_3repE0EEENS1_30default_config_static_selectorELNS0_4arch9wavefront6targetE1EEEvSK_.num_named_barrier, 0
	.set _ZN7rocprim17ROCPRIM_400000_NS6detail17trampoline_kernelINS0_14default_configENS1_22reduce_config_selectorIfEEZNS1_11reduce_implILb1ES3_N6thrust23THRUST_200600_302600_NS6detail15normal_iteratorINS8_10device_ptrIfEEEEPff9plus_mod3IfEEE10hipError_tPvRmT1_T2_T3_mT4_P12ihipStream_tbEUlT_E0_NS1_11comp_targetILNS1_3genE4ELNS1_11target_archE910ELNS1_3gpuE8ELNS1_3repE0EEENS1_30default_config_static_selectorELNS0_4arch9wavefront6targetE1EEEvSK_.private_seg_size, 0
	.set _ZN7rocprim17ROCPRIM_400000_NS6detail17trampoline_kernelINS0_14default_configENS1_22reduce_config_selectorIfEEZNS1_11reduce_implILb1ES3_N6thrust23THRUST_200600_302600_NS6detail15normal_iteratorINS8_10device_ptrIfEEEEPff9plus_mod3IfEEE10hipError_tPvRmT1_T2_T3_mT4_P12ihipStream_tbEUlT_E0_NS1_11comp_targetILNS1_3genE4ELNS1_11target_archE910ELNS1_3gpuE8ELNS1_3repE0EEENS1_30default_config_static_selectorELNS0_4arch9wavefront6targetE1EEEvSK_.uses_vcc, 0
	.set _ZN7rocprim17ROCPRIM_400000_NS6detail17trampoline_kernelINS0_14default_configENS1_22reduce_config_selectorIfEEZNS1_11reduce_implILb1ES3_N6thrust23THRUST_200600_302600_NS6detail15normal_iteratorINS8_10device_ptrIfEEEEPff9plus_mod3IfEEE10hipError_tPvRmT1_T2_T3_mT4_P12ihipStream_tbEUlT_E0_NS1_11comp_targetILNS1_3genE4ELNS1_11target_archE910ELNS1_3gpuE8ELNS1_3repE0EEENS1_30default_config_static_selectorELNS0_4arch9wavefront6targetE1EEEvSK_.uses_flat_scratch, 0
	.set _ZN7rocprim17ROCPRIM_400000_NS6detail17trampoline_kernelINS0_14default_configENS1_22reduce_config_selectorIfEEZNS1_11reduce_implILb1ES3_N6thrust23THRUST_200600_302600_NS6detail15normal_iteratorINS8_10device_ptrIfEEEEPff9plus_mod3IfEEE10hipError_tPvRmT1_T2_T3_mT4_P12ihipStream_tbEUlT_E0_NS1_11comp_targetILNS1_3genE4ELNS1_11target_archE910ELNS1_3gpuE8ELNS1_3repE0EEENS1_30default_config_static_selectorELNS0_4arch9wavefront6targetE1EEEvSK_.has_dyn_sized_stack, 0
	.set _ZN7rocprim17ROCPRIM_400000_NS6detail17trampoline_kernelINS0_14default_configENS1_22reduce_config_selectorIfEEZNS1_11reduce_implILb1ES3_N6thrust23THRUST_200600_302600_NS6detail15normal_iteratorINS8_10device_ptrIfEEEEPff9plus_mod3IfEEE10hipError_tPvRmT1_T2_T3_mT4_P12ihipStream_tbEUlT_E0_NS1_11comp_targetILNS1_3genE4ELNS1_11target_archE910ELNS1_3gpuE8ELNS1_3repE0EEENS1_30default_config_static_selectorELNS0_4arch9wavefront6targetE1EEEvSK_.has_recursion, 0
	.set _ZN7rocprim17ROCPRIM_400000_NS6detail17trampoline_kernelINS0_14default_configENS1_22reduce_config_selectorIfEEZNS1_11reduce_implILb1ES3_N6thrust23THRUST_200600_302600_NS6detail15normal_iteratorINS8_10device_ptrIfEEEEPff9plus_mod3IfEEE10hipError_tPvRmT1_T2_T3_mT4_P12ihipStream_tbEUlT_E0_NS1_11comp_targetILNS1_3genE4ELNS1_11target_archE910ELNS1_3gpuE8ELNS1_3repE0EEENS1_30default_config_static_selectorELNS0_4arch9wavefront6targetE1EEEvSK_.has_indirect_call, 0
	.section	.AMDGPU.csdata,"",@progbits
; Kernel info:
; codeLenInByte = 0
; TotalNumSgprs: 6
; NumVgprs: 0
; NumAgprs: 0
; TotalNumVgprs: 0
; ScratchSize: 0
; MemoryBound: 0
; FloatMode: 240
; IeeeMode: 1
; LDSByteSize: 0 bytes/workgroup (compile time only)
; SGPRBlocks: 0
; VGPRBlocks: 0
; NumSGPRsForWavesPerEU: 6
; NumVGPRsForWavesPerEU: 1
; AccumOffset: 4
; Occupancy: 8
; WaveLimiterHint : 0
; COMPUTE_PGM_RSRC2:SCRATCH_EN: 0
; COMPUTE_PGM_RSRC2:USER_SGPR: 2
; COMPUTE_PGM_RSRC2:TRAP_HANDLER: 0
; COMPUTE_PGM_RSRC2:TGID_X_EN: 1
; COMPUTE_PGM_RSRC2:TGID_Y_EN: 0
; COMPUTE_PGM_RSRC2:TGID_Z_EN: 0
; COMPUTE_PGM_RSRC2:TIDIG_COMP_CNT: 0
; COMPUTE_PGM_RSRC3_GFX90A:ACCUM_OFFSET: 0
; COMPUTE_PGM_RSRC3_GFX90A:TG_SPLIT: 0
	.section	.text._ZN7rocprim17ROCPRIM_400000_NS6detail17trampoline_kernelINS0_14default_configENS1_22reduce_config_selectorIfEEZNS1_11reduce_implILb1ES3_N6thrust23THRUST_200600_302600_NS6detail15normal_iteratorINS8_10device_ptrIfEEEEPff9plus_mod3IfEEE10hipError_tPvRmT1_T2_T3_mT4_P12ihipStream_tbEUlT_E0_NS1_11comp_targetILNS1_3genE3ELNS1_11target_archE908ELNS1_3gpuE7ELNS1_3repE0EEENS1_30default_config_static_selectorELNS0_4arch9wavefront6targetE1EEEvSK_,"axG",@progbits,_ZN7rocprim17ROCPRIM_400000_NS6detail17trampoline_kernelINS0_14default_configENS1_22reduce_config_selectorIfEEZNS1_11reduce_implILb1ES3_N6thrust23THRUST_200600_302600_NS6detail15normal_iteratorINS8_10device_ptrIfEEEEPff9plus_mod3IfEEE10hipError_tPvRmT1_T2_T3_mT4_P12ihipStream_tbEUlT_E0_NS1_11comp_targetILNS1_3genE3ELNS1_11target_archE908ELNS1_3gpuE7ELNS1_3repE0EEENS1_30default_config_static_selectorELNS0_4arch9wavefront6targetE1EEEvSK_,comdat
	.protected	_ZN7rocprim17ROCPRIM_400000_NS6detail17trampoline_kernelINS0_14default_configENS1_22reduce_config_selectorIfEEZNS1_11reduce_implILb1ES3_N6thrust23THRUST_200600_302600_NS6detail15normal_iteratorINS8_10device_ptrIfEEEEPff9plus_mod3IfEEE10hipError_tPvRmT1_T2_T3_mT4_P12ihipStream_tbEUlT_E0_NS1_11comp_targetILNS1_3genE3ELNS1_11target_archE908ELNS1_3gpuE7ELNS1_3repE0EEENS1_30default_config_static_selectorELNS0_4arch9wavefront6targetE1EEEvSK_ ; -- Begin function _ZN7rocprim17ROCPRIM_400000_NS6detail17trampoline_kernelINS0_14default_configENS1_22reduce_config_selectorIfEEZNS1_11reduce_implILb1ES3_N6thrust23THRUST_200600_302600_NS6detail15normal_iteratorINS8_10device_ptrIfEEEEPff9plus_mod3IfEEE10hipError_tPvRmT1_T2_T3_mT4_P12ihipStream_tbEUlT_E0_NS1_11comp_targetILNS1_3genE3ELNS1_11target_archE908ELNS1_3gpuE7ELNS1_3repE0EEENS1_30default_config_static_selectorELNS0_4arch9wavefront6targetE1EEEvSK_
	.globl	_ZN7rocprim17ROCPRIM_400000_NS6detail17trampoline_kernelINS0_14default_configENS1_22reduce_config_selectorIfEEZNS1_11reduce_implILb1ES3_N6thrust23THRUST_200600_302600_NS6detail15normal_iteratorINS8_10device_ptrIfEEEEPff9plus_mod3IfEEE10hipError_tPvRmT1_T2_T3_mT4_P12ihipStream_tbEUlT_E0_NS1_11comp_targetILNS1_3genE3ELNS1_11target_archE908ELNS1_3gpuE7ELNS1_3repE0EEENS1_30default_config_static_selectorELNS0_4arch9wavefront6targetE1EEEvSK_
	.p2align	8
	.type	_ZN7rocprim17ROCPRIM_400000_NS6detail17trampoline_kernelINS0_14default_configENS1_22reduce_config_selectorIfEEZNS1_11reduce_implILb1ES3_N6thrust23THRUST_200600_302600_NS6detail15normal_iteratorINS8_10device_ptrIfEEEEPff9plus_mod3IfEEE10hipError_tPvRmT1_T2_T3_mT4_P12ihipStream_tbEUlT_E0_NS1_11comp_targetILNS1_3genE3ELNS1_11target_archE908ELNS1_3gpuE7ELNS1_3repE0EEENS1_30default_config_static_selectorELNS0_4arch9wavefront6targetE1EEEvSK_,@function
_ZN7rocprim17ROCPRIM_400000_NS6detail17trampoline_kernelINS0_14default_configENS1_22reduce_config_selectorIfEEZNS1_11reduce_implILb1ES3_N6thrust23THRUST_200600_302600_NS6detail15normal_iteratorINS8_10device_ptrIfEEEEPff9plus_mod3IfEEE10hipError_tPvRmT1_T2_T3_mT4_P12ihipStream_tbEUlT_E0_NS1_11comp_targetILNS1_3genE3ELNS1_11target_archE908ELNS1_3gpuE7ELNS1_3repE0EEENS1_30default_config_static_selectorELNS0_4arch9wavefront6targetE1EEEvSK_: ; @_ZN7rocprim17ROCPRIM_400000_NS6detail17trampoline_kernelINS0_14default_configENS1_22reduce_config_selectorIfEEZNS1_11reduce_implILb1ES3_N6thrust23THRUST_200600_302600_NS6detail15normal_iteratorINS8_10device_ptrIfEEEEPff9plus_mod3IfEEE10hipError_tPvRmT1_T2_T3_mT4_P12ihipStream_tbEUlT_E0_NS1_11comp_targetILNS1_3genE3ELNS1_11target_archE908ELNS1_3gpuE7ELNS1_3repE0EEENS1_30default_config_static_selectorELNS0_4arch9wavefront6targetE1EEEvSK_
; %bb.0:
	.section	.rodata,"a",@progbits
	.p2align	6, 0x0
	.amdhsa_kernel _ZN7rocprim17ROCPRIM_400000_NS6detail17trampoline_kernelINS0_14default_configENS1_22reduce_config_selectorIfEEZNS1_11reduce_implILb1ES3_N6thrust23THRUST_200600_302600_NS6detail15normal_iteratorINS8_10device_ptrIfEEEEPff9plus_mod3IfEEE10hipError_tPvRmT1_T2_T3_mT4_P12ihipStream_tbEUlT_E0_NS1_11comp_targetILNS1_3genE3ELNS1_11target_archE908ELNS1_3gpuE7ELNS1_3repE0EEENS1_30default_config_static_selectorELNS0_4arch9wavefront6targetE1EEEvSK_
		.amdhsa_group_segment_fixed_size 0
		.amdhsa_private_segment_fixed_size 0
		.amdhsa_kernarg_size 64
		.amdhsa_user_sgpr_count 2
		.amdhsa_user_sgpr_dispatch_ptr 0
		.amdhsa_user_sgpr_queue_ptr 0
		.amdhsa_user_sgpr_kernarg_segment_ptr 1
		.amdhsa_user_sgpr_dispatch_id 0
		.amdhsa_user_sgpr_kernarg_preload_length 0
		.amdhsa_user_sgpr_kernarg_preload_offset 0
		.amdhsa_user_sgpr_private_segment_size 0
		.amdhsa_uses_dynamic_stack 0
		.amdhsa_enable_private_segment 0
		.amdhsa_system_sgpr_workgroup_id_x 1
		.amdhsa_system_sgpr_workgroup_id_y 0
		.amdhsa_system_sgpr_workgroup_id_z 0
		.amdhsa_system_sgpr_workgroup_info 0
		.amdhsa_system_vgpr_workitem_id 0
		.amdhsa_next_free_vgpr 1
		.amdhsa_next_free_sgpr 0
		.amdhsa_accum_offset 4
		.amdhsa_reserve_vcc 0
		.amdhsa_float_round_mode_32 0
		.amdhsa_float_round_mode_16_64 0
		.amdhsa_float_denorm_mode_32 3
		.amdhsa_float_denorm_mode_16_64 3
		.amdhsa_dx10_clamp 1
		.amdhsa_ieee_mode 1
		.amdhsa_fp16_overflow 0
		.amdhsa_tg_split 0
		.amdhsa_exception_fp_ieee_invalid_op 0
		.amdhsa_exception_fp_denorm_src 0
		.amdhsa_exception_fp_ieee_div_zero 0
		.amdhsa_exception_fp_ieee_overflow 0
		.amdhsa_exception_fp_ieee_underflow 0
		.amdhsa_exception_fp_ieee_inexact 0
		.amdhsa_exception_int_div_zero 0
	.end_amdhsa_kernel
	.section	.text._ZN7rocprim17ROCPRIM_400000_NS6detail17trampoline_kernelINS0_14default_configENS1_22reduce_config_selectorIfEEZNS1_11reduce_implILb1ES3_N6thrust23THRUST_200600_302600_NS6detail15normal_iteratorINS8_10device_ptrIfEEEEPff9plus_mod3IfEEE10hipError_tPvRmT1_T2_T3_mT4_P12ihipStream_tbEUlT_E0_NS1_11comp_targetILNS1_3genE3ELNS1_11target_archE908ELNS1_3gpuE7ELNS1_3repE0EEENS1_30default_config_static_selectorELNS0_4arch9wavefront6targetE1EEEvSK_,"axG",@progbits,_ZN7rocprim17ROCPRIM_400000_NS6detail17trampoline_kernelINS0_14default_configENS1_22reduce_config_selectorIfEEZNS1_11reduce_implILb1ES3_N6thrust23THRUST_200600_302600_NS6detail15normal_iteratorINS8_10device_ptrIfEEEEPff9plus_mod3IfEEE10hipError_tPvRmT1_T2_T3_mT4_P12ihipStream_tbEUlT_E0_NS1_11comp_targetILNS1_3genE3ELNS1_11target_archE908ELNS1_3gpuE7ELNS1_3repE0EEENS1_30default_config_static_selectorELNS0_4arch9wavefront6targetE1EEEvSK_,comdat
.Lfunc_end752:
	.size	_ZN7rocprim17ROCPRIM_400000_NS6detail17trampoline_kernelINS0_14default_configENS1_22reduce_config_selectorIfEEZNS1_11reduce_implILb1ES3_N6thrust23THRUST_200600_302600_NS6detail15normal_iteratorINS8_10device_ptrIfEEEEPff9plus_mod3IfEEE10hipError_tPvRmT1_T2_T3_mT4_P12ihipStream_tbEUlT_E0_NS1_11comp_targetILNS1_3genE3ELNS1_11target_archE908ELNS1_3gpuE7ELNS1_3repE0EEENS1_30default_config_static_selectorELNS0_4arch9wavefront6targetE1EEEvSK_, .Lfunc_end752-_ZN7rocprim17ROCPRIM_400000_NS6detail17trampoline_kernelINS0_14default_configENS1_22reduce_config_selectorIfEEZNS1_11reduce_implILb1ES3_N6thrust23THRUST_200600_302600_NS6detail15normal_iteratorINS8_10device_ptrIfEEEEPff9plus_mod3IfEEE10hipError_tPvRmT1_T2_T3_mT4_P12ihipStream_tbEUlT_E0_NS1_11comp_targetILNS1_3genE3ELNS1_11target_archE908ELNS1_3gpuE7ELNS1_3repE0EEENS1_30default_config_static_selectorELNS0_4arch9wavefront6targetE1EEEvSK_
                                        ; -- End function
	.set _ZN7rocprim17ROCPRIM_400000_NS6detail17trampoline_kernelINS0_14default_configENS1_22reduce_config_selectorIfEEZNS1_11reduce_implILb1ES3_N6thrust23THRUST_200600_302600_NS6detail15normal_iteratorINS8_10device_ptrIfEEEEPff9plus_mod3IfEEE10hipError_tPvRmT1_T2_T3_mT4_P12ihipStream_tbEUlT_E0_NS1_11comp_targetILNS1_3genE3ELNS1_11target_archE908ELNS1_3gpuE7ELNS1_3repE0EEENS1_30default_config_static_selectorELNS0_4arch9wavefront6targetE1EEEvSK_.num_vgpr, 0
	.set _ZN7rocprim17ROCPRIM_400000_NS6detail17trampoline_kernelINS0_14default_configENS1_22reduce_config_selectorIfEEZNS1_11reduce_implILb1ES3_N6thrust23THRUST_200600_302600_NS6detail15normal_iteratorINS8_10device_ptrIfEEEEPff9plus_mod3IfEEE10hipError_tPvRmT1_T2_T3_mT4_P12ihipStream_tbEUlT_E0_NS1_11comp_targetILNS1_3genE3ELNS1_11target_archE908ELNS1_3gpuE7ELNS1_3repE0EEENS1_30default_config_static_selectorELNS0_4arch9wavefront6targetE1EEEvSK_.num_agpr, 0
	.set _ZN7rocprim17ROCPRIM_400000_NS6detail17trampoline_kernelINS0_14default_configENS1_22reduce_config_selectorIfEEZNS1_11reduce_implILb1ES3_N6thrust23THRUST_200600_302600_NS6detail15normal_iteratorINS8_10device_ptrIfEEEEPff9plus_mod3IfEEE10hipError_tPvRmT1_T2_T3_mT4_P12ihipStream_tbEUlT_E0_NS1_11comp_targetILNS1_3genE3ELNS1_11target_archE908ELNS1_3gpuE7ELNS1_3repE0EEENS1_30default_config_static_selectorELNS0_4arch9wavefront6targetE1EEEvSK_.numbered_sgpr, 0
	.set _ZN7rocprim17ROCPRIM_400000_NS6detail17trampoline_kernelINS0_14default_configENS1_22reduce_config_selectorIfEEZNS1_11reduce_implILb1ES3_N6thrust23THRUST_200600_302600_NS6detail15normal_iteratorINS8_10device_ptrIfEEEEPff9plus_mod3IfEEE10hipError_tPvRmT1_T2_T3_mT4_P12ihipStream_tbEUlT_E0_NS1_11comp_targetILNS1_3genE3ELNS1_11target_archE908ELNS1_3gpuE7ELNS1_3repE0EEENS1_30default_config_static_selectorELNS0_4arch9wavefront6targetE1EEEvSK_.num_named_barrier, 0
	.set _ZN7rocprim17ROCPRIM_400000_NS6detail17trampoline_kernelINS0_14default_configENS1_22reduce_config_selectorIfEEZNS1_11reduce_implILb1ES3_N6thrust23THRUST_200600_302600_NS6detail15normal_iteratorINS8_10device_ptrIfEEEEPff9plus_mod3IfEEE10hipError_tPvRmT1_T2_T3_mT4_P12ihipStream_tbEUlT_E0_NS1_11comp_targetILNS1_3genE3ELNS1_11target_archE908ELNS1_3gpuE7ELNS1_3repE0EEENS1_30default_config_static_selectorELNS0_4arch9wavefront6targetE1EEEvSK_.private_seg_size, 0
	.set _ZN7rocprim17ROCPRIM_400000_NS6detail17trampoline_kernelINS0_14default_configENS1_22reduce_config_selectorIfEEZNS1_11reduce_implILb1ES3_N6thrust23THRUST_200600_302600_NS6detail15normal_iteratorINS8_10device_ptrIfEEEEPff9plus_mod3IfEEE10hipError_tPvRmT1_T2_T3_mT4_P12ihipStream_tbEUlT_E0_NS1_11comp_targetILNS1_3genE3ELNS1_11target_archE908ELNS1_3gpuE7ELNS1_3repE0EEENS1_30default_config_static_selectorELNS0_4arch9wavefront6targetE1EEEvSK_.uses_vcc, 0
	.set _ZN7rocprim17ROCPRIM_400000_NS6detail17trampoline_kernelINS0_14default_configENS1_22reduce_config_selectorIfEEZNS1_11reduce_implILb1ES3_N6thrust23THRUST_200600_302600_NS6detail15normal_iteratorINS8_10device_ptrIfEEEEPff9plus_mod3IfEEE10hipError_tPvRmT1_T2_T3_mT4_P12ihipStream_tbEUlT_E0_NS1_11comp_targetILNS1_3genE3ELNS1_11target_archE908ELNS1_3gpuE7ELNS1_3repE0EEENS1_30default_config_static_selectorELNS0_4arch9wavefront6targetE1EEEvSK_.uses_flat_scratch, 0
	.set _ZN7rocprim17ROCPRIM_400000_NS6detail17trampoline_kernelINS0_14default_configENS1_22reduce_config_selectorIfEEZNS1_11reduce_implILb1ES3_N6thrust23THRUST_200600_302600_NS6detail15normal_iteratorINS8_10device_ptrIfEEEEPff9plus_mod3IfEEE10hipError_tPvRmT1_T2_T3_mT4_P12ihipStream_tbEUlT_E0_NS1_11comp_targetILNS1_3genE3ELNS1_11target_archE908ELNS1_3gpuE7ELNS1_3repE0EEENS1_30default_config_static_selectorELNS0_4arch9wavefront6targetE1EEEvSK_.has_dyn_sized_stack, 0
	.set _ZN7rocprim17ROCPRIM_400000_NS6detail17trampoline_kernelINS0_14default_configENS1_22reduce_config_selectorIfEEZNS1_11reduce_implILb1ES3_N6thrust23THRUST_200600_302600_NS6detail15normal_iteratorINS8_10device_ptrIfEEEEPff9plus_mod3IfEEE10hipError_tPvRmT1_T2_T3_mT4_P12ihipStream_tbEUlT_E0_NS1_11comp_targetILNS1_3genE3ELNS1_11target_archE908ELNS1_3gpuE7ELNS1_3repE0EEENS1_30default_config_static_selectorELNS0_4arch9wavefront6targetE1EEEvSK_.has_recursion, 0
	.set _ZN7rocprim17ROCPRIM_400000_NS6detail17trampoline_kernelINS0_14default_configENS1_22reduce_config_selectorIfEEZNS1_11reduce_implILb1ES3_N6thrust23THRUST_200600_302600_NS6detail15normal_iteratorINS8_10device_ptrIfEEEEPff9plus_mod3IfEEE10hipError_tPvRmT1_T2_T3_mT4_P12ihipStream_tbEUlT_E0_NS1_11comp_targetILNS1_3genE3ELNS1_11target_archE908ELNS1_3gpuE7ELNS1_3repE0EEENS1_30default_config_static_selectorELNS0_4arch9wavefront6targetE1EEEvSK_.has_indirect_call, 0
	.section	.AMDGPU.csdata,"",@progbits
; Kernel info:
; codeLenInByte = 0
; TotalNumSgprs: 6
; NumVgprs: 0
; NumAgprs: 0
; TotalNumVgprs: 0
; ScratchSize: 0
; MemoryBound: 0
; FloatMode: 240
; IeeeMode: 1
; LDSByteSize: 0 bytes/workgroup (compile time only)
; SGPRBlocks: 0
; VGPRBlocks: 0
; NumSGPRsForWavesPerEU: 6
; NumVGPRsForWavesPerEU: 1
; AccumOffset: 4
; Occupancy: 8
; WaveLimiterHint : 0
; COMPUTE_PGM_RSRC2:SCRATCH_EN: 0
; COMPUTE_PGM_RSRC2:USER_SGPR: 2
; COMPUTE_PGM_RSRC2:TRAP_HANDLER: 0
; COMPUTE_PGM_RSRC2:TGID_X_EN: 1
; COMPUTE_PGM_RSRC2:TGID_Y_EN: 0
; COMPUTE_PGM_RSRC2:TGID_Z_EN: 0
; COMPUTE_PGM_RSRC2:TIDIG_COMP_CNT: 0
; COMPUTE_PGM_RSRC3_GFX90A:ACCUM_OFFSET: 0
; COMPUTE_PGM_RSRC3_GFX90A:TG_SPLIT: 0
	.section	.text._ZN7rocprim17ROCPRIM_400000_NS6detail17trampoline_kernelINS0_14default_configENS1_22reduce_config_selectorIfEEZNS1_11reduce_implILb1ES3_N6thrust23THRUST_200600_302600_NS6detail15normal_iteratorINS8_10device_ptrIfEEEEPff9plus_mod3IfEEE10hipError_tPvRmT1_T2_T3_mT4_P12ihipStream_tbEUlT_E0_NS1_11comp_targetILNS1_3genE2ELNS1_11target_archE906ELNS1_3gpuE6ELNS1_3repE0EEENS1_30default_config_static_selectorELNS0_4arch9wavefront6targetE1EEEvSK_,"axG",@progbits,_ZN7rocprim17ROCPRIM_400000_NS6detail17trampoline_kernelINS0_14default_configENS1_22reduce_config_selectorIfEEZNS1_11reduce_implILb1ES3_N6thrust23THRUST_200600_302600_NS6detail15normal_iteratorINS8_10device_ptrIfEEEEPff9plus_mod3IfEEE10hipError_tPvRmT1_T2_T3_mT4_P12ihipStream_tbEUlT_E0_NS1_11comp_targetILNS1_3genE2ELNS1_11target_archE906ELNS1_3gpuE6ELNS1_3repE0EEENS1_30default_config_static_selectorELNS0_4arch9wavefront6targetE1EEEvSK_,comdat
	.protected	_ZN7rocprim17ROCPRIM_400000_NS6detail17trampoline_kernelINS0_14default_configENS1_22reduce_config_selectorIfEEZNS1_11reduce_implILb1ES3_N6thrust23THRUST_200600_302600_NS6detail15normal_iteratorINS8_10device_ptrIfEEEEPff9plus_mod3IfEEE10hipError_tPvRmT1_T2_T3_mT4_P12ihipStream_tbEUlT_E0_NS1_11comp_targetILNS1_3genE2ELNS1_11target_archE906ELNS1_3gpuE6ELNS1_3repE0EEENS1_30default_config_static_selectorELNS0_4arch9wavefront6targetE1EEEvSK_ ; -- Begin function _ZN7rocprim17ROCPRIM_400000_NS6detail17trampoline_kernelINS0_14default_configENS1_22reduce_config_selectorIfEEZNS1_11reduce_implILb1ES3_N6thrust23THRUST_200600_302600_NS6detail15normal_iteratorINS8_10device_ptrIfEEEEPff9plus_mod3IfEEE10hipError_tPvRmT1_T2_T3_mT4_P12ihipStream_tbEUlT_E0_NS1_11comp_targetILNS1_3genE2ELNS1_11target_archE906ELNS1_3gpuE6ELNS1_3repE0EEENS1_30default_config_static_selectorELNS0_4arch9wavefront6targetE1EEEvSK_
	.globl	_ZN7rocprim17ROCPRIM_400000_NS6detail17trampoline_kernelINS0_14default_configENS1_22reduce_config_selectorIfEEZNS1_11reduce_implILb1ES3_N6thrust23THRUST_200600_302600_NS6detail15normal_iteratorINS8_10device_ptrIfEEEEPff9plus_mod3IfEEE10hipError_tPvRmT1_T2_T3_mT4_P12ihipStream_tbEUlT_E0_NS1_11comp_targetILNS1_3genE2ELNS1_11target_archE906ELNS1_3gpuE6ELNS1_3repE0EEENS1_30default_config_static_selectorELNS0_4arch9wavefront6targetE1EEEvSK_
	.p2align	8
	.type	_ZN7rocprim17ROCPRIM_400000_NS6detail17trampoline_kernelINS0_14default_configENS1_22reduce_config_selectorIfEEZNS1_11reduce_implILb1ES3_N6thrust23THRUST_200600_302600_NS6detail15normal_iteratorINS8_10device_ptrIfEEEEPff9plus_mod3IfEEE10hipError_tPvRmT1_T2_T3_mT4_P12ihipStream_tbEUlT_E0_NS1_11comp_targetILNS1_3genE2ELNS1_11target_archE906ELNS1_3gpuE6ELNS1_3repE0EEENS1_30default_config_static_selectorELNS0_4arch9wavefront6targetE1EEEvSK_,@function
_ZN7rocprim17ROCPRIM_400000_NS6detail17trampoline_kernelINS0_14default_configENS1_22reduce_config_selectorIfEEZNS1_11reduce_implILb1ES3_N6thrust23THRUST_200600_302600_NS6detail15normal_iteratorINS8_10device_ptrIfEEEEPff9plus_mod3IfEEE10hipError_tPvRmT1_T2_T3_mT4_P12ihipStream_tbEUlT_E0_NS1_11comp_targetILNS1_3genE2ELNS1_11target_archE906ELNS1_3gpuE6ELNS1_3repE0EEENS1_30default_config_static_selectorELNS0_4arch9wavefront6targetE1EEEvSK_: ; @_ZN7rocprim17ROCPRIM_400000_NS6detail17trampoline_kernelINS0_14default_configENS1_22reduce_config_selectorIfEEZNS1_11reduce_implILb1ES3_N6thrust23THRUST_200600_302600_NS6detail15normal_iteratorINS8_10device_ptrIfEEEEPff9plus_mod3IfEEE10hipError_tPvRmT1_T2_T3_mT4_P12ihipStream_tbEUlT_E0_NS1_11comp_targetILNS1_3genE2ELNS1_11target_archE906ELNS1_3gpuE6ELNS1_3repE0EEENS1_30default_config_static_selectorELNS0_4arch9wavefront6targetE1EEEvSK_
; %bb.0:
	.section	.rodata,"a",@progbits
	.p2align	6, 0x0
	.amdhsa_kernel _ZN7rocprim17ROCPRIM_400000_NS6detail17trampoline_kernelINS0_14default_configENS1_22reduce_config_selectorIfEEZNS1_11reduce_implILb1ES3_N6thrust23THRUST_200600_302600_NS6detail15normal_iteratorINS8_10device_ptrIfEEEEPff9plus_mod3IfEEE10hipError_tPvRmT1_T2_T3_mT4_P12ihipStream_tbEUlT_E0_NS1_11comp_targetILNS1_3genE2ELNS1_11target_archE906ELNS1_3gpuE6ELNS1_3repE0EEENS1_30default_config_static_selectorELNS0_4arch9wavefront6targetE1EEEvSK_
		.amdhsa_group_segment_fixed_size 0
		.amdhsa_private_segment_fixed_size 0
		.amdhsa_kernarg_size 64
		.amdhsa_user_sgpr_count 2
		.amdhsa_user_sgpr_dispatch_ptr 0
		.amdhsa_user_sgpr_queue_ptr 0
		.amdhsa_user_sgpr_kernarg_segment_ptr 1
		.amdhsa_user_sgpr_dispatch_id 0
		.amdhsa_user_sgpr_kernarg_preload_length 0
		.amdhsa_user_sgpr_kernarg_preload_offset 0
		.amdhsa_user_sgpr_private_segment_size 0
		.amdhsa_uses_dynamic_stack 0
		.amdhsa_enable_private_segment 0
		.amdhsa_system_sgpr_workgroup_id_x 1
		.amdhsa_system_sgpr_workgroup_id_y 0
		.amdhsa_system_sgpr_workgroup_id_z 0
		.amdhsa_system_sgpr_workgroup_info 0
		.amdhsa_system_vgpr_workitem_id 0
		.amdhsa_next_free_vgpr 1
		.amdhsa_next_free_sgpr 0
		.amdhsa_accum_offset 4
		.amdhsa_reserve_vcc 0
		.amdhsa_float_round_mode_32 0
		.amdhsa_float_round_mode_16_64 0
		.amdhsa_float_denorm_mode_32 3
		.amdhsa_float_denorm_mode_16_64 3
		.amdhsa_dx10_clamp 1
		.amdhsa_ieee_mode 1
		.amdhsa_fp16_overflow 0
		.amdhsa_tg_split 0
		.amdhsa_exception_fp_ieee_invalid_op 0
		.amdhsa_exception_fp_denorm_src 0
		.amdhsa_exception_fp_ieee_div_zero 0
		.amdhsa_exception_fp_ieee_overflow 0
		.amdhsa_exception_fp_ieee_underflow 0
		.amdhsa_exception_fp_ieee_inexact 0
		.amdhsa_exception_int_div_zero 0
	.end_amdhsa_kernel
	.section	.text._ZN7rocprim17ROCPRIM_400000_NS6detail17trampoline_kernelINS0_14default_configENS1_22reduce_config_selectorIfEEZNS1_11reduce_implILb1ES3_N6thrust23THRUST_200600_302600_NS6detail15normal_iteratorINS8_10device_ptrIfEEEEPff9plus_mod3IfEEE10hipError_tPvRmT1_T2_T3_mT4_P12ihipStream_tbEUlT_E0_NS1_11comp_targetILNS1_3genE2ELNS1_11target_archE906ELNS1_3gpuE6ELNS1_3repE0EEENS1_30default_config_static_selectorELNS0_4arch9wavefront6targetE1EEEvSK_,"axG",@progbits,_ZN7rocprim17ROCPRIM_400000_NS6detail17trampoline_kernelINS0_14default_configENS1_22reduce_config_selectorIfEEZNS1_11reduce_implILb1ES3_N6thrust23THRUST_200600_302600_NS6detail15normal_iteratorINS8_10device_ptrIfEEEEPff9plus_mod3IfEEE10hipError_tPvRmT1_T2_T3_mT4_P12ihipStream_tbEUlT_E0_NS1_11comp_targetILNS1_3genE2ELNS1_11target_archE906ELNS1_3gpuE6ELNS1_3repE0EEENS1_30default_config_static_selectorELNS0_4arch9wavefront6targetE1EEEvSK_,comdat
.Lfunc_end753:
	.size	_ZN7rocprim17ROCPRIM_400000_NS6detail17trampoline_kernelINS0_14default_configENS1_22reduce_config_selectorIfEEZNS1_11reduce_implILb1ES3_N6thrust23THRUST_200600_302600_NS6detail15normal_iteratorINS8_10device_ptrIfEEEEPff9plus_mod3IfEEE10hipError_tPvRmT1_T2_T3_mT4_P12ihipStream_tbEUlT_E0_NS1_11comp_targetILNS1_3genE2ELNS1_11target_archE906ELNS1_3gpuE6ELNS1_3repE0EEENS1_30default_config_static_selectorELNS0_4arch9wavefront6targetE1EEEvSK_, .Lfunc_end753-_ZN7rocprim17ROCPRIM_400000_NS6detail17trampoline_kernelINS0_14default_configENS1_22reduce_config_selectorIfEEZNS1_11reduce_implILb1ES3_N6thrust23THRUST_200600_302600_NS6detail15normal_iteratorINS8_10device_ptrIfEEEEPff9plus_mod3IfEEE10hipError_tPvRmT1_T2_T3_mT4_P12ihipStream_tbEUlT_E0_NS1_11comp_targetILNS1_3genE2ELNS1_11target_archE906ELNS1_3gpuE6ELNS1_3repE0EEENS1_30default_config_static_selectorELNS0_4arch9wavefront6targetE1EEEvSK_
                                        ; -- End function
	.set _ZN7rocprim17ROCPRIM_400000_NS6detail17trampoline_kernelINS0_14default_configENS1_22reduce_config_selectorIfEEZNS1_11reduce_implILb1ES3_N6thrust23THRUST_200600_302600_NS6detail15normal_iteratorINS8_10device_ptrIfEEEEPff9plus_mod3IfEEE10hipError_tPvRmT1_T2_T3_mT4_P12ihipStream_tbEUlT_E0_NS1_11comp_targetILNS1_3genE2ELNS1_11target_archE906ELNS1_3gpuE6ELNS1_3repE0EEENS1_30default_config_static_selectorELNS0_4arch9wavefront6targetE1EEEvSK_.num_vgpr, 0
	.set _ZN7rocprim17ROCPRIM_400000_NS6detail17trampoline_kernelINS0_14default_configENS1_22reduce_config_selectorIfEEZNS1_11reduce_implILb1ES3_N6thrust23THRUST_200600_302600_NS6detail15normal_iteratorINS8_10device_ptrIfEEEEPff9plus_mod3IfEEE10hipError_tPvRmT1_T2_T3_mT4_P12ihipStream_tbEUlT_E0_NS1_11comp_targetILNS1_3genE2ELNS1_11target_archE906ELNS1_3gpuE6ELNS1_3repE0EEENS1_30default_config_static_selectorELNS0_4arch9wavefront6targetE1EEEvSK_.num_agpr, 0
	.set _ZN7rocprim17ROCPRIM_400000_NS6detail17trampoline_kernelINS0_14default_configENS1_22reduce_config_selectorIfEEZNS1_11reduce_implILb1ES3_N6thrust23THRUST_200600_302600_NS6detail15normal_iteratorINS8_10device_ptrIfEEEEPff9plus_mod3IfEEE10hipError_tPvRmT1_T2_T3_mT4_P12ihipStream_tbEUlT_E0_NS1_11comp_targetILNS1_3genE2ELNS1_11target_archE906ELNS1_3gpuE6ELNS1_3repE0EEENS1_30default_config_static_selectorELNS0_4arch9wavefront6targetE1EEEvSK_.numbered_sgpr, 0
	.set _ZN7rocprim17ROCPRIM_400000_NS6detail17trampoline_kernelINS0_14default_configENS1_22reduce_config_selectorIfEEZNS1_11reduce_implILb1ES3_N6thrust23THRUST_200600_302600_NS6detail15normal_iteratorINS8_10device_ptrIfEEEEPff9plus_mod3IfEEE10hipError_tPvRmT1_T2_T3_mT4_P12ihipStream_tbEUlT_E0_NS1_11comp_targetILNS1_3genE2ELNS1_11target_archE906ELNS1_3gpuE6ELNS1_3repE0EEENS1_30default_config_static_selectorELNS0_4arch9wavefront6targetE1EEEvSK_.num_named_barrier, 0
	.set _ZN7rocprim17ROCPRIM_400000_NS6detail17trampoline_kernelINS0_14default_configENS1_22reduce_config_selectorIfEEZNS1_11reduce_implILb1ES3_N6thrust23THRUST_200600_302600_NS6detail15normal_iteratorINS8_10device_ptrIfEEEEPff9plus_mod3IfEEE10hipError_tPvRmT1_T2_T3_mT4_P12ihipStream_tbEUlT_E0_NS1_11comp_targetILNS1_3genE2ELNS1_11target_archE906ELNS1_3gpuE6ELNS1_3repE0EEENS1_30default_config_static_selectorELNS0_4arch9wavefront6targetE1EEEvSK_.private_seg_size, 0
	.set _ZN7rocprim17ROCPRIM_400000_NS6detail17trampoline_kernelINS0_14default_configENS1_22reduce_config_selectorIfEEZNS1_11reduce_implILb1ES3_N6thrust23THRUST_200600_302600_NS6detail15normal_iteratorINS8_10device_ptrIfEEEEPff9plus_mod3IfEEE10hipError_tPvRmT1_T2_T3_mT4_P12ihipStream_tbEUlT_E0_NS1_11comp_targetILNS1_3genE2ELNS1_11target_archE906ELNS1_3gpuE6ELNS1_3repE0EEENS1_30default_config_static_selectorELNS0_4arch9wavefront6targetE1EEEvSK_.uses_vcc, 0
	.set _ZN7rocprim17ROCPRIM_400000_NS6detail17trampoline_kernelINS0_14default_configENS1_22reduce_config_selectorIfEEZNS1_11reduce_implILb1ES3_N6thrust23THRUST_200600_302600_NS6detail15normal_iteratorINS8_10device_ptrIfEEEEPff9plus_mod3IfEEE10hipError_tPvRmT1_T2_T3_mT4_P12ihipStream_tbEUlT_E0_NS1_11comp_targetILNS1_3genE2ELNS1_11target_archE906ELNS1_3gpuE6ELNS1_3repE0EEENS1_30default_config_static_selectorELNS0_4arch9wavefront6targetE1EEEvSK_.uses_flat_scratch, 0
	.set _ZN7rocprim17ROCPRIM_400000_NS6detail17trampoline_kernelINS0_14default_configENS1_22reduce_config_selectorIfEEZNS1_11reduce_implILb1ES3_N6thrust23THRUST_200600_302600_NS6detail15normal_iteratorINS8_10device_ptrIfEEEEPff9plus_mod3IfEEE10hipError_tPvRmT1_T2_T3_mT4_P12ihipStream_tbEUlT_E0_NS1_11comp_targetILNS1_3genE2ELNS1_11target_archE906ELNS1_3gpuE6ELNS1_3repE0EEENS1_30default_config_static_selectorELNS0_4arch9wavefront6targetE1EEEvSK_.has_dyn_sized_stack, 0
	.set _ZN7rocprim17ROCPRIM_400000_NS6detail17trampoline_kernelINS0_14default_configENS1_22reduce_config_selectorIfEEZNS1_11reduce_implILb1ES3_N6thrust23THRUST_200600_302600_NS6detail15normal_iteratorINS8_10device_ptrIfEEEEPff9plus_mod3IfEEE10hipError_tPvRmT1_T2_T3_mT4_P12ihipStream_tbEUlT_E0_NS1_11comp_targetILNS1_3genE2ELNS1_11target_archE906ELNS1_3gpuE6ELNS1_3repE0EEENS1_30default_config_static_selectorELNS0_4arch9wavefront6targetE1EEEvSK_.has_recursion, 0
	.set _ZN7rocprim17ROCPRIM_400000_NS6detail17trampoline_kernelINS0_14default_configENS1_22reduce_config_selectorIfEEZNS1_11reduce_implILb1ES3_N6thrust23THRUST_200600_302600_NS6detail15normal_iteratorINS8_10device_ptrIfEEEEPff9plus_mod3IfEEE10hipError_tPvRmT1_T2_T3_mT4_P12ihipStream_tbEUlT_E0_NS1_11comp_targetILNS1_3genE2ELNS1_11target_archE906ELNS1_3gpuE6ELNS1_3repE0EEENS1_30default_config_static_selectorELNS0_4arch9wavefront6targetE1EEEvSK_.has_indirect_call, 0
	.section	.AMDGPU.csdata,"",@progbits
; Kernel info:
; codeLenInByte = 0
; TotalNumSgprs: 6
; NumVgprs: 0
; NumAgprs: 0
; TotalNumVgprs: 0
; ScratchSize: 0
; MemoryBound: 0
; FloatMode: 240
; IeeeMode: 1
; LDSByteSize: 0 bytes/workgroup (compile time only)
; SGPRBlocks: 0
; VGPRBlocks: 0
; NumSGPRsForWavesPerEU: 6
; NumVGPRsForWavesPerEU: 1
; AccumOffset: 4
; Occupancy: 8
; WaveLimiterHint : 0
; COMPUTE_PGM_RSRC2:SCRATCH_EN: 0
; COMPUTE_PGM_RSRC2:USER_SGPR: 2
; COMPUTE_PGM_RSRC2:TRAP_HANDLER: 0
; COMPUTE_PGM_RSRC2:TGID_X_EN: 1
; COMPUTE_PGM_RSRC2:TGID_Y_EN: 0
; COMPUTE_PGM_RSRC2:TGID_Z_EN: 0
; COMPUTE_PGM_RSRC2:TIDIG_COMP_CNT: 0
; COMPUTE_PGM_RSRC3_GFX90A:ACCUM_OFFSET: 0
; COMPUTE_PGM_RSRC3_GFX90A:TG_SPLIT: 0
	.section	.text._ZN7rocprim17ROCPRIM_400000_NS6detail17trampoline_kernelINS0_14default_configENS1_22reduce_config_selectorIfEEZNS1_11reduce_implILb1ES3_N6thrust23THRUST_200600_302600_NS6detail15normal_iteratorINS8_10device_ptrIfEEEEPff9plus_mod3IfEEE10hipError_tPvRmT1_T2_T3_mT4_P12ihipStream_tbEUlT_E0_NS1_11comp_targetILNS1_3genE10ELNS1_11target_archE1201ELNS1_3gpuE5ELNS1_3repE0EEENS1_30default_config_static_selectorELNS0_4arch9wavefront6targetE1EEEvSK_,"axG",@progbits,_ZN7rocprim17ROCPRIM_400000_NS6detail17trampoline_kernelINS0_14default_configENS1_22reduce_config_selectorIfEEZNS1_11reduce_implILb1ES3_N6thrust23THRUST_200600_302600_NS6detail15normal_iteratorINS8_10device_ptrIfEEEEPff9plus_mod3IfEEE10hipError_tPvRmT1_T2_T3_mT4_P12ihipStream_tbEUlT_E0_NS1_11comp_targetILNS1_3genE10ELNS1_11target_archE1201ELNS1_3gpuE5ELNS1_3repE0EEENS1_30default_config_static_selectorELNS0_4arch9wavefront6targetE1EEEvSK_,comdat
	.protected	_ZN7rocprim17ROCPRIM_400000_NS6detail17trampoline_kernelINS0_14default_configENS1_22reduce_config_selectorIfEEZNS1_11reduce_implILb1ES3_N6thrust23THRUST_200600_302600_NS6detail15normal_iteratorINS8_10device_ptrIfEEEEPff9plus_mod3IfEEE10hipError_tPvRmT1_T2_T3_mT4_P12ihipStream_tbEUlT_E0_NS1_11comp_targetILNS1_3genE10ELNS1_11target_archE1201ELNS1_3gpuE5ELNS1_3repE0EEENS1_30default_config_static_selectorELNS0_4arch9wavefront6targetE1EEEvSK_ ; -- Begin function _ZN7rocprim17ROCPRIM_400000_NS6detail17trampoline_kernelINS0_14default_configENS1_22reduce_config_selectorIfEEZNS1_11reduce_implILb1ES3_N6thrust23THRUST_200600_302600_NS6detail15normal_iteratorINS8_10device_ptrIfEEEEPff9plus_mod3IfEEE10hipError_tPvRmT1_T2_T3_mT4_P12ihipStream_tbEUlT_E0_NS1_11comp_targetILNS1_3genE10ELNS1_11target_archE1201ELNS1_3gpuE5ELNS1_3repE0EEENS1_30default_config_static_selectorELNS0_4arch9wavefront6targetE1EEEvSK_
	.globl	_ZN7rocprim17ROCPRIM_400000_NS6detail17trampoline_kernelINS0_14default_configENS1_22reduce_config_selectorIfEEZNS1_11reduce_implILb1ES3_N6thrust23THRUST_200600_302600_NS6detail15normal_iteratorINS8_10device_ptrIfEEEEPff9plus_mod3IfEEE10hipError_tPvRmT1_T2_T3_mT4_P12ihipStream_tbEUlT_E0_NS1_11comp_targetILNS1_3genE10ELNS1_11target_archE1201ELNS1_3gpuE5ELNS1_3repE0EEENS1_30default_config_static_selectorELNS0_4arch9wavefront6targetE1EEEvSK_
	.p2align	8
	.type	_ZN7rocprim17ROCPRIM_400000_NS6detail17trampoline_kernelINS0_14default_configENS1_22reduce_config_selectorIfEEZNS1_11reduce_implILb1ES3_N6thrust23THRUST_200600_302600_NS6detail15normal_iteratorINS8_10device_ptrIfEEEEPff9plus_mod3IfEEE10hipError_tPvRmT1_T2_T3_mT4_P12ihipStream_tbEUlT_E0_NS1_11comp_targetILNS1_3genE10ELNS1_11target_archE1201ELNS1_3gpuE5ELNS1_3repE0EEENS1_30default_config_static_selectorELNS0_4arch9wavefront6targetE1EEEvSK_,@function
_ZN7rocprim17ROCPRIM_400000_NS6detail17trampoline_kernelINS0_14default_configENS1_22reduce_config_selectorIfEEZNS1_11reduce_implILb1ES3_N6thrust23THRUST_200600_302600_NS6detail15normal_iteratorINS8_10device_ptrIfEEEEPff9plus_mod3IfEEE10hipError_tPvRmT1_T2_T3_mT4_P12ihipStream_tbEUlT_E0_NS1_11comp_targetILNS1_3genE10ELNS1_11target_archE1201ELNS1_3gpuE5ELNS1_3repE0EEENS1_30default_config_static_selectorELNS0_4arch9wavefront6targetE1EEEvSK_: ; @_ZN7rocprim17ROCPRIM_400000_NS6detail17trampoline_kernelINS0_14default_configENS1_22reduce_config_selectorIfEEZNS1_11reduce_implILb1ES3_N6thrust23THRUST_200600_302600_NS6detail15normal_iteratorINS8_10device_ptrIfEEEEPff9plus_mod3IfEEE10hipError_tPvRmT1_T2_T3_mT4_P12ihipStream_tbEUlT_E0_NS1_11comp_targetILNS1_3genE10ELNS1_11target_archE1201ELNS1_3gpuE5ELNS1_3repE0EEENS1_30default_config_static_selectorELNS0_4arch9wavefront6targetE1EEEvSK_
; %bb.0:
	.section	.rodata,"a",@progbits
	.p2align	6, 0x0
	.amdhsa_kernel _ZN7rocprim17ROCPRIM_400000_NS6detail17trampoline_kernelINS0_14default_configENS1_22reduce_config_selectorIfEEZNS1_11reduce_implILb1ES3_N6thrust23THRUST_200600_302600_NS6detail15normal_iteratorINS8_10device_ptrIfEEEEPff9plus_mod3IfEEE10hipError_tPvRmT1_T2_T3_mT4_P12ihipStream_tbEUlT_E0_NS1_11comp_targetILNS1_3genE10ELNS1_11target_archE1201ELNS1_3gpuE5ELNS1_3repE0EEENS1_30default_config_static_selectorELNS0_4arch9wavefront6targetE1EEEvSK_
		.amdhsa_group_segment_fixed_size 0
		.amdhsa_private_segment_fixed_size 0
		.amdhsa_kernarg_size 64
		.amdhsa_user_sgpr_count 2
		.amdhsa_user_sgpr_dispatch_ptr 0
		.amdhsa_user_sgpr_queue_ptr 0
		.amdhsa_user_sgpr_kernarg_segment_ptr 1
		.amdhsa_user_sgpr_dispatch_id 0
		.amdhsa_user_sgpr_kernarg_preload_length 0
		.amdhsa_user_sgpr_kernarg_preload_offset 0
		.amdhsa_user_sgpr_private_segment_size 0
		.amdhsa_uses_dynamic_stack 0
		.amdhsa_enable_private_segment 0
		.amdhsa_system_sgpr_workgroup_id_x 1
		.amdhsa_system_sgpr_workgroup_id_y 0
		.amdhsa_system_sgpr_workgroup_id_z 0
		.amdhsa_system_sgpr_workgroup_info 0
		.amdhsa_system_vgpr_workitem_id 0
		.amdhsa_next_free_vgpr 1
		.amdhsa_next_free_sgpr 0
		.amdhsa_accum_offset 4
		.amdhsa_reserve_vcc 0
		.amdhsa_float_round_mode_32 0
		.amdhsa_float_round_mode_16_64 0
		.amdhsa_float_denorm_mode_32 3
		.amdhsa_float_denorm_mode_16_64 3
		.amdhsa_dx10_clamp 1
		.amdhsa_ieee_mode 1
		.amdhsa_fp16_overflow 0
		.amdhsa_tg_split 0
		.amdhsa_exception_fp_ieee_invalid_op 0
		.amdhsa_exception_fp_denorm_src 0
		.amdhsa_exception_fp_ieee_div_zero 0
		.amdhsa_exception_fp_ieee_overflow 0
		.amdhsa_exception_fp_ieee_underflow 0
		.amdhsa_exception_fp_ieee_inexact 0
		.amdhsa_exception_int_div_zero 0
	.end_amdhsa_kernel
	.section	.text._ZN7rocprim17ROCPRIM_400000_NS6detail17trampoline_kernelINS0_14default_configENS1_22reduce_config_selectorIfEEZNS1_11reduce_implILb1ES3_N6thrust23THRUST_200600_302600_NS6detail15normal_iteratorINS8_10device_ptrIfEEEEPff9plus_mod3IfEEE10hipError_tPvRmT1_T2_T3_mT4_P12ihipStream_tbEUlT_E0_NS1_11comp_targetILNS1_3genE10ELNS1_11target_archE1201ELNS1_3gpuE5ELNS1_3repE0EEENS1_30default_config_static_selectorELNS0_4arch9wavefront6targetE1EEEvSK_,"axG",@progbits,_ZN7rocprim17ROCPRIM_400000_NS6detail17trampoline_kernelINS0_14default_configENS1_22reduce_config_selectorIfEEZNS1_11reduce_implILb1ES3_N6thrust23THRUST_200600_302600_NS6detail15normal_iteratorINS8_10device_ptrIfEEEEPff9plus_mod3IfEEE10hipError_tPvRmT1_T2_T3_mT4_P12ihipStream_tbEUlT_E0_NS1_11comp_targetILNS1_3genE10ELNS1_11target_archE1201ELNS1_3gpuE5ELNS1_3repE0EEENS1_30default_config_static_selectorELNS0_4arch9wavefront6targetE1EEEvSK_,comdat
.Lfunc_end754:
	.size	_ZN7rocprim17ROCPRIM_400000_NS6detail17trampoline_kernelINS0_14default_configENS1_22reduce_config_selectorIfEEZNS1_11reduce_implILb1ES3_N6thrust23THRUST_200600_302600_NS6detail15normal_iteratorINS8_10device_ptrIfEEEEPff9plus_mod3IfEEE10hipError_tPvRmT1_T2_T3_mT4_P12ihipStream_tbEUlT_E0_NS1_11comp_targetILNS1_3genE10ELNS1_11target_archE1201ELNS1_3gpuE5ELNS1_3repE0EEENS1_30default_config_static_selectorELNS0_4arch9wavefront6targetE1EEEvSK_, .Lfunc_end754-_ZN7rocprim17ROCPRIM_400000_NS6detail17trampoline_kernelINS0_14default_configENS1_22reduce_config_selectorIfEEZNS1_11reduce_implILb1ES3_N6thrust23THRUST_200600_302600_NS6detail15normal_iteratorINS8_10device_ptrIfEEEEPff9plus_mod3IfEEE10hipError_tPvRmT1_T2_T3_mT4_P12ihipStream_tbEUlT_E0_NS1_11comp_targetILNS1_3genE10ELNS1_11target_archE1201ELNS1_3gpuE5ELNS1_3repE0EEENS1_30default_config_static_selectorELNS0_4arch9wavefront6targetE1EEEvSK_
                                        ; -- End function
	.set _ZN7rocprim17ROCPRIM_400000_NS6detail17trampoline_kernelINS0_14default_configENS1_22reduce_config_selectorIfEEZNS1_11reduce_implILb1ES3_N6thrust23THRUST_200600_302600_NS6detail15normal_iteratorINS8_10device_ptrIfEEEEPff9plus_mod3IfEEE10hipError_tPvRmT1_T2_T3_mT4_P12ihipStream_tbEUlT_E0_NS1_11comp_targetILNS1_3genE10ELNS1_11target_archE1201ELNS1_3gpuE5ELNS1_3repE0EEENS1_30default_config_static_selectorELNS0_4arch9wavefront6targetE1EEEvSK_.num_vgpr, 0
	.set _ZN7rocprim17ROCPRIM_400000_NS6detail17trampoline_kernelINS0_14default_configENS1_22reduce_config_selectorIfEEZNS1_11reduce_implILb1ES3_N6thrust23THRUST_200600_302600_NS6detail15normal_iteratorINS8_10device_ptrIfEEEEPff9plus_mod3IfEEE10hipError_tPvRmT1_T2_T3_mT4_P12ihipStream_tbEUlT_E0_NS1_11comp_targetILNS1_3genE10ELNS1_11target_archE1201ELNS1_3gpuE5ELNS1_3repE0EEENS1_30default_config_static_selectorELNS0_4arch9wavefront6targetE1EEEvSK_.num_agpr, 0
	.set _ZN7rocprim17ROCPRIM_400000_NS6detail17trampoline_kernelINS0_14default_configENS1_22reduce_config_selectorIfEEZNS1_11reduce_implILb1ES3_N6thrust23THRUST_200600_302600_NS6detail15normal_iteratorINS8_10device_ptrIfEEEEPff9plus_mod3IfEEE10hipError_tPvRmT1_T2_T3_mT4_P12ihipStream_tbEUlT_E0_NS1_11comp_targetILNS1_3genE10ELNS1_11target_archE1201ELNS1_3gpuE5ELNS1_3repE0EEENS1_30default_config_static_selectorELNS0_4arch9wavefront6targetE1EEEvSK_.numbered_sgpr, 0
	.set _ZN7rocprim17ROCPRIM_400000_NS6detail17trampoline_kernelINS0_14default_configENS1_22reduce_config_selectorIfEEZNS1_11reduce_implILb1ES3_N6thrust23THRUST_200600_302600_NS6detail15normal_iteratorINS8_10device_ptrIfEEEEPff9plus_mod3IfEEE10hipError_tPvRmT1_T2_T3_mT4_P12ihipStream_tbEUlT_E0_NS1_11comp_targetILNS1_3genE10ELNS1_11target_archE1201ELNS1_3gpuE5ELNS1_3repE0EEENS1_30default_config_static_selectorELNS0_4arch9wavefront6targetE1EEEvSK_.num_named_barrier, 0
	.set _ZN7rocprim17ROCPRIM_400000_NS6detail17trampoline_kernelINS0_14default_configENS1_22reduce_config_selectorIfEEZNS1_11reduce_implILb1ES3_N6thrust23THRUST_200600_302600_NS6detail15normal_iteratorINS8_10device_ptrIfEEEEPff9plus_mod3IfEEE10hipError_tPvRmT1_T2_T3_mT4_P12ihipStream_tbEUlT_E0_NS1_11comp_targetILNS1_3genE10ELNS1_11target_archE1201ELNS1_3gpuE5ELNS1_3repE0EEENS1_30default_config_static_selectorELNS0_4arch9wavefront6targetE1EEEvSK_.private_seg_size, 0
	.set _ZN7rocprim17ROCPRIM_400000_NS6detail17trampoline_kernelINS0_14default_configENS1_22reduce_config_selectorIfEEZNS1_11reduce_implILb1ES3_N6thrust23THRUST_200600_302600_NS6detail15normal_iteratorINS8_10device_ptrIfEEEEPff9plus_mod3IfEEE10hipError_tPvRmT1_T2_T3_mT4_P12ihipStream_tbEUlT_E0_NS1_11comp_targetILNS1_3genE10ELNS1_11target_archE1201ELNS1_3gpuE5ELNS1_3repE0EEENS1_30default_config_static_selectorELNS0_4arch9wavefront6targetE1EEEvSK_.uses_vcc, 0
	.set _ZN7rocprim17ROCPRIM_400000_NS6detail17trampoline_kernelINS0_14default_configENS1_22reduce_config_selectorIfEEZNS1_11reduce_implILb1ES3_N6thrust23THRUST_200600_302600_NS6detail15normal_iteratorINS8_10device_ptrIfEEEEPff9plus_mod3IfEEE10hipError_tPvRmT1_T2_T3_mT4_P12ihipStream_tbEUlT_E0_NS1_11comp_targetILNS1_3genE10ELNS1_11target_archE1201ELNS1_3gpuE5ELNS1_3repE0EEENS1_30default_config_static_selectorELNS0_4arch9wavefront6targetE1EEEvSK_.uses_flat_scratch, 0
	.set _ZN7rocprim17ROCPRIM_400000_NS6detail17trampoline_kernelINS0_14default_configENS1_22reduce_config_selectorIfEEZNS1_11reduce_implILb1ES3_N6thrust23THRUST_200600_302600_NS6detail15normal_iteratorINS8_10device_ptrIfEEEEPff9plus_mod3IfEEE10hipError_tPvRmT1_T2_T3_mT4_P12ihipStream_tbEUlT_E0_NS1_11comp_targetILNS1_3genE10ELNS1_11target_archE1201ELNS1_3gpuE5ELNS1_3repE0EEENS1_30default_config_static_selectorELNS0_4arch9wavefront6targetE1EEEvSK_.has_dyn_sized_stack, 0
	.set _ZN7rocprim17ROCPRIM_400000_NS6detail17trampoline_kernelINS0_14default_configENS1_22reduce_config_selectorIfEEZNS1_11reduce_implILb1ES3_N6thrust23THRUST_200600_302600_NS6detail15normal_iteratorINS8_10device_ptrIfEEEEPff9plus_mod3IfEEE10hipError_tPvRmT1_T2_T3_mT4_P12ihipStream_tbEUlT_E0_NS1_11comp_targetILNS1_3genE10ELNS1_11target_archE1201ELNS1_3gpuE5ELNS1_3repE0EEENS1_30default_config_static_selectorELNS0_4arch9wavefront6targetE1EEEvSK_.has_recursion, 0
	.set _ZN7rocprim17ROCPRIM_400000_NS6detail17trampoline_kernelINS0_14default_configENS1_22reduce_config_selectorIfEEZNS1_11reduce_implILb1ES3_N6thrust23THRUST_200600_302600_NS6detail15normal_iteratorINS8_10device_ptrIfEEEEPff9plus_mod3IfEEE10hipError_tPvRmT1_T2_T3_mT4_P12ihipStream_tbEUlT_E0_NS1_11comp_targetILNS1_3genE10ELNS1_11target_archE1201ELNS1_3gpuE5ELNS1_3repE0EEENS1_30default_config_static_selectorELNS0_4arch9wavefront6targetE1EEEvSK_.has_indirect_call, 0
	.section	.AMDGPU.csdata,"",@progbits
; Kernel info:
; codeLenInByte = 0
; TotalNumSgprs: 6
; NumVgprs: 0
; NumAgprs: 0
; TotalNumVgprs: 0
; ScratchSize: 0
; MemoryBound: 0
; FloatMode: 240
; IeeeMode: 1
; LDSByteSize: 0 bytes/workgroup (compile time only)
; SGPRBlocks: 0
; VGPRBlocks: 0
; NumSGPRsForWavesPerEU: 6
; NumVGPRsForWavesPerEU: 1
; AccumOffset: 4
; Occupancy: 8
; WaveLimiterHint : 0
; COMPUTE_PGM_RSRC2:SCRATCH_EN: 0
; COMPUTE_PGM_RSRC2:USER_SGPR: 2
; COMPUTE_PGM_RSRC2:TRAP_HANDLER: 0
; COMPUTE_PGM_RSRC2:TGID_X_EN: 1
; COMPUTE_PGM_RSRC2:TGID_Y_EN: 0
; COMPUTE_PGM_RSRC2:TGID_Z_EN: 0
; COMPUTE_PGM_RSRC2:TIDIG_COMP_CNT: 0
; COMPUTE_PGM_RSRC3_GFX90A:ACCUM_OFFSET: 0
; COMPUTE_PGM_RSRC3_GFX90A:TG_SPLIT: 0
	.section	.text._ZN7rocprim17ROCPRIM_400000_NS6detail17trampoline_kernelINS0_14default_configENS1_22reduce_config_selectorIfEEZNS1_11reduce_implILb1ES3_N6thrust23THRUST_200600_302600_NS6detail15normal_iteratorINS8_10device_ptrIfEEEEPff9plus_mod3IfEEE10hipError_tPvRmT1_T2_T3_mT4_P12ihipStream_tbEUlT_E0_NS1_11comp_targetILNS1_3genE10ELNS1_11target_archE1200ELNS1_3gpuE4ELNS1_3repE0EEENS1_30default_config_static_selectorELNS0_4arch9wavefront6targetE1EEEvSK_,"axG",@progbits,_ZN7rocprim17ROCPRIM_400000_NS6detail17trampoline_kernelINS0_14default_configENS1_22reduce_config_selectorIfEEZNS1_11reduce_implILb1ES3_N6thrust23THRUST_200600_302600_NS6detail15normal_iteratorINS8_10device_ptrIfEEEEPff9plus_mod3IfEEE10hipError_tPvRmT1_T2_T3_mT4_P12ihipStream_tbEUlT_E0_NS1_11comp_targetILNS1_3genE10ELNS1_11target_archE1200ELNS1_3gpuE4ELNS1_3repE0EEENS1_30default_config_static_selectorELNS0_4arch9wavefront6targetE1EEEvSK_,comdat
	.protected	_ZN7rocprim17ROCPRIM_400000_NS6detail17trampoline_kernelINS0_14default_configENS1_22reduce_config_selectorIfEEZNS1_11reduce_implILb1ES3_N6thrust23THRUST_200600_302600_NS6detail15normal_iteratorINS8_10device_ptrIfEEEEPff9plus_mod3IfEEE10hipError_tPvRmT1_T2_T3_mT4_P12ihipStream_tbEUlT_E0_NS1_11comp_targetILNS1_3genE10ELNS1_11target_archE1200ELNS1_3gpuE4ELNS1_3repE0EEENS1_30default_config_static_selectorELNS0_4arch9wavefront6targetE1EEEvSK_ ; -- Begin function _ZN7rocprim17ROCPRIM_400000_NS6detail17trampoline_kernelINS0_14default_configENS1_22reduce_config_selectorIfEEZNS1_11reduce_implILb1ES3_N6thrust23THRUST_200600_302600_NS6detail15normal_iteratorINS8_10device_ptrIfEEEEPff9plus_mod3IfEEE10hipError_tPvRmT1_T2_T3_mT4_P12ihipStream_tbEUlT_E0_NS1_11comp_targetILNS1_3genE10ELNS1_11target_archE1200ELNS1_3gpuE4ELNS1_3repE0EEENS1_30default_config_static_selectorELNS0_4arch9wavefront6targetE1EEEvSK_
	.globl	_ZN7rocprim17ROCPRIM_400000_NS6detail17trampoline_kernelINS0_14default_configENS1_22reduce_config_selectorIfEEZNS1_11reduce_implILb1ES3_N6thrust23THRUST_200600_302600_NS6detail15normal_iteratorINS8_10device_ptrIfEEEEPff9plus_mod3IfEEE10hipError_tPvRmT1_T2_T3_mT4_P12ihipStream_tbEUlT_E0_NS1_11comp_targetILNS1_3genE10ELNS1_11target_archE1200ELNS1_3gpuE4ELNS1_3repE0EEENS1_30default_config_static_selectorELNS0_4arch9wavefront6targetE1EEEvSK_
	.p2align	8
	.type	_ZN7rocprim17ROCPRIM_400000_NS6detail17trampoline_kernelINS0_14default_configENS1_22reduce_config_selectorIfEEZNS1_11reduce_implILb1ES3_N6thrust23THRUST_200600_302600_NS6detail15normal_iteratorINS8_10device_ptrIfEEEEPff9plus_mod3IfEEE10hipError_tPvRmT1_T2_T3_mT4_P12ihipStream_tbEUlT_E0_NS1_11comp_targetILNS1_3genE10ELNS1_11target_archE1200ELNS1_3gpuE4ELNS1_3repE0EEENS1_30default_config_static_selectorELNS0_4arch9wavefront6targetE1EEEvSK_,@function
_ZN7rocprim17ROCPRIM_400000_NS6detail17trampoline_kernelINS0_14default_configENS1_22reduce_config_selectorIfEEZNS1_11reduce_implILb1ES3_N6thrust23THRUST_200600_302600_NS6detail15normal_iteratorINS8_10device_ptrIfEEEEPff9plus_mod3IfEEE10hipError_tPvRmT1_T2_T3_mT4_P12ihipStream_tbEUlT_E0_NS1_11comp_targetILNS1_3genE10ELNS1_11target_archE1200ELNS1_3gpuE4ELNS1_3repE0EEENS1_30default_config_static_selectorELNS0_4arch9wavefront6targetE1EEEvSK_: ; @_ZN7rocprim17ROCPRIM_400000_NS6detail17trampoline_kernelINS0_14default_configENS1_22reduce_config_selectorIfEEZNS1_11reduce_implILb1ES3_N6thrust23THRUST_200600_302600_NS6detail15normal_iteratorINS8_10device_ptrIfEEEEPff9plus_mod3IfEEE10hipError_tPvRmT1_T2_T3_mT4_P12ihipStream_tbEUlT_E0_NS1_11comp_targetILNS1_3genE10ELNS1_11target_archE1200ELNS1_3gpuE4ELNS1_3repE0EEENS1_30default_config_static_selectorELNS0_4arch9wavefront6targetE1EEEvSK_
; %bb.0:
	.section	.rodata,"a",@progbits
	.p2align	6, 0x0
	.amdhsa_kernel _ZN7rocprim17ROCPRIM_400000_NS6detail17trampoline_kernelINS0_14default_configENS1_22reduce_config_selectorIfEEZNS1_11reduce_implILb1ES3_N6thrust23THRUST_200600_302600_NS6detail15normal_iteratorINS8_10device_ptrIfEEEEPff9plus_mod3IfEEE10hipError_tPvRmT1_T2_T3_mT4_P12ihipStream_tbEUlT_E0_NS1_11comp_targetILNS1_3genE10ELNS1_11target_archE1200ELNS1_3gpuE4ELNS1_3repE0EEENS1_30default_config_static_selectorELNS0_4arch9wavefront6targetE1EEEvSK_
		.amdhsa_group_segment_fixed_size 0
		.amdhsa_private_segment_fixed_size 0
		.amdhsa_kernarg_size 64
		.amdhsa_user_sgpr_count 2
		.amdhsa_user_sgpr_dispatch_ptr 0
		.amdhsa_user_sgpr_queue_ptr 0
		.amdhsa_user_sgpr_kernarg_segment_ptr 1
		.amdhsa_user_sgpr_dispatch_id 0
		.amdhsa_user_sgpr_kernarg_preload_length 0
		.amdhsa_user_sgpr_kernarg_preload_offset 0
		.amdhsa_user_sgpr_private_segment_size 0
		.amdhsa_uses_dynamic_stack 0
		.amdhsa_enable_private_segment 0
		.amdhsa_system_sgpr_workgroup_id_x 1
		.amdhsa_system_sgpr_workgroup_id_y 0
		.amdhsa_system_sgpr_workgroup_id_z 0
		.amdhsa_system_sgpr_workgroup_info 0
		.amdhsa_system_vgpr_workitem_id 0
		.amdhsa_next_free_vgpr 1
		.amdhsa_next_free_sgpr 0
		.amdhsa_accum_offset 4
		.amdhsa_reserve_vcc 0
		.amdhsa_float_round_mode_32 0
		.amdhsa_float_round_mode_16_64 0
		.amdhsa_float_denorm_mode_32 3
		.amdhsa_float_denorm_mode_16_64 3
		.amdhsa_dx10_clamp 1
		.amdhsa_ieee_mode 1
		.amdhsa_fp16_overflow 0
		.amdhsa_tg_split 0
		.amdhsa_exception_fp_ieee_invalid_op 0
		.amdhsa_exception_fp_denorm_src 0
		.amdhsa_exception_fp_ieee_div_zero 0
		.amdhsa_exception_fp_ieee_overflow 0
		.amdhsa_exception_fp_ieee_underflow 0
		.amdhsa_exception_fp_ieee_inexact 0
		.amdhsa_exception_int_div_zero 0
	.end_amdhsa_kernel
	.section	.text._ZN7rocprim17ROCPRIM_400000_NS6detail17trampoline_kernelINS0_14default_configENS1_22reduce_config_selectorIfEEZNS1_11reduce_implILb1ES3_N6thrust23THRUST_200600_302600_NS6detail15normal_iteratorINS8_10device_ptrIfEEEEPff9plus_mod3IfEEE10hipError_tPvRmT1_T2_T3_mT4_P12ihipStream_tbEUlT_E0_NS1_11comp_targetILNS1_3genE10ELNS1_11target_archE1200ELNS1_3gpuE4ELNS1_3repE0EEENS1_30default_config_static_selectorELNS0_4arch9wavefront6targetE1EEEvSK_,"axG",@progbits,_ZN7rocprim17ROCPRIM_400000_NS6detail17trampoline_kernelINS0_14default_configENS1_22reduce_config_selectorIfEEZNS1_11reduce_implILb1ES3_N6thrust23THRUST_200600_302600_NS6detail15normal_iteratorINS8_10device_ptrIfEEEEPff9plus_mod3IfEEE10hipError_tPvRmT1_T2_T3_mT4_P12ihipStream_tbEUlT_E0_NS1_11comp_targetILNS1_3genE10ELNS1_11target_archE1200ELNS1_3gpuE4ELNS1_3repE0EEENS1_30default_config_static_selectorELNS0_4arch9wavefront6targetE1EEEvSK_,comdat
.Lfunc_end755:
	.size	_ZN7rocprim17ROCPRIM_400000_NS6detail17trampoline_kernelINS0_14default_configENS1_22reduce_config_selectorIfEEZNS1_11reduce_implILb1ES3_N6thrust23THRUST_200600_302600_NS6detail15normal_iteratorINS8_10device_ptrIfEEEEPff9plus_mod3IfEEE10hipError_tPvRmT1_T2_T3_mT4_P12ihipStream_tbEUlT_E0_NS1_11comp_targetILNS1_3genE10ELNS1_11target_archE1200ELNS1_3gpuE4ELNS1_3repE0EEENS1_30default_config_static_selectorELNS0_4arch9wavefront6targetE1EEEvSK_, .Lfunc_end755-_ZN7rocprim17ROCPRIM_400000_NS6detail17trampoline_kernelINS0_14default_configENS1_22reduce_config_selectorIfEEZNS1_11reduce_implILb1ES3_N6thrust23THRUST_200600_302600_NS6detail15normal_iteratorINS8_10device_ptrIfEEEEPff9plus_mod3IfEEE10hipError_tPvRmT1_T2_T3_mT4_P12ihipStream_tbEUlT_E0_NS1_11comp_targetILNS1_3genE10ELNS1_11target_archE1200ELNS1_3gpuE4ELNS1_3repE0EEENS1_30default_config_static_selectorELNS0_4arch9wavefront6targetE1EEEvSK_
                                        ; -- End function
	.set _ZN7rocprim17ROCPRIM_400000_NS6detail17trampoline_kernelINS0_14default_configENS1_22reduce_config_selectorIfEEZNS1_11reduce_implILb1ES3_N6thrust23THRUST_200600_302600_NS6detail15normal_iteratorINS8_10device_ptrIfEEEEPff9plus_mod3IfEEE10hipError_tPvRmT1_T2_T3_mT4_P12ihipStream_tbEUlT_E0_NS1_11comp_targetILNS1_3genE10ELNS1_11target_archE1200ELNS1_3gpuE4ELNS1_3repE0EEENS1_30default_config_static_selectorELNS0_4arch9wavefront6targetE1EEEvSK_.num_vgpr, 0
	.set _ZN7rocprim17ROCPRIM_400000_NS6detail17trampoline_kernelINS0_14default_configENS1_22reduce_config_selectorIfEEZNS1_11reduce_implILb1ES3_N6thrust23THRUST_200600_302600_NS6detail15normal_iteratorINS8_10device_ptrIfEEEEPff9plus_mod3IfEEE10hipError_tPvRmT1_T2_T3_mT4_P12ihipStream_tbEUlT_E0_NS1_11comp_targetILNS1_3genE10ELNS1_11target_archE1200ELNS1_3gpuE4ELNS1_3repE0EEENS1_30default_config_static_selectorELNS0_4arch9wavefront6targetE1EEEvSK_.num_agpr, 0
	.set _ZN7rocprim17ROCPRIM_400000_NS6detail17trampoline_kernelINS0_14default_configENS1_22reduce_config_selectorIfEEZNS1_11reduce_implILb1ES3_N6thrust23THRUST_200600_302600_NS6detail15normal_iteratorINS8_10device_ptrIfEEEEPff9plus_mod3IfEEE10hipError_tPvRmT1_T2_T3_mT4_P12ihipStream_tbEUlT_E0_NS1_11comp_targetILNS1_3genE10ELNS1_11target_archE1200ELNS1_3gpuE4ELNS1_3repE0EEENS1_30default_config_static_selectorELNS0_4arch9wavefront6targetE1EEEvSK_.numbered_sgpr, 0
	.set _ZN7rocprim17ROCPRIM_400000_NS6detail17trampoline_kernelINS0_14default_configENS1_22reduce_config_selectorIfEEZNS1_11reduce_implILb1ES3_N6thrust23THRUST_200600_302600_NS6detail15normal_iteratorINS8_10device_ptrIfEEEEPff9plus_mod3IfEEE10hipError_tPvRmT1_T2_T3_mT4_P12ihipStream_tbEUlT_E0_NS1_11comp_targetILNS1_3genE10ELNS1_11target_archE1200ELNS1_3gpuE4ELNS1_3repE0EEENS1_30default_config_static_selectorELNS0_4arch9wavefront6targetE1EEEvSK_.num_named_barrier, 0
	.set _ZN7rocprim17ROCPRIM_400000_NS6detail17trampoline_kernelINS0_14default_configENS1_22reduce_config_selectorIfEEZNS1_11reduce_implILb1ES3_N6thrust23THRUST_200600_302600_NS6detail15normal_iteratorINS8_10device_ptrIfEEEEPff9plus_mod3IfEEE10hipError_tPvRmT1_T2_T3_mT4_P12ihipStream_tbEUlT_E0_NS1_11comp_targetILNS1_3genE10ELNS1_11target_archE1200ELNS1_3gpuE4ELNS1_3repE0EEENS1_30default_config_static_selectorELNS0_4arch9wavefront6targetE1EEEvSK_.private_seg_size, 0
	.set _ZN7rocprim17ROCPRIM_400000_NS6detail17trampoline_kernelINS0_14default_configENS1_22reduce_config_selectorIfEEZNS1_11reduce_implILb1ES3_N6thrust23THRUST_200600_302600_NS6detail15normal_iteratorINS8_10device_ptrIfEEEEPff9plus_mod3IfEEE10hipError_tPvRmT1_T2_T3_mT4_P12ihipStream_tbEUlT_E0_NS1_11comp_targetILNS1_3genE10ELNS1_11target_archE1200ELNS1_3gpuE4ELNS1_3repE0EEENS1_30default_config_static_selectorELNS0_4arch9wavefront6targetE1EEEvSK_.uses_vcc, 0
	.set _ZN7rocprim17ROCPRIM_400000_NS6detail17trampoline_kernelINS0_14default_configENS1_22reduce_config_selectorIfEEZNS1_11reduce_implILb1ES3_N6thrust23THRUST_200600_302600_NS6detail15normal_iteratorINS8_10device_ptrIfEEEEPff9plus_mod3IfEEE10hipError_tPvRmT1_T2_T3_mT4_P12ihipStream_tbEUlT_E0_NS1_11comp_targetILNS1_3genE10ELNS1_11target_archE1200ELNS1_3gpuE4ELNS1_3repE0EEENS1_30default_config_static_selectorELNS0_4arch9wavefront6targetE1EEEvSK_.uses_flat_scratch, 0
	.set _ZN7rocprim17ROCPRIM_400000_NS6detail17trampoline_kernelINS0_14default_configENS1_22reduce_config_selectorIfEEZNS1_11reduce_implILb1ES3_N6thrust23THRUST_200600_302600_NS6detail15normal_iteratorINS8_10device_ptrIfEEEEPff9plus_mod3IfEEE10hipError_tPvRmT1_T2_T3_mT4_P12ihipStream_tbEUlT_E0_NS1_11comp_targetILNS1_3genE10ELNS1_11target_archE1200ELNS1_3gpuE4ELNS1_3repE0EEENS1_30default_config_static_selectorELNS0_4arch9wavefront6targetE1EEEvSK_.has_dyn_sized_stack, 0
	.set _ZN7rocprim17ROCPRIM_400000_NS6detail17trampoline_kernelINS0_14default_configENS1_22reduce_config_selectorIfEEZNS1_11reduce_implILb1ES3_N6thrust23THRUST_200600_302600_NS6detail15normal_iteratorINS8_10device_ptrIfEEEEPff9plus_mod3IfEEE10hipError_tPvRmT1_T2_T3_mT4_P12ihipStream_tbEUlT_E0_NS1_11comp_targetILNS1_3genE10ELNS1_11target_archE1200ELNS1_3gpuE4ELNS1_3repE0EEENS1_30default_config_static_selectorELNS0_4arch9wavefront6targetE1EEEvSK_.has_recursion, 0
	.set _ZN7rocprim17ROCPRIM_400000_NS6detail17trampoline_kernelINS0_14default_configENS1_22reduce_config_selectorIfEEZNS1_11reduce_implILb1ES3_N6thrust23THRUST_200600_302600_NS6detail15normal_iteratorINS8_10device_ptrIfEEEEPff9plus_mod3IfEEE10hipError_tPvRmT1_T2_T3_mT4_P12ihipStream_tbEUlT_E0_NS1_11comp_targetILNS1_3genE10ELNS1_11target_archE1200ELNS1_3gpuE4ELNS1_3repE0EEENS1_30default_config_static_selectorELNS0_4arch9wavefront6targetE1EEEvSK_.has_indirect_call, 0
	.section	.AMDGPU.csdata,"",@progbits
; Kernel info:
; codeLenInByte = 0
; TotalNumSgprs: 6
; NumVgprs: 0
; NumAgprs: 0
; TotalNumVgprs: 0
; ScratchSize: 0
; MemoryBound: 0
; FloatMode: 240
; IeeeMode: 1
; LDSByteSize: 0 bytes/workgroup (compile time only)
; SGPRBlocks: 0
; VGPRBlocks: 0
; NumSGPRsForWavesPerEU: 6
; NumVGPRsForWavesPerEU: 1
; AccumOffset: 4
; Occupancy: 8
; WaveLimiterHint : 0
; COMPUTE_PGM_RSRC2:SCRATCH_EN: 0
; COMPUTE_PGM_RSRC2:USER_SGPR: 2
; COMPUTE_PGM_RSRC2:TRAP_HANDLER: 0
; COMPUTE_PGM_RSRC2:TGID_X_EN: 1
; COMPUTE_PGM_RSRC2:TGID_Y_EN: 0
; COMPUTE_PGM_RSRC2:TGID_Z_EN: 0
; COMPUTE_PGM_RSRC2:TIDIG_COMP_CNT: 0
; COMPUTE_PGM_RSRC3_GFX90A:ACCUM_OFFSET: 0
; COMPUTE_PGM_RSRC3_GFX90A:TG_SPLIT: 0
	.section	.text._ZN7rocprim17ROCPRIM_400000_NS6detail17trampoline_kernelINS0_14default_configENS1_22reduce_config_selectorIfEEZNS1_11reduce_implILb1ES3_N6thrust23THRUST_200600_302600_NS6detail15normal_iteratorINS8_10device_ptrIfEEEEPff9plus_mod3IfEEE10hipError_tPvRmT1_T2_T3_mT4_P12ihipStream_tbEUlT_E0_NS1_11comp_targetILNS1_3genE9ELNS1_11target_archE1100ELNS1_3gpuE3ELNS1_3repE0EEENS1_30default_config_static_selectorELNS0_4arch9wavefront6targetE1EEEvSK_,"axG",@progbits,_ZN7rocprim17ROCPRIM_400000_NS6detail17trampoline_kernelINS0_14default_configENS1_22reduce_config_selectorIfEEZNS1_11reduce_implILb1ES3_N6thrust23THRUST_200600_302600_NS6detail15normal_iteratorINS8_10device_ptrIfEEEEPff9plus_mod3IfEEE10hipError_tPvRmT1_T2_T3_mT4_P12ihipStream_tbEUlT_E0_NS1_11comp_targetILNS1_3genE9ELNS1_11target_archE1100ELNS1_3gpuE3ELNS1_3repE0EEENS1_30default_config_static_selectorELNS0_4arch9wavefront6targetE1EEEvSK_,comdat
	.protected	_ZN7rocprim17ROCPRIM_400000_NS6detail17trampoline_kernelINS0_14default_configENS1_22reduce_config_selectorIfEEZNS1_11reduce_implILb1ES3_N6thrust23THRUST_200600_302600_NS6detail15normal_iteratorINS8_10device_ptrIfEEEEPff9plus_mod3IfEEE10hipError_tPvRmT1_T2_T3_mT4_P12ihipStream_tbEUlT_E0_NS1_11comp_targetILNS1_3genE9ELNS1_11target_archE1100ELNS1_3gpuE3ELNS1_3repE0EEENS1_30default_config_static_selectorELNS0_4arch9wavefront6targetE1EEEvSK_ ; -- Begin function _ZN7rocprim17ROCPRIM_400000_NS6detail17trampoline_kernelINS0_14default_configENS1_22reduce_config_selectorIfEEZNS1_11reduce_implILb1ES3_N6thrust23THRUST_200600_302600_NS6detail15normal_iteratorINS8_10device_ptrIfEEEEPff9plus_mod3IfEEE10hipError_tPvRmT1_T2_T3_mT4_P12ihipStream_tbEUlT_E0_NS1_11comp_targetILNS1_3genE9ELNS1_11target_archE1100ELNS1_3gpuE3ELNS1_3repE0EEENS1_30default_config_static_selectorELNS0_4arch9wavefront6targetE1EEEvSK_
	.globl	_ZN7rocprim17ROCPRIM_400000_NS6detail17trampoline_kernelINS0_14default_configENS1_22reduce_config_selectorIfEEZNS1_11reduce_implILb1ES3_N6thrust23THRUST_200600_302600_NS6detail15normal_iteratorINS8_10device_ptrIfEEEEPff9plus_mod3IfEEE10hipError_tPvRmT1_T2_T3_mT4_P12ihipStream_tbEUlT_E0_NS1_11comp_targetILNS1_3genE9ELNS1_11target_archE1100ELNS1_3gpuE3ELNS1_3repE0EEENS1_30default_config_static_selectorELNS0_4arch9wavefront6targetE1EEEvSK_
	.p2align	8
	.type	_ZN7rocprim17ROCPRIM_400000_NS6detail17trampoline_kernelINS0_14default_configENS1_22reduce_config_selectorIfEEZNS1_11reduce_implILb1ES3_N6thrust23THRUST_200600_302600_NS6detail15normal_iteratorINS8_10device_ptrIfEEEEPff9plus_mod3IfEEE10hipError_tPvRmT1_T2_T3_mT4_P12ihipStream_tbEUlT_E0_NS1_11comp_targetILNS1_3genE9ELNS1_11target_archE1100ELNS1_3gpuE3ELNS1_3repE0EEENS1_30default_config_static_selectorELNS0_4arch9wavefront6targetE1EEEvSK_,@function
_ZN7rocprim17ROCPRIM_400000_NS6detail17trampoline_kernelINS0_14default_configENS1_22reduce_config_selectorIfEEZNS1_11reduce_implILb1ES3_N6thrust23THRUST_200600_302600_NS6detail15normal_iteratorINS8_10device_ptrIfEEEEPff9plus_mod3IfEEE10hipError_tPvRmT1_T2_T3_mT4_P12ihipStream_tbEUlT_E0_NS1_11comp_targetILNS1_3genE9ELNS1_11target_archE1100ELNS1_3gpuE3ELNS1_3repE0EEENS1_30default_config_static_selectorELNS0_4arch9wavefront6targetE1EEEvSK_: ; @_ZN7rocprim17ROCPRIM_400000_NS6detail17trampoline_kernelINS0_14default_configENS1_22reduce_config_selectorIfEEZNS1_11reduce_implILb1ES3_N6thrust23THRUST_200600_302600_NS6detail15normal_iteratorINS8_10device_ptrIfEEEEPff9plus_mod3IfEEE10hipError_tPvRmT1_T2_T3_mT4_P12ihipStream_tbEUlT_E0_NS1_11comp_targetILNS1_3genE9ELNS1_11target_archE1100ELNS1_3gpuE3ELNS1_3repE0EEENS1_30default_config_static_selectorELNS0_4arch9wavefront6targetE1EEEvSK_
; %bb.0:
	.section	.rodata,"a",@progbits
	.p2align	6, 0x0
	.amdhsa_kernel _ZN7rocprim17ROCPRIM_400000_NS6detail17trampoline_kernelINS0_14default_configENS1_22reduce_config_selectorIfEEZNS1_11reduce_implILb1ES3_N6thrust23THRUST_200600_302600_NS6detail15normal_iteratorINS8_10device_ptrIfEEEEPff9plus_mod3IfEEE10hipError_tPvRmT1_T2_T3_mT4_P12ihipStream_tbEUlT_E0_NS1_11comp_targetILNS1_3genE9ELNS1_11target_archE1100ELNS1_3gpuE3ELNS1_3repE0EEENS1_30default_config_static_selectorELNS0_4arch9wavefront6targetE1EEEvSK_
		.amdhsa_group_segment_fixed_size 0
		.amdhsa_private_segment_fixed_size 0
		.amdhsa_kernarg_size 64
		.amdhsa_user_sgpr_count 2
		.amdhsa_user_sgpr_dispatch_ptr 0
		.amdhsa_user_sgpr_queue_ptr 0
		.amdhsa_user_sgpr_kernarg_segment_ptr 1
		.amdhsa_user_sgpr_dispatch_id 0
		.amdhsa_user_sgpr_kernarg_preload_length 0
		.amdhsa_user_sgpr_kernarg_preload_offset 0
		.amdhsa_user_sgpr_private_segment_size 0
		.amdhsa_uses_dynamic_stack 0
		.amdhsa_enable_private_segment 0
		.amdhsa_system_sgpr_workgroup_id_x 1
		.amdhsa_system_sgpr_workgroup_id_y 0
		.amdhsa_system_sgpr_workgroup_id_z 0
		.amdhsa_system_sgpr_workgroup_info 0
		.amdhsa_system_vgpr_workitem_id 0
		.amdhsa_next_free_vgpr 1
		.amdhsa_next_free_sgpr 0
		.amdhsa_accum_offset 4
		.amdhsa_reserve_vcc 0
		.amdhsa_float_round_mode_32 0
		.amdhsa_float_round_mode_16_64 0
		.amdhsa_float_denorm_mode_32 3
		.amdhsa_float_denorm_mode_16_64 3
		.amdhsa_dx10_clamp 1
		.amdhsa_ieee_mode 1
		.amdhsa_fp16_overflow 0
		.amdhsa_tg_split 0
		.amdhsa_exception_fp_ieee_invalid_op 0
		.amdhsa_exception_fp_denorm_src 0
		.amdhsa_exception_fp_ieee_div_zero 0
		.amdhsa_exception_fp_ieee_overflow 0
		.amdhsa_exception_fp_ieee_underflow 0
		.amdhsa_exception_fp_ieee_inexact 0
		.amdhsa_exception_int_div_zero 0
	.end_amdhsa_kernel
	.section	.text._ZN7rocprim17ROCPRIM_400000_NS6detail17trampoline_kernelINS0_14default_configENS1_22reduce_config_selectorIfEEZNS1_11reduce_implILb1ES3_N6thrust23THRUST_200600_302600_NS6detail15normal_iteratorINS8_10device_ptrIfEEEEPff9plus_mod3IfEEE10hipError_tPvRmT1_T2_T3_mT4_P12ihipStream_tbEUlT_E0_NS1_11comp_targetILNS1_3genE9ELNS1_11target_archE1100ELNS1_3gpuE3ELNS1_3repE0EEENS1_30default_config_static_selectorELNS0_4arch9wavefront6targetE1EEEvSK_,"axG",@progbits,_ZN7rocprim17ROCPRIM_400000_NS6detail17trampoline_kernelINS0_14default_configENS1_22reduce_config_selectorIfEEZNS1_11reduce_implILb1ES3_N6thrust23THRUST_200600_302600_NS6detail15normal_iteratorINS8_10device_ptrIfEEEEPff9plus_mod3IfEEE10hipError_tPvRmT1_T2_T3_mT4_P12ihipStream_tbEUlT_E0_NS1_11comp_targetILNS1_3genE9ELNS1_11target_archE1100ELNS1_3gpuE3ELNS1_3repE0EEENS1_30default_config_static_selectorELNS0_4arch9wavefront6targetE1EEEvSK_,comdat
.Lfunc_end756:
	.size	_ZN7rocprim17ROCPRIM_400000_NS6detail17trampoline_kernelINS0_14default_configENS1_22reduce_config_selectorIfEEZNS1_11reduce_implILb1ES3_N6thrust23THRUST_200600_302600_NS6detail15normal_iteratorINS8_10device_ptrIfEEEEPff9plus_mod3IfEEE10hipError_tPvRmT1_T2_T3_mT4_P12ihipStream_tbEUlT_E0_NS1_11comp_targetILNS1_3genE9ELNS1_11target_archE1100ELNS1_3gpuE3ELNS1_3repE0EEENS1_30default_config_static_selectorELNS0_4arch9wavefront6targetE1EEEvSK_, .Lfunc_end756-_ZN7rocprim17ROCPRIM_400000_NS6detail17trampoline_kernelINS0_14default_configENS1_22reduce_config_selectorIfEEZNS1_11reduce_implILb1ES3_N6thrust23THRUST_200600_302600_NS6detail15normal_iteratorINS8_10device_ptrIfEEEEPff9plus_mod3IfEEE10hipError_tPvRmT1_T2_T3_mT4_P12ihipStream_tbEUlT_E0_NS1_11comp_targetILNS1_3genE9ELNS1_11target_archE1100ELNS1_3gpuE3ELNS1_3repE0EEENS1_30default_config_static_selectorELNS0_4arch9wavefront6targetE1EEEvSK_
                                        ; -- End function
	.set _ZN7rocprim17ROCPRIM_400000_NS6detail17trampoline_kernelINS0_14default_configENS1_22reduce_config_selectorIfEEZNS1_11reduce_implILb1ES3_N6thrust23THRUST_200600_302600_NS6detail15normal_iteratorINS8_10device_ptrIfEEEEPff9plus_mod3IfEEE10hipError_tPvRmT1_T2_T3_mT4_P12ihipStream_tbEUlT_E0_NS1_11comp_targetILNS1_3genE9ELNS1_11target_archE1100ELNS1_3gpuE3ELNS1_3repE0EEENS1_30default_config_static_selectorELNS0_4arch9wavefront6targetE1EEEvSK_.num_vgpr, 0
	.set _ZN7rocprim17ROCPRIM_400000_NS6detail17trampoline_kernelINS0_14default_configENS1_22reduce_config_selectorIfEEZNS1_11reduce_implILb1ES3_N6thrust23THRUST_200600_302600_NS6detail15normal_iteratorINS8_10device_ptrIfEEEEPff9plus_mod3IfEEE10hipError_tPvRmT1_T2_T3_mT4_P12ihipStream_tbEUlT_E0_NS1_11comp_targetILNS1_3genE9ELNS1_11target_archE1100ELNS1_3gpuE3ELNS1_3repE0EEENS1_30default_config_static_selectorELNS0_4arch9wavefront6targetE1EEEvSK_.num_agpr, 0
	.set _ZN7rocprim17ROCPRIM_400000_NS6detail17trampoline_kernelINS0_14default_configENS1_22reduce_config_selectorIfEEZNS1_11reduce_implILb1ES3_N6thrust23THRUST_200600_302600_NS6detail15normal_iteratorINS8_10device_ptrIfEEEEPff9plus_mod3IfEEE10hipError_tPvRmT1_T2_T3_mT4_P12ihipStream_tbEUlT_E0_NS1_11comp_targetILNS1_3genE9ELNS1_11target_archE1100ELNS1_3gpuE3ELNS1_3repE0EEENS1_30default_config_static_selectorELNS0_4arch9wavefront6targetE1EEEvSK_.numbered_sgpr, 0
	.set _ZN7rocprim17ROCPRIM_400000_NS6detail17trampoline_kernelINS0_14default_configENS1_22reduce_config_selectorIfEEZNS1_11reduce_implILb1ES3_N6thrust23THRUST_200600_302600_NS6detail15normal_iteratorINS8_10device_ptrIfEEEEPff9plus_mod3IfEEE10hipError_tPvRmT1_T2_T3_mT4_P12ihipStream_tbEUlT_E0_NS1_11comp_targetILNS1_3genE9ELNS1_11target_archE1100ELNS1_3gpuE3ELNS1_3repE0EEENS1_30default_config_static_selectorELNS0_4arch9wavefront6targetE1EEEvSK_.num_named_barrier, 0
	.set _ZN7rocprim17ROCPRIM_400000_NS6detail17trampoline_kernelINS0_14default_configENS1_22reduce_config_selectorIfEEZNS1_11reduce_implILb1ES3_N6thrust23THRUST_200600_302600_NS6detail15normal_iteratorINS8_10device_ptrIfEEEEPff9plus_mod3IfEEE10hipError_tPvRmT1_T2_T3_mT4_P12ihipStream_tbEUlT_E0_NS1_11comp_targetILNS1_3genE9ELNS1_11target_archE1100ELNS1_3gpuE3ELNS1_3repE0EEENS1_30default_config_static_selectorELNS0_4arch9wavefront6targetE1EEEvSK_.private_seg_size, 0
	.set _ZN7rocprim17ROCPRIM_400000_NS6detail17trampoline_kernelINS0_14default_configENS1_22reduce_config_selectorIfEEZNS1_11reduce_implILb1ES3_N6thrust23THRUST_200600_302600_NS6detail15normal_iteratorINS8_10device_ptrIfEEEEPff9plus_mod3IfEEE10hipError_tPvRmT1_T2_T3_mT4_P12ihipStream_tbEUlT_E0_NS1_11comp_targetILNS1_3genE9ELNS1_11target_archE1100ELNS1_3gpuE3ELNS1_3repE0EEENS1_30default_config_static_selectorELNS0_4arch9wavefront6targetE1EEEvSK_.uses_vcc, 0
	.set _ZN7rocprim17ROCPRIM_400000_NS6detail17trampoline_kernelINS0_14default_configENS1_22reduce_config_selectorIfEEZNS1_11reduce_implILb1ES3_N6thrust23THRUST_200600_302600_NS6detail15normal_iteratorINS8_10device_ptrIfEEEEPff9plus_mod3IfEEE10hipError_tPvRmT1_T2_T3_mT4_P12ihipStream_tbEUlT_E0_NS1_11comp_targetILNS1_3genE9ELNS1_11target_archE1100ELNS1_3gpuE3ELNS1_3repE0EEENS1_30default_config_static_selectorELNS0_4arch9wavefront6targetE1EEEvSK_.uses_flat_scratch, 0
	.set _ZN7rocprim17ROCPRIM_400000_NS6detail17trampoline_kernelINS0_14default_configENS1_22reduce_config_selectorIfEEZNS1_11reduce_implILb1ES3_N6thrust23THRUST_200600_302600_NS6detail15normal_iteratorINS8_10device_ptrIfEEEEPff9plus_mod3IfEEE10hipError_tPvRmT1_T2_T3_mT4_P12ihipStream_tbEUlT_E0_NS1_11comp_targetILNS1_3genE9ELNS1_11target_archE1100ELNS1_3gpuE3ELNS1_3repE0EEENS1_30default_config_static_selectorELNS0_4arch9wavefront6targetE1EEEvSK_.has_dyn_sized_stack, 0
	.set _ZN7rocprim17ROCPRIM_400000_NS6detail17trampoline_kernelINS0_14default_configENS1_22reduce_config_selectorIfEEZNS1_11reduce_implILb1ES3_N6thrust23THRUST_200600_302600_NS6detail15normal_iteratorINS8_10device_ptrIfEEEEPff9plus_mod3IfEEE10hipError_tPvRmT1_T2_T3_mT4_P12ihipStream_tbEUlT_E0_NS1_11comp_targetILNS1_3genE9ELNS1_11target_archE1100ELNS1_3gpuE3ELNS1_3repE0EEENS1_30default_config_static_selectorELNS0_4arch9wavefront6targetE1EEEvSK_.has_recursion, 0
	.set _ZN7rocprim17ROCPRIM_400000_NS6detail17trampoline_kernelINS0_14default_configENS1_22reduce_config_selectorIfEEZNS1_11reduce_implILb1ES3_N6thrust23THRUST_200600_302600_NS6detail15normal_iteratorINS8_10device_ptrIfEEEEPff9plus_mod3IfEEE10hipError_tPvRmT1_T2_T3_mT4_P12ihipStream_tbEUlT_E0_NS1_11comp_targetILNS1_3genE9ELNS1_11target_archE1100ELNS1_3gpuE3ELNS1_3repE0EEENS1_30default_config_static_selectorELNS0_4arch9wavefront6targetE1EEEvSK_.has_indirect_call, 0
	.section	.AMDGPU.csdata,"",@progbits
; Kernel info:
; codeLenInByte = 0
; TotalNumSgprs: 6
; NumVgprs: 0
; NumAgprs: 0
; TotalNumVgprs: 0
; ScratchSize: 0
; MemoryBound: 0
; FloatMode: 240
; IeeeMode: 1
; LDSByteSize: 0 bytes/workgroup (compile time only)
; SGPRBlocks: 0
; VGPRBlocks: 0
; NumSGPRsForWavesPerEU: 6
; NumVGPRsForWavesPerEU: 1
; AccumOffset: 4
; Occupancy: 8
; WaveLimiterHint : 0
; COMPUTE_PGM_RSRC2:SCRATCH_EN: 0
; COMPUTE_PGM_RSRC2:USER_SGPR: 2
; COMPUTE_PGM_RSRC2:TRAP_HANDLER: 0
; COMPUTE_PGM_RSRC2:TGID_X_EN: 1
; COMPUTE_PGM_RSRC2:TGID_Y_EN: 0
; COMPUTE_PGM_RSRC2:TGID_Z_EN: 0
; COMPUTE_PGM_RSRC2:TIDIG_COMP_CNT: 0
; COMPUTE_PGM_RSRC3_GFX90A:ACCUM_OFFSET: 0
; COMPUTE_PGM_RSRC3_GFX90A:TG_SPLIT: 0
	.section	.text._ZN7rocprim17ROCPRIM_400000_NS6detail17trampoline_kernelINS0_14default_configENS1_22reduce_config_selectorIfEEZNS1_11reduce_implILb1ES3_N6thrust23THRUST_200600_302600_NS6detail15normal_iteratorINS8_10device_ptrIfEEEEPff9plus_mod3IfEEE10hipError_tPvRmT1_T2_T3_mT4_P12ihipStream_tbEUlT_E0_NS1_11comp_targetILNS1_3genE8ELNS1_11target_archE1030ELNS1_3gpuE2ELNS1_3repE0EEENS1_30default_config_static_selectorELNS0_4arch9wavefront6targetE1EEEvSK_,"axG",@progbits,_ZN7rocprim17ROCPRIM_400000_NS6detail17trampoline_kernelINS0_14default_configENS1_22reduce_config_selectorIfEEZNS1_11reduce_implILb1ES3_N6thrust23THRUST_200600_302600_NS6detail15normal_iteratorINS8_10device_ptrIfEEEEPff9plus_mod3IfEEE10hipError_tPvRmT1_T2_T3_mT4_P12ihipStream_tbEUlT_E0_NS1_11comp_targetILNS1_3genE8ELNS1_11target_archE1030ELNS1_3gpuE2ELNS1_3repE0EEENS1_30default_config_static_selectorELNS0_4arch9wavefront6targetE1EEEvSK_,comdat
	.protected	_ZN7rocprim17ROCPRIM_400000_NS6detail17trampoline_kernelINS0_14default_configENS1_22reduce_config_selectorIfEEZNS1_11reduce_implILb1ES3_N6thrust23THRUST_200600_302600_NS6detail15normal_iteratorINS8_10device_ptrIfEEEEPff9plus_mod3IfEEE10hipError_tPvRmT1_T2_T3_mT4_P12ihipStream_tbEUlT_E0_NS1_11comp_targetILNS1_3genE8ELNS1_11target_archE1030ELNS1_3gpuE2ELNS1_3repE0EEENS1_30default_config_static_selectorELNS0_4arch9wavefront6targetE1EEEvSK_ ; -- Begin function _ZN7rocprim17ROCPRIM_400000_NS6detail17trampoline_kernelINS0_14default_configENS1_22reduce_config_selectorIfEEZNS1_11reduce_implILb1ES3_N6thrust23THRUST_200600_302600_NS6detail15normal_iteratorINS8_10device_ptrIfEEEEPff9plus_mod3IfEEE10hipError_tPvRmT1_T2_T3_mT4_P12ihipStream_tbEUlT_E0_NS1_11comp_targetILNS1_3genE8ELNS1_11target_archE1030ELNS1_3gpuE2ELNS1_3repE0EEENS1_30default_config_static_selectorELNS0_4arch9wavefront6targetE1EEEvSK_
	.globl	_ZN7rocprim17ROCPRIM_400000_NS6detail17trampoline_kernelINS0_14default_configENS1_22reduce_config_selectorIfEEZNS1_11reduce_implILb1ES3_N6thrust23THRUST_200600_302600_NS6detail15normal_iteratorINS8_10device_ptrIfEEEEPff9plus_mod3IfEEE10hipError_tPvRmT1_T2_T3_mT4_P12ihipStream_tbEUlT_E0_NS1_11comp_targetILNS1_3genE8ELNS1_11target_archE1030ELNS1_3gpuE2ELNS1_3repE0EEENS1_30default_config_static_selectorELNS0_4arch9wavefront6targetE1EEEvSK_
	.p2align	8
	.type	_ZN7rocprim17ROCPRIM_400000_NS6detail17trampoline_kernelINS0_14default_configENS1_22reduce_config_selectorIfEEZNS1_11reduce_implILb1ES3_N6thrust23THRUST_200600_302600_NS6detail15normal_iteratorINS8_10device_ptrIfEEEEPff9plus_mod3IfEEE10hipError_tPvRmT1_T2_T3_mT4_P12ihipStream_tbEUlT_E0_NS1_11comp_targetILNS1_3genE8ELNS1_11target_archE1030ELNS1_3gpuE2ELNS1_3repE0EEENS1_30default_config_static_selectorELNS0_4arch9wavefront6targetE1EEEvSK_,@function
_ZN7rocprim17ROCPRIM_400000_NS6detail17trampoline_kernelINS0_14default_configENS1_22reduce_config_selectorIfEEZNS1_11reduce_implILb1ES3_N6thrust23THRUST_200600_302600_NS6detail15normal_iteratorINS8_10device_ptrIfEEEEPff9plus_mod3IfEEE10hipError_tPvRmT1_T2_T3_mT4_P12ihipStream_tbEUlT_E0_NS1_11comp_targetILNS1_3genE8ELNS1_11target_archE1030ELNS1_3gpuE2ELNS1_3repE0EEENS1_30default_config_static_selectorELNS0_4arch9wavefront6targetE1EEEvSK_: ; @_ZN7rocprim17ROCPRIM_400000_NS6detail17trampoline_kernelINS0_14default_configENS1_22reduce_config_selectorIfEEZNS1_11reduce_implILb1ES3_N6thrust23THRUST_200600_302600_NS6detail15normal_iteratorINS8_10device_ptrIfEEEEPff9plus_mod3IfEEE10hipError_tPvRmT1_T2_T3_mT4_P12ihipStream_tbEUlT_E0_NS1_11comp_targetILNS1_3genE8ELNS1_11target_archE1030ELNS1_3gpuE2ELNS1_3repE0EEENS1_30default_config_static_selectorELNS0_4arch9wavefront6targetE1EEEvSK_
; %bb.0:
	.section	.rodata,"a",@progbits
	.p2align	6, 0x0
	.amdhsa_kernel _ZN7rocprim17ROCPRIM_400000_NS6detail17trampoline_kernelINS0_14default_configENS1_22reduce_config_selectorIfEEZNS1_11reduce_implILb1ES3_N6thrust23THRUST_200600_302600_NS6detail15normal_iteratorINS8_10device_ptrIfEEEEPff9plus_mod3IfEEE10hipError_tPvRmT1_T2_T3_mT4_P12ihipStream_tbEUlT_E0_NS1_11comp_targetILNS1_3genE8ELNS1_11target_archE1030ELNS1_3gpuE2ELNS1_3repE0EEENS1_30default_config_static_selectorELNS0_4arch9wavefront6targetE1EEEvSK_
		.amdhsa_group_segment_fixed_size 0
		.amdhsa_private_segment_fixed_size 0
		.amdhsa_kernarg_size 64
		.amdhsa_user_sgpr_count 2
		.amdhsa_user_sgpr_dispatch_ptr 0
		.amdhsa_user_sgpr_queue_ptr 0
		.amdhsa_user_sgpr_kernarg_segment_ptr 1
		.amdhsa_user_sgpr_dispatch_id 0
		.amdhsa_user_sgpr_kernarg_preload_length 0
		.amdhsa_user_sgpr_kernarg_preload_offset 0
		.amdhsa_user_sgpr_private_segment_size 0
		.amdhsa_uses_dynamic_stack 0
		.amdhsa_enable_private_segment 0
		.amdhsa_system_sgpr_workgroup_id_x 1
		.amdhsa_system_sgpr_workgroup_id_y 0
		.amdhsa_system_sgpr_workgroup_id_z 0
		.amdhsa_system_sgpr_workgroup_info 0
		.amdhsa_system_vgpr_workitem_id 0
		.amdhsa_next_free_vgpr 1
		.amdhsa_next_free_sgpr 0
		.amdhsa_accum_offset 4
		.amdhsa_reserve_vcc 0
		.amdhsa_float_round_mode_32 0
		.amdhsa_float_round_mode_16_64 0
		.amdhsa_float_denorm_mode_32 3
		.amdhsa_float_denorm_mode_16_64 3
		.amdhsa_dx10_clamp 1
		.amdhsa_ieee_mode 1
		.amdhsa_fp16_overflow 0
		.amdhsa_tg_split 0
		.amdhsa_exception_fp_ieee_invalid_op 0
		.amdhsa_exception_fp_denorm_src 0
		.amdhsa_exception_fp_ieee_div_zero 0
		.amdhsa_exception_fp_ieee_overflow 0
		.amdhsa_exception_fp_ieee_underflow 0
		.amdhsa_exception_fp_ieee_inexact 0
		.amdhsa_exception_int_div_zero 0
	.end_amdhsa_kernel
	.section	.text._ZN7rocprim17ROCPRIM_400000_NS6detail17trampoline_kernelINS0_14default_configENS1_22reduce_config_selectorIfEEZNS1_11reduce_implILb1ES3_N6thrust23THRUST_200600_302600_NS6detail15normal_iteratorINS8_10device_ptrIfEEEEPff9plus_mod3IfEEE10hipError_tPvRmT1_T2_T3_mT4_P12ihipStream_tbEUlT_E0_NS1_11comp_targetILNS1_3genE8ELNS1_11target_archE1030ELNS1_3gpuE2ELNS1_3repE0EEENS1_30default_config_static_selectorELNS0_4arch9wavefront6targetE1EEEvSK_,"axG",@progbits,_ZN7rocprim17ROCPRIM_400000_NS6detail17trampoline_kernelINS0_14default_configENS1_22reduce_config_selectorIfEEZNS1_11reduce_implILb1ES3_N6thrust23THRUST_200600_302600_NS6detail15normal_iteratorINS8_10device_ptrIfEEEEPff9plus_mod3IfEEE10hipError_tPvRmT1_T2_T3_mT4_P12ihipStream_tbEUlT_E0_NS1_11comp_targetILNS1_3genE8ELNS1_11target_archE1030ELNS1_3gpuE2ELNS1_3repE0EEENS1_30default_config_static_selectorELNS0_4arch9wavefront6targetE1EEEvSK_,comdat
.Lfunc_end757:
	.size	_ZN7rocprim17ROCPRIM_400000_NS6detail17trampoline_kernelINS0_14default_configENS1_22reduce_config_selectorIfEEZNS1_11reduce_implILb1ES3_N6thrust23THRUST_200600_302600_NS6detail15normal_iteratorINS8_10device_ptrIfEEEEPff9plus_mod3IfEEE10hipError_tPvRmT1_T2_T3_mT4_P12ihipStream_tbEUlT_E0_NS1_11comp_targetILNS1_3genE8ELNS1_11target_archE1030ELNS1_3gpuE2ELNS1_3repE0EEENS1_30default_config_static_selectorELNS0_4arch9wavefront6targetE1EEEvSK_, .Lfunc_end757-_ZN7rocprim17ROCPRIM_400000_NS6detail17trampoline_kernelINS0_14default_configENS1_22reduce_config_selectorIfEEZNS1_11reduce_implILb1ES3_N6thrust23THRUST_200600_302600_NS6detail15normal_iteratorINS8_10device_ptrIfEEEEPff9plus_mod3IfEEE10hipError_tPvRmT1_T2_T3_mT4_P12ihipStream_tbEUlT_E0_NS1_11comp_targetILNS1_3genE8ELNS1_11target_archE1030ELNS1_3gpuE2ELNS1_3repE0EEENS1_30default_config_static_selectorELNS0_4arch9wavefront6targetE1EEEvSK_
                                        ; -- End function
	.set _ZN7rocprim17ROCPRIM_400000_NS6detail17trampoline_kernelINS0_14default_configENS1_22reduce_config_selectorIfEEZNS1_11reduce_implILb1ES3_N6thrust23THRUST_200600_302600_NS6detail15normal_iteratorINS8_10device_ptrIfEEEEPff9plus_mod3IfEEE10hipError_tPvRmT1_T2_T3_mT4_P12ihipStream_tbEUlT_E0_NS1_11comp_targetILNS1_3genE8ELNS1_11target_archE1030ELNS1_3gpuE2ELNS1_3repE0EEENS1_30default_config_static_selectorELNS0_4arch9wavefront6targetE1EEEvSK_.num_vgpr, 0
	.set _ZN7rocprim17ROCPRIM_400000_NS6detail17trampoline_kernelINS0_14default_configENS1_22reduce_config_selectorIfEEZNS1_11reduce_implILb1ES3_N6thrust23THRUST_200600_302600_NS6detail15normal_iteratorINS8_10device_ptrIfEEEEPff9plus_mod3IfEEE10hipError_tPvRmT1_T2_T3_mT4_P12ihipStream_tbEUlT_E0_NS1_11comp_targetILNS1_3genE8ELNS1_11target_archE1030ELNS1_3gpuE2ELNS1_3repE0EEENS1_30default_config_static_selectorELNS0_4arch9wavefront6targetE1EEEvSK_.num_agpr, 0
	.set _ZN7rocprim17ROCPRIM_400000_NS6detail17trampoline_kernelINS0_14default_configENS1_22reduce_config_selectorIfEEZNS1_11reduce_implILb1ES3_N6thrust23THRUST_200600_302600_NS6detail15normal_iteratorINS8_10device_ptrIfEEEEPff9plus_mod3IfEEE10hipError_tPvRmT1_T2_T3_mT4_P12ihipStream_tbEUlT_E0_NS1_11comp_targetILNS1_3genE8ELNS1_11target_archE1030ELNS1_3gpuE2ELNS1_3repE0EEENS1_30default_config_static_selectorELNS0_4arch9wavefront6targetE1EEEvSK_.numbered_sgpr, 0
	.set _ZN7rocprim17ROCPRIM_400000_NS6detail17trampoline_kernelINS0_14default_configENS1_22reduce_config_selectorIfEEZNS1_11reduce_implILb1ES3_N6thrust23THRUST_200600_302600_NS6detail15normal_iteratorINS8_10device_ptrIfEEEEPff9plus_mod3IfEEE10hipError_tPvRmT1_T2_T3_mT4_P12ihipStream_tbEUlT_E0_NS1_11comp_targetILNS1_3genE8ELNS1_11target_archE1030ELNS1_3gpuE2ELNS1_3repE0EEENS1_30default_config_static_selectorELNS0_4arch9wavefront6targetE1EEEvSK_.num_named_barrier, 0
	.set _ZN7rocprim17ROCPRIM_400000_NS6detail17trampoline_kernelINS0_14default_configENS1_22reduce_config_selectorIfEEZNS1_11reduce_implILb1ES3_N6thrust23THRUST_200600_302600_NS6detail15normal_iteratorINS8_10device_ptrIfEEEEPff9plus_mod3IfEEE10hipError_tPvRmT1_T2_T3_mT4_P12ihipStream_tbEUlT_E0_NS1_11comp_targetILNS1_3genE8ELNS1_11target_archE1030ELNS1_3gpuE2ELNS1_3repE0EEENS1_30default_config_static_selectorELNS0_4arch9wavefront6targetE1EEEvSK_.private_seg_size, 0
	.set _ZN7rocprim17ROCPRIM_400000_NS6detail17trampoline_kernelINS0_14default_configENS1_22reduce_config_selectorIfEEZNS1_11reduce_implILb1ES3_N6thrust23THRUST_200600_302600_NS6detail15normal_iteratorINS8_10device_ptrIfEEEEPff9plus_mod3IfEEE10hipError_tPvRmT1_T2_T3_mT4_P12ihipStream_tbEUlT_E0_NS1_11comp_targetILNS1_3genE8ELNS1_11target_archE1030ELNS1_3gpuE2ELNS1_3repE0EEENS1_30default_config_static_selectorELNS0_4arch9wavefront6targetE1EEEvSK_.uses_vcc, 0
	.set _ZN7rocprim17ROCPRIM_400000_NS6detail17trampoline_kernelINS0_14default_configENS1_22reduce_config_selectorIfEEZNS1_11reduce_implILb1ES3_N6thrust23THRUST_200600_302600_NS6detail15normal_iteratorINS8_10device_ptrIfEEEEPff9plus_mod3IfEEE10hipError_tPvRmT1_T2_T3_mT4_P12ihipStream_tbEUlT_E0_NS1_11comp_targetILNS1_3genE8ELNS1_11target_archE1030ELNS1_3gpuE2ELNS1_3repE0EEENS1_30default_config_static_selectorELNS0_4arch9wavefront6targetE1EEEvSK_.uses_flat_scratch, 0
	.set _ZN7rocprim17ROCPRIM_400000_NS6detail17trampoline_kernelINS0_14default_configENS1_22reduce_config_selectorIfEEZNS1_11reduce_implILb1ES3_N6thrust23THRUST_200600_302600_NS6detail15normal_iteratorINS8_10device_ptrIfEEEEPff9plus_mod3IfEEE10hipError_tPvRmT1_T2_T3_mT4_P12ihipStream_tbEUlT_E0_NS1_11comp_targetILNS1_3genE8ELNS1_11target_archE1030ELNS1_3gpuE2ELNS1_3repE0EEENS1_30default_config_static_selectorELNS0_4arch9wavefront6targetE1EEEvSK_.has_dyn_sized_stack, 0
	.set _ZN7rocprim17ROCPRIM_400000_NS6detail17trampoline_kernelINS0_14default_configENS1_22reduce_config_selectorIfEEZNS1_11reduce_implILb1ES3_N6thrust23THRUST_200600_302600_NS6detail15normal_iteratorINS8_10device_ptrIfEEEEPff9plus_mod3IfEEE10hipError_tPvRmT1_T2_T3_mT4_P12ihipStream_tbEUlT_E0_NS1_11comp_targetILNS1_3genE8ELNS1_11target_archE1030ELNS1_3gpuE2ELNS1_3repE0EEENS1_30default_config_static_selectorELNS0_4arch9wavefront6targetE1EEEvSK_.has_recursion, 0
	.set _ZN7rocprim17ROCPRIM_400000_NS6detail17trampoline_kernelINS0_14default_configENS1_22reduce_config_selectorIfEEZNS1_11reduce_implILb1ES3_N6thrust23THRUST_200600_302600_NS6detail15normal_iteratorINS8_10device_ptrIfEEEEPff9plus_mod3IfEEE10hipError_tPvRmT1_T2_T3_mT4_P12ihipStream_tbEUlT_E0_NS1_11comp_targetILNS1_3genE8ELNS1_11target_archE1030ELNS1_3gpuE2ELNS1_3repE0EEENS1_30default_config_static_selectorELNS0_4arch9wavefront6targetE1EEEvSK_.has_indirect_call, 0
	.section	.AMDGPU.csdata,"",@progbits
; Kernel info:
; codeLenInByte = 0
; TotalNumSgprs: 6
; NumVgprs: 0
; NumAgprs: 0
; TotalNumVgprs: 0
; ScratchSize: 0
; MemoryBound: 0
; FloatMode: 240
; IeeeMode: 1
; LDSByteSize: 0 bytes/workgroup (compile time only)
; SGPRBlocks: 0
; VGPRBlocks: 0
; NumSGPRsForWavesPerEU: 6
; NumVGPRsForWavesPerEU: 1
; AccumOffset: 4
; Occupancy: 8
; WaveLimiterHint : 0
; COMPUTE_PGM_RSRC2:SCRATCH_EN: 0
; COMPUTE_PGM_RSRC2:USER_SGPR: 2
; COMPUTE_PGM_RSRC2:TRAP_HANDLER: 0
; COMPUTE_PGM_RSRC2:TGID_X_EN: 1
; COMPUTE_PGM_RSRC2:TGID_Y_EN: 0
; COMPUTE_PGM_RSRC2:TGID_Z_EN: 0
; COMPUTE_PGM_RSRC2:TIDIG_COMP_CNT: 0
; COMPUTE_PGM_RSRC3_GFX90A:ACCUM_OFFSET: 0
; COMPUTE_PGM_RSRC3_GFX90A:TG_SPLIT: 0
	.section	.text._ZN7rocprim17ROCPRIM_400000_NS6detail17trampoline_kernelINS0_14default_configENS1_22reduce_config_selectorIfEEZNS1_11reduce_implILb1ES3_N6thrust23THRUST_200600_302600_NS6detail15normal_iteratorINS8_10device_ptrIfEEEEPff9plus_mod3IfEEE10hipError_tPvRmT1_T2_T3_mT4_P12ihipStream_tbEUlT_E1_NS1_11comp_targetILNS1_3genE0ELNS1_11target_archE4294967295ELNS1_3gpuE0ELNS1_3repE0EEENS1_30default_config_static_selectorELNS0_4arch9wavefront6targetE1EEEvSK_,"axG",@progbits,_ZN7rocprim17ROCPRIM_400000_NS6detail17trampoline_kernelINS0_14default_configENS1_22reduce_config_selectorIfEEZNS1_11reduce_implILb1ES3_N6thrust23THRUST_200600_302600_NS6detail15normal_iteratorINS8_10device_ptrIfEEEEPff9plus_mod3IfEEE10hipError_tPvRmT1_T2_T3_mT4_P12ihipStream_tbEUlT_E1_NS1_11comp_targetILNS1_3genE0ELNS1_11target_archE4294967295ELNS1_3gpuE0ELNS1_3repE0EEENS1_30default_config_static_selectorELNS0_4arch9wavefront6targetE1EEEvSK_,comdat
	.protected	_ZN7rocprim17ROCPRIM_400000_NS6detail17trampoline_kernelINS0_14default_configENS1_22reduce_config_selectorIfEEZNS1_11reduce_implILb1ES3_N6thrust23THRUST_200600_302600_NS6detail15normal_iteratorINS8_10device_ptrIfEEEEPff9plus_mod3IfEEE10hipError_tPvRmT1_T2_T3_mT4_P12ihipStream_tbEUlT_E1_NS1_11comp_targetILNS1_3genE0ELNS1_11target_archE4294967295ELNS1_3gpuE0ELNS1_3repE0EEENS1_30default_config_static_selectorELNS0_4arch9wavefront6targetE1EEEvSK_ ; -- Begin function _ZN7rocprim17ROCPRIM_400000_NS6detail17trampoline_kernelINS0_14default_configENS1_22reduce_config_selectorIfEEZNS1_11reduce_implILb1ES3_N6thrust23THRUST_200600_302600_NS6detail15normal_iteratorINS8_10device_ptrIfEEEEPff9plus_mod3IfEEE10hipError_tPvRmT1_T2_T3_mT4_P12ihipStream_tbEUlT_E1_NS1_11comp_targetILNS1_3genE0ELNS1_11target_archE4294967295ELNS1_3gpuE0ELNS1_3repE0EEENS1_30default_config_static_selectorELNS0_4arch9wavefront6targetE1EEEvSK_
	.globl	_ZN7rocprim17ROCPRIM_400000_NS6detail17trampoline_kernelINS0_14default_configENS1_22reduce_config_selectorIfEEZNS1_11reduce_implILb1ES3_N6thrust23THRUST_200600_302600_NS6detail15normal_iteratorINS8_10device_ptrIfEEEEPff9plus_mod3IfEEE10hipError_tPvRmT1_T2_T3_mT4_P12ihipStream_tbEUlT_E1_NS1_11comp_targetILNS1_3genE0ELNS1_11target_archE4294967295ELNS1_3gpuE0ELNS1_3repE0EEENS1_30default_config_static_selectorELNS0_4arch9wavefront6targetE1EEEvSK_
	.p2align	8
	.type	_ZN7rocprim17ROCPRIM_400000_NS6detail17trampoline_kernelINS0_14default_configENS1_22reduce_config_selectorIfEEZNS1_11reduce_implILb1ES3_N6thrust23THRUST_200600_302600_NS6detail15normal_iteratorINS8_10device_ptrIfEEEEPff9plus_mod3IfEEE10hipError_tPvRmT1_T2_T3_mT4_P12ihipStream_tbEUlT_E1_NS1_11comp_targetILNS1_3genE0ELNS1_11target_archE4294967295ELNS1_3gpuE0ELNS1_3repE0EEENS1_30default_config_static_selectorELNS0_4arch9wavefront6targetE1EEEvSK_,@function
_ZN7rocprim17ROCPRIM_400000_NS6detail17trampoline_kernelINS0_14default_configENS1_22reduce_config_selectorIfEEZNS1_11reduce_implILb1ES3_N6thrust23THRUST_200600_302600_NS6detail15normal_iteratorINS8_10device_ptrIfEEEEPff9plus_mod3IfEEE10hipError_tPvRmT1_T2_T3_mT4_P12ihipStream_tbEUlT_E1_NS1_11comp_targetILNS1_3genE0ELNS1_11target_archE4294967295ELNS1_3gpuE0ELNS1_3repE0EEENS1_30default_config_static_selectorELNS0_4arch9wavefront6targetE1EEEvSK_: ; @_ZN7rocprim17ROCPRIM_400000_NS6detail17trampoline_kernelINS0_14default_configENS1_22reduce_config_selectorIfEEZNS1_11reduce_implILb1ES3_N6thrust23THRUST_200600_302600_NS6detail15normal_iteratorINS8_10device_ptrIfEEEEPff9plus_mod3IfEEE10hipError_tPvRmT1_T2_T3_mT4_P12ihipStream_tbEUlT_E1_NS1_11comp_targetILNS1_3genE0ELNS1_11target_archE4294967295ELNS1_3gpuE0ELNS1_3repE0EEENS1_30default_config_static_selectorELNS0_4arch9wavefront6targetE1EEEvSK_
; %bb.0:
	s_load_dword s80, s[0:1], 0x4
	s_load_dwordx4 s[68:71], s[0:1], 0x8
	s_load_dword s33, s[0:1], 0x20
	s_load_dwordx2 s[66:67], s[0:1], 0x28
	s_waitcnt lgkmcnt(0)
	s_cmp_lt_i32 s80, 8
	s_cbranch_scc1 .LBB758_10
; %bb.1:
	s_cmp_gt_i32 s80, 15
	s_cbranch_scc0 .LBB758_11
; %bb.2:
	s_cmp_gt_i32 s80, 31
	s_cbranch_scc0 .LBB758_12
; %bb.3:
	s_cmp_eq_u32 s80, 32
	s_mov_b64 s[72:73], 0
	s_cbranch_scc0 .LBB758_13
; %bb.4:
	s_mov_b32 s3, 0
	s_lshl_b32 s4, s2, 13
	s_mov_b32 s5, s3
	s_lshr_b64 s[6:7], s[70:71], 13
	s_lshl_b64 s[8:9], s[4:5], 2
	s_add_u32 s76, s68, s8
	s_addc_u32 s77, s69, s9
	s_cmp_lg_u64 s[6:7], s[2:3]
	s_cbranch_scc0 .LBB758_22
; %bb.5:
	v_lshlrev_b32_e32 v2, 2, v0
	global_load_dword v1, v2, s[76:77]
	global_load_dword v3, v2, s[76:77] offset:1024
	global_load_dword v6, v2, s[76:77] offset:2048
	;; [unrolled: 1-line block ×3, first 2 shown]
	s_waitcnt vmcnt(2)
	v_add_f32_e32 v1, v1, v3
	v_cvt_i32_f32_e32 v4, v1
	v_mov_b32_e32 v3, 0
	v_lshl_add_u64 v[2:3], s[76:77], 0, v[2:3]
	v_ashrrev_i32_e32 v5, 31, v4
	v_lshl_add_u64 v[4:5], v[4:5], 2, s[66:67]
	global_load_dword v1, v[4:5], off
	s_waitcnt vmcnt(0)
	v_add_f32_e32 v1, v6, v1
	v_cvt_i32_f32_e32 v4, v1
	v_ashrrev_i32_e32 v5, 31, v4
	v_lshl_add_u64 v[4:5], v[4:5], 2, s[66:67]
	global_load_dword v1, v[4:5], off
	v_add_co_u32_e32 v4, vcc, 0x1000, v2
	s_waitcnt vmcnt(0)
	v_add_f32_e32 v1, v7, v1
	v_cvt_i32_f32_e32 v6, v1
	v_addc_co_u32_e32 v5, vcc, 0, v3, vcc
	global_load_dword v1, v[4:5], off
	v_ashrrev_i32_e32 v7, 31, v6
	v_lshl_add_u64 v[6:7], v[6:7], 2, s[66:67]
	global_load_dword v8, v[6:7], off
	v_add_co_u32_e32 v6, vcc, 0x2000, v2
	s_waitcnt vmcnt(0)
	v_add_f32_e32 v1, v1, v8
	v_addc_co_u32_e32 v7, vcc, 0, v3, vcc
	global_load_dword v9, v[4:5], off offset:1024
	global_load_dword v10, v[4:5], off offset:2048
	;; [unrolled: 1-line block ×3, first 2 shown]
	global_load_dword v12, v[6:7], off
	global_load_dword v13, v[6:7], off offset:1024
	global_load_dword v14, v[6:7], off offset:2048
	;; [unrolled: 1-line block ×3, first 2 shown]
	v_cvt_i32_f32_e32 v4, v1
	v_ashrrev_i32_e32 v5, 31, v4
	v_lshl_add_u64 v[4:5], v[4:5], 2, s[66:67]
	global_load_dword v1, v[4:5], off
	s_waitcnt vmcnt(0)
	v_add_f32_e32 v1, v9, v1
	v_cvt_i32_f32_e32 v4, v1
	v_ashrrev_i32_e32 v5, 31, v4
	v_lshl_add_u64 v[4:5], v[4:5], 2, s[66:67]
	global_load_dword v1, v[4:5], off
	s_waitcnt vmcnt(0)
	v_add_f32_e32 v1, v10, v1
	;; [unrolled: 6-line block ×6, first 2 shown]
	v_cvt_i32_f32_e32 v4, v1
	v_ashrrev_i32_e32 v5, 31, v4
	v_lshl_add_u64 v[4:5], v[4:5], 2, s[66:67]
	global_load_dword v1, v[4:5], off
	v_add_co_u32_e32 v4, vcc, 0x3000, v2
	s_waitcnt vmcnt(0)
	v_add_f32_e32 v1, v15, v1
	v_cvt_i32_f32_e32 v6, v1
	v_addc_co_u32_e32 v5, vcc, 0, v3, vcc
	global_load_dword v1, v[4:5], off
	v_ashrrev_i32_e32 v7, 31, v6
	v_lshl_add_u64 v[6:7], v[6:7], 2, s[66:67]
	global_load_dword v8, v[6:7], off
	v_add_co_u32_e32 v6, vcc, 0x4000, v2
	s_waitcnt vmcnt(0)
	v_add_f32_e32 v1, v1, v8
	v_addc_co_u32_e32 v7, vcc, 0, v3, vcc
	global_load_dword v9, v[4:5], off offset:1024
	global_load_dword v10, v[4:5], off offset:2048
	;; [unrolled: 1-line block ×3, first 2 shown]
	global_load_dword v12, v[6:7], off
	global_load_dword v13, v[6:7], off offset:1024
	global_load_dword v14, v[6:7], off offset:2048
	;; [unrolled: 1-line block ×3, first 2 shown]
	v_cvt_i32_f32_e32 v4, v1
	v_ashrrev_i32_e32 v5, 31, v4
	v_lshl_add_u64 v[4:5], v[4:5], 2, s[66:67]
	global_load_dword v1, v[4:5], off
	s_waitcnt vmcnt(0)
	v_add_f32_e32 v1, v9, v1
	v_cvt_i32_f32_e32 v4, v1
	v_ashrrev_i32_e32 v5, 31, v4
	v_lshl_add_u64 v[4:5], v[4:5], 2, s[66:67]
	global_load_dword v1, v[4:5], off
	s_waitcnt vmcnt(0)
	v_add_f32_e32 v1, v10, v1
	;; [unrolled: 6-line block ×6, first 2 shown]
	v_cvt_i32_f32_e32 v4, v1
	v_ashrrev_i32_e32 v5, 31, v4
	v_lshl_add_u64 v[4:5], v[4:5], 2, s[66:67]
	global_load_dword v1, v[4:5], off
	v_add_co_u32_e32 v4, vcc, 0x5000, v2
	s_waitcnt vmcnt(0)
	v_add_f32_e32 v1, v15, v1
	v_cvt_i32_f32_e32 v6, v1
	v_addc_co_u32_e32 v5, vcc, 0, v3, vcc
	global_load_dword v1, v[4:5], off
	v_ashrrev_i32_e32 v7, 31, v6
	v_lshl_add_u64 v[6:7], v[6:7], 2, s[66:67]
	global_load_dword v8, v[6:7], off
	v_add_co_u32_e32 v6, vcc, 0x6000, v2
	s_waitcnt vmcnt(0)
	v_add_f32_e32 v1, v1, v8
	v_addc_co_u32_e32 v7, vcc, 0, v3, vcc
	global_load_dword v9, v[4:5], off offset:1024
	global_load_dword v10, v[4:5], off offset:2048
	;; [unrolled: 1-line block ×3, first 2 shown]
	global_load_dword v12, v[6:7], off
	global_load_dword v13, v[6:7], off offset:1024
	global_load_dword v14, v[6:7], off offset:2048
	;; [unrolled: 1-line block ×3, first 2 shown]
	v_cvt_i32_f32_e32 v4, v1
	v_add_co_u32_e32 v2, vcc, 0x7000, v2
	v_ashrrev_i32_e32 v5, 31, v4
	v_lshl_add_u64 v[4:5], v[4:5], 2, s[66:67]
	global_load_dword v1, v[4:5], off
	v_addc_co_u32_e32 v3, vcc, 0, v3, vcc
	s_waitcnt vmcnt(0)
	v_add_f32_e32 v1, v9, v1
	v_cvt_i32_f32_e32 v4, v1
	v_ashrrev_i32_e32 v5, 31, v4
	v_lshl_add_u64 v[4:5], v[4:5], 2, s[66:67]
	global_load_dword v1, v[4:5], off
	s_waitcnt vmcnt(0)
	v_add_f32_e32 v1, v10, v1
	v_cvt_i32_f32_e32 v4, v1
	v_ashrrev_i32_e32 v5, 31, v4
	v_lshl_add_u64 v[4:5], v[4:5], 2, s[66:67]
	global_load_dword v1, v[4:5], off
	s_waitcnt vmcnt(0)
	v_add_f32_e32 v1, v11, v1
	v_cvt_i32_f32_e32 v4, v1
	v_ashrrev_i32_e32 v5, 31, v4
	v_lshl_add_u64 v[4:5], v[4:5], 2, s[66:67]
	global_load_dword v1, v[4:5], off
	s_waitcnt vmcnt(0)
	v_add_f32_e32 v1, v12, v1
	v_cvt_i32_f32_e32 v4, v1
	v_ashrrev_i32_e32 v5, 31, v4
	v_lshl_add_u64 v[4:5], v[4:5], 2, s[66:67]
	global_load_dword v1, v[4:5], off
	s_waitcnt vmcnt(0)
	v_add_f32_e32 v1, v13, v1
	v_cvt_i32_f32_e32 v4, v1
	v_ashrrev_i32_e32 v5, 31, v4
	v_lshl_add_u64 v[4:5], v[4:5], 2, s[66:67]
	global_load_dword v1, v[4:5], off
	s_waitcnt vmcnt(0)
	v_add_f32_e32 v1, v14, v1
	v_cvt_i32_f32_e32 v4, v1
	v_ashrrev_i32_e32 v5, 31, v4
	v_lshl_add_u64 v[4:5], v[4:5], 2, s[66:67]
	global_load_dword v1, v[4:5], off
	s_waitcnt vmcnt(0)
	v_add_f32_e32 v1, v15, v1
	v_cvt_i32_f32_e32 v4, v1
	v_ashrrev_i32_e32 v5, 31, v4
	v_lshl_add_u64 v[4:5], v[4:5], 2, s[66:67]
	global_load_dword v1, v[4:5], off
	global_load_dword v6, v[2:3], off
	global_load_dword v7, v[2:3], off offset:1024
	global_load_dword v8, v[2:3], off offset:2048
	;; [unrolled: 1-line block ×3, first 2 shown]
	s_waitcnt vmcnt(3)
	v_add_f32_e32 v1, v6, v1
	v_cvt_i32_f32_e32 v2, v1
	v_ashrrev_i32_e32 v3, 31, v2
	v_lshl_add_u64 v[2:3], v[2:3], 2, s[66:67]
	global_load_dword v1, v[2:3], off
	s_waitcnt vmcnt(0)
	v_add_f32_e32 v1, v7, v1
	v_cvt_i32_f32_e32 v2, v1
	v_ashrrev_i32_e32 v3, 31, v2
	v_lshl_add_u64 v[2:3], v[2:3], 2, s[66:67]
	global_load_dword v1, v[2:3], off
	s_waitcnt vmcnt(0)
	v_add_f32_e32 v1, v8, v1
	v_cvt_i32_f32_e32 v2, v1
	v_ashrrev_i32_e32 v3, 31, v2
	v_lshl_add_u64 v[2:3], v[2:3], 2, s[66:67]
	global_load_dword v1, v[2:3], off
	s_waitcnt vmcnt(0)
	v_add_f32_e32 v1, v9, v1
	v_cvt_i32_f32_e32 v2, v1
	v_ashrrev_i32_e32 v3, 31, v2
	v_lshl_add_u64 v[2:3], v[2:3], 2, s[66:67]
	global_load_dword v1, v[2:3], off
	s_waitcnt vmcnt(0)
	s_nop 0
	v_add_f32_dpp v1, v1, v1 quad_perm:[1,0,3,2] row_mask:0xf bank_mask:0xf bound_ctrl:1
	v_cvt_i32_f32_e32 v2, v1
	v_ashrrev_i32_e32 v3, 31, v2
	v_lshl_add_u64 v[2:3], v[2:3], 2, s[66:67]
	global_load_dword v1, v[2:3], off
	s_waitcnt vmcnt(0)
	s_nop 0
	v_add_f32_dpp v1, v1, v1 quad_perm:[2,3,0,1] row_mask:0xf bank_mask:0xf bound_ctrl:1
	v_cvt_i32_f32_e32 v2, v1
	v_ashrrev_i32_e32 v3, 31, v2
	v_lshl_add_u64 v[2:3], v[2:3], 2, s[66:67]
	global_load_dword v1, v[2:3], off
	s_waitcnt vmcnt(0)
	s_nop 0
	v_add_f32_dpp v1, v1, v1 row_ror:4 row_mask:0xf bank_mask:0xf bound_ctrl:1
	v_cvt_i32_f32_e32 v2, v1
	v_ashrrev_i32_e32 v3, 31, v2
	v_lshl_add_u64 v[2:3], v[2:3], 2, s[66:67]
	global_load_dword v1, v[2:3], off
	s_waitcnt vmcnt(0)
	s_nop 0
	v_add_f32_dpp v1, v1, v1 row_ror:8 row_mask:0xf bank_mask:0xf bound_ctrl:1
	v_cvt_i32_f32_e32 v2, v1
	v_ashrrev_i32_e32 v3, 31, v2
	v_lshl_add_u64 v[2:3], v[2:3], 2, s[66:67]
	global_load_dword v1, v[2:3], off
	s_waitcnt vmcnt(0)
	s_nop 0
	v_add_f32_dpp v1, v1, v1 row_bcast:15 row_mask:0xf bank_mask:0xf bound_ctrl:1
	v_cvt_i32_f32_e32 v2, v1
	v_ashrrev_i32_e32 v3, 31, v2
	v_lshl_add_u64 v[2:3], v[2:3], 2, s[66:67]
	global_load_dword v1, v[2:3], off
	s_waitcnt vmcnt(0)
	s_nop 0
	v_add_f32_dpp v1, v1, v1 row_bcast:31 row_mask:0xf bank_mask:0xf bound_ctrl:1
	v_cvt_i32_f32_e32 v2, v1
	v_mbcnt_lo_u32_b32 v1, -1, 0
	v_mbcnt_hi_u32_b32 v4, -1, v1
	v_lshlrev_b32_e32 v1, 2, v4
	v_ashrrev_i32_e32 v3, 31, v2
	v_lshl_add_u64 v[2:3], v[2:3], 2, s[66:67]
	global_load_dword v2, v[2:3], off
	v_or_b32_e32 v3, 0xfc, v1
	v_cmp_eq_u32_e32 vcc, 0, v4
	s_waitcnt vmcnt(0)
	ds_bpermute_b32 v2, v3, v2
	s_and_saveexec_b64 s[6:7], vcc
	s_cbranch_execz .LBB758_7
; %bb.6:
	v_lshrrev_b32_e32 v3, 4, v0
	v_and_b32_e32 v3, 12, v3
	s_waitcnt lgkmcnt(0)
	ds_write_b32 v3, v2 offset:64
.LBB758_7:
	s_or_b64 exec, exec, s[6:7]
	v_cmp_gt_u32_e32 vcc, 64, v0
	s_mov_b64 s[6:7], 0
	s_mov_b64 s[74:75], 0
	s_waitcnt lgkmcnt(0)
	s_barrier
                                        ; implicit-def: $vgpr3
	s_and_saveexec_b64 s[8:9], vcc
	s_xor_b64 s[8:9], exec, s[8:9]
	s_cbranch_execz .LBB758_9
; %bb.8:
	v_and_b32_e32 v2, 3, v4
	v_lshlrev_b32_e32 v3, 2, v2
	ds_read_b32 v3, v3 offset:64
	v_cmp_ne_u32_e32 vcc, 3, v2
	v_or_b32_e32 v1, 8, v1
	s_mov_b64 s[74:75], exec
	v_addc_co_u32_e32 v2, vcc, 0, v4, vcc
	v_lshlrev_b32_e32 v2, 2, v2
	s_waitcnt lgkmcnt(0)
	ds_bpermute_b32 v2, v2, v3
	s_waitcnt lgkmcnt(0)
	v_add_f32_e32 v2, v3, v2
	v_cvt_i32_f32_e32 v2, v2
	v_ashrrev_i32_e32 v3, 31, v2
	v_lshl_add_u64 v[2:3], v[2:3], 2, s[66:67]
	global_load_dword v2, v[2:3], off
	s_waitcnt vmcnt(0)
	ds_bpermute_b32 v3, v1, v2
.LBB758_9:
	s_or_b64 exec, exec, s[8:9]
	s_branch .LBB758_23
.LBB758_10:
	s_mov_b64 s[36:37], 0
	s_mov_b64 s[34:35], 0
                                        ; implicit-def: $vgpr2
	s_cbranch_execnz .LBB758_274
	s_branch .LBB758_379
.LBB758_11:
	s_mov_b64 s[36:37], 0
	s_mov_b64 s[34:35], 0
                                        ; implicit-def: $vgpr2
	s_cbranch_execnz .LBB758_217
	s_branch .LBB758_225
.LBB758_12:
	s_mov_b64 s[72:73], -1
.LBB758_13:
	s_mov_b64 s[36:37], 0
	s_mov_b64 s[34:35], 0
                                        ; implicit-def: $vgpr2
	s_and_b64 vcc, exec, s[72:73]
	s_cbranch_vccz .LBB758_143
.LBB758_14:
	s_cmp_eq_u32 s80, 16
	s_cbranch_scc0 .LBB758_21
; %bb.15:
	s_mov_b32 s3, 0
	s_lshl_b32 s4, s2, 12
	s_mov_b32 s5, s3
	s_lshr_b64 s[6:7], s[70:71], 12
	s_lshl_b64 s[8:9], s[4:5], 2
	s_add_u32 s40, s68, s8
	s_addc_u32 s41, s69, s9
	s_cmp_lg_u64 s[6:7], s[2:3]
	s_cbranch_scc0 .LBB758_144
; %bb.16:
	s_waitcnt vmcnt(0)
	v_lshlrev_b32_e32 v2, 2, v0
	global_load_dword v1, v2, s[40:41]
	s_waitcnt lgkmcnt(0)
	global_load_dword v3, v2, s[40:41] offset:1024
	global_load_dword v6, v2, s[40:41] offset:2048
	;; [unrolled: 1-line block ×3, first 2 shown]
	s_waitcnt vmcnt(2)
	v_add_f32_e32 v1, v1, v3
	v_cvt_i32_f32_e32 v4, v1
	v_mov_b32_e32 v3, 0
	v_lshl_add_u64 v[2:3], s[40:41], 0, v[2:3]
	v_ashrrev_i32_e32 v5, 31, v4
	v_lshl_add_u64 v[4:5], v[4:5], 2, s[66:67]
	global_load_dword v1, v[4:5], off
	s_waitcnt vmcnt(0)
	v_add_f32_e32 v1, v6, v1
	v_cvt_i32_f32_e32 v4, v1
	v_ashrrev_i32_e32 v5, 31, v4
	v_lshl_add_u64 v[4:5], v[4:5], 2, s[66:67]
	global_load_dword v1, v[4:5], off
	v_add_co_u32_e32 v4, vcc, 0x1000, v2
	s_waitcnt vmcnt(0)
	v_add_f32_e32 v1, v7, v1
	v_cvt_i32_f32_e32 v6, v1
	v_addc_co_u32_e32 v5, vcc, 0, v3, vcc
	global_load_dword v1, v[4:5], off
	v_ashrrev_i32_e32 v7, 31, v6
	v_lshl_add_u64 v[6:7], v[6:7], 2, s[66:67]
	global_load_dword v8, v[6:7], off
	v_add_co_u32_e32 v6, vcc, 0x2000, v2
	s_waitcnt vmcnt(0)
	v_add_f32_e32 v1, v1, v8
	v_addc_co_u32_e32 v7, vcc, 0, v3, vcc
	global_load_dword v9, v[4:5], off offset:1024
	global_load_dword v10, v[4:5], off offset:2048
	;; [unrolled: 1-line block ×3, first 2 shown]
	global_load_dword v12, v[6:7], off
	global_load_dword v13, v[6:7], off offset:1024
	global_load_dword v14, v[6:7], off offset:2048
	;; [unrolled: 1-line block ×3, first 2 shown]
	v_cvt_i32_f32_e32 v4, v1
	v_add_co_u32_e32 v2, vcc, 0x3000, v2
	v_ashrrev_i32_e32 v5, 31, v4
	v_lshl_add_u64 v[4:5], v[4:5], 2, s[66:67]
	global_load_dword v1, v[4:5], off
	v_addc_co_u32_e32 v3, vcc, 0, v3, vcc
	s_waitcnt vmcnt(0)
	v_add_f32_e32 v1, v9, v1
	v_cvt_i32_f32_e32 v4, v1
	v_ashrrev_i32_e32 v5, 31, v4
	v_lshl_add_u64 v[4:5], v[4:5], 2, s[66:67]
	global_load_dword v1, v[4:5], off
	s_waitcnt vmcnt(0)
	v_add_f32_e32 v1, v10, v1
	v_cvt_i32_f32_e32 v4, v1
	v_ashrrev_i32_e32 v5, 31, v4
	v_lshl_add_u64 v[4:5], v[4:5], 2, s[66:67]
	global_load_dword v1, v[4:5], off
	;; [unrolled: 6-line block ×7, first 2 shown]
	global_load_dword v6, v[2:3], off
	global_load_dword v7, v[2:3], off offset:1024
	global_load_dword v8, v[2:3], off offset:2048
	;; [unrolled: 1-line block ×3, first 2 shown]
	s_waitcnt vmcnt(3)
	v_add_f32_e32 v1, v6, v1
	v_cvt_i32_f32_e32 v2, v1
	v_ashrrev_i32_e32 v3, 31, v2
	v_lshl_add_u64 v[2:3], v[2:3], 2, s[66:67]
	global_load_dword v1, v[2:3], off
	s_waitcnt vmcnt(0)
	v_add_f32_e32 v1, v7, v1
	v_cvt_i32_f32_e32 v2, v1
	v_ashrrev_i32_e32 v3, 31, v2
	v_lshl_add_u64 v[2:3], v[2:3], 2, s[66:67]
	global_load_dword v1, v[2:3], off
	;; [unrolled: 6-line block ×4, first 2 shown]
	s_waitcnt vmcnt(0)
	s_nop 0
	v_add_f32_dpp v1, v1, v1 quad_perm:[1,0,3,2] row_mask:0xf bank_mask:0xf bound_ctrl:1
	v_cvt_i32_f32_e32 v2, v1
	v_ashrrev_i32_e32 v3, 31, v2
	v_lshl_add_u64 v[2:3], v[2:3], 2, s[66:67]
	global_load_dword v1, v[2:3], off
	s_waitcnt vmcnt(0)
	s_nop 0
	v_add_f32_dpp v1, v1, v1 quad_perm:[2,3,0,1] row_mask:0xf bank_mask:0xf bound_ctrl:1
	v_cvt_i32_f32_e32 v2, v1
	v_ashrrev_i32_e32 v3, 31, v2
	v_lshl_add_u64 v[2:3], v[2:3], 2, s[66:67]
	global_load_dword v1, v[2:3], off
	s_waitcnt vmcnt(0)
	s_nop 0
	v_add_f32_dpp v1, v1, v1 row_ror:4 row_mask:0xf bank_mask:0xf bound_ctrl:1
	v_cvt_i32_f32_e32 v2, v1
	v_ashrrev_i32_e32 v3, 31, v2
	v_lshl_add_u64 v[2:3], v[2:3], 2, s[66:67]
	global_load_dword v1, v[2:3], off
	s_waitcnt vmcnt(0)
	s_nop 0
	v_add_f32_dpp v1, v1, v1 row_ror:8 row_mask:0xf bank_mask:0xf bound_ctrl:1
	v_cvt_i32_f32_e32 v2, v1
	v_ashrrev_i32_e32 v3, 31, v2
	v_lshl_add_u64 v[2:3], v[2:3], 2, s[66:67]
	global_load_dword v1, v[2:3], off
	s_waitcnt vmcnt(0)
	s_nop 0
	v_add_f32_dpp v1, v1, v1 row_bcast:15 row_mask:0xf bank_mask:0xf bound_ctrl:1
	v_cvt_i32_f32_e32 v2, v1
	v_ashrrev_i32_e32 v3, 31, v2
	v_lshl_add_u64 v[2:3], v[2:3], 2, s[66:67]
	global_load_dword v1, v[2:3], off
	s_waitcnt vmcnt(0)
	s_nop 0
	v_add_f32_dpp v1, v1, v1 row_bcast:31 row_mask:0xf bank_mask:0xf bound_ctrl:1
	v_cvt_i32_f32_e32 v2, v1
	v_mbcnt_lo_u32_b32 v1, -1, 0
	v_mbcnt_hi_u32_b32 v4, -1, v1
	v_lshlrev_b32_e32 v1, 2, v4
	v_ashrrev_i32_e32 v3, 31, v2
	v_lshl_add_u64 v[2:3], v[2:3], 2, s[66:67]
	global_load_dword v2, v[2:3], off
	v_or_b32_e32 v3, 0xfc, v1
	v_cmp_eq_u32_e32 vcc, 0, v4
	s_waitcnt vmcnt(0)
	ds_bpermute_b32 v2, v3, v2
	s_and_saveexec_b64 s[6:7], vcc
	s_cbranch_execz .LBB758_18
; %bb.17:
	v_lshrrev_b32_e32 v3, 4, v0
	v_and_b32_e32 v3, 12, v3
	s_waitcnt lgkmcnt(0)
	ds_write_b32 v3, v2 offset:16
.LBB758_18:
	s_or_b64 exec, exec, s[6:7]
	v_cmp_gt_u32_e32 vcc, 64, v0
	s_mov_b64 s[6:7], 0
	s_mov_b64 s[38:39], 0
	s_waitcnt lgkmcnt(0)
	s_barrier
                                        ; implicit-def: $vgpr3
	s_and_saveexec_b64 s[8:9], vcc
	s_xor_b64 s[8:9], exec, s[8:9]
	s_cbranch_execz .LBB758_20
; %bb.19:
	v_and_b32_e32 v2, 3, v4
	v_lshlrev_b32_e32 v3, 2, v2
	ds_read_b32 v3, v3 offset:16
	v_cmp_ne_u32_e32 vcc, 3, v2
	v_or_b32_e32 v1, 8, v1
	s_mov_b64 s[38:39], exec
	v_addc_co_u32_e32 v2, vcc, 0, v4, vcc
	v_lshlrev_b32_e32 v2, 2, v2
	s_waitcnt lgkmcnt(0)
	ds_bpermute_b32 v2, v2, v3
	s_waitcnt lgkmcnt(0)
	v_add_f32_e32 v2, v3, v2
	v_cvt_i32_f32_e32 v2, v2
	v_ashrrev_i32_e32 v3, 31, v2
	v_lshl_add_u64 v[2:3], v[2:3], 2, s[66:67]
	global_load_dword v2, v[2:3], off
	s_waitcnt vmcnt(0)
	ds_bpermute_b32 v3, v1, v2
.LBB758_20:
	s_or_b64 exec, exec, s[8:9]
	s_branch .LBB758_145
.LBB758_21:
                                        ; implicit-def: $vgpr2
	s_branch .LBB758_225
.LBB758_22:
	s_mov_b64 s[6:7], -1
	s_mov_b64 s[74:75], 0
                                        ; implicit-def: $vgpr3
                                        ; implicit-def: $vgpr2
.LBB758_23:
	s_and_b64 vcc, exec, s[6:7]
	s_cbranch_vccz .LBB758_138
; %bb.24:
	s_sub_i32 s81, s70, s4
	v_mov_b32_e32 v2, 0
	v_cmp_gt_u32_e32 vcc, s81, v0
	s_waitcnt lgkmcnt(0)
	v_mov_b32_e32 v3, v2
	v_mov_b32_e32 v4, v2
	;; [unrolled: 1-line block ×31, first 2 shown]
	s_and_saveexec_b64 s[4:5], vcc
	s_cbranch_execz .LBB758_26
; %bb.25:
	v_lshlrev_b32_e32 v1, 2, v0
	global_load_dword v4, v1, s[76:77]
	v_mov_b32_e32 v5, v2
	v_mov_b32_e32 v6, v2
	;; [unrolled: 1-line block ×31, first 2 shown]
	s_waitcnt vmcnt(0)
	v_mov_b64_e32 v[2:3], v[4:5]
	v_mov_b64_e32 v[4:5], v[6:7]
	;; [unrolled: 1-line block ×16, first 2 shown]
.LBB758_26:
	s_or_b64 exec, exec, s[4:5]
	v_or_b32_e32 v1, 0x100, v0
	v_cmp_gt_u32_e64 s[64:65], s81, v1
	s_and_saveexec_b64 s[4:5], s[64:65]
	s_cbranch_execz .LBB758_28
; %bb.27:
	v_lshlrev_b32_e32 v1, 2, v0
	global_load_dword v3, v1, s[76:77] offset:1024
.LBB758_28:
	s_or_b64 exec, exec, s[4:5]
	v_or_b32_e32 v1, 0x200, v0
	v_cmp_gt_u32_e64 s[62:63], s81, v1
	s_and_saveexec_b64 s[4:5], s[62:63]
	s_cbranch_execz .LBB758_30
; %bb.29:
	v_lshlrev_b32_e32 v1, 2, v0
	global_load_dword v4, v1, s[76:77] offset:2048
.LBB758_30:
	;; [unrolled: 9-line block ×3, first 2 shown]
	s_or_b64 exec, exec, s[4:5]
	v_or_b32_e32 v1, 0x400, v0
	v_cmp_gt_u32_e64 s[58:59], s81, v1
	s_and_saveexec_b64 s[4:5], s[58:59]
	s_cbranch_execz .LBB758_34
; %bb.33:
	v_lshlrev_b32_e32 v1, 2, v1
	global_load_dword v6, v1, s[76:77]
.LBB758_34:
	s_or_b64 exec, exec, s[4:5]
	v_or_b32_e32 v1, 0x500, v0
	v_cmp_gt_u32_e64 s[56:57], s81, v1
	s_and_saveexec_b64 s[4:5], s[56:57]
	s_cbranch_execz .LBB758_36
; %bb.35:
	v_lshlrev_b32_e32 v1, 2, v1
	global_load_dword v7, v1, s[76:77]
.LBB758_36:
	;; [unrolled: 9-line block ×27, first 2 shown]
	s_or_b64 exec, exec, s[78:79]
	v_or_b32_e32 v1, 0x1f00, v0
	v_cmp_gt_u32_e32 vcc, s81, v1
	s_and_saveexec_b64 s[78:79], vcc
	s_cbranch_execnz .LBB758_411
; %bb.87:
	s_or_b64 exec, exec, s[78:79]
	s_and_saveexec_b64 s[76:77], s[64:65]
	s_cbranch_execnz .LBB758_412
.LBB758_88:
	s_or_b64 exec, exec, s[76:77]
	s_and_saveexec_b64 s[64:65], s[62:63]
	s_cbranch_execnz .LBB758_413
.LBB758_89:
	s_or_b64 exec, exec, s[64:65]
	s_and_saveexec_b64 s[62:63], s[60:61]
	s_cbranch_execnz .LBB758_414
.LBB758_90:
	s_or_b64 exec, exec, s[62:63]
	s_and_saveexec_b64 s[60:61], s[58:59]
	s_cbranch_execnz .LBB758_415
.LBB758_91:
	s_or_b64 exec, exec, s[60:61]
	s_and_saveexec_b64 s[58:59], s[56:57]
	s_cbranch_execnz .LBB758_416
.LBB758_92:
	s_or_b64 exec, exec, s[58:59]
	s_and_saveexec_b64 s[56:57], s[54:55]
	s_cbranch_execnz .LBB758_417
.LBB758_93:
	s_or_b64 exec, exec, s[56:57]
	s_and_saveexec_b64 s[54:55], s[52:53]
	s_cbranch_execnz .LBB758_418
.LBB758_94:
	s_or_b64 exec, exec, s[54:55]
	s_and_saveexec_b64 s[52:53], s[50:51]
	s_cbranch_execnz .LBB758_419
.LBB758_95:
	s_or_b64 exec, exec, s[52:53]
	s_and_saveexec_b64 s[50:51], s[48:49]
	s_cbranch_execnz .LBB758_420
.LBB758_96:
	s_or_b64 exec, exec, s[50:51]
	s_and_saveexec_b64 s[48:49], s[46:47]
	s_cbranch_execnz .LBB758_421
.LBB758_97:
	s_or_b64 exec, exec, s[48:49]
	s_and_saveexec_b64 s[46:47], s[44:45]
	s_cbranch_execnz .LBB758_422
.LBB758_98:
	s_or_b64 exec, exec, s[46:47]
	s_and_saveexec_b64 s[44:45], s[42:43]
	s_cbranch_execnz .LBB758_423
.LBB758_99:
	s_or_b64 exec, exec, s[44:45]
	s_and_saveexec_b64 s[42:43], s[40:41]
	s_cbranch_execnz .LBB758_424
.LBB758_100:
	s_or_b64 exec, exec, s[42:43]
	s_and_saveexec_b64 s[40:41], s[38:39]
	s_cbranch_execnz .LBB758_425
.LBB758_101:
	s_or_b64 exec, exec, s[40:41]
	s_and_saveexec_b64 s[38:39], s[36:37]
	s_cbranch_execnz .LBB758_426
.LBB758_102:
	s_or_b64 exec, exec, s[38:39]
	s_and_saveexec_b64 s[36:37], s[34:35]
	s_cbranch_execnz .LBB758_427
.LBB758_103:
	s_or_b64 exec, exec, s[36:37]
	s_and_saveexec_b64 s[34:35], s[30:31]
	s_cbranch_execnz .LBB758_428
.LBB758_104:
	s_or_b64 exec, exec, s[34:35]
	s_and_saveexec_b64 s[30:31], s[28:29]
	s_cbranch_execnz .LBB758_429
.LBB758_105:
	s_or_b64 exec, exec, s[30:31]
	s_and_saveexec_b64 s[28:29], s[26:27]
	s_cbranch_execnz .LBB758_430
.LBB758_106:
	s_or_b64 exec, exec, s[28:29]
	s_and_saveexec_b64 s[26:27], s[24:25]
	s_cbranch_execnz .LBB758_431
.LBB758_107:
	s_or_b64 exec, exec, s[26:27]
	s_and_saveexec_b64 s[24:25], s[22:23]
	s_cbranch_execnz .LBB758_432
.LBB758_108:
	s_or_b64 exec, exec, s[24:25]
	s_and_saveexec_b64 s[22:23], s[20:21]
	s_cbranch_execnz .LBB758_433
.LBB758_109:
	s_or_b64 exec, exec, s[22:23]
	s_and_saveexec_b64 s[20:21], s[18:19]
	s_cbranch_execnz .LBB758_434
.LBB758_110:
	s_or_b64 exec, exec, s[20:21]
	s_and_saveexec_b64 s[18:19], s[16:17]
	s_cbranch_execnz .LBB758_435
.LBB758_111:
	s_or_b64 exec, exec, s[18:19]
	s_and_saveexec_b64 s[16:17], s[14:15]
	s_cbranch_execnz .LBB758_436
.LBB758_112:
	s_or_b64 exec, exec, s[16:17]
	s_and_saveexec_b64 s[14:15], s[12:13]
	s_cbranch_execnz .LBB758_437
.LBB758_113:
	s_or_b64 exec, exec, s[14:15]
	s_and_saveexec_b64 s[12:13], s[10:11]
	s_cbranch_execnz .LBB758_438
.LBB758_114:
	s_or_b64 exec, exec, s[12:13]
	s_and_saveexec_b64 s[10:11], s[8:9]
	s_cbranch_execnz .LBB758_439
.LBB758_115:
	s_or_b64 exec, exec, s[10:11]
	s_and_saveexec_b64 s[8:9], s[6:7]
	s_cbranch_execnz .LBB758_440
.LBB758_116:
	s_or_b64 exec, exec, s[8:9]
	s_and_saveexec_b64 s[6:7], s[4:5]
	s_cbranch_execnz .LBB758_441
.LBB758_117:
	s_or_b64 exec, exec, s[6:7]
	s_and_saveexec_b64 s[4:5], vcc
	s_cbranch_execz .LBB758_119
.LBB758_118:
	s_waitcnt vmcnt(0)
	v_add_f32_e32 v1, v33, v2
	v_cvt_i32_f32_e32 v2, v1
	v_ashrrev_i32_e32 v3, 31, v2
	v_lshl_add_u64 v[2:3], v[2:3], 2, s[66:67]
	global_load_dword v2, v[2:3], off
.LBB758_119:
	s_or_b64 exec, exec, s[4:5]
	v_mbcnt_lo_u32_b32 v1, -1, 0
	v_mbcnt_hi_u32_b32 v1, -1, v1
	s_waitcnt vmcnt(0)
	v_and_b32_e32 v3, 63, v1
	v_cmp_ne_u32_e32 vcc, 63, v3
	s_min_u32 s6, s81, 0x100
	v_add_u32_e32 v6, 1, v3
	v_addc_co_u32_e32 v4, vcc, 0, v1, vcc
	v_lshlrev_b32_e32 v4, 2, v4
	ds_bpermute_b32 v5, v4, v2
	v_and_b32_e32 v4, 0xc0, v0
	v_sub_u32_e64 v4, s6, v4 clamp
	v_cmp_lt_u32_e32 vcc, v6, v4
	s_and_saveexec_b64 s[4:5], vcc
	s_xor_b64 s[4:5], exec, s[4:5]
	s_cbranch_execz .LBB758_121
; %bb.120:
	s_waitcnt lgkmcnt(0)
	v_add_f32_e32 v2, v2, v5
	v_cvt_i32_f32_e32 v6, v2
	v_ashrrev_i32_e32 v7, 31, v6
	v_lshl_add_u64 v[6:7], v[6:7], 2, s[66:67]
	global_load_dword v2, v[6:7], off
.LBB758_121:
	s_or_b64 exec, exec, s[4:5]
	v_cmp_gt_u32_e32 vcc, 62, v3
	v_add_u32_e32 v6, 2, v3
	s_waitcnt lgkmcnt(0)
	v_cndmask_b32_e64 v5, 0, 2, vcc
	v_add_lshl_u32 v5, v5, v1, 2
	s_waitcnt vmcnt(0)
	ds_bpermute_b32 v5, v5, v2
	v_cmp_lt_u32_e32 vcc, v6, v4
	s_and_saveexec_b64 s[4:5], vcc
	s_cbranch_execz .LBB758_123
; %bb.122:
	s_waitcnt lgkmcnt(0)
	v_add_f32_e32 v2, v2, v5
	v_cvt_i32_f32_e32 v6, v2
	v_ashrrev_i32_e32 v7, 31, v6
	v_lshl_add_u64 v[6:7], v[6:7], 2, s[66:67]
	global_load_dword v2, v[6:7], off
.LBB758_123:
	s_or_b64 exec, exec, s[4:5]
	v_cmp_gt_u32_e32 vcc, 60, v3
	v_add_u32_e32 v6, 4, v3
	s_waitcnt lgkmcnt(0)
	v_cndmask_b32_e64 v5, 0, 4, vcc
	v_add_lshl_u32 v5, v5, v1, 2
	s_waitcnt vmcnt(0)
	ds_bpermute_b32 v5, v5, v2
	v_cmp_lt_u32_e32 vcc, v6, v4
	s_and_saveexec_b64 s[4:5], vcc
	s_cbranch_execz .LBB758_125
; %bb.124:
	s_waitcnt lgkmcnt(0)
	v_add_f32_e32 v2, v2, v5
	v_cvt_i32_f32_e32 v6, v2
	v_ashrrev_i32_e32 v7, 31, v6
	v_lshl_add_u64 v[6:7], v[6:7], 2, s[66:67]
	global_load_dword v2, v[6:7], off
.LBB758_125:
	s_or_b64 exec, exec, s[4:5]
	v_cmp_gt_u32_e32 vcc, 56, v3
	v_add_u32_e32 v6, 8, v3
	s_waitcnt lgkmcnt(0)
	v_cndmask_b32_e64 v5, 0, 8, vcc
	v_add_lshl_u32 v5, v5, v1, 2
	s_waitcnt vmcnt(0)
	ds_bpermute_b32 v5, v5, v2
	v_cmp_lt_u32_e32 vcc, v6, v4
	s_and_saveexec_b64 s[4:5], vcc
	s_cbranch_execz .LBB758_127
; %bb.126:
	s_waitcnt lgkmcnt(0)
	v_add_f32_e32 v2, v2, v5
	v_cvt_i32_f32_e32 v6, v2
	v_ashrrev_i32_e32 v7, 31, v6
	v_lshl_add_u64 v[6:7], v[6:7], 2, s[66:67]
	global_load_dword v2, v[6:7], off
.LBB758_127:
	s_or_b64 exec, exec, s[4:5]
	v_cmp_gt_u32_e32 vcc, 48, v3
	v_add_u32_e32 v6, 16, v3
	s_waitcnt lgkmcnt(0)
	v_cndmask_b32_e64 v5, 0, 16, vcc
	v_add_lshl_u32 v5, v5, v1, 2
	s_waitcnt vmcnt(0)
	ds_bpermute_b32 v5, v5, v2
	v_cmp_lt_u32_e32 vcc, v6, v4
	s_and_saveexec_b64 s[4:5], vcc
	s_cbranch_execz .LBB758_129
; %bb.128:
	s_waitcnt lgkmcnt(0)
	v_add_f32_e32 v2, v2, v5
	v_cvt_i32_f32_e32 v6, v2
	v_ashrrev_i32_e32 v7, 31, v6
	v_lshl_add_u64 v[6:7], v[6:7], 2, s[66:67]
	global_load_dword v2, v[6:7], off
.LBB758_129:
	s_or_b64 exec, exec, s[4:5]
	s_waitcnt lgkmcnt(0)
	v_lshlrev_b32_e32 v5, 2, v1
	v_or_b32_e32 v6, 0x80, v5
	s_waitcnt vmcnt(0)
	ds_bpermute_b32 v6, v6, v2
	v_add_u32_e32 v3, 32, v3
	v_cmp_lt_u32_e32 vcc, v3, v4
	s_and_saveexec_b64 s[4:5], vcc
	s_cbranch_execz .LBB758_131
; %bb.130:
	s_waitcnt lgkmcnt(0)
	v_add_f32_e32 v2, v2, v6
	v_cvt_i32_f32_e32 v2, v2
	v_ashrrev_i32_e32 v3, 31, v2
	v_lshl_add_u64 v[2:3], v[2:3], 2, s[66:67]
	global_load_dword v2, v[2:3], off
.LBB758_131:
	s_or_b64 exec, exec, s[4:5]
	v_cmp_eq_u32_e32 vcc, 0, v1
	s_and_saveexec_b64 s[4:5], vcc
	s_cbranch_execz .LBB758_133
; %bb.132:
	v_lshrrev_b32_e32 v3, 4, v0
	v_and_b32_e32 v3, 12, v3
	s_waitcnt vmcnt(0)
	ds_write_b32 v3, v2
.LBB758_133:
	s_or_b64 exec, exec, s[4:5]
	v_cmp_gt_u32_e32 vcc, 4, v0
	s_waitcnt lgkmcnt(0)
	s_barrier
                                        ; implicit-def: $vgpr3
	s_and_saveexec_b64 s[4:5], vcc
	s_cbranch_execz .LBB758_137
; %bb.134:
	s_waitcnt vmcnt(0)
	ds_read_b32 v2, v5
	v_and_b32_e32 v3, 3, v1
	v_cmp_ne_u32_e32 vcc, 3, v3
	s_add_i32 s6, s6, 63
	s_lshr_b32 s8, s6, 6
	v_addc_co_u32_e32 v1, vcc, 0, v1, vcc
	v_lshlrev_b32_e32 v1, 2, v1
	s_waitcnt lgkmcnt(0)
	ds_bpermute_b32 v1, v1, v2
	v_add_u32_e32 v4, 1, v3
	v_cmp_gt_u32_e32 vcc, s8, v4
	s_and_saveexec_b64 s[6:7], vcc
	s_cbranch_execz .LBB758_136
; %bb.135:
	s_waitcnt lgkmcnt(0)
	v_add_f32_e32 v1, v2, v1
	v_cvt_i32_f32_e32 v6, v1
	v_ashrrev_i32_e32 v7, 31, v6
	v_lshl_add_u64 v[6:7], v[6:7], 2, s[66:67]
	global_load_dword v2, v[6:7], off
.LBB758_136:
	s_or_b64 exec, exec, s[6:7]
	s_waitcnt lgkmcnt(0)
	v_add_u32_e32 v1, 2, v3
	v_or_b32_e32 v3, 8, v5
	s_waitcnt vmcnt(0)
	ds_bpermute_b32 v3, v3, v2
	v_cmp_gt_u32_e32 vcc, s8, v1
	s_andn2_b64 s[6:7], s[74:75], exec
	s_and_b64 s[8:9], vcc, exec
	s_or_b64 s[74:75], s[6:7], s[8:9]
.LBB758_137:
	s_or_b64 exec, exec, s[4:5]
.LBB758_138:
	s_and_saveexec_b64 s[4:5], s[74:75]
	s_cbranch_execz .LBB758_140
; %bb.139:
	s_waitcnt vmcnt(0) lgkmcnt(0)
	v_add_f32_e32 v1, v2, v3
	v_cvt_i32_f32_e32 v2, v1
	v_ashrrev_i32_e32 v3, 31, v2
	v_lshl_add_u64 v[2:3], v[2:3], 2, s[66:67]
	global_load_dword v2, v[2:3], off
.LBB758_140:
	s_or_b64 exec, exec, s[4:5]
	v_cmp_eq_u32_e32 vcc, 0, v0
	s_mov_b64 s[36:37], 0
	s_mov_b64 s[34:35], 0
	s_and_saveexec_b64 s[4:5], vcc
	s_xor_b64 s[4:5], exec, s[4:5]
; %bb.141:
	s_cmp_eq_u64 s[70:71], 0
	s_cselect_b64 s[6:7], -1, 0
	s_cmp_lg_u64 s[70:71], 0
	s_cselect_b64 s[8:9], -1, 0
	s_and_b64 s[34:35], s[6:7], exec
	s_and_b64 s[36:37], s[8:9], exec
; %bb.142:
	s_or_b64 exec, exec, s[4:5]
	s_and_b64 vcc, exec, s[72:73]
	s_cbranch_vccnz .LBB758_14
.LBB758_143:
	s_branch .LBB758_225
.LBB758_144:
	s_mov_b64 s[6:7], -1
	s_mov_b64 s[38:39], 0
                                        ; implicit-def: $vgpr3
                                        ; implicit-def: $vgpr2
.LBB758_145:
	s_and_b64 vcc, exec, s[6:7]
	s_cbranch_vccz .LBB758_212
; %bb.146:
	s_sub_i32 s44, s70, s4
	s_waitcnt vmcnt(0)
	v_mov_b32_e32 v2, 0
	v_cmp_gt_u32_e32 vcc, s44, v0
	s_waitcnt lgkmcnt(0)
	v_mov_b32_e32 v3, v2
	v_mov_b32_e32 v4, v2
	;; [unrolled: 1-line block ×15, first 2 shown]
	s_and_saveexec_b64 s[4:5], vcc
	s_cbranch_execz .LBB758_148
; %bb.147:
	v_lshlrev_b32_e32 v1, 2, v0
	global_load_dword v4, v1, s[40:41]
	v_mov_b32_e32 v5, v2
	v_mov_b32_e32 v6, v2
	v_mov_b32_e32 v7, v2
	v_mov_b32_e32 v8, v2
	v_mov_b32_e32 v9, v2
	v_mov_b32_e32 v10, v2
	v_mov_b32_e32 v11, v2
	v_mov_b32_e32 v12, v2
	v_mov_b32_e32 v13, v2
	v_mov_b32_e32 v14, v2
	v_mov_b32_e32 v15, v2
	v_mov_b32_e32 v16, v2
	v_mov_b32_e32 v17, v2
	v_mov_b32_e32 v18, v2
	v_mov_b32_e32 v19, v2
	s_waitcnt vmcnt(0)
	v_mov_b64_e32 v[2:3], v[4:5]
	v_mov_b64_e32 v[4:5], v[6:7]
	;; [unrolled: 1-line block ×8, first 2 shown]
.LBB758_148:
	s_or_b64 exec, exec, s[4:5]
	v_or_b32_e32 v1, 0x100, v0
	v_cmp_gt_u32_e64 s[30:31], s44, v1
	s_and_saveexec_b64 s[4:5], s[30:31]
	s_cbranch_execz .LBB758_150
; %bb.149:
	v_lshlrev_b32_e32 v1, 2, v0
	global_load_dword v3, v1, s[40:41] offset:1024
.LBB758_150:
	s_or_b64 exec, exec, s[4:5]
	v_or_b32_e32 v1, 0x200, v0
	v_cmp_gt_u32_e64 s[28:29], s44, v1
	s_and_saveexec_b64 s[4:5], s[28:29]
	s_cbranch_execz .LBB758_152
; %bb.151:
	v_lshlrev_b32_e32 v1, 2, v0
	global_load_dword v4, v1, s[40:41] offset:2048
.LBB758_152:
	;; [unrolled: 9-line block ×3, first 2 shown]
	s_or_b64 exec, exec, s[4:5]
	v_or_b32_e32 v1, 0x400, v0
	v_cmp_gt_u32_e64 s[24:25], s44, v1
	s_and_saveexec_b64 s[4:5], s[24:25]
	s_cbranch_execz .LBB758_156
; %bb.155:
	v_lshlrev_b32_e32 v1, 2, v1
	global_load_dword v6, v1, s[40:41]
.LBB758_156:
	s_or_b64 exec, exec, s[4:5]
	v_or_b32_e32 v1, 0x500, v0
	v_cmp_gt_u32_e64 s[22:23], s44, v1
	s_and_saveexec_b64 s[4:5], s[22:23]
	s_cbranch_execz .LBB758_158
; %bb.157:
	v_lshlrev_b32_e32 v1, 2, v1
	global_load_dword v7, v1, s[40:41]
.LBB758_158:
	s_or_b64 exec, exec, s[4:5]
	v_or_b32_e32 v1, 0x600, v0
	v_cmp_gt_u32_e64 s[20:21], s44, v1
	s_and_saveexec_b64 s[4:5], s[20:21]
	s_cbranch_execz .LBB758_160
; %bb.159:
	v_lshlrev_b32_e32 v1, 2, v1
	global_load_dword v8, v1, s[40:41]
.LBB758_160:
	s_or_b64 exec, exec, s[4:5]
	v_or_b32_e32 v1, 0x700, v0
	v_cmp_gt_u32_e64 s[18:19], s44, v1
	s_and_saveexec_b64 s[4:5], s[18:19]
	s_cbranch_execz .LBB758_162
; %bb.161:
	v_lshlrev_b32_e32 v1, 2, v1
	global_load_dword v9, v1, s[40:41]
.LBB758_162:
	s_or_b64 exec, exec, s[4:5]
	v_or_b32_e32 v1, 0x800, v0
	v_cmp_gt_u32_e64 s[16:17], s44, v1
	s_and_saveexec_b64 s[4:5], s[16:17]
	s_cbranch_execz .LBB758_164
; %bb.163:
	v_lshlrev_b32_e32 v1, 2, v1
	global_load_dword v10, v1, s[40:41]
.LBB758_164:
	s_or_b64 exec, exec, s[4:5]
	v_or_b32_e32 v1, 0x900, v0
	v_cmp_gt_u32_e64 s[14:15], s44, v1
	s_and_saveexec_b64 s[4:5], s[14:15]
	s_cbranch_execz .LBB758_166
; %bb.165:
	v_lshlrev_b32_e32 v1, 2, v1
	global_load_dword v11, v1, s[40:41]
.LBB758_166:
	s_or_b64 exec, exec, s[4:5]
	v_or_b32_e32 v1, 0xa00, v0
	v_cmp_gt_u32_e64 s[12:13], s44, v1
	s_and_saveexec_b64 s[4:5], s[12:13]
	s_cbranch_execz .LBB758_168
; %bb.167:
	v_lshlrev_b32_e32 v1, 2, v1
	global_load_dword v12, v1, s[40:41]
.LBB758_168:
	s_or_b64 exec, exec, s[4:5]
	v_or_b32_e32 v1, 0xb00, v0
	v_cmp_gt_u32_e64 s[10:11], s44, v1
	s_and_saveexec_b64 s[4:5], s[10:11]
	s_cbranch_execz .LBB758_170
; %bb.169:
	v_lshlrev_b32_e32 v1, 2, v1
	global_load_dword v13, v1, s[40:41]
.LBB758_170:
	s_or_b64 exec, exec, s[4:5]
	v_or_b32_e32 v1, 0xc00, v0
	v_cmp_gt_u32_e64 s[8:9], s44, v1
	s_and_saveexec_b64 s[4:5], s[8:9]
	s_cbranch_execz .LBB758_172
; %bb.171:
	v_lshlrev_b32_e32 v1, 2, v1
	global_load_dword v14, v1, s[40:41]
.LBB758_172:
	s_or_b64 exec, exec, s[4:5]
	v_or_b32_e32 v1, 0xd00, v0
	v_cmp_gt_u32_e64 s[6:7], s44, v1
	s_and_saveexec_b64 s[4:5], s[6:7]
	s_cbranch_execz .LBB758_174
; %bb.173:
	v_lshlrev_b32_e32 v1, 2, v1
	global_load_dword v15, v1, s[40:41]
.LBB758_174:
	s_or_b64 exec, exec, s[4:5]
	v_or_b32_e32 v1, 0xe00, v0
	v_cmp_gt_u32_e64 s[4:5], s44, v1
	s_and_saveexec_b64 s[42:43], s[4:5]
	s_cbranch_execz .LBB758_176
; %bb.175:
	v_lshlrev_b32_e32 v1, 2, v1
	global_load_dword v16, v1, s[40:41]
.LBB758_176:
	s_or_b64 exec, exec, s[42:43]
	v_or_b32_e32 v1, 0xf00, v0
	v_cmp_gt_u32_e32 vcc, s44, v1
	s_and_saveexec_b64 s[42:43], vcc
	s_cbranch_execnz .LBB758_442
; %bb.177:
	s_or_b64 exec, exec, s[42:43]
	s_and_saveexec_b64 s[40:41], s[30:31]
	s_cbranch_execnz .LBB758_443
.LBB758_178:
	s_or_b64 exec, exec, s[40:41]
	s_and_saveexec_b64 s[30:31], s[28:29]
	s_cbranch_execnz .LBB758_444
.LBB758_179:
	s_or_b64 exec, exec, s[30:31]
	s_and_saveexec_b64 s[28:29], s[26:27]
	s_cbranch_execnz .LBB758_445
.LBB758_180:
	s_or_b64 exec, exec, s[28:29]
	s_and_saveexec_b64 s[26:27], s[24:25]
	s_cbranch_execnz .LBB758_446
.LBB758_181:
	s_or_b64 exec, exec, s[26:27]
	s_and_saveexec_b64 s[24:25], s[22:23]
	s_cbranch_execnz .LBB758_447
.LBB758_182:
	s_or_b64 exec, exec, s[24:25]
	s_and_saveexec_b64 s[22:23], s[20:21]
	s_cbranch_execnz .LBB758_448
.LBB758_183:
	s_or_b64 exec, exec, s[22:23]
	s_and_saveexec_b64 s[20:21], s[18:19]
	s_cbranch_execnz .LBB758_449
.LBB758_184:
	s_or_b64 exec, exec, s[20:21]
	s_and_saveexec_b64 s[18:19], s[16:17]
	s_cbranch_execnz .LBB758_450
.LBB758_185:
	s_or_b64 exec, exec, s[18:19]
	s_and_saveexec_b64 s[16:17], s[14:15]
	s_cbranch_execnz .LBB758_451
.LBB758_186:
	s_or_b64 exec, exec, s[16:17]
	s_and_saveexec_b64 s[14:15], s[12:13]
	s_cbranch_execnz .LBB758_452
.LBB758_187:
	s_or_b64 exec, exec, s[14:15]
	s_and_saveexec_b64 s[12:13], s[10:11]
	s_cbranch_execnz .LBB758_453
.LBB758_188:
	s_or_b64 exec, exec, s[12:13]
	s_and_saveexec_b64 s[10:11], s[8:9]
	s_cbranch_execnz .LBB758_454
.LBB758_189:
	s_or_b64 exec, exec, s[10:11]
	s_and_saveexec_b64 s[8:9], s[6:7]
	s_cbranch_execnz .LBB758_455
.LBB758_190:
	s_or_b64 exec, exec, s[8:9]
	s_and_saveexec_b64 s[6:7], s[4:5]
	s_cbranch_execnz .LBB758_456
.LBB758_191:
	s_or_b64 exec, exec, s[6:7]
	s_and_saveexec_b64 s[4:5], vcc
	s_cbranch_execz .LBB758_193
.LBB758_192:
	s_waitcnt vmcnt(0)
	v_add_f32_e32 v1, v17, v2
	v_cvt_i32_f32_e32 v2, v1
	v_ashrrev_i32_e32 v3, 31, v2
	v_lshl_add_u64 v[2:3], v[2:3], 2, s[66:67]
	global_load_dword v2, v[2:3], off
.LBB758_193:
	s_or_b64 exec, exec, s[4:5]
	v_mbcnt_lo_u32_b32 v1, -1, 0
	v_mbcnt_hi_u32_b32 v1, -1, v1
	s_waitcnt vmcnt(0)
	v_and_b32_e32 v3, 63, v1
	v_cmp_ne_u32_e32 vcc, 63, v3
	s_min_u32 s6, s44, 0x100
	v_add_u32_e32 v6, 1, v3
	v_addc_co_u32_e32 v4, vcc, 0, v1, vcc
	v_lshlrev_b32_e32 v4, 2, v4
	ds_bpermute_b32 v5, v4, v2
	v_and_b32_e32 v4, 0xc0, v0
	v_sub_u32_e64 v4, s6, v4 clamp
	v_cmp_lt_u32_e32 vcc, v6, v4
	s_and_saveexec_b64 s[4:5], vcc
	s_xor_b64 s[4:5], exec, s[4:5]
	s_cbranch_execz .LBB758_195
; %bb.194:
	s_waitcnt lgkmcnt(0)
	v_add_f32_e32 v2, v2, v5
	v_cvt_i32_f32_e32 v6, v2
	v_ashrrev_i32_e32 v7, 31, v6
	v_lshl_add_u64 v[6:7], v[6:7], 2, s[66:67]
	global_load_dword v2, v[6:7], off
.LBB758_195:
	s_or_b64 exec, exec, s[4:5]
	v_cmp_gt_u32_e32 vcc, 62, v3
	v_add_u32_e32 v6, 2, v3
	s_waitcnt lgkmcnt(0)
	v_cndmask_b32_e64 v5, 0, 2, vcc
	v_add_lshl_u32 v5, v5, v1, 2
	s_waitcnt vmcnt(0)
	ds_bpermute_b32 v5, v5, v2
	v_cmp_lt_u32_e32 vcc, v6, v4
	s_and_saveexec_b64 s[4:5], vcc
	s_cbranch_execz .LBB758_197
; %bb.196:
	s_waitcnt lgkmcnt(0)
	v_add_f32_e32 v2, v2, v5
	v_cvt_i32_f32_e32 v6, v2
	v_ashrrev_i32_e32 v7, 31, v6
	v_lshl_add_u64 v[6:7], v[6:7], 2, s[66:67]
	global_load_dword v2, v[6:7], off
.LBB758_197:
	s_or_b64 exec, exec, s[4:5]
	v_cmp_gt_u32_e32 vcc, 60, v3
	v_add_u32_e32 v6, 4, v3
	s_waitcnt lgkmcnt(0)
	v_cndmask_b32_e64 v5, 0, 4, vcc
	v_add_lshl_u32 v5, v5, v1, 2
	s_waitcnt vmcnt(0)
	ds_bpermute_b32 v5, v5, v2
	v_cmp_lt_u32_e32 vcc, v6, v4
	s_and_saveexec_b64 s[4:5], vcc
	;; [unrolled: 19-line block ×4, first 2 shown]
	s_cbranch_execz .LBB758_203
; %bb.202:
	s_waitcnt lgkmcnt(0)
	v_add_f32_e32 v2, v2, v5
	v_cvt_i32_f32_e32 v6, v2
	v_ashrrev_i32_e32 v7, 31, v6
	v_lshl_add_u64 v[6:7], v[6:7], 2, s[66:67]
	global_load_dword v2, v[6:7], off
.LBB758_203:
	s_or_b64 exec, exec, s[4:5]
	s_waitcnt lgkmcnt(0)
	v_lshlrev_b32_e32 v5, 2, v1
	v_or_b32_e32 v6, 0x80, v5
	s_waitcnt vmcnt(0)
	ds_bpermute_b32 v6, v6, v2
	v_add_u32_e32 v3, 32, v3
	v_cmp_lt_u32_e32 vcc, v3, v4
	s_and_saveexec_b64 s[4:5], vcc
	s_cbranch_execz .LBB758_205
; %bb.204:
	s_waitcnt lgkmcnt(0)
	v_add_f32_e32 v2, v2, v6
	v_cvt_i32_f32_e32 v2, v2
	v_ashrrev_i32_e32 v3, 31, v2
	v_lshl_add_u64 v[2:3], v[2:3], 2, s[66:67]
	global_load_dword v2, v[2:3], off
.LBB758_205:
	s_or_b64 exec, exec, s[4:5]
	v_cmp_eq_u32_e32 vcc, 0, v1
	s_and_saveexec_b64 s[4:5], vcc
	s_cbranch_execz .LBB758_207
; %bb.206:
	v_lshrrev_b32_e32 v3, 4, v0
	v_and_b32_e32 v3, 12, v3
	s_waitcnt vmcnt(0)
	ds_write_b32 v3, v2
.LBB758_207:
	s_or_b64 exec, exec, s[4:5]
	v_cmp_gt_u32_e32 vcc, 4, v0
	s_waitcnt lgkmcnt(0)
	s_barrier
                                        ; implicit-def: $vgpr3
	s_and_saveexec_b64 s[4:5], vcc
	s_cbranch_execz .LBB758_211
; %bb.208:
	s_waitcnt vmcnt(0)
	ds_read_b32 v2, v5
	v_and_b32_e32 v3, 3, v1
	v_cmp_ne_u32_e32 vcc, 3, v3
	s_add_i32 s6, s6, 63
	s_lshr_b32 s8, s6, 6
	v_addc_co_u32_e32 v1, vcc, 0, v1, vcc
	v_lshlrev_b32_e32 v1, 2, v1
	s_waitcnt lgkmcnt(0)
	ds_bpermute_b32 v1, v1, v2
	v_add_u32_e32 v4, 1, v3
	v_cmp_gt_u32_e32 vcc, s8, v4
	s_and_saveexec_b64 s[6:7], vcc
	s_cbranch_execz .LBB758_210
; %bb.209:
	s_waitcnt lgkmcnt(0)
	v_add_f32_e32 v1, v2, v1
	v_cvt_i32_f32_e32 v6, v1
	v_ashrrev_i32_e32 v7, 31, v6
	v_lshl_add_u64 v[6:7], v[6:7], 2, s[66:67]
	global_load_dword v2, v[6:7], off
.LBB758_210:
	s_or_b64 exec, exec, s[6:7]
	s_waitcnt lgkmcnt(0)
	v_add_u32_e32 v1, 2, v3
	v_or_b32_e32 v3, 8, v5
	s_waitcnt vmcnt(0)
	ds_bpermute_b32 v3, v3, v2
	v_cmp_gt_u32_e32 vcc, s8, v1
	s_andn2_b64 s[6:7], s[38:39], exec
	s_and_b64 s[8:9], vcc, exec
	s_or_b64 s[38:39], s[6:7], s[8:9]
.LBB758_211:
	s_or_b64 exec, exec, s[4:5]
.LBB758_212:
	s_and_saveexec_b64 s[4:5], s[38:39]
	s_cbranch_execz .LBB758_214
; %bb.213:
	s_waitcnt vmcnt(0) lgkmcnt(0)
	v_add_f32_e32 v1, v2, v3
	v_cvt_i32_f32_e32 v2, v1
	v_ashrrev_i32_e32 v3, 31, v2
	v_lshl_add_u64 v[2:3], v[2:3], 2, s[66:67]
	global_load_dword v2, v[2:3], off
.LBB758_214:
	s_or_b64 exec, exec, s[4:5]
	v_cmp_eq_u32_e32 vcc, 0, v0
	s_and_saveexec_b64 s[4:5], vcc
	s_xor_b64 s[4:5], exec, s[4:5]
	s_cbranch_execz .LBB758_216
; %bb.215:
	s_cmp_eq_u64 s[70:71], 0
	s_cselect_b64 s[6:7], -1, 0
	s_cmp_lg_u64 s[70:71], 0
	s_cselect_b64 s[8:9], -1, 0
	s_andn2_b64 s[10:11], s[34:35], exec
	s_and_b64 s[6:7], s[6:7], exec
	s_or_b64 s[34:35], s[10:11], s[6:7]
	s_andn2_b64 s[6:7], s[36:37], exec
	s_and_b64 s[8:9], s[8:9], exec
	s_or_b64 s[36:37], s[6:7], s[8:9]
.LBB758_216:
	s_or_b64 exec, exec, s[4:5]
	s_branch .LBB758_225
.LBB758_217:
	s_cmp_eq_u32 s80, 8
	s_cbranch_scc0 .LBB758_224
; %bb.218:
	s_mov_b32 s3, 0
	s_lshl_b32 s4, s2, 11
	s_mov_b32 s5, s3
	s_lshr_b64 s[6:7], s[70:71], 11
	s_lshl_b64 s[8:9], s[4:5], 2
	s_add_u32 s18, s68, s8
	s_addc_u32 s19, s69, s9
	s_cmp_lg_u64 s[6:7], s[2:3]
	s_cbranch_scc0 .LBB758_226
; %bb.219:
	s_waitcnt vmcnt(0)
	v_lshlrev_b32_e32 v2, 2, v0
	global_load_dword v1, v2, s[18:19]
	s_waitcnt lgkmcnt(0)
	global_load_dword v3, v2, s[18:19] offset:1024
	global_load_dword v6, v2, s[18:19] offset:2048
	;; [unrolled: 1-line block ×3, first 2 shown]
	s_waitcnt vmcnt(2)
	v_add_f32_e32 v1, v1, v3
	v_cvt_i32_f32_e32 v4, v1
	v_mov_b32_e32 v3, 0
	v_lshl_add_u64 v[2:3], s[18:19], 0, v[2:3]
	v_add_co_u32_e32 v2, vcc, 0x1000, v2
	v_ashrrev_i32_e32 v5, 31, v4
	v_lshl_add_u64 v[4:5], v[4:5], 2, s[66:67]
	global_load_dword v1, v[4:5], off
	v_addc_co_u32_e32 v3, vcc, 0, v3, vcc
	s_waitcnt vmcnt(0)
	v_add_f32_e32 v1, v6, v1
	v_cvt_i32_f32_e32 v4, v1
	v_ashrrev_i32_e32 v5, 31, v4
	v_lshl_add_u64 v[4:5], v[4:5], 2, s[66:67]
	global_load_dword v1, v[4:5], off
	s_waitcnt vmcnt(0)
	v_add_f32_e32 v1, v7, v1
	v_cvt_i32_f32_e32 v4, v1
	v_ashrrev_i32_e32 v5, 31, v4
	v_lshl_add_u64 v[4:5], v[4:5], 2, s[66:67]
	global_load_dword v1, v[4:5], off
	global_load_dword v6, v[2:3], off
	global_load_dword v7, v[2:3], off offset:1024
	global_load_dword v8, v[2:3], off offset:2048
	;; [unrolled: 1-line block ×3, first 2 shown]
	s_waitcnt vmcnt(3)
	v_add_f32_e32 v1, v6, v1
	v_cvt_i32_f32_e32 v2, v1
	v_ashrrev_i32_e32 v3, 31, v2
	v_lshl_add_u64 v[2:3], v[2:3], 2, s[66:67]
	global_load_dword v1, v[2:3], off
	s_waitcnt vmcnt(0)
	v_add_f32_e32 v1, v7, v1
	v_cvt_i32_f32_e32 v2, v1
	v_ashrrev_i32_e32 v3, 31, v2
	v_lshl_add_u64 v[2:3], v[2:3], 2, s[66:67]
	global_load_dword v1, v[2:3], off
	;; [unrolled: 6-line block ×4, first 2 shown]
	s_waitcnt vmcnt(0)
	s_nop 0
	v_add_f32_dpp v1, v1, v1 quad_perm:[1,0,3,2] row_mask:0xf bank_mask:0xf bound_ctrl:1
	v_cvt_i32_f32_e32 v2, v1
	v_ashrrev_i32_e32 v3, 31, v2
	v_lshl_add_u64 v[2:3], v[2:3], 2, s[66:67]
	global_load_dword v1, v[2:3], off
	s_waitcnt vmcnt(0)
	s_nop 0
	v_add_f32_dpp v1, v1, v1 quad_perm:[2,3,0,1] row_mask:0xf bank_mask:0xf bound_ctrl:1
	v_cvt_i32_f32_e32 v2, v1
	v_ashrrev_i32_e32 v3, 31, v2
	v_lshl_add_u64 v[2:3], v[2:3], 2, s[66:67]
	global_load_dword v1, v[2:3], off
	s_waitcnt vmcnt(0)
	s_nop 0
	v_add_f32_dpp v1, v1, v1 row_ror:4 row_mask:0xf bank_mask:0xf bound_ctrl:1
	v_cvt_i32_f32_e32 v2, v1
	v_ashrrev_i32_e32 v3, 31, v2
	v_lshl_add_u64 v[2:3], v[2:3], 2, s[66:67]
	global_load_dword v1, v[2:3], off
	s_waitcnt vmcnt(0)
	s_nop 0
	v_add_f32_dpp v1, v1, v1 row_ror:8 row_mask:0xf bank_mask:0xf bound_ctrl:1
	v_cvt_i32_f32_e32 v2, v1
	v_ashrrev_i32_e32 v3, 31, v2
	v_lshl_add_u64 v[2:3], v[2:3], 2, s[66:67]
	global_load_dword v1, v[2:3], off
	s_waitcnt vmcnt(0)
	s_nop 0
	v_add_f32_dpp v1, v1, v1 row_bcast:15 row_mask:0xf bank_mask:0xf bound_ctrl:1
	v_cvt_i32_f32_e32 v2, v1
	v_ashrrev_i32_e32 v3, 31, v2
	v_lshl_add_u64 v[2:3], v[2:3], 2, s[66:67]
	global_load_dword v1, v[2:3], off
	s_waitcnt vmcnt(0)
	s_nop 0
	v_add_f32_dpp v1, v1, v1 row_bcast:31 row_mask:0xf bank_mask:0xf bound_ctrl:1
	v_cvt_i32_f32_e32 v2, v1
	v_mbcnt_lo_u32_b32 v1, -1, 0
	v_mbcnt_hi_u32_b32 v4, -1, v1
	v_lshlrev_b32_e32 v1, 2, v4
	v_ashrrev_i32_e32 v3, 31, v2
	v_lshl_add_u64 v[2:3], v[2:3], 2, s[66:67]
	global_load_dword v2, v[2:3], off
	v_or_b32_e32 v3, 0xfc, v1
	v_cmp_eq_u32_e32 vcc, 0, v4
	s_waitcnt vmcnt(0)
	ds_bpermute_b32 v2, v3, v2
	s_and_saveexec_b64 s[6:7], vcc
	s_cbranch_execz .LBB758_221
; %bb.220:
	v_lshrrev_b32_e32 v3, 4, v0
	v_and_b32_e32 v3, 12, v3
	s_waitcnt lgkmcnt(0)
	ds_write_b32 v3, v2 offset:96
.LBB758_221:
	s_or_b64 exec, exec, s[6:7]
	v_cmp_gt_u32_e32 vcc, 64, v0
	s_mov_b64 s[6:7], 0
	s_mov_b64 s[16:17], 0
	s_waitcnt lgkmcnt(0)
	s_barrier
                                        ; implicit-def: $vgpr3
	s_and_saveexec_b64 s[8:9], vcc
	s_xor_b64 s[8:9], exec, s[8:9]
	s_cbranch_execz .LBB758_223
; %bb.222:
	v_and_b32_e32 v2, 3, v4
	v_lshlrev_b32_e32 v3, 2, v2
	ds_read_b32 v3, v3 offset:96
	v_cmp_ne_u32_e32 vcc, 3, v2
	v_or_b32_e32 v1, 8, v1
	s_mov_b64 s[16:17], exec
	v_addc_co_u32_e32 v2, vcc, 0, v4, vcc
	v_lshlrev_b32_e32 v2, 2, v2
	s_waitcnt lgkmcnt(0)
	ds_bpermute_b32 v2, v2, v3
	s_waitcnt lgkmcnt(0)
	v_add_f32_e32 v2, v3, v2
	v_cvt_i32_f32_e32 v2, v2
	v_ashrrev_i32_e32 v3, 31, v2
	v_lshl_add_u64 v[2:3], v[2:3], 2, s[66:67]
	global_load_dword v2, v[2:3], off
	s_waitcnt vmcnt(0)
	ds_bpermute_b32 v3, v1, v2
.LBB758_223:
	s_or_b64 exec, exec, s[8:9]
	s_and_b64 vcc, exec, s[6:7]
	s_cbranch_vccnz .LBB758_227
	s_branch .LBB758_269
.LBB758_224:
                                        ; implicit-def: $vgpr2
.LBB758_225:
	s_branch .LBB758_379
.LBB758_226:
	s_mov_b64 s[16:17], 0
                                        ; implicit-def: $vgpr3
                                        ; implicit-def: $vgpr2
	s_cbranch_execz .LBB758_269
.LBB758_227:
	s_sub_i32 s22, s70, s4
	s_waitcnt vmcnt(0)
	v_mov_b32_e32 v2, 0
	v_cmp_gt_u32_e32 vcc, s22, v0
	s_waitcnt lgkmcnt(0)
	v_mov_b32_e32 v3, v2
	v_mov_b32_e32 v4, v2
	;; [unrolled: 1-line block ×7, first 2 shown]
	s_and_saveexec_b64 s[4:5], vcc
	s_cbranch_execz .LBB758_229
; %bb.228:
	v_lshlrev_b32_e32 v1, 2, v0
	global_load_dword v4, v1, s[18:19]
	v_mov_b32_e32 v5, v2
	v_mov_b32_e32 v6, v2
	;; [unrolled: 1-line block ×7, first 2 shown]
	s_waitcnt vmcnt(0)
	v_mov_b64_e32 v[2:3], v[4:5]
	v_mov_b64_e32 v[4:5], v[6:7]
	;; [unrolled: 1-line block ×4, first 2 shown]
.LBB758_229:
	s_or_b64 exec, exec, s[4:5]
	v_or_b32_e32 v1, 0x100, v0
	v_cmp_gt_u32_e64 s[14:15], s22, v1
	s_and_saveexec_b64 s[4:5], s[14:15]
	s_cbranch_execz .LBB758_231
; %bb.230:
	v_lshlrev_b32_e32 v1, 2, v0
	global_load_dword v3, v1, s[18:19] offset:1024
.LBB758_231:
	s_or_b64 exec, exec, s[4:5]
	v_or_b32_e32 v1, 0x200, v0
	v_cmp_gt_u32_e64 s[12:13], s22, v1
	s_and_saveexec_b64 s[4:5], s[12:13]
	s_cbranch_execz .LBB758_233
; %bb.232:
	v_lshlrev_b32_e32 v1, 2, v0
	global_load_dword v4, v1, s[18:19] offset:2048
.LBB758_233:
	;; [unrolled: 9-line block ×3, first 2 shown]
	s_or_b64 exec, exec, s[4:5]
	v_or_b32_e32 v1, 0x400, v0
	v_cmp_gt_u32_e64 s[8:9], s22, v1
	s_and_saveexec_b64 s[4:5], s[8:9]
	s_cbranch_execz .LBB758_237
; %bb.236:
	v_lshlrev_b32_e32 v1, 2, v1
	global_load_dword v6, v1, s[18:19]
.LBB758_237:
	s_or_b64 exec, exec, s[4:5]
	v_or_b32_e32 v1, 0x500, v0
	v_cmp_gt_u32_e64 s[6:7], s22, v1
	s_and_saveexec_b64 s[4:5], s[6:7]
	s_cbranch_execz .LBB758_239
; %bb.238:
	v_lshlrev_b32_e32 v1, 2, v1
	global_load_dword v7, v1, s[18:19]
.LBB758_239:
	;; [unrolled: 9-line block ×3, first 2 shown]
	s_or_b64 exec, exec, s[20:21]
	v_or_b32_e32 v1, 0x700, v0
	v_cmp_gt_u32_e32 vcc, s22, v1
	s_and_saveexec_b64 s[20:21], vcc
	s_cbranch_execnz .LBB758_287
; %bb.242:
	s_or_b64 exec, exec, s[20:21]
	s_and_saveexec_b64 s[18:19], s[14:15]
	s_cbranch_execnz .LBB758_288
.LBB758_243:
	s_or_b64 exec, exec, s[18:19]
	s_and_saveexec_b64 s[14:15], s[12:13]
	s_cbranch_execnz .LBB758_289
.LBB758_244:
	s_or_b64 exec, exec, s[14:15]
	s_and_saveexec_b64 s[12:13], s[10:11]
	s_cbranch_execnz .LBB758_290
.LBB758_245:
	s_or_b64 exec, exec, s[12:13]
	s_and_saveexec_b64 s[10:11], s[8:9]
	s_cbranch_execnz .LBB758_291
.LBB758_246:
	s_or_b64 exec, exec, s[10:11]
	s_and_saveexec_b64 s[8:9], s[6:7]
	s_cbranch_execnz .LBB758_292
.LBB758_247:
	s_or_b64 exec, exec, s[8:9]
	s_and_saveexec_b64 s[6:7], s[4:5]
	s_cbranch_execnz .LBB758_293
.LBB758_248:
	s_or_b64 exec, exec, s[6:7]
	s_and_saveexec_b64 s[4:5], vcc
	s_cbranch_execz .LBB758_250
.LBB758_249:
	s_waitcnt vmcnt(0)
	v_add_f32_e32 v1, v9, v2
	v_cvt_i32_f32_e32 v2, v1
	v_ashrrev_i32_e32 v3, 31, v2
	v_lshl_add_u64 v[2:3], v[2:3], 2, s[66:67]
	global_load_dword v2, v[2:3], off
.LBB758_250:
	s_or_b64 exec, exec, s[4:5]
	v_mbcnt_lo_u32_b32 v1, -1, 0
	v_mbcnt_hi_u32_b32 v1, -1, v1
	s_waitcnt vmcnt(0)
	v_and_b32_e32 v3, 63, v1
	v_cmp_ne_u32_e32 vcc, 63, v3
	s_min_u32 s6, s22, 0x100
	v_add_u32_e32 v6, 1, v3
	v_addc_co_u32_e32 v4, vcc, 0, v1, vcc
	v_lshlrev_b32_e32 v4, 2, v4
	ds_bpermute_b32 v5, v4, v2
	v_and_b32_e32 v4, 0xc0, v0
	v_sub_u32_e64 v4, s6, v4 clamp
	v_cmp_lt_u32_e32 vcc, v6, v4
	s_and_saveexec_b64 s[4:5], vcc
	s_xor_b64 s[4:5], exec, s[4:5]
	s_cbranch_execz .LBB758_252
; %bb.251:
	s_waitcnt lgkmcnt(0)
	v_add_f32_e32 v2, v2, v5
	v_cvt_i32_f32_e32 v6, v2
	v_ashrrev_i32_e32 v7, 31, v6
	v_lshl_add_u64 v[6:7], v[6:7], 2, s[66:67]
	global_load_dword v2, v[6:7], off
.LBB758_252:
	s_or_b64 exec, exec, s[4:5]
	v_cmp_gt_u32_e32 vcc, 62, v3
	v_add_u32_e32 v6, 2, v3
	s_waitcnt lgkmcnt(0)
	v_cndmask_b32_e64 v5, 0, 2, vcc
	v_add_lshl_u32 v5, v5, v1, 2
	s_waitcnt vmcnt(0)
	ds_bpermute_b32 v5, v5, v2
	v_cmp_lt_u32_e32 vcc, v6, v4
	s_and_saveexec_b64 s[4:5], vcc
	s_cbranch_execz .LBB758_254
; %bb.253:
	s_waitcnt lgkmcnt(0)
	v_add_f32_e32 v2, v2, v5
	v_cvt_i32_f32_e32 v6, v2
	v_ashrrev_i32_e32 v7, 31, v6
	v_lshl_add_u64 v[6:7], v[6:7], 2, s[66:67]
	global_load_dword v2, v[6:7], off
.LBB758_254:
	s_or_b64 exec, exec, s[4:5]
	v_cmp_gt_u32_e32 vcc, 60, v3
	v_add_u32_e32 v6, 4, v3
	s_waitcnt lgkmcnt(0)
	v_cndmask_b32_e64 v5, 0, 4, vcc
	v_add_lshl_u32 v5, v5, v1, 2
	s_waitcnt vmcnt(0)
	ds_bpermute_b32 v5, v5, v2
	v_cmp_lt_u32_e32 vcc, v6, v4
	s_and_saveexec_b64 s[4:5], vcc
	;; [unrolled: 19-line block ×4, first 2 shown]
	s_cbranch_execz .LBB758_260
; %bb.259:
	s_waitcnt lgkmcnt(0)
	v_add_f32_e32 v2, v2, v5
	v_cvt_i32_f32_e32 v6, v2
	v_ashrrev_i32_e32 v7, 31, v6
	v_lshl_add_u64 v[6:7], v[6:7], 2, s[66:67]
	global_load_dword v2, v[6:7], off
.LBB758_260:
	s_or_b64 exec, exec, s[4:5]
	s_waitcnt lgkmcnt(0)
	v_lshlrev_b32_e32 v5, 2, v1
	v_or_b32_e32 v6, 0x80, v5
	s_waitcnt vmcnt(0)
	ds_bpermute_b32 v6, v6, v2
	v_add_u32_e32 v3, 32, v3
	v_cmp_lt_u32_e32 vcc, v3, v4
	s_and_saveexec_b64 s[4:5], vcc
	s_cbranch_execz .LBB758_262
; %bb.261:
	s_waitcnt lgkmcnt(0)
	v_add_f32_e32 v2, v2, v6
	v_cvt_i32_f32_e32 v2, v2
	v_ashrrev_i32_e32 v3, 31, v2
	v_lshl_add_u64 v[2:3], v[2:3], 2, s[66:67]
	global_load_dword v2, v[2:3], off
.LBB758_262:
	s_or_b64 exec, exec, s[4:5]
	v_cmp_eq_u32_e32 vcc, 0, v1
	s_and_saveexec_b64 s[4:5], vcc
	s_cbranch_execz .LBB758_264
; %bb.263:
	v_lshrrev_b32_e32 v3, 4, v0
	v_and_b32_e32 v3, 12, v3
	s_waitcnt vmcnt(0)
	ds_write_b32 v3, v2
.LBB758_264:
	s_or_b64 exec, exec, s[4:5]
	v_cmp_gt_u32_e32 vcc, 4, v0
	s_waitcnt lgkmcnt(0)
	s_barrier
                                        ; implicit-def: $vgpr3
	s_and_saveexec_b64 s[4:5], vcc
	s_cbranch_execz .LBB758_268
; %bb.265:
	s_waitcnt vmcnt(0)
	ds_read_b32 v2, v5
	v_and_b32_e32 v3, 3, v1
	v_cmp_ne_u32_e32 vcc, 3, v3
	s_add_i32 s6, s6, 63
	s_lshr_b32 s8, s6, 6
	v_addc_co_u32_e32 v1, vcc, 0, v1, vcc
	v_lshlrev_b32_e32 v1, 2, v1
	s_waitcnt lgkmcnt(0)
	ds_bpermute_b32 v1, v1, v2
	v_add_u32_e32 v4, 1, v3
	v_cmp_gt_u32_e32 vcc, s8, v4
	s_and_saveexec_b64 s[6:7], vcc
	s_cbranch_execz .LBB758_267
; %bb.266:
	s_waitcnt lgkmcnt(0)
	v_add_f32_e32 v1, v2, v1
	v_cvt_i32_f32_e32 v6, v1
	v_ashrrev_i32_e32 v7, 31, v6
	v_lshl_add_u64 v[6:7], v[6:7], 2, s[66:67]
	global_load_dword v2, v[6:7], off
.LBB758_267:
	s_or_b64 exec, exec, s[6:7]
	s_waitcnt lgkmcnt(0)
	v_add_u32_e32 v1, 2, v3
	v_or_b32_e32 v3, 8, v5
	s_waitcnt vmcnt(0)
	ds_bpermute_b32 v3, v3, v2
	v_cmp_gt_u32_e32 vcc, s8, v1
	s_andn2_b64 s[6:7], s[16:17], exec
	s_and_b64 s[8:9], vcc, exec
	s_or_b64 s[16:17], s[6:7], s[8:9]
.LBB758_268:
	s_or_b64 exec, exec, s[4:5]
.LBB758_269:
	s_and_saveexec_b64 s[4:5], s[16:17]
	s_cbranch_execz .LBB758_271
; %bb.270:
	s_waitcnt vmcnt(0) lgkmcnt(0)
	v_add_f32_e32 v1, v2, v3
	v_cvt_i32_f32_e32 v2, v1
	v_ashrrev_i32_e32 v3, 31, v2
	v_lshl_add_u64 v[2:3], v[2:3], 2, s[66:67]
	global_load_dword v2, v[2:3], off
.LBB758_271:
	s_or_b64 exec, exec, s[4:5]
	v_cmp_eq_u32_e32 vcc, 0, v0
	s_and_saveexec_b64 s[4:5], vcc
	s_xor_b64 s[4:5], exec, s[4:5]
	s_cbranch_execz .LBB758_273
; %bb.272:
	s_cmp_eq_u64 s[70:71], 0
	s_cselect_b64 s[6:7], -1, 0
	s_cmp_lg_u64 s[70:71], 0
	s_cselect_b64 s[8:9], -1, 0
	s_andn2_b64 s[10:11], s[34:35], exec
	s_and_b64 s[6:7], s[6:7], exec
	s_or_b64 s[34:35], s[10:11], s[6:7]
	s_andn2_b64 s[6:7], s[36:37], exec
	s_and_b64 s[8:9], s[8:9], exec
	s_or_b64 s[36:37], s[6:7], s[8:9]
.LBB758_273:
	s_or_b64 exec, exec, s[4:5]
	s_branch .LBB758_379
.LBB758_274:
	s_cmp_gt_i32 s80, 1
	s_cbranch_scc0 .LBB758_283
; %bb.275:
	s_cmp_gt_i32 s80, 3
	s_cbranch_scc0 .LBB758_284
; %bb.276:
	s_cmp_eq_u32 s80, 4
	s_cbranch_scc0 .LBB758_285
; %bb.277:
	s_mov_b32 s3, 0
	s_lshl_b32 s4, s2, 10
	s_mov_b32 s5, s3
	s_lshr_b64 s[6:7], s[70:71], 10
	s_lshl_b64 s[8:9], s[4:5], 2
	s_add_u32 s10, s68, s8
	s_addc_u32 s11, s69, s9
	s_cmp_lg_u64 s[6:7], s[2:3]
	s_cbranch_scc0 .LBB758_294
; %bb.278:
	v_lshlrev_b32_e32 v1, 2, v0
	global_load_dword v2, v1, s[10:11]
	s_waitcnt lgkmcnt(0)
	global_load_dword v3, v1, s[10:11] offset:1024
	global_load_dword v4, v1, s[10:11] offset:2048
	;; [unrolled: 1-line block ×3, first 2 shown]
	s_waitcnt vmcnt(2)
	v_add_f32_e32 v1, v2, v3
	v_cvt_i32_f32_e32 v2, v1
	v_ashrrev_i32_e32 v3, 31, v2
	v_lshl_add_u64 v[2:3], v[2:3], 2, s[66:67]
	global_load_dword v1, v[2:3], off
	s_waitcnt vmcnt(0)
	v_add_f32_e32 v1, v4, v1
	v_cvt_i32_f32_e32 v2, v1
	v_ashrrev_i32_e32 v3, 31, v2
	v_lshl_add_u64 v[2:3], v[2:3], 2, s[66:67]
	global_load_dword v1, v[2:3], off
	;; [unrolled: 6-line block ×3, first 2 shown]
	s_waitcnt vmcnt(0)
	s_nop 0
	v_add_f32_dpp v1, v1, v1 quad_perm:[1,0,3,2] row_mask:0xf bank_mask:0xf bound_ctrl:1
	v_cvt_i32_f32_e32 v2, v1
	v_ashrrev_i32_e32 v3, 31, v2
	v_lshl_add_u64 v[2:3], v[2:3], 2, s[66:67]
	global_load_dword v1, v[2:3], off
	s_waitcnt vmcnt(0)
	s_nop 0
	v_add_f32_dpp v1, v1, v1 quad_perm:[2,3,0,1] row_mask:0xf bank_mask:0xf bound_ctrl:1
	v_cvt_i32_f32_e32 v2, v1
	v_ashrrev_i32_e32 v3, 31, v2
	v_lshl_add_u64 v[2:3], v[2:3], 2, s[66:67]
	global_load_dword v1, v[2:3], off
	s_waitcnt vmcnt(0)
	s_nop 0
	v_add_f32_dpp v1, v1, v1 row_ror:4 row_mask:0xf bank_mask:0xf bound_ctrl:1
	v_cvt_i32_f32_e32 v2, v1
	v_ashrrev_i32_e32 v3, 31, v2
	v_lshl_add_u64 v[2:3], v[2:3], 2, s[66:67]
	global_load_dword v1, v[2:3], off
	s_waitcnt vmcnt(0)
	s_nop 0
	v_add_f32_dpp v1, v1, v1 row_ror:8 row_mask:0xf bank_mask:0xf bound_ctrl:1
	v_cvt_i32_f32_e32 v2, v1
	v_ashrrev_i32_e32 v3, 31, v2
	v_lshl_add_u64 v[2:3], v[2:3], 2, s[66:67]
	global_load_dword v1, v[2:3], off
	s_waitcnt vmcnt(0)
	s_nop 0
	v_add_f32_dpp v1, v1, v1 row_bcast:15 row_mask:0xf bank_mask:0xf bound_ctrl:1
	v_cvt_i32_f32_e32 v2, v1
	v_ashrrev_i32_e32 v3, 31, v2
	v_lshl_add_u64 v[2:3], v[2:3], 2, s[66:67]
	global_load_dword v1, v[2:3], off
	s_waitcnt vmcnt(0)
	s_nop 0
	v_add_f32_dpp v1, v1, v1 row_bcast:31 row_mask:0xf bank_mask:0xf bound_ctrl:1
	v_cvt_i32_f32_e32 v2, v1
	v_mbcnt_lo_u32_b32 v1, -1, 0
	v_mbcnt_hi_u32_b32 v4, -1, v1
	v_lshlrev_b32_e32 v1, 2, v4
	v_ashrrev_i32_e32 v3, 31, v2
	v_lshl_add_u64 v[2:3], v[2:3], 2, s[66:67]
	global_load_dword v2, v[2:3], off
	v_or_b32_e32 v3, 0xfc, v1
	v_cmp_eq_u32_e32 vcc, 0, v4
	s_waitcnt vmcnt(0)
	ds_bpermute_b32 v2, v3, v2
	s_and_saveexec_b64 s[6:7], vcc
	s_cbranch_execz .LBB758_280
; %bb.279:
	v_lshrrev_b32_e32 v3, 4, v0
	v_and_b32_e32 v3, 12, v3
	s_waitcnt lgkmcnt(0)
	ds_write_b32 v3, v2 offset:80
.LBB758_280:
	s_or_b64 exec, exec, s[6:7]
	v_cmp_gt_u32_e32 vcc, 64, v0
	s_mov_b64 s[6:7], 0
	s_mov_b64 s[8:9], 0
	s_waitcnt lgkmcnt(0)
	s_barrier
                                        ; implicit-def: $vgpr3
	s_and_saveexec_b64 s[12:13], vcc
	s_xor_b64 s[12:13], exec, s[12:13]
	s_cbranch_execz .LBB758_282
; %bb.281:
	v_and_b32_e32 v2, 3, v4
	v_lshlrev_b32_e32 v3, 2, v2
	ds_read_b32 v3, v3 offset:80
	v_cmp_ne_u32_e32 vcc, 3, v2
	v_or_b32_e32 v1, 8, v1
	s_mov_b64 s[8:9], exec
	v_addc_co_u32_e32 v2, vcc, 0, v4, vcc
	v_lshlrev_b32_e32 v2, 2, v2
	s_waitcnt lgkmcnt(0)
	ds_bpermute_b32 v2, v2, v3
	s_waitcnt lgkmcnt(0)
	v_add_f32_e32 v2, v3, v2
	v_cvt_i32_f32_e32 v2, v2
	v_ashrrev_i32_e32 v3, 31, v2
	v_lshl_add_u64 v[2:3], v[2:3], 2, s[66:67]
	global_load_dword v2, v[2:3], off
	s_waitcnt vmcnt(0)
	ds_bpermute_b32 v3, v1, v2
.LBB758_282:
	s_or_b64 exec, exec, s[12:13]
	s_branch .LBB758_295
.LBB758_283:
                                        ; implicit-def: $vgpr2
	s_cbranch_execnz .LBB758_371
	s_branch .LBB758_379
.LBB758_284:
                                        ; implicit-def: $vgpr2
	s_cbranch_execz .LBB758_286
	s_branch .LBB758_331
.LBB758_285:
                                        ; implicit-def: $vgpr2
.LBB758_286:
	s_branch .LBB758_379
.LBB758_287:
	v_lshlrev_b32_e32 v1, 2, v1
	global_load_dword v9, v1, s[18:19]
	s_or_b64 exec, exec, s[20:21]
	s_and_saveexec_b64 s[18:19], s[14:15]
	s_cbranch_execz .LBB758_243
.LBB758_288:
	s_waitcnt vmcnt(0)
	v_add_f32_e32 v1, v2, v3
	v_cvt_i32_f32_e32 v2, v1
	v_ashrrev_i32_e32 v3, 31, v2
	v_lshl_add_u64 v[2:3], v[2:3], 2, s[66:67]
	global_load_dword v2, v[2:3], off
	s_or_b64 exec, exec, s[18:19]
	s_and_saveexec_b64 s[14:15], s[12:13]
	s_cbranch_execz .LBB758_244
.LBB758_289:
	s_waitcnt vmcnt(0)
	v_add_f32_e32 v1, v4, v2
	v_cvt_i32_f32_e32 v2, v1
	v_ashrrev_i32_e32 v3, 31, v2
	v_lshl_add_u64 v[2:3], v[2:3], 2, s[66:67]
	global_load_dword v2, v[2:3], off
	s_or_b64 exec, exec, s[14:15]
	s_and_saveexec_b64 s[12:13], s[10:11]
	s_cbranch_execz .LBB758_245
.LBB758_290:
	s_waitcnt vmcnt(0)
	v_add_f32_e32 v1, v5, v2
	v_cvt_i32_f32_e32 v2, v1
	v_ashrrev_i32_e32 v3, 31, v2
	v_lshl_add_u64 v[2:3], v[2:3], 2, s[66:67]
	global_load_dword v2, v[2:3], off
	s_or_b64 exec, exec, s[12:13]
	s_and_saveexec_b64 s[10:11], s[8:9]
	s_cbranch_execz .LBB758_246
.LBB758_291:
	s_waitcnt vmcnt(0)
	v_add_f32_e32 v1, v6, v2
	v_cvt_i32_f32_e32 v2, v1
	v_ashrrev_i32_e32 v3, 31, v2
	v_lshl_add_u64 v[2:3], v[2:3], 2, s[66:67]
	global_load_dword v2, v[2:3], off
	s_or_b64 exec, exec, s[10:11]
	s_and_saveexec_b64 s[8:9], s[6:7]
	s_cbranch_execz .LBB758_247
.LBB758_292:
	s_waitcnt vmcnt(0)
	v_add_f32_e32 v1, v7, v2
	v_cvt_i32_f32_e32 v2, v1
	v_ashrrev_i32_e32 v3, 31, v2
	v_lshl_add_u64 v[2:3], v[2:3], 2, s[66:67]
	global_load_dword v2, v[2:3], off
	s_or_b64 exec, exec, s[8:9]
	s_and_saveexec_b64 s[6:7], s[4:5]
	s_cbranch_execz .LBB758_248
.LBB758_293:
	s_waitcnt vmcnt(0)
	v_add_f32_e32 v1, v8, v2
	v_cvt_i32_f32_e32 v2, v1
	v_ashrrev_i32_e32 v3, 31, v2
	v_lshl_add_u64 v[2:3], v[2:3], 2, s[66:67]
	global_load_dword v2, v[2:3], off
	s_or_b64 exec, exec, s[6:7]
	s_and_saveexec_b64 s[4:5], vcc
	s_cbranch_execnz .LBB758_249
	s_branch .LBB758_250
.LBB758_294:
	s_mov_b64 s[6:7], -1
	s_mov_b64 s[8:9], 0
                                        ; implicit-def: $vgpr3
                                        ; implicit-def: $vgpr2
.LBB758_295:
	s_and_b64 vcc, exec, s[6:7]
	s_cbranch_vccz .LBB758_326
; %bb.296:
	s_sub_i32 s14, s70, s4
	s_waitcnt vmcnt(0)
	v_mov_b32_e32 v2, 0
	v_cmp_gt_u32_e32 vcc, s14, v0
	s_waitcnt lgkmcnt(0)
	v_mov_b32_e32 v3, v2
	v_mov_b32_e32 v4, v2
	;; [unrolled: 1-line block ×3, first 2 shown]
	s_and_saveexec_b64 s[4:5], vcc
	s_cbranch_execz .LBB758_298
; %bb.297:
	v_lshlrev_b32_e32 v1, 2, v0
	global_load_dword v4, v1, s[10:11]
	v_mov_b32_e32 v5, v2
	v_mov_b32_e32 v6, v2
	;; [unrolled: 1-line block ×3, first 2 shown]
	s_waitcnt vmcnt(0)
	v_mov_b64_e32 v[2:3], v[4:5]
	v_mov_b64_e32 v[4:5], v[6:7]
.LBB758_298:
	s_or_b64 exec, exec, s[4:5]
	v_or_b32_e32 v1, 0x100, v0
	v_cmp_gt_u32_e64 s[6:7], s14, v1
	s_and_saveexec_b64 s[4:5], s[6:7]
	s_cbranch_execz .LBB758_300
; %bb.299:
	v_lshlrev_b32_e32 v1, 2, v0
	global_load_dword v3, v1, s[10:11] offset:1024
.LBB758_300:
	s_or_b64 exec, exec, s[4:5]
	v_or_b32_e32 v1, 0x200, v0
	v_cmp_gt_u32_e64 s[4:5], s14, v1
	s_and_saveexec_b64 s[12:13], s[4:5]
	s_cbranch_execz .LBB758_302
; %bb.301:
	v_lshlrev_b32_e32 v1, 2, v0
	global_load_dword v4, v1, s[10:11] offset:2048
.LBB758_302:
	s_or_b64 exec, exec, s[12:13]
	v_or_b32_e32 v1, 0x300, v0
	v_cmp_gt_u32_e32 vcc, s14, v1
	s_and_saveexec_b64 s[12:13], vcc
	s_cbranch_execnz .LBB758_457
; %bb.303:
	s_or_b64 exec, exec, s[12:13]
	s_and_saveexec_b64 s[10:11], s[6:7]
	s_cbranch_execnz .LBB758_458
.LBB758_304:
	s_or_b64 exec, exec, s[10:11]
	s_and_saveexec_b64 s[6:7], s[4:5]
	s_cbranch_execnz .LBB758_459
.LBB758_305:
	s_or_b64 exec, exec, s[6:7]
	s_and_saveexec_b64 s[4:5], vcc
	s_cbranch_execz .LBB758_307
.LBB758_306:
	s_waitcnt vmcnt(0)
	v_add_f32_e32 v1, v5, v2
	v_cvt_i32_f32_e32 v2, v1
	v_ashrrev_i32_e32 v3, 31, v2
	v_lshl_add_u64 v[2:3], v[2:3], 2, s[66:67]
	global_load_dword v2, v[2:3], off
.LBB758_307:
	s_or_b64 exec, exec, s[4:5]
	v_mbcnt_lo_u32_b32 v1, -1, 0
	v_mbcnt_hi_u32_b32 v1, -1, v1
	s_waitcnt vmcnt(0)
	v_and_b32_e32 v3, 63, v1
	v_cmp_ne_u32_e32 vcc, 63, v3
	s_min_u32 s6, s14, 0x100
	v_add_u32_e32 v6, 1, v3
	v_addc_co_u32_e32 v4, vcc, 0, v1, vcc
	v_lshlrev_b32_e32 v4, 2, v4
	ds_bpermute_b32 v5, v4, v2
	v_and_b32_e32 v4, 0xc0, v0
	v_sub_u32_e64 v4, s6, v4 clamp
	v_cmp_lt_u32_e32 vcc, v6, v4
	s_and_saveexec_b64 s[4:5], vcc
	s_xor_b64 s[4:5], exec, s[4:5]
	s_cbranch_execz .LBB758_309
; %bb.308:
	s_waitcnt lgkmcnt(0)
	v_add_f32_e32 v2, v2, v5
	v_cvt_i32_f32_e32 v6, v2
	v_ashrrev_i32_e32 v7, 31, v6
	v_lshl_add_u64 v[6:7], v[6:7], 2, s[66:67]
	global_load_dword v2, v[6:7], off
.LBB758_309:
	s_or_b64 exec, exec, s[4:5]
	v_cmp_gt_u32_e32 vcc, 62, v3
	v_add_u32_e32 v6, 2, v3
	s_waitcnt lgkmcnt(0)
	v_cndmask_b32_e64 v5, 0, 2, vcc
	v_add_lshl_u32 v5, v5, v1, 2
	s_waitcnt vmcnt(0)
	ds_bpermute_b32 v5, v5, v2
	v_cmp_lt_u32_e32 vcc, v6, v4
	s_and_saveexec_b64 s[4:5], vcc
	s_cbranch_execz .LBB758_311
; %bb.310:
	s_waitcnt lgkmcnt(0)
	v_add_f32_e32 v2, v2, v5
	v_cvt_i32_f32_e32 v6, v2
	v_ashrrev_i32_e32 v7, 31, v6
	v_lshl_add_u64 v[6:7], v[6:7], 2, s[66:67]
	global_load_dword v2, v[6:7], off
.LBB758_311:
	s_or_b64 exec, exec, s[4:5]
	v_cmp_gt_u32_e32 vcc, 60, v3
	v_add_u32_e32 v6, 4, v3
	s_waitcnt lgkmcnt(0)
	v_cndmask_b32_e64 v5, 0, 4, vcc
	v_add_lshl_u32 v5, v5, v1, 2
	s_waitcnt vmcnt(0)
	ds_bpermute_b32 v5, v5, v2
	v_cmp_lt_u32_e32 vcc, v6, v4
	s_and_saveexec_b64 s[4:5], vcc
	;; [unrolled: 19-line block ×4, first 2 shown]
	s_cbranch_execz .LBB758_317
; %bb.316:
	s_waitcnt lgkmcnt(0)
	v_add_f32_e32 v2, v2, v5
	v_cvt_i32_f32_e32 v6, v2
	v_ashrrev_i32_e32 v7, 31, v6
	v_lshl_add_u64 v[6:7], v[6:7], 2, s[66:67]
	global_load_dword v2, v[6:7], off
.LBB758_317:
	s_or_b64 exec, exec, s[4:5]
	s_waitcnt lgkmcnt(0)
	v_lshlrev_b32_e32 v5, 2, v1
	v_or_b32_e32 v6, 0x80, v5
	s_waitcnt vmcnt(0)
	ds_bpermute_b32 v6, v6, v2
	v_add_u32_e32 v3, 32, v3
	v_cmp_lt_u32_e32 vcc, v3, v4
	s_and_saveexec_b64 s[4:5], vcc
	s_cbranch_execz .LBB758_319
; %bb.318:
	s_waitcnt lgkmcnt(0)
	v_add_f32_e32 v2, v2, v6
	v_cvt_i32_f32_e32 v2, v2
	v_ashrrev_i32_e32 v3, 31, v2
	v_lshl_add_u64 v[2:3], v[2:3], 2, s[66:67]
	global_load_dword v2, v[2:3], off
.LBB758_319:
	s_or_b64 exec, exec, s[4:5]
	v_cmp_eq_u32_e32 vcc, 0, v1
	s_and_saveexec_b64 s[4:5], vcc
	s_cbranch_execz .LBB758_321
; %bb.320:
	v_lshrrev_b32_e32 v3, 4, v0
	v_and_b32_e32 v3, 12, v3
	s_waitcnt vmcnt(0)
	ds_write_b32 v3, v2
.LBB758_321:
	s_or_b64 exec, exec, s[4:5]
	v_cmp_gt_u32_e32 vcc, 4, v0
	s_waitcnt lgkmcnt(0)
	s_barrier
                                        ; implicit-def: $vgpr3
	s_and_saveexec_b64 s[4:5], vcc
	s_cbranch_execz .LBB758_325
; %bb.322:
	s_waitcnt vmcnt(0)
	ds_read_b32 v2, v5
	v_and_b32_e32 v3, 3, v1
	v_cmp_ne_u32_e32 vcc, 3, v3
	s_add_i32 s6, s6, 63
	s_lshr_b32 s10, s6, 6
	v_addc_co_u32_e32 v1, vcc, 0, v1, vcc
	v_lshlrev_b32_e32 v1, 2, v1
	s_waitcnt lgkmcnt(0)
	ds_bpermute_b32 v1, v1, v2
	v_add_u32_e32 v4, 1, v3
	v_cmp_gt_u32_e32 vcc, s10, v4
	s_and_saveexec_b64 s[6:7], vcc
	s_cbranch_execz .LBB758_324
; %bb.323:
	s_waitcnt lgkmcnt(0)
	v_add_f32_e32 v1, v2, v1
	v_cvt_i32_f32_e32 v6, v1
	v_ashrrev_i32_e32 v7, 31, v6
	v_lshl_add_u64 v[6:7], v[6:7], 2, s[66:67]
	global_load_dword v2, v[6:7], off
.LBB758_324:
	s_or_b64 exec, exec, s[6:7]
	s_waitcnt lgkmcnt(0)
	v_add_u32_e32 v1, 2, v3
	v_or_b32_e32 v3, 8, v5
	s_waitcnt vmcnt(0)
	ds_bpermute_b32 v3, v3, v2
	v_cmp_gt_u32_e32 vcc, s10, v1
	s_andn2_b64 s[6:7], s[8:9], exec
	s_and_b64 s[8:9], vcc, exec
	s_or_b64 s[8:9], s[6:7], s[8:9]
.LBB758_325:
	s_or_b64 exec, exec, s[4:5]
.LBB758_326:
	s_and_saveexec_b64 s[4:5], s[8:9]
	s_cbranch_execz .LBB758_328
; %bb.327:
	s_waitcnt vmcnt(0) lgkmcnt(0)
	v_add_f32_e32 v1, v2, v3
	v_cvt_i32_f32_e32 v2, v1
	v_ashrrev_i32_e32 v3, 31, v2
	v_lshl_add_u64 v[2:3], v[2:3], 2, s[66:67]
	global_load_dword v2, v[2:3], off
.LBB758_328:
	s_or_b64 exec, exec, s[4:5]
	v_cmp_eq_u32_e32 vcc, 0, v0
	s_and_saveexec_b64 s[4:5], vcc
	s_xor_b64 s[4:5], exec, s[4:5]
	s_cbranch_execz .LBB758_330
; %bb.329:
	s_cmp_eq_u64 s[70:71], 0
	s_cselect_b64 s[6:7], -1, 0
	s_cmp_lg_u64 s[70:71], 0
	s_cselect_b64 s[8:9], -1, 0
	s_andn2_b64 s[10:11], s[34:35], exec
	s_and_b64 s[6:7], s[6:7], exec
	s_or_b64 s[34:35], s[10:11], s[6:7]
	s_andn2_b64 s[6:7], s[36:37], exec
	s_and_b64 s[8:9], s[8:9], exec
	s_or_b64 s[36:37], s[6:7], s[8:9]
.LBB758_330:
	s_or_b64 exec, exec, s[4:5]
	s_branch .LBB758_286
.LBB758_331:
	s_cmp_eq_u32 s80, 2
	s_cbranch_scc0 .LBB758_338
; %bb.332:
	s_mov_b32 s3, 0
	s_lshl_b32 s8, s2, 9
	s_mov_b32 s9, s3
	s_lshr_b64 s[4:5], s[70:71], 9
	s_lshl_b64 s[6:7], s[8:9], 2
	s_add_u32 s6, s68, s6
	s_addc_u32 s7, s69, s7
	s_cmp_lg_u64 s[4:5], s[2:3]
	s_cbranch_scc0 .LBB758_339
; %bb.333:
	v_lshlrev_b32_e32 v1, 2, v0
	global_load_dword v2, v1, s[6:7]
	s_waitcnt lgkmcnt(0)
	global_load_dword v3, v1, s[6:7] offset:1024
	s_waitcnt vmcnt(0)
	v_add_f32_e32 v1, v2, v3
	v_cvt_i32_f32_e32 v2, v1
	v_ashrrev_i32_e32 v3, 31, v2
	v_lshl_add_u64 v[2:3], v[2:3], 2, s[66:67]
	global_load_dword v1, v[2:3], off
	s_waitcnt vmcnt(0)
	s_nop 0
	v_add_f32_dpp v1, v1, v1 quad_perm:[1,0,3,2] row_mask:0xf bank_mask:0xf bound_ctrl:1
	v_cvt_i32_f32_e32 v2, v1
	v_ashrrev_i32_e32 v3, 31, v2
	v_lshl_add_u64 v[2:3], v[2:3], 2, s[66:67]
	global_load_dword v1, v[2:3], off
	s_waitcnt vmcnt(0)
	s_nop 0
	v_add_f32_dpp v1, v1, v1 quad_perm:[2,3,0,1] row_mask:0xf bank_mask:0xf bound_ctrl:1
	v_cvt_i32_f32_e32 v2, v1
	v_ashrrev_i32_e32 v3, 31, v2
	v_lshl_add_u64 v[2:3], v[2:3], 2, s[66:67]
	global_load_dword v1, v[2:3], off
	s_waitcnt vmcnt(0)
	s_nop 0
	v_add_f32_dpp v1, v1, v1 row_ror:4 row_mask:0xf bank_mask:0xf bound_ctrl:1
	v_cvt_i32_f32_e32 v2, v1
	v_ashrrev_i32_e32 v3, 31, v2
	v_lshl_add_u64 v[2:3], v[2:3], 2, s[66:67]
	global_load_dword v1, v[2:3], off
	s_waitcnt vmcnt(0)
	s_nop 0
	v_add_f32_dpp v1, v1, v1 row_ror:8 row_mask:0xf bank_mask:0xf bound_ctrl:1
	v_cvt_i32_f32_e32 v2, v1
	v_ashrrev_i32_e32 v3, 31, v2
	v_lshl_add_u64 v[2:3], v[2:3], 2, s[66:67]
	global_load_dword v1, v[2:3], off
	s_waitcnt vmcnt(0)
	s_nop 0
	v_add_f32_dpp v1, v1, v1 row_bcast:15 row_mask:0xf bank_mask:0xf bound_ctrl:1
	v_cvt_i32_f32_e32 v2, v1
	v_ashrrev_i32_e32 v3, 31, v2
	v_lshl_add_u64 v[2:3], v[2:3], 2, s[66:67]
	global_load_dword v1, v[2:3], off
	s_waitcnt vmcnt(0)
	s_nop 0
	v_add_f32_dpp v1, v1, v1 row_bcast:31 row_mask:0xf bank_mask:0xf bound_ctrl:1
	v_cvt_i32_f32_e32 v2, v1
	v_mbcnt_lo_u32_b32 v1, -1, 0
	v_mbcnt_hi_u32_b32 v4, -1, v1
	v_lshlrev_b32_e32 v1, 2, v4
	v_ashrrev_i32_e32 v3, 31, v2
	v_lshl_add_u64 v[2:3], v[2:3], 2, s[66:67]
	global_load_dword v2, v[2:3], off
	v_or_b32_e32 v3, 0xfc, v1
	v_cmp_eq_u32_e32 vcc, 0, v4
	s_waitcnt vmcnt(0)
	ds_bpermute_b32 v2, v3, v2
	s_and_saveexec_b64 s[4:5], vcc
	s_cbranch_execz .LBB758_335
; %bb.334:
	v_lshrrev_b32_e32 v3, 4, v0
	v_and_b32_e32 v3, 12, v3
	s_waitcnt lgkmcnt(0)
	ds_write_b32 v3, v2 offset:48
.LBB758_335:
	s_or_b64 exec, exec, s[4:5]
	v_cmp_gt_u32_e32 vcc, 64, v0
	s_mov_b64 s[10:11], 0
	s_mov_b64 s[4:5], 0
	s_waitcnt lgkmcnt(0)
	s_barrier
                                        ; implicit-def: $vgpr3
	s_and_saveexec_b64 s[12:13], vcc
	s_xor_b64 s[12:13], exec, s[12:13]
	s_cbranch_execz .LBB758_337
; %bb.336:
	v_and_b32_e32 v2, 3, v4
	v_lshlrev_b32_e32 v3, 2, v2
	ds_read_b32 v3, v3 offset:48
	v_cmp_ne_u32_e32 vcc, 3, v2
	v_or_b32_e32 v1, 8, v1
	s_mov_b64 s[4:5], exec
	v_addc_co_u32_e32 v2, vcc, 0, v4, vcc
	v_lshlrev_b32_e32 v2, 2, v2
	s_waitcnt lgkmcnt(0)
	ds_bpermute_b32 v2, v2, v3
	s_waitcnt lgkmcnt(0)
	v_add_f32_e32 v2, v3, v2
	v_cvt_i32_f32_e32 v2, v2
	v_ashrrev_i32_e32 v3, 31, v2
	v_lshl_add_u64 v[2:3], v[2:3], 2, s[66:67]
	global_load_dword v2, v[2:3], off
	s_waitcnt vmcnt(0)
	ds_bpermute_b32 v3, v1, v2
.LBB758_337:
	s_or_b64 exec, exec, s[12:13]
	s_branch .LBB758_340
.LBB758_338:
                                        ; implicit-def: $vgpr2
	s_branch .LBB758_379
.LBB758_339:
	s_mov_b64 s[10:11], -1
	s_mov_b64 s[4:5], 0
                                        ; implicit-def: $vgpr3
                                        ; implicit-def: $vgpr2
.LBB758_340:
	s_and_b64 vcc, exec, s[10:11]
	s_cbranch_vccz .LBB758_366
; %bb.341:
	s_sub_i32 s10, s70, s8
	s_waitcnt vmcnt(0)
	v_mov_b32_e32 v2, 0
	v_cmp_gt_u32_e32 vcc, s10, v0
	s_waitcnt lgkmcnt(0)
	v_mov_b32_e32 v3, v2
	s_and_saveexec_b64 s[8:9], vcc
	s_cbranch_execz .LBB758_343
; %bb.342:
	v_lshlrev_b32_e32 v1, 2, v0
	global_load_dword v4, v1, s[6:7]
	v_mov_b32_e32 v5, v2
	s_waitcnt vmcnt(0)
	v_mov_b64_e32 v[2:3], v[4:5]
.LBB758_343:
	s_or_b64 exec, exec, s[8:9]
	v_or_b32_e32 v1, 0x100, v0
	v_cmp_gt_u32_e32 vcc, s10, v1
	s_and_saveexec_b64 s[8:9], vcc
	s_cbranch_execz .LBB758_345
; %bb.344:
	v_lshlrev_b32_e32 v1, 2, v0
	global_load_dword v3, v1, s[6:7] offset:1024
.LBB758_345:
	s_or_b64 exec, exec, s[8:9]
	s_and_saveexec_b64 s[6:7], vcc
	s_cbranch_execz .LBB758_347
; %bb.346:
	s_waitcnt vmcnt(0)
	v_add_f32_e32 v1, v3, v2
	v_cvt_i32_f32_e32 v2, v1
	v_ashrrev_i32_e32 v3, 31, v2
	v_lshl_add_u64 v[2:3], v[2:3], 2, s[66:67]
	global_load_dword v2, v[2:3], off
.LBB758_347:
	s_or_b64 exec, exec, s[6:7]
	v_mbcnt_lo_u32_b32 v1, -1, 0
	v_mbcnt_hi_u32_b32 v1, -1, v1
	s_waitcnt vmcnt(0)
	v_and_b32_e32 v3, 63, v1
	v_cmp_ne_u32_e32 vcc, 63, v3
	s_min_u32 s8, s10, 0x100
	v_add_u32_e32 v6, 1, v3
	v_addc_co_u32_e32 v4, vcc, 0, v1, vcc
	v_lshlrev_b32_e32 v4, 2, v4
	ds_bpermute_b32 v5, v4, v2
	v_and_b32_e32 v4, 0xc0, v0
	v_sub_u32_e64 v4, s8, v4 clamp
	v_cmp_lt_u32_e32 vcc, v6, v4
	s_and_saveexec_b64 s[6:7], vcc
	s_xor_b64 s[6:7], exec, s[6:7]
	s_cbranch_execz .LBB758_349
; %bb.348:
	s_waitcnt lgkmcnt(0)
	v_add_f32_e32 v2, v2, v5
	v_cvt_i32_f32_e32 v6, v2
	v_ashrrev_i32_e32 v7, 31, v6
	v_lshl_add_u64 v[6:7], v[6:7], 2, s[66:67]
	global_load_dword v2, v[6:7], off
.LBB758_349:
	s_or_b64 exec, exec, s[6:7]
	v_cmp_gt_u32_e32 vcc, 62, v3
	v_add_u32_e32 v6, 2, v3
	s_waitcnt lgkmcnt(0)
	v_cndmask_b32_e64 v5, 0, 2, vcc
	v_add_lshl_u32 v5, v5, v1, 2
	s_waitcnt vmcnt(0)
	ds_bpermute_b32 v5, v5, v2
	v_cmp_lt_u32_e32 vcc, v6, v4
	s_and_saveexec_b64 s[6:7], vcc
	s_cbranch_execz .LBB758_351
; %bb.350:
	s_waitcnt lgkmcnt(0)
	v_add_f32_e32 v2, v2, v5
	v_cvt_i32_f32_e32 v6, v2
	v_ashrrev_i32_e32 v7, 31, v6
	v_lshl_add_u64 v[6:7], v[6:7], 2, s[66:67]
	global_load_dword v2, v[6:7], off
.LBB758_351:
	s_or_b64 exec, exec, s[6:7]
	v_cmp_gt_u32_e32 vcc, 60, v3
	v_add_u32_e32 v6, 4, v3
	s_waitcnt lgkmcnt(0)
	v_cndmask_b32_e64 v5, 0, 4, vcc
	v_add_lshl_u32 v5, v5, v1, 2
	s_waitcnt vmcnt(0)
	ds_bpermute_b32 v5, v5, v2
	v_cmp_lt_u32_e32 vcc, v6, v4
	s_and_saveexec_b64 s[6:7], vcc
	;; [unrolled: 19-line block ×4, first 2 shown]
	s_cbranch_execz .LBB758_357
; %bb.356:
	s_waitcnt lgkmcnt(0)
	v_add_f32_e32 v2, v2, v5
	v_cvt_i32_f32_e32 v6, v2
	v_ashrrev_i32_e32 v7, 31, v6
	v_lshl_add_u64 v[6:7], v[6:7], 2, s[66:67]
	global_load_dword v2, v[6:7], off
.LBB758_357:
	s_or_b64 exec, exec, s[6:7]
	s_waitcnt lgkmcnt(0)
	v_lshlrev_b32_e32 v5, 2, v1
	v_or_b32_e32 v6, 0x80, v5
	s_waitcnt vmcnt(0)
	ds_bpermute_b32 v6, v6, v2
	v_add_u32_e32 v3, 32, v3
	v_cmp_lt_u32_e32 vcc, v3, v4
	s_and_saveexec_b64 s[6:7], vcc
	s_cbranch_execz .LBB758_359
; %bb.358:
	s_waitcnt lgkmcnt(0)
	v_add_f32_e32 v2, v2, v6
	v_cvt_i32_f32_e32 v2, v2
	v_ashrrev_i32_e32 v3, 31, v2
	v_lshl_add_u64 v[2:3], v[2:3], 2, s[66:67]
	global_load_dword v2, v[2:3], off
.LBB758_359:
	s_or_b64 exec, exec, s[6:7]
	v_cmp_eq_u32_e32 vcc, 0, v1
	s_and_saveexec_b64 s[6:7], vcc
	s_cbranch_execz .LBB758_361
; %bb.360:
	v_lshrrev_b32_e32 v3, 4, v0
	v_and_b32_e32 v3, 12, v3
	s_waitcnt vmcnt(0)
	ds_write_b32 v3, v2
.LBB758_361:
	s_or_b64 exec, exec, s[6:7]
	v_cmp_gt_u32_e32 vcc, 4, v0
	s_waitcnt lgkmcnt(0)
	s_barrier
                                        ; implicit-def: $vgpr3
	s_and_saveexec_b64 s[6:7], vcc
	s_cbranch_execz .LBB758_365
; %bb.362:
	s_waitcnt vmcnt(0)
	ds_read_b32 v2, v5
	v_and_b32_e32 v3, 3, v1
	v_cmp_ne_u32_e32 vcc, 3, v3
	s_add_i32 s8, s8, 63
	s_lshr_b32 s10, s8, 6
	v_addc_co_u32_e32 v1, vcc, 0, v1, vcc
	v_lshlrev_b32_e32 v1, 2, v1
	s_waitcnt lgkmcnt(0)
	ds_bpermute_b32 v1, v1, v2
	v_add_u32_e32 v4, 1, v3
	v_cmp_gt_u32_e32 vcc, s10, v4
	s_and_saveexec_b64 s[8:9], vcc
	s_cbranch_execz .LBB758_364
; %bb.363:
	s_waitcnt lgkmcnt(0)
	v_add_f32_e32 v1, v2, v1
	v_cvt_i32_f32_e32 v6, v1
	v_ashrrev_i32_e32 v7, 31, v6
	v_lshl_add_u64 v[6:7], v[6:7], 2, s[66:67]
	global_load_dword v2, v[6:7], off
.LBB758_364:
	s_or_b64 exec, exec, s[8:9]
	s_waitcnt lgkmcnt(0)
	v_add_u32_e32 v1, 2, v3
	v_or_b32_e32 v3, 8, v5
	s_waitcnt vmcnt(0)
	ds_bpermute_b32 v3, v3, v2
	v_cmp_gt_u32_e32 vcc, s10, v1
	s_andn2_b64 s[4:5], s[4:5], exec
	s_and_b64 s[8:9], vcc, exec
	s_or_b64 s[4:5], s[4:5], s[8:9]
.LBB758_365:
	s_or_b64 exec, exec, s[6:7]
.LBB758_366:
	s_and_saveexec_b64 s[6:7], s[4:5]
	s_cbranch_execz .LBB758_368
; %bb.367:
	s_waitcnt vmcnt(0) lgkmcnt(0)
	v_add_f32_e32 v1, v2, v3
	v_cvt_i32_f32_e32 v2, v1
	v_ashrrev_i32_e32 v3, 31, v2
	v_lshl_add_u64 v[2:3], v[2:3], 2, s[66:67]
	global_load_dword v2, v[2:3], off
.LBB758_368:
	s_or_b64 exec, exec, s[6:7]
	v_cmp_eq_u32_e32 vcc, 0, v0
	s_and_saveexec_b64 s[4:5], vcc
	s_xor_b64 s[4:5], exec, s[4:5]
	s_cbranch_execz .LBB758_370
; %bb.369:
	s_cmp_eq_u64 s[70:71], 0
	s_cselect_b64 s[6:7], -1, 0
	s_cmp_lg_u64 s[70:71], 0
	s_cselect_b64 s[8:9], -1, 0
	s_andn2_b64 s[10:11], s[34:35], exec
	s_and_b64 s[6:7], s[6:7], exec
	s_or_b64 s[34:35], s[10:11], s[6:7]
	s_andn2_b64 s[6:7], s[36:37], exec
	s_and_b64 s[8:9], s[8:9], exec
	s_or_b64 s[36:37], s[6:7], s[8:9]
.LBB758_370:
	s_or_b64 exec, exec, s[4:5]
	s_branch .LBB758_379
.LBB758_371:
	s_cmp_eq_u32 s80, 1
	s_cbranch_scc0 .LBB758_378
; %bb.372:
	s_mov_b32 s7, 0
	s_lshl_b32 s6, s2, 8
	s_mov_b32 s3, s7
	s_lshr_b64 s[4:5], s[70:71], 8
	s_cmp_lg_u64 s[4:5], s[2:3]
	v_mbcnt_lo_u32_b32 v1, -1, 0
	s_cbranch_scc0 .LBB758_382
; %bb.373:
	s_lshl_b64 s[4:5], s[6:7], 2
	s_add_u32 s4, s68, s4
	s_addc_u32 s5, s69, s5
	s_waitcnt vmcnt(0)
	v_lshlrev_b32_e32 v2, 2, v0
	global_load_dword v2, v2, s[4:5]
	v_mbcnt_hi_u32_b32 v5, -1, v1
	v_lshlrev_b32_e32 v4, 2, v5
	v_cmp_eq_u32_e32 vcc, 0, v5
	s_waitcnt vmcnt(0)
	v_add_f32_dpp v2, v2, v2 quad_perm:[1,0,3,2] row_mask:0xf bank_mask:0xf bound_ctrl:1
	v_cvt_i32_f32_e32 v2, v2
	s_waitcnt lgkmcnt(0)
	v_ashrrev_i32_e32 v3, 31, v2
	v_lshl_add_u64 v[2:3], v[2:3], 2, s[66:67]
	global_load_dword v2, v[2:3], off
	s_waitcnt vmcnt(0)
	s_nop 0
	v_add_f32_dpp v2, v2, v2 quad_perm:[2,3,0,1] row_mask:0xf bank_mask:0xf bound_ctrl:1
	v_cvt_i32_f32_e32 v2, v2
	v_ashrrev_i32_e32 v3, 31, v2
	v_lshl_add_u64 v[2:3], v[2:3], 2, s[66:67]
	global_load_dword v2, v[2:3], off
	s_waitcnt vmcnt(0)
	s_nop 0
	v_add_f32_dpp v2, v2, v2 row_ror:4 row_mask:0xf bank_mask:0xf bound_ctrl:1
	v_cvt_i32_f32_e32 v2, v2
	v_ashrrev_i32_e32 v3, 31, v2
	v_lshl_add_u64 v[2:3], v[2:3], 2, s[66:67]
	global_load_dword v2, v[2:3], off
	s_waitcnt vmcnt(0)
	s_nop 0
	v_add_f32_dpp v2, v2, v2 row_ror:8 row_mask:0xf bank_mask:0xf bound_ctrl:1
	v_cvt_i32_f32_e32 v2, v2
	v_ashrrev_i32_e32 v3, 31, v2
	v_lshl_add_u64 v[2:3], v[2:3], 2, s[66:67]
	global_load_dword v2, v[2:3], off
	s_waitcnt vmcnt(0)
	s_nop 0
	v_add_f32_dpp v2, v2, v2 row_bcast:15 row_mask:0xf bank_mask:0xf bound_ctrl:1
	v_cvt_i32_f32_e32 v2, v2
	v_ashrrev_i32_e32 v3, 31, v2
	v_lshl_add_u64 v[2:3], v[2:3], 2, s[66:67]
	global_load_dword v2, v[2:3], off
	s_waitcnt vmcnt(0)
	s_nop 0
	v_add_f32_dpp v2, v2, v2 row_bcast:31 row_mask:0xf bank_mask:0xf bound_ctrl:1
	v_cvt_i32_f32_e32 v2, v2
	v_ashrrev_i32_e32 v3, 31, v2
	v_lshl_add_u64 v[2:3], v[2:3], 2, s[66:67]
	global_load_dword v2, v[2:3], off
	v_or_b32_e32 v3, 0xfc, v4
	s_waitcnt vmcnt(0)
	ds_bpermute_b32 v2, v3, v2
	s_and_saveexec_b64 s[4:5], vcc
	s_cbranch_execz .LBB758_375
; %bb.374:
	v_lshrrev_b32_e32 v3, 4, v0
	v_and_b32_e32 v3, 12, v3
	s_waitcnt lgkmcnt(0)
	ds_write_b32 v3, v2 offset:32
.LBB758_375:
	s_or_b64 exec, exec, s[4:5]
	v_cmp_gt_u32_e32 vcc, 64, v0
	s_mov_b64 s[8:9], 0
	s_mov_b64 s[4:5], 0
	s_waitcnt lgkmcnt(0)
	s_barrier
                                        ; implicit-def: $vgpr3
	s_and_saveexec_b64 s[10:11], vcc
	s_xor_b64 s[10:11], exec, s[10:11]
	s_cbranch_execz .LBB758_377
; %bb.376:
	v_and_b32_e32 v2, 3, v5
	v_lshlrev_b32_e32 v3, 2, v2
	ds_read_b32 v3, v3 offset:32
	v_cmp_ne_u32_e32 vcc, 3, v2
	s_mov_b64 s[4:5], exec
	s_nop 0
	v_addc_co_u32_e32 v2, vcc, 0, v5, vcc
	v_lshlrev_b32_e32 v2, 2, v2
	s_waitcnt lgkmcnt(0)
	ds_bpermute_b32 v2, v2, v3
	s_waitcnt lgkmcnt(0)
	v_add_f32_e32 v2, v3, v2
	v_cvt_i32_f32_e32 v2, v2
	v_ashrrev_i32_e32 v3, 31, v2
	v_lshl_add_u64 v[2:3], v[2:3], 2, s[66:67]
	global_load_dword v2, v[2:3], off
	v_or_b32_e32 v3, 8, v4
	s_waitcnt vmcnt(0)
	ds_bpermute_b32 v3, v3, v2
.LBB758_377:
	s_or_b64 exec, exec, s[10:11]
	s_and_b64 vcc, exec, s[8:9]
	s_cbranch_vccnz .LBB758_383
	s_branch .LBB758_404
.LBB758_378:
                                        ; implicit-def: $sgpr2_sgpr3
                                        ; implicit-def: $vgpr2
.LBB758_379:
	v_mov_b32_e32 v0, s33
	s_and_saveexec_b64 s[4:5], s[36:37]
	s_cbranch_execnz .LBB758_409
.LBB758_380:
	s_or_b64 exec, exec, s[4:5]
	s_and_saveexec_b64 s[4:5], s[34:35]
	s_cbranch_execnz .LBB758_410
.LBB758_381:
	s_endpgm
.LBB758_382:
	s_mov_b64 s[4:5], 0
                                        ; implicit-def: $vgpr3
                                        ; implicit-def: $vgpr2
	s_cbranch_execz .LBB758_404
.LBB758_383:
	s_sub_i32 s10, s70, s6
	v_cmp_gt_u32_e32 vcc, s10, v0
                                        ; implicit-def: $vgpr2
	s_and_saveexec_b64 s[8:9], vcc
	s_cbranch_execz .LBB758_385
; %bb.384:
	s_lshl_b64 s[6:7], s[6:7], 2
	s_add_u32 s6, s68, s6
	s_addc_u32 s7, s69, s7
	s_waitcnt vmcnt(0)
	v_lshlrev_b32_e32 v2, 2, v0
	global_load_dword v2, v2, s[6:7]
.LBB758_385:
	s_or_b64 exec, exec, s[8:9]
	v_mbcnt_hi_u32_b32 v1, -1, v1
	s_waitcnt lgkmcnt(0)
	v_and_b32_e32 v3, 63, v1
	v_cmp_ne_u32_e32 vcc, 63, v3
	s_min_u32 s8, s10, 0x100
	v_add_u32_e32 v6, 1, v3
	v_addc_co_u32_e32 v4, vcc, 0, v1, vcc
	v_lshlrev_b32_e32 v4, 2, v4
	s_waitcnt vmcnt(0)
	ds_bpermute_b32 v5, v4, v2
	v_and_b32_e32 v4, 0xc0, v0
	v_sub_u32_e64 v4, s8, v4 clamp
	v_cmp_lt_u32_e32 vcc, v6, v4
	s_and_saveexec_b64 s[6:7], vcc
	s_cbranch_execz .LBB758_387
; %bb.386:
	s_waitcnt lgkmcnt(0)
	v_add_f32_e32 v2, v2, v5
	v_cvt_i32_f32_e32 v6, v2
	v_ashrrev_i32_e32 v7, 31, v6
	v_lshl_add_u64 v[6:7], v[6:7], 2, s[66:67]
	global_load_dword v2, v[6:7], off
.LBB758_387:
	s_or_b64 exec, exec, s[6:7]
	v_cmp_gt_u32_e32 vcc, 62, v3
	v_add_u32_e32 v6, 2, v3
	s_waitcnt lgkmcnt(0)
	v_cndmask_b32_e64 v5, 0, 2, vcc
	v_add_lshl_u32 v5, v5, v1, 2
	s_waitcnt vmcnt(0)
	ds_bpermute_b32 v5, v5, v2
	v_cmp_lt_u32_e32 vcc, v6, v4
	s_and_saveexec_b64 s[6:7], vcc
	s_cbranch_execz .LBB758_389
; %bb.388:
	s_waitcnt lgkmcnt(0)
	v_add_f32_e32 v2, v2, v5
	v_cvt_i32_f32_e32 v6, v2
	v_ashrrev_i32_e32 v7, 31, v6
	v_lshl_add_u64 v[6:7], v[6:7], 2, s[66:67]
	global_load_dword v2, v[6:7], off
.LBB758_389:
	s_or_b64 exec, exec, s[6:7]
	v_cmp_gt_u32_e32 vcc, 60, v3
	v_add_u32_e32 v6, 4, v3
	s_waitcnt lgkmcnt(0)
	v_cndmask_b32_e64 v5, 0, 4, vcc
	v_add_lshl_u32 v5, v5, v1, 2
	s_waitcnt vmcnt(0)
	ds_bpermute_b32 v5, v5, v2
	v_cmp_lt_u32_e32 vcc, v6, v4
	s_and_saveexec_b64 s[6:7], vcc
	s_cbranch_execz .LBB758_391
; %bb.390:
	s_waitcnt lgkmcnt(0)
	v_add_f32_e32 v2, v2, v5
	v_cvt_i32_f32_e32 v6, v2
	v_ashrrev_i32_e32 v7, 31, v6
	v_lshl_add_u64 v[6:7], v[6:7], 2, s[66:67]
	global_load_dword v2, v[6:7], off
.LBB758_391:
	s_or_b64 exec, exec, s[6:7]
	v_cmp_gt_u32_e32 vcc, 56, v3
	v_add_u32_e32 v6, 8, v3
	s_waitcnt lgkmcnt(0)
	v_cndmask_b32_e64 v5, 0, 8, vcc
	v_add_lshl_u32 v5, v5, v1, 2
	s_waitcnt vmcnt(0)
	ds_bpermute_b32 v5, v5, v2
	v_cmp_lt_u32_e32 vcc, v6, v4
	s_and_saveexec_b64 s[6:7], vcc
	s_cbranch_execz .LBB758_393
; %bb.392:
	s_waitcnt lgkmcnt(0)
	v_add_f32_e32 v2, v2, v5
	v_cvt_i32_f32_e32 v6, v2
	v_ashrrev_i32_e32 v7, 31, v6
	v_lshl_add_u64 v[6:7], v[6:7], 2, s[66:67]
	global_load_dword v2, v[6:7], off
.LBB758_393:
	s_or_b64 exec, exec, s[6:7]
	v_cmp_gt_u32_e32 vcc, 48, v3
	v_add_u32_e32 v6, 16, v3
	s_waitcnt lgkmcnt(0)
	v_cndmask_b32_e64 v5, 0, 16, vcc
	v_add_lshl_u32 v5, v5, v1, 2
	s_waitcnt vmcnt(0)
	ds_bpermute_b32 v5, v5, v2
	v_cmp_lt_u32_e32 vcc, v6, v4
	s_and_saveexec_b64 s[6:7], vcc
	s_cbranch_execz .LBB758_395
; %bb.394:
	s_waitcnt lgkmcnt(0)
	v_add_f32_e32 v2, v2, v5
	v_cvt_i32_f32_e32 v6, v2
	v_ashrrev_i32_e32 v7, 31, v6
	v_lshl_add_u64 v[6:7], v[6:7], 2, s[66:67]
	global_load_dword v2, v[6:7], off
.LBB758_395:
	s_or_b64 exec, exec, s[6:7]
	s_waitcnt lgkmcnt(0)
	v_lshlrev_b32_e32 v5, 2, v1
	v_or_b32_e32 v6, 0x80, v5
	s_waitcnt vmcnt(0)
	ds_bpermute_b32 v6, v6, v2
	v_add_u32_e32 v3, 32, v3
	v_cmp_lt_u32_e32 vcc, v3, v4
	s_and_saveexec_b64 s[6:7], vcc
	s_cbranch_execz .LBB758_397
; %bb.396:
	s_waitcnt lgkmcnt(0)
	v_add_f32_e32 v2, v2, v6
	v_cvt_i32_f32_e32 v2, v2
	v_ashrrev_i32_e32 v3, 31, v2
	v_lshl_add_u64 v[2:3], v[2:3], 2, s[66:67]
	global_load_dword v2, v[2:3], off
.LBB758_397:
	s_or_b64 exec, exec, s[6:7]
	v_cmp_eq_u32_e32 vcc, 0, v1
	s_and_saveexec_b64 s[6:7], vcc
	s_cbranch_execz .LBB758_399
; %bb.398:
	v_lshrrev_b32_e32 v3, 4, v0
	v_and_b32_e32 v3, 12, v3
	s_waitcnt vmcnt(0)
	ds_write_b32 v3, v2
.LBB758_399:
	s_or_b64 exec, exec, s[6:7]
	v_cmp_gt_u32_e32 vcc, 4, v0
	s_waitcnt lgkmcnt(0)
	s_barrier
                                        ; implicit-def: $vgpr3
	s_and_saveexec_b64 s[6:7], vcc
	s_cbranch_execz .LBB758_403
; %bb.400:
	s_waitcnt vmcnt(0)
	ds_read_b32 v2, v5
	v_and_b32_e32 v3, 3, v1
	v_cmp_ne_u32_e32 vcc, 3, v3
	s_add_i32 s8, s8, 63
	s_lshr_b32 s10, s8, 6
	v_addc_co_u32_e32 v1, vcc, 0, v1, vcc
	v_lshlrev_b32_e32 v1, 2, v1
	s_waitcnt lgkmcnt(0)
	ds_bpermute_b32 v1, v1, v2
	v_add_u32_e32 v4, 1, v3
	v_cmp_gt_u32_e32 vcc, s10, v4
	s_and_saveexec_b64 s[8:9], vcc
	s_cbranch_execz .LBB758_402
; %bb.401:
	s_waitcnt lgkmcnt(0)
	v_add_f32_e32 v1, v2, v1
	v_cvt_i32_f32_e32 v6, v1
	v_ashrrev_i32_e32 v7, 31, v6
	v_lshl_add_u64 v[6:7], v[6:7], 2, s[66:67]
	global_load_dword v2, v[6:7], off
.LBB758_402:
	s_or_b64 exec, exec, s[8:9]
	s_waitcnt lgkmcnt(0)
	v_add_u32_e32 v1, 2, v3
	v_or_b32_e32 v3, 8, v5
	s_waitcnt vmcnt(0)
	ds_bpermute_b32 v3, v3, v2
	v_cmp_gt_u32_e32 vcc, s10, v1
	s_andn2_b64 s[4:5], s[4:5], exec
	s_and_b64 s[8:9], vcc, exec
	s_or_b64 s[4:5], s[4:5], s[8:9]
.LBB758_403:
	s_or_b64 exec, exec, s[6:7]
.LBB758_404:
	s_and_saveexec_b64 s[6:7], s[4:5]
	s_cbranch_execz .LBB758_406
; %bb.405:
	s_waitcnt vmcnt(0) lgkmcnt(0)
	v_add_f32_e32 v1, v2, v3
	v_cvt_i32_f32_e32 v2, v1
	v_ashrrev_i32_e32 v3, 31, v2
	v_lshl_add_u64 v[2:3], v[2:3], 2, s[66:67]
	global_load_dword v2, v[2:3], off
.LBB758_406:
	s_or_b64 exec, exec, s[6:7]
	v_cmp_eq_u32_e32 vcc, 0, v0
	s_and_saveexec_b64 s[4:5], vcc
	s_cbranch_execz .LBB758_408
; %bb.407:
	s_cmp_eq_u64 s[70:71], 0
	s_cselect_b64 s[6:7], -1, 0
	s_cmp_lg_u64 s[70:71], 0
	s_cselect_b64 s[8:9], -1, 0
	s_andn2_b64 s[10:11], s[34:35], exec
	s_and_b64 s[6:7], s[6:7], exec
	s_or_b64 s[34:35], s[10:11], s[6:7]
	s_andn2_b64 s[6:7], s[36:37], exec
	s_and_b64 s[8:9], s[8:9], exec
	s_or_b64 s[36:37], s[6:7], s[8:9]
.LBB758_408:
	s_or_b64 exec, exec, s[4:5]
	v_mov_b32_e32 v0, s33
	s_and_saveexec_b64 s[4:5], s[36:37]
	s_cbranch_execz .LBB758_380
.LBB758_409:
	s_waitcnt vmcnt(0)
	v_add_f32_e32 v0, s33, v2
	v_cvt_i32_f32_e32 v0, v0
	s_or_b64 s[34:35], s[34:35], exec
	v_ashrrev_i32_e32 v1, 31, v0
	v_lshl_add_u64 v[0:1], v[0:1], 2, s[66:67]
	global_load_dword v0, v[0:1], off
	s_or_b64 exec, exec, s[4:5]
	s_and_saveexec_b64 s[4:5], s[34:35]
	s_cbranch_execz .LBB758_381
.LBB758_410:
	s_load_dwordx2 s[0:1], s[0:1], 0x18
	s_lshl_b64 s[2:3], s[2:3], 2
	v_mov_b32_e32 v1, 0
	s_waitcnt lgkmcnt(0)
	s_add_u32 s0, s0, s2
	s_addc_u32 s1, s1, s3
	s_waitcnt vmcnt(0)
	global_store_dword v1, v0, s[0:1]
	s_endpgm
.LBB758_411:
	v_lshlrev_b32_e32 v1, 2, v1
	global_load_dword v33, v1, s[76:77]
	s_or_b64 exec, exec, s[78:79]
	s_and_saveexec_b64 s[76:77], s[64:65]
	s_cbranch_execz .LBB758_88
.LBB758_412:
	s_waitcnt vmcnt(0)
	v_add_f32_e32 v1, v2, v3
	v_cvt_i32_f32_e32 v2, v1
	v_ashrrev_i32_e32 v3, 31, v2
	v_lshl_add_u64 v[2:3], v[2:3], 2, s[66:67]
	global_load_dword v2, v[2:3], off
	s_or_b64 exec, exec, s[76:77]
	s_and_saveexec_b64 s[64:65], s[62:63]
	s_cbranch_execz .LBB758_89
.LBB758_413:
	s_waitcnt vmcnt(0)
	v_add_f32_e32 v1, v4, v2
	v_cvt_i32_f32_e32 v2, v1
	v_ashrrev_i32_e32 v3, 31, v2
	v_lshl_add_u64 v[2:3], v[2:3], 2, s[66:67]
	global_load_dword v2, v[2:3], off
	s_or_b64 exec, exec, s[64:65]
	s_and_saveexec_b64 s[62:63], s[60:61]
	s_cbranch_execz .LBB758_90
.LBB758_414:
	s_waitcnt vmcnt(0)
	v_add_f32_e32 v1, v5, v2
	v_cvt_i32_f32_e32 v2, v1
	v_ashrrev_i32_e32 v3, 31, v2
	v_lshl_add_u64 v[2:3], v[2:3], 2, s[66:67]
	global_load_dword v2, v[2:3], off
	s_or_b64 exec, exec, s[62:63]
	s_and_saveexec_b64 s[60:61], s[58:59]
	s_cbranch_execz .LBB758_91
.LBB758_415:
	s_waitcnt vmcnt(0)
	v_add_f32_e32 v1, v6, v2
	v_cvt_i32_f32_e32 v2, v1
	v_ashrrev_i32_e32 v3, 31, v2
	v_lshl_add_u64 v[2:3], v[2:3], 2, s[66:67]
	global_load_dword v2, v[2:3], off
	s_or_b64 exec, exec, s[60:61]
	s_and_saveexec_b64 s[58:59], s[56:57]
	s_cbranch_execz .LBB758_92
.LBB758_416:
	s_waitcnt vmcnt(0)
	v_add_f32_e32 v1, v7, v2
	v_cvt_i32_f32_e32 v2, v1
	v_ashrrev_i32_e32 v3, 31, v2
	v_lshl_add_u64 v[2:3], v[2:3], 2, s[66:67]
	global_load_dword v2, v[2:3], off
	s_or_b64 exec, exec, s[58:59]
	s_and_saveexec_b64 s[56:57], s[54:55]
	s_cbranch_execz .LBB758_93
.LBB758_417:
	s_waitcnt vmcnt(0)
	v_add_f32_e32 v1, v8, v2
	v_cvt_i32_f32_e32 v2, v1
	v_ashrrev_i32_e32 v3, 31, v2
	v_lshl_add_u64 v[2:3], v[2:3], 2, s[66:67]
	global_load_dword v2, v[2:3], off
	s_or_b64 exec, exec, s[56:57]
	s_and_saveexec_b64 s[54:55], s[52:53]
	s_cbranch_execz .LBB758_94
.LBB758_418:
	s_waitcnt vmcnt(0)
	v_add_f32_e32 v1, v9, v2
	v_cvt_i32_f32_e32 v2, v1
	v_ashrrev_i32_e32 v3, 31, v2
	v_lshl_add_u64 v[2:3], v[2:3], 2, s[66:67]
	global_load_dword v2, v[2:3], off
	s_or_b64 exec, exec, s[54:55]
	s_and_saveexec_b64 s[52:53], s[50:51]
	s_cbranch_execz .LBB758_95
.LBB758_419:
	s_waitcnt vmcnt(0)
	v_add_f32_e32 v1, v10, v2
	v_cvt_i32_f32_e32 v2, v1
	v_ashrrev_i32_e32 v3, 31, v2
	v_lshl_add_u64 v[2:3], v[2:3], 2, s[66:67]
	global_load_dword v2, v[2:3], off
	s_or_b64 exec, exec, s[52:53]
	s_and_saveexec_b64 s[50:51], s[48:49]
	s_cbranch_execz .LBB758_96
.LBB758_420:
	s_waitcnt vmcnt(0)
	v_add_f32_e32 v1, v11, v2
	v_cvt_i32_f32_e32 v2, v1
	v_ashrrev_i32_e32 v3, 31, v2
	v_lshl_add_u64 v[2:3], v[2:3], 2, s[66:67]
	global_load_dword v2, v[2:3], off
	s_or_b64 exec, exec, s[50:51]
	s_and_saveexec_b64 s[48:49], s[46:47]
	s_cbranch_execz .LBB758_97
.LBB758_421:
	s_waitcnt vmcnt(0)
	v_add_f32_e32 v1, v12, v2
	v_cvt_i32_f32_e32 v2, v1
	v_ashrrev_i32_e32 v3, 31, v2
	v_lshl_add_u64 v[2:3], v[2:3], 2, s[66:67]
	global_load_dword v2, v[2:3], off
	s_or_b64 exec, exec, s[48:49]
	s_and_saveexec_b64 s[46:47], s[44:45]
	s_cbranch_execz .LBB758_98
.LBB758_422:
	s_waitcnt vmcnt(0)
	v_add_f32_e32 v1, v13, v2
	v_cvt_i32_f32_e32 v2, v1
	v_ashrrev_i32_e32 v3, 31, v2
	v_lshl_add_u64 v[2:3], v[2:3], 2, s[66:67]
	global_load_dword v2, v[2:3], off
	s_or_b64 exec, exec, s[46:47]
	s_and_saveexec_b64 s[44:45], s[42:43]
	s_cbranch_execz .LBB758_99
.LBB758_423:
	s_waitcnt vmcnt(0)
	v_add_f32_e32 v1, v14, v2
	v_cvt_i32_f32_e32 v2, v1
	v_ashrrev_i32_e32 v3, 31, v2
	v_lshl_add_u64 v[2:3], v[2:3], 2, s[66:67]
	global_load_dword v2, v[2:3], off
	s_or_b64 exec, exec, s[44:45]
	s_and_saveexec_b64 s[42:43], s[40:41]
	s_cbranch_execz .LBB758_100
.LBB758_424:
	s_waitcnt vmcnt(0)
	v_add_f32_e32 v1, v15, v2
	v_cvt_i32_f32_e32 v2, v1
	v_ashrrev_i32_e32 v3, 31, v2
	v_lshl_add_u64 v[2:3], v[2:3], 2, s[66:67]
	global_load_dword v2, v[2:3], off
	s_or_b64 exec, exec, s[42:43]
	s_and_saveexec_b64 s[40:41], s[38:39]
	s_cbranch_execz .LBB758_101
.LBB758_425:
	s_waitcnt vmcnt(0)
	v_add_f32_e32 v1, v16, v2
	v_cvt_i32_f32_e32 v2, v1
	v_ashrrev_i32_e32 v3, 31, v2
	v_lshl_add_u64 v[2:3], v[2:3], 2, s[66:67]
	global_load_dword v2, v[2:3], off
	s_or_b64 exec, exec, s[40:41]
	s_and_saveexec_b64 s[38:39], s[36:37]
	s_cbranch_execz .LBB758_102
.LBB758_426:
	s_waitcnt vmcnt(0)
	v_add_f32_e32 v1, v17, v2
	v_cvt_i32_f32_e32 v2, v1
	v_ashrrev_i32_e32 v3, 31, v2
	v_lshl_add_u64 v[2:3], v[2:3], 2, s[66:67]
	global_load_dword v2, v[2:3], off
	s_or_b64 exec, exec, s[38:39]
	s_and_saveexec_b64 s[36:37], s[34:35]
	s_cbranch_execz .LBB758_103
.LBB758_427:
	s_waitcnt vmcnt(0)
	v_add_f32_e32 v1, v18, v2
	v_cvt_i32_f32_e32 v2, v1
	v_ashrrev_i32_e32 v3, 31, v2
	v_lshl_add_u64 v[2:3], v[2:3], 2, s[66:67]
	global_load_dword v2, v[2:3], off
	s_or_b64 exec, exec, s[36:37]
	s_and_saveexec_b64 s[34:35], s[30:31]
	s_cbranch_execz .LBB758_104
.LBB758_428:
	s_waitcnt vmcnt(0)
	v_add_f32_e32 v1, v19, v2
	v_cvt_i32_f32_e32 v2, v1
	v_ashrrev_i32_e32 v3, 31, v2
	v_lshl_add_u64 v[2:3], v[2:3], 2, s[66:67]
	global_load_dword v2, v[2:3], off
	s_or_b64 exec, exec, s[34:35]
	s_and_saveexec_b64 s[30:31], s[28:29]
	s_cbranch_execz .LBB758_105
.LBB758_429:
	s_waitcnt vmcnt(0)
	v_add_f32_e32 v1, v20, v2
	v_cvt_i32_f32_e32 v2, v1
	v_ashrrev_i32_e32 v3, 31, v2
	v_lshl_add_u64 v[2:3], v[2:3], 2, s[66:67]
	global_load_dword v2, v[2:3], off
	s_or_b64 exec, exec, s[30:31]
	s_and_saveexec_b64 s[28:29], s[26:27]
	s_cbranch_execz .LBB758_106
.LBB758_430:
	s_waitcnt vmcnt(0)
	v_add_f32_e32 v1, v21, v2
	v_cvt_i32_f32_e32 v2, v1
	v_ashrrev_i32_e32 v3, 31, v2
	v_lshl_add_u64 v[2:3], v[2:3], 2, s[66:67]
	global_load_dword v2, v[2:3], off
	s_or_b64 exec, exec, s[28:29]
	s_and_saveexec_b64 s[26:27], s[24:25]
	s_cbranch_execz .LBB758_107
.LBB758_431:
	s_waitcnt vmcnt(0)
	v_add_f32_e32 v1, v22, v2
	v_cvt_i32_f32_e32 v2, v1
	v_ashrrev_i32_e32 v3, 31, v2
	v_lshl_add_u64 v[2:3], v[2:3], 2, s[66:67]
	global_load_dword v2, v[2:3], off
	s_or_b64 exec, exec, s[26:27]
	s_and_saveexec_b64 s[24:25], s[22:23]
	s_cbranch_execz .LBB758_108
.LBB758_432:
	s_waitcnt vmcnt(0)
	v_add_f32_e32 v1, v23, v2
	v_cvt_i32_f32_e32 v2, v1
	v_ashrrev_i32_e32 v3, 31, v2
	v_lshl_add_u64 v[2:3], v[2:3], 2, s[66:67]
	global_load_dword v2, v[2:3], off
	s_or_b64 exec, exec, s[24:25]
	s_and_saveexec_b64 s[22:23], s[20:21]
	s_cbranch_execz .LBB758_109
.LBB758_433:
	s_waitcnt vmcnt(0)
	v_add_f32_e32 v1, v24, v2
	v_cvt_i32_f32_e32 v2, v1
	v_ashrrev_i32_e32 v3, 31, v2
	v_lshl_add_u64 v[2:3], v[2:3], 2, s[66:67]
	global_load_dword v2, v[2:3], off
	s_or_b64 exec, exec, s[22:23]
	s_and_saveexec_b64 s[20:21], s[18:19]
	s_cbranch_execz .LBB758_110
.LBB758_434:
	s_waitcnt vmcnt(0)
	v_add_f32_e32 v1, v25, v2
	v_cvt_i32_f32_e32 v2, v1
	v_ashrrev_i32_e32 v3, 31, v2
	v_lshl_add_u64 v[2:3], v[2:3], 2, s[66:67]
	global_load_dword v2, v[2:3], off
	s_or_b64 exec, exec, s[20:21]
	s_and_saveexec_b64 s[18:19], s[16:17]
	s_cbranch_execz .LBB758_111
.LBB758_435:
	s_waitcnt vmcnt(0)
	v_add_f32_e32 v1, v26, v2
	v_cvt_i32_f32_e32 v2, v1
	v_ashrrev_i32_e32 v3, 31, v2
	v_lshl_add_u64 v[2:3], v[2:3], 2, s[66:67]
	global_load_dword v2, v[2:3], off
	s_or_b64 exec, exec, s[18:19]
	s_and_saveexec_b64 s[16:17], s[14:15]
	s_cbranch_execz .LBB758_112
.LBB758_436:
	s_waitcnt vmcnt(0)
	v_add_f32_e32 v1, v27, v2
	v_cvt_i32_f32_e32 v2, v1
	v_ashrrev_i32_e32 v3, 31, v2
	v_lshl_add_u64 v[2:3], v[2:3], 2, s[66:67]
	global_load_dword v2, v[2:3], off
	s_or_b64 exec, exec, s[16:17]
	s_and_saveexec_b64 s[14:15], s[12:13]
	s_cbranch_execz .LBB758_113
.LBB758_437:
	s_waitcnt vmcnt(0)
	v_add_f32_e32 v1, v28, v2
	v_cvt_i32_f32_e32 v2, v1
	v_ashrrev_i32_e32 v3, 31, v2
	v_lshl_add_u64 v[2:3], v[2:3], 2, s[66:67]
	global_load_dword v2, v[2:3], off
	s_or_b64 exec, exec, s[14:15]
	s_and_saveexec_b64 s[12:13], s[10:11]
	s_cbranch_execz .LBB758_114
.LBB758_438:
	s_waitcnt vmcnt(0)
	v_add_f32_e32 v1, v29, v2
	v_cvt_i32_f32_e32 v2, v1
	v_ashrrev_i32_e32 v3, 31, v2
	v_lshl_add_u64 v[2:3], v[2:3], 2, s[66:67]
	global_load_dword v2, v[2:3], off
	s_or_b64 exec, exec, s[12:13]
	s_and_saveexec_b64 s[10:11], s[8:9]
	s_cbranch_execz .LBB758_115
.LBB758_439:
	s_waitcnt vmcnt(0)
	v_add_f32_e32 v1, v30, v2
	v_cvt_i32_f32_e32 v2, v1
	v_ashrrev_i32_e32 v3, 31, v2
	v_lshl_add_u64 v[2:3], v[2:3], 2, s[66:67]
	global_load_dword v2, v[2:3], off
	s_or_b64 exec, exec, s[10:11]
	s_and_saveexec_b64 s[8:9], s[6:7]
	s_cbranch_execz .LBB758_116
.LBB758_440:
	s_waitcnt vmcnt(0)
	v_add_f32_e32 v1, v31, v2
	v_cvt_i32_f32_e32 v2, v1
	v_ashrrev_i32_e32 v3, 31, v2
	v_lshl_add_u64 v[2:3], v[2:3], 2, s[66:67]
	global_load_dword v2, v[2:3], off
	s_or_b64 exec, exec, s[8:9]
	s_and_saveexec_b64 s[6:7], s[4:5]
	s_cbranch_execz .LBB758_117
.LBB758_441:
	s_waitcnt vmcnt(0)
	v_add_f32_e32 v1, v32, v2
	v_cvt_i32_f32_e32 v2, v1
	v_ashrrev_i32_e32 v3, 31, v2
	v_lshl_add_u64 v[2:3], v[2:3], 2, s[66:67]
	global_load_dword v2, v[2:3], off
	s_or_b64 exec, exec, s[6:7]
	s_and_saveexec_b64 s[4:5], vcc
	s_cbranch_execnz .LBB758_118
	s_branch .LBB758_119
.LBB758_442:
	v_lshlrev_b32_e32 v1, 2, v1
	global_load_dword v17, v1, s[40:41]
	s_or_b64 exec, exec, s[42:43]
	s_and_saveexec_b64 s[40:41], s[30:31]
	s_cbranch_execz .LBB758_178
.LBB758_443:
	s_waitcnt vmcnt(0)
	v_add_f32_e32 v1, v2, v3
	v_cvt_i32_f32_e32 v2, v1
	v_ashrrev_i32_e32 v3, 31, v2
	v_lshl_add_u64 v[2:3], v[2:3], 2, s[66:67]
	global_load_dword v2, v[2:3], off
	s_or_b64 exec, exec, s[40:41]
	s_and_saveexec_b64 s[30:31], s[28:29]
	s_cbranch_execz .LBB758_179
.LBB758_444:
	s_waitcnt vmcnt(0)
	v_add_f32_e32 v1, v4, v2
	v_cvt_i32_f32_e32 v2, v1
	v_ashrrev_i32_e32 v3, 31, v2
	v_lshl_add_u64 v[2:3], v[2:3], 2, s[66:67]
	global_load_dword v2, v[2:3], off
	s_or_b64 exec, exec, s[30:31]
	s_and_saveexec_b64 s[28:29], s[26:27]
	s_cbranch_execz .LBB758_180
.LBB758_445:
	s_waitcnt vmcnt(0)
	v_add_f32_e32 v1, v5, v2
	v_cvt_i32_f32_e32 v2, v1
	v_ashrrev_i32_e32 v3, 31, v2
	v_lshl_add_u64 v[2:3], v[2:3], 2, s[66:67]
	global_load_dword v2, v[2:3], off
	s_or_b64 exec, exec, s[28:29]
	s_and_saveexec_b64 s[26:27], s[24:25]
	s_cbranch_execz .LBB758_181
.LBB758_446:
	s_waitcnt vmcnt(0)
	v_add_f32_e32 v1, v6, v2
	v_cvt_i32_f32_e32 v2, v1
	v_ashrrev_i32_e32 v3, 31, v2
	v_lshl_add_u64 v[2:3], v[2:3], 2, s[66:67]
	global_load_dword v2, v[2:3], off
	s_or_b64 exec, exec, s[26:27]
	s_and_saveexec_b64 s[24:25], s[22:23]
	s_cbranch_execz .LBB758_182
.LBB758_447:
	s_waitcnt vmcnt(0)
	v_add_f32_e32 v1, v7, v2
	v_cvt_i32_f32_e32 v2, v1
	v_ashrrev_i32_e32 v3, 31, v2
	v_lshl_add_u64 v[2:3], v[2:3], 2, s[66:67]
	global_load_dword v2, v[2:3], off
	s_or_b64 exec, exec, s[24:25]
	s_and_saveexec_b64 s[22:23], s[20:21]
	s_cbranch_execz .LBB758_183
.LBB758_448:
	s_waitcnt vmcnt(0)
	v_add_f32_e32 v1, v8, v2
	v_cvt_i32_f32_e32 v2, v1
	v_ashrrev_i32_e32 v3, 31, v2
	v_lshl_add_u64 v[2:3], v[2:3], 2, s[66:67]
	global_load_dword v2, v[2:3], off
	s_or_b64 exec, exec, s[22:23]
	s_and_saveexec_b64 s[20:21], s[18:19]
	s_cbranch_execz .LBB758_184
.LBB758_449:
	s_waitcnt vmcnt(0)
	v_add_f32_e32 v1, v9, v2
	v_cvt_i32_f32_e32 v2, v1
	v_ashrrev_i32_e32 v3, 31, v2
	v_lshl_add_u64 v[2:3], v[2:3], 2, s[66:67]
	global_load_dword v2, v[2:3], off
	s_or_b64 exec, exec, s[20:21]
	s_and_saveexec_b64 s[18:19], s[16:17]
	s_cbranch_execz .LBB758_185
.LBB758_450:
	s_waitcnt vmcnt(0)
	v_add_f32_e32 v1, v10, v2
	v_cvt_i32_f32_e32 v2, v1
	v_ashrrev_i32_e32 v3, 31, v2
	v_lshl_add_u64 v[2:3], v[2:3], 2, s[66:67]
	global_load_dword v2, v[2:3], off
	s_or_b64 exec, exec, s[18:19]
	s_and_saveexec_b64 s[16:17], s[14:15]
	s_cbranch_execz .LBB758_186
.LBB758_451:
	s_waitcnt vmcnt(0)
	v_add_f32_e32 v1, v11, v2
	v_cvt_i32_f32_e32 v2, v1
	v_ashrrev_i32_e32 v3, 31, v2
	v_lshl_add_u64 v[2:3], v[2:3], 2, s[66:67]
	global_load_dword v2, v[2:3], off
	s_or_b64 exec, exec, s[16:17]
	s_and_saveexec_b64 s[14:15], s[12:13]
	s_cbranch_execz .LBB758_187
.LBB758_452:
	s_waitcnt vmcnt(0)
	v_add_f32_e32 v1, v12, v2
	v_cvt_i32_f32_e32 v2, v1
	v_ashrrev_i32_e32 v3, 31, v2
	v_lshl_add_u64 v[2:3], v[2:3], 2, s[66:67]
	global_load_dword v2, v[2:3], off
	s_or_b64 exec, exec, s[14:15]
	s_and_saveexec_b64 s[12:13], s[10:11]
	s_cbranch_execz .LBB758_188
.LBB758_453:
	s_waitcnt vmcnt(0)
	v_add_f32_e32 v1, v13, v2
	v_cvt_i32_f32_e32 v2, v1
	v_ashrrev_i32_e32 v3, 31, v2
	v_lshl_add_u64 v[2:3], v[2:3], 2, s[66:67]
	global_load_dword v2, v[2:3], off
	s_or_b64 exec, exec, s[12:13]
	s_and_saveexec_b64 s[10:11], s[8:9]
	s_cbranch_execz .LBB758_189
.LBB758_454:
	s_waitcnt vmcnt(0)
	v_add_f32_e32 v1, v14, v2
	v_cvt_i32_f32_e32 v2, v1
	v_ashrrev_i32_e32 v3, 31, v2
	v_lshl_add_u64 v[2:3], v[2:3], 2, s[66:67]
	global_load_dword v2, v[2:3], off
	s_or_b64 exec, exec, s[10:11]
	s_and_saveexec_b64 s[8:9], s[6:7]
	s_cbranch_execz .LBB758_190
.LBB758_455:
	s_waitcnt vmcnt(0)
	v_add_f32_e32 v1, v15, v2
	v_cvt_i32_f32_e32 v2, v1
	v_ashrrev_i32_e32 v3, 31, v2
	v_lshl_add_u64 v[2:3], v[2:3], 2, s[66:67]
	global_load_dword v2, v[2:3], off
	s_or_b64 exec, exec, s[8:9]
	s_and_saveexec_b64 s[6:7], s[4:5]
	s_cbranch_execz .LBB758_191
.LBB758_456:
	s_waitcnt vmcnt(0)
	v_add_f32_e32 v1, v16, v2
	v_cvt_i32_f32_e32 v2, v1
	v_ashrrev_i32_e32 v3, 31, v2
	v_lshl_add_u64 v[2:3], v[2:3], 2, s[66:67]
	global_load_dword v2, v[2:3], off
	s_or_b64 exec, exec, s[6:7]
	s_and_saveexec_b64 s[4:5], vcc
	s_cbranch_execnz .LBB758_192
	s_branch .LBB758_193
.LBB758_457:
	v_lshlrev_b32_e32 v1, 2, v0
	global_load_dword v5, v1, s[10:11] offset:3072
	s_or_b64 exec, exec, s[12:13]
	s_and_saveexec_b64 s[10:11], s[6:7]
	s_cbranch_execz .LBB758_304
.LBB758_458:
	s_waitcnt vmcnt(0)
	v_add_f32_e32 v1, v2, v3
	v_cvt_i32_f32_e32 v2, v1
	v_ashrrev_i32_e32 v3, 31, v2
	v_lshl_add_u64 v[2:3], v[2:3], 2, s[66:67]
	global_load_dword v2, v[2:3], off
	s_or_b64 exec, exec, s[10:11]
	s_and_saveexec_b64 s[6:7], s[4:5]
	s_cbranch_execz .LBB758_305
.LBB758_459:
	s_waitcnt vmcnt(0)
	v_add_f32_e32 v1, v4, v2
	v_cvt_i32_f32_e32 v2, v1
	v_ashrrev_i32_e32 v3, 31, v2
	v_lshl_add_u64 v[2:3], v[2:3], 2, s[66:67]
	global_load_dword v2, v[2:3], off
	s_or_b64 exec, exec, s[6:7]
	s_and_saveexec_b64 s[4:5], vcc
	s_cbranch_execnz .LBB758_306
	s_branch .LBB758_307
	.section	.rodata,"a",@progbits
	.p2align	6, 0x0
	.amdhsa_kernel _ZN7rocprim17ROCPRIM_400000_NS6detail17trampoline_kernelINS0_14default_configENS1_22reduce_config_selectorIfEEZNS1_11reduce_implILb1ES3_N6thrust23THRUST_200600_302600_NS6detail15normal_iteratorINS8_10device_ptrIfEEEEPff9plus_mod3IfEEE10hipError_tPvRmT1_T2_T3_mT4_P12ihipStream_tbEUlT_E1_NS1_11comp_targetILNS1_3genE0ELNS1_11target_archE4294967295ELNS1_3gpuE0ELNS1_3repE0EEENS1_30default_config_static_selectorELNS0_4arch9wavefront6targetE1EEEvSK_
		.amdhsa_group_segment_fixed_size 112
		.amdhsa_private_segment_fixed_size 0
		.amdhsa_kernarg_size 48
		.amdhsa_user_sgpr_count 2
		.amdhsa_user_sgpr_dispatch_ptr 0
		.amdhsa_user_sgpr_queue_ptr 0
		.amdhsa_user_sgpr_kernarg_segment_ptr 1
		.amdhsa_user_sgpr_dispatch_id 0
		.amdhsa_user_sgpr_kernarg_preload_length 0
		.amdhsa_user_sgpr_kernarg_preload_offset 0
		.amdhsa_user_sgpr_private_segment_size 0
		.amdhsa_uses_dynamic_stack 0
		.amdhsa_enable_private_segment 0
		.amdhsa_system_sgpr_workgroup_id_x 1
		.amdhsa_system_sgpr_workgroup_id_y 0
		.amdhsa_system_sgpr_workgroup_id_z 0
		.amdhsa_system_sgpr_workgroup_info 0
		.amdhsa_system_vgpr_workitem_id 0
		.amdhsa_next_free_vgpr 36
		.amdhsa_next_free_sgpr 82
		.amdhsa_accum_offset 36
		.amdhsa_reserve_vcc 1
		.amdhsa_float_round_mode_32 0
		.amdhsa_float_round_mode_16_64 0
		.amdhsa_float_denorm_mode_32 3
		.amdhsa_float_denorm_mode_16_64 3
		.amdhsa_dx10_clamp 1
		.amdhsa_ieee_mode 1
		.amdhsa_fp16_overflow 0
		.amdhsa_tg_split 0
		.amdhsa_exception_fp_ieee_invalid_op 0
		.amdhsa_exception_fp_denorm_src 0
		.amdhsa_exception_fp_ieee_div_zero 0
		.amdhsa_exception_fp_ieee_overflow 0
		.amdhsa_exception_fp_ieee_underflow 0
		.amdhsa_exception_fp_ieee_inexact 0
		.amdhsa_exception_int_div_zero 0
	.end_amdhsa_kernel
	.section	.text._ZN7rocprim17ROCPRIM_400000_NS6detail17trampoline_kernelINS0_14default_configENS1_22reduce_config_selectorIfEEZNS1_11reduce_implILb1ES3_N6thrust23THRUST_200600_302600_NS6detail15normal_iteratorINS8_10device_ptrIfEEEEPff9plus_mod3IfEEE10hipError_tPvRmT1_T2_T3_mT4_P12ihipStream_tbEUlT_E1_NS1_11comp_targetILNS1_3genE0ELNS1_11target_archE4294967295ELNS1_3gpuE0ELNS1_3repE0EEENS1_30default_config_static_selectorELNS0_4arch9wavefront6targetE1EEEvSK_,"axG",@progbits,_ZN7rocprim17ROCPRIM_400000_NS6detail17trampoline_kernelINS0_14default_configENS1_22reduce_config_selectorIfEEZNS1_11reduce_implILb1ES3_N6thrust23THRUST_200600_302600_NS6detail15normal_iteratorINS8_10device_ptrIfEEEEPff9plus_mod3IfEEE10hipError_tPvRmT1_T2_T3_mT4_P12ihipStream_tbEUlT_E1_NS1_11comp_targetILNS1_3genE0ELNS1_11target_archE4294967295ELNS1_3gpuE0ELNS1_3repE0EEENS1_30default_config_static_selectorELNS0_4arch9wavefront6targetE1EEEvSK_,comdat
.Lfunc_end758:
	.size	_ZN7rocprim17ROCPRIM_400000_NS6detail17trampoline_kernelINS0_14default_configENS1_22reduce_config_selectorIfEEZNS1_11reduce_implILb1ES3_N6thrust23THRUST_200600_302600_NS6detail15normal_iteratorINS8_10device_ptrIfEEEEPff9plus_mod3IfEEE10hipError_tPvRmT1_T2_T3_mT4_P12ihipStream_tbEUlT_E1_NS1_11comp_targetILNS1_3genE0ELNS1_11target_archE4294967295ELNS1_3gpuE0ELNS1_3repE0EEENS1_30default_config_static_selectorELNS0_4arch9wavefront6targetE1EEEvSK_, .Lfunc_end758-_ZN7rocprim17ROCPRIM_400000_NS6detail17trampoline_kernelINS0_14default_configENS1_22reduce_config_selectorIfEEZNS1_11reduce_implILb1ES3_N6thrust23THRUST_200600_302600_NS6detail15normal_iteratorINS8_10device_ptrIfEEEEPff9plus_mod3IfEEE10hipError_tPvRmT1_T2_T3_mT4_P12ihipStream_tbEUlT_E1_NS1_11comp_targetILNS1_3genE0ELNS1_11target_archE4294967295ELNS1_3gpuE0ELNS1_3repE0EEENS1_30default_config_static_selectorELNS0_4arch9wavefront6targetE1EEEvSK_
                                        ; -- End function
	.set _ZN7rocprim17ROCPRIM_400000_NS6detail17trampoline_kernelINS0_14default_configENS1_22reduce_config_selectorIfEEZNS1_11reduce_implILb1ES3_N6thrust23THRUST_200600_302600_NS6detail15normal_iteratorINS8_10device_ptrIfEEEEPff9plus_mod3IfEEE10hipError_tPvRmT1_T2_T3_mT4_P12ihipStream_tbEUlT_E1_NS1_11comp_targetILNS1_3genE0ELNS1_11target_archE4294967295ELNS1_3gpuE0ELNS1_3repE0EEENS1_30default_config_static_selectorELNS0_4arch9wavefront6targetE1EEEvSK_.num_vgpr, 36
	.set _ZN7rocprim17ROCPRIM_400000_NS6detail17trampoline_kernelINS0_14default_configENS1_22reduce_config_selectorIfEEZNS1_11reduce_implILb1ES3_N6thrust23THRUST_200600_302600_NS6detail15normal_iteratorINS8_10device_ptrIfEEEEPff9plus_mod3IfEEE10hipError_tPvRmT1_T2_T3_mT4_P12ihipStream_tbEUlT_E1_NS1_11comp_targetILNS1_3genE0ELNS1_11target_archE4294967295ELNS1_3gpuE0ELNS1_3repE0EEENS1_30default_config_static_selectorELNS0_4arch9wavefront6targetE1EEEvSK_.num_agpr, 0
	.set _ZN7rocprim17ROCPRIM_400000_NS6detail17trampoline_kernelINS0_14default_configENS1_22reduce_config_selectorIfEEZNS1_11reduce_implILb1ES3_N6thrust23THRUST_200600_302600_NS6detail15normal_iteratorINS8_10device_ptrIfEEEEPff9plus_mod3IfEEE10hipError_tPvRmT1_T2_T3_mT4_P12ihipStream_tbEUlT_E1_NS1_11comp_targetILNS1_3genE0ELNS1_11target_archE4294967295ELNS1_3gpuE0ELNS1_3repE0EEENS1_30default_config_static_selectorELNS0_4arch9wavefront6targetE1EEEvSK_.numbered_sgpr, 82
	.set _ZN7rocprim17ROCPRIM_400000_NS6detail17trampoline_kernelINS0_14default_configENS1_22reduce_config_selectorIfEEZNS1_11reduce_implILb1ES3_N6thrust23THRUST_200600_302600_NS6detail15normal_iteratorINS8_10device_ptrIfEEEEPff9plus_mod3IfEEE10hipError_tPvRmT1_T2_T3_mT4_P12ihipStream_tbEUlT_E1_NS1_11comp_targetILNS1_3genE0ELNS1_11target_archE4294967295ELNS1_3gpuE0ELNS1_3repE0EEENS1_30default_config_static_selectorELNS0_4arch9wavefront6targetE1EEEvSK_.num_named_barrier, 0
	.set _ZN7rocprim17ROCPRIM_400000_NS6detail17trampoline_kernelINS0_14default_configENS1_22reduce_config_selectorIfEEZNS1_11reduce_implILb1ES3_N6thrust23THRUST_200600_302600_NS6detail15normal_iteratorINS8_10device_ptrIfEEEEPff9plus_mod3IfEEE10hipError_tPvRmT1_T2_T3_mT4_P12ihipStream_tbEUlT_E1_NS1_11comp_targetILNS1_3genE0ELNS1_11target_archE4294967295ELNS1_3gpuE0ELNS1_3repE0EEENS1_30default_config_static_selectorELNS0_4arch9wavefront6targetE1EEEvSK_.private_seg_size, 0
	.set _ZN7rocprim17ROCPRIM_400000_NS6detail17trampoline_kernelINS0_14default_configENS1_22reduce_config_selectorIfEEZNS1_11reduce_implILb1ES3_N6thrust23THRUST_200600_302600_NS6detail15normal_iteratorINS8_10device_ptrIfEEEEPff9plus_mod3IfEEE10hipError_tPvRmT1_T2_T3_mT4_P12ihipStream_tbEUlT_E1_NS1_11comp_targetILNS1_3genE0ELNS1_11target_archE4294967295ELNS1_3gpuE0ELNS1_3repE0EEENS1_30default_config_static_selectorELNS0_4arch9wavefront6targetE1EEEvSK_.uses_vcc, 1
	.set _ZN7rocprim17ROCPRIM_400000_NS6detail17trampoline_kernelINS0_14default_configENS1_22reduce_config_selectorIfEEZNS1_11reduce_implILb1ES3_N6thrust23THRUST_200600_302600_NS6detail15normal_iteratorINS8_10device_ptrIfEEEEPff9plus_mod3IfEEE10hipError_tPvRmT1_T2_T3_mT4_P12ihipStream_tbEUlT_E1_NS1_11comp_targetILNS1_3genE0ELNS1_11target_archE4294967295ELNS1_3gpuE0ELNS1_3repE0EEENS1_30default_config_static_selectorELNS0_4arch9wavefront6targetE1EEEvSK_.uses_flat_scratch, 0
	.set _ZN7rocprim17ROCPRIM_400000_NS6detail17trampoline_kernelINS0_14default_configENS1_22reduce_config_selectorIfEEZNS1_11reduce_implILb1ES3_N6thrust23THRUST_200600_302600_NS6detail15normal_iteratorINS8_10device_ptrIfEEEEPff9plus_mod3IfEEE10hipError_tPvRmT1_T2_T3_mT4_P12ihipStream_tbEUlT_E1_NS1_11comp_targetILNS1_3genE0ELNS1_11target_archE4294967295ELNS1_3gpuE0ELNS1_3repE0EEENS1_30default_config_static_selectorELNS0_4arch9wavefront6targetE1EEEvSK_.has_dyn_sized_stack, 0
	.set _ZN7rocprim17ROCPRIM_400000_NS6detail17trampoline_kernelINS0_14default_configENS1_22reduce_config_selectorIfEEZNS1_11reduce_implILb1ES3_N6thrust23THRUST_200600_302600_NS6detail15normal_iteratorINS8_10device_ptrIfEEEEPff9plus_mod3IfEEE10hipError_tPvRmT1_T2_T3_mT4_P12ihipStream_tbEUlT_E1_NS1_11comp_targetILNS1_3genE0ELNS1_11target_archE4294967295ELNS1_3gpuE0ELNS1_3repE0EEENS1_30default_config_static_selectorELNS0_4arch9wavefront6targetE1EEEvSK_.has_recursion, 0
	.set _ZN7rocprim17ROCPRIM_400000_NS6detail17trampoline_kernelINS0_14default_configENS1_22reduce_config_selectorIfEEZNS1_11reduce_implILb1ES3_N6thrust23THRUST_200600_302600_NS6detail15normal_iteratorINS8_10device_ptrIfEEEEPff9plus_mod3IfEEE10hipError_tPvRmT1_T2_T3_mT4_P12ihipStream_tbEUlT_E1_NS1_11comp_targetILNS1_3genE0ELNS1_11target_archE4294967295ELNS1_3gpuE0ELNS1_3repE0EEENS1_30default_config_static_selectorELNS0_4arch9wavefront6targetE1EEEvSK_.has_indirect_call, 0
	.section	.AMDGPU.csdata,"",@progbits
; Kernel info:
; codeLenInByte = 17380
; TotalNumSgprs: 88
; NumVgprs: 36
; NumAgprs: 0
; TotalNumVgprs: 36
; ScratchSize: 0
; MemoryBound: 0
; FloatMode: 240
; IeeeMode: 1
; LDSByteSize: 112 bytes/workgroup (compile time only)
; SGPRBlocks: 10
; VGPRBlocks: 4
; NumSGPRsForWavesPerEU: 88
; NumVGPRsForWavesPerEU: 36
; AccumOffset: 36
; Occupancy: 8
; WaveLimiterHint : 1
; COMPUTE_PGM_RSRC2:SCRATCH_EN: 0
; COMPUTE_PGM_RSRC2:USER_SGPR: 2
; COMPUTE_PGM_RSRC2:TRAP_HANDLER: 0
; COMPUTE_PGM_RSRC2:TGID_X_EN: 1
; COMPUTE_PGM_RSRC2:TGID_Y_EN: 0
; COMPUTE_PGM_RSRC2:TGID_Z_EN: 0
; COMPUTE_PGM_RSRC2:TIDIG_COMP_CNT: 0
; COMPUTE_PGM_RSRC3_GFX90A:ACCUM_OFFSET: 8
; COMPUTE_PGM_RSRC3_GFX90A:TG_SPLIT: 0
	.section	.text._ZN7rocprim17ROCPRIM_400000_NS6detail17trampoline_kernelINS0_14default_configENS1_22reduce_config_selectorIfEEZNS1_11reduce_implILb1ES3_N6thrust23THRUST_200600_302600_NS6detail15normal_iteratorINS8_10device_ptrIfEEEEPff9plus_mod3IfEEE10hipError_tPvRmT1_T2_T3_mT4_P12ihipStream_tbEUlT_E1_NS1_11comp_targetILNS1_3genE5ELNS1_11target_archE942ELNS1_3gpuE9ELNS1_3repE0EEENS1_30default_config_static_selectorELNS0_4arch9wavefront6targetE1EEEvSK_,"axG",@progbits,_ZN7rocprim17ROCPRIM_400000_NS6detail17trampoline_kernelINS0_14default_configENS1_22reduce_config_selectorIfEEZNS1_11reduce_implILb1ES3_N6thrust23THRUST_200600_302600_NS6detail15normal_iteratorINS8_10device_ptrIfEEEEPff9plus_mod3IfEEE10hipError_tPvRmT1_T2_T3_mT4_P12ihipStream_tbEUlT_E1_NS1_11comp_targetILNS1_3genE5ELNS1_11target_archE942ELNS1_3gpuE9ELNS1_3repE0EEENS1_30default_config_static_selectorELNS0_4arch9wavefront6targetE1EEEvSK_,comdat
	.protected	_ZN7rocprim17ROCPRIM_400000_NS6detail17trampoline_kernelINS0_14default_configENS1_22reduce_config_selectorIfEEZNS1_11reduce_implILb1ES3_N6thrust23THRUST_200600_302600_NS6detail15normal_iteratorINS8_10device_ptrIfEEEEPff9plus_mod3IfEEE10hipError_tPvRmT1_T2_T3_mT4_P12ihipStream_tbEUlT_E1_NS1_11comp_targetILNS1_3genE5ELNS1_11target_archE942ELNS1_3gpuE9ELNS1_3repE0EEENS1_30default_config_static_selectorELNS0_4arch9wavefront6targetE1EEEvSK_ ; -- Begin function _ZN7rocprim17ROCPRIM_400000_NS6detail17trampoline_kernelINS0_14default_configENS1_22reduce_config_selectorIfEEZNS1_11reduce_implILb1ES3_N6thrust23THRUST_200600_302600_NS6detail15normal_iteratorINS8_10device_ptrIfEEEEPff9plus_mod3IfEEE10hipError_tPvRmT1_T2_T3_mT4_P12ihipStream_tbEUlT_E1_NS1_11comp_targetILNS1_3genE5ELNS1_11target_archE942ELNS1_3gpuE9ELNS1_3repE0EEENS1_30default_config_static_selectorELNS0_4arch9wavefront6targetE1EEEvSK_
	.globl	_ZN7rocprim17ROCPRIM_400000_NS6detail17trampoline_kernelINS0_14default_configENS1_22reduce_config_selectorIfEEZNS1_11reduce_implILb1ES3_N6thrust23THRUST_200600_302600_NS6detail15normal_iteratorINS8_10device_ptrIfEEEEPff9plus_mod3IfEEE10hipError_tPvRmT1_T2_T3_mT4_P12ihipStream_tbEUlT_E1_NS1_11comp_targetILNS1_3genE5ELNS1_11target_archE942ELNS1_3gpuE9ELNS1_3repE0EEENS1_30default_config_static_selectorELNS0_4arch9wavefront6targetE1EEEvSK_
	.p2align	8
	.type	_ZN7rocprim17ROCPRIM_400000_NS6detail17trampoline_kernelINS0_14default_configENS1_22reduce_config_selectorIfEEZNS1_11reduce_implILb1ES3_N6thrust23THRUST_200600_302600_NS6detail15normal_iteratorINS8_10device_ptrIfEEEEPff9plus_mod3IfEEE10hipError_tPvRmT1_T2_T3_mT4_P12ihipStream_tbEUlT_E1_NS1_11comp_targetILNS1_3genE5ELNS1_11target_archE942ELNS1_3gpuE9ELNS1_3repE0EEENS1_30default_config_static_selectorELNS0_4arch9wavefront6targetE1EEEvSK_,@function
_ZN7rocprim17ROCPRIM_400000_NS6detail17trampoline_kernelINS0_14default_configENS1_22reduce_config_selectorIfEEZNS1_11reduce_implILb1ES3_N6thrust23THRUST_200600_302600_NS6detail15normal_iteratorINS8_10device_ptrIfEEEEPff9plus_mod3IfEEE10hipError_tPvRmT1_T2_T3_mT4_P12ihipStream_tbEUlT_E1_NS1_11comp_targetILNS1_3genE5ELNS1_11target_archE942ELNS1_3gpuE9ELNS1_3repE0EEENS1_30default_config_static_selectorELNS0_4arch9wavefront6targetE1EEEvSK_: ; @_ZN7rocprim17ROCPRIM_400000_NS6detail17trampoline_kernelINS0_14default_configENS1_22reduce_config_selectorIfEEZNS1_11reduce_implILb1ES3_N6thrust23THRUST_200600_302600_NS6detail15normal_iteratorINS8_10device_ptrIfEEEEPff9plus_mod3IfEEE10hipError_tPvRmT1_T2_T3_mT4_P12ihipStream_tbEUlT_E1_NS1_11comp_targetILNS1_3genE5ELNS1_11target_archE942ELNS1_3gpuE9ELNS1_3repE0EEENS1_30default_config_static_selectorELNS0_4arch9wavefront6targetE1EEEvSK_
; %bb.0:
	.section	.rodata,"a",@progbits
	.p2align	6, 0x0
	.amdhsa_kernel _ZN7rocprim17ROCPRIM_400000_NS6detail17trampoline_kernelINS0_14default_configENS1_22reduce_config_selectorIfEEZNS1_11reduce_implILb1ES3_N6thrust23THRUST_200600_302600_NS6detail15normal_iteratorINS8_10device_ptrIfEEEEPff9plus_mod3IfEEE10hipError_tPvRmT1_T2_T3_mT4_P12ihipStream_tbEUlT_E1_NS1_11comp_targetILNS1_3genE5ELNS1_11target_archE942ELNS1_3gpuE9ELNS1_3repE0EEENS1_30default_config_static_selectorELNS0_4arch9wavefront6targetE1EEEvSK_
		.amdhsa_group_segment_fixed_size 0
		.amdhsa_private_segment_fixed_size 0
		.amdhsa_kernarg_size 48
		.amdhsa_user_sgpr_count 2
		.amdhsa_user_sgpr_dispatch_ptr 0
		.amdhsa_user_sgpr_queue_ptr 0
		.amdhsa_user_sgpr_kernarg_segment_ptr 1
		.amdhsa_user_sgpr_dispatch_id 0
		.amdhsa_user_sgpr_kernarg_preload_length 0
		.amdhsa_user_sgpr_kernarg_preload_offset 0
		.amdhsa_user_sgpr_private_segment_size 0
		.amdhsa_uses_dynamic_stack 0
		.amdhsa_enable_private_segment 0
		.amdhsa_system_sgpr_workgroup_id_x 1
		.amdhsa_system_sgpr_workgroup_id_y 0
		.amdhsa_system_sgpr_workgroup_id_z 0
		.amdhsa_system_sgpr_workgroup_info 0
		.amdhsa_system_vgpr_workitem_id 0
		.amdhsa_next_free_vgpr 1
		.amdhsa_next_free_sgpr 0
		.amdhsa_accum_offset 4
		.amdhsa_reserve_vcc 0
		.amdhsa_float_round_mode_32 0
		.amdhsa_float_round_mode_16_64 0
		.amdhsa_float_denorm_mode_32 3
		.amdhsa_float_denorm_mode_16_64 3
		.amdhsa_dx10_clamp 1
		.amdhsa_ieee_mode 1
		.amdhsa_fp16_overflow 0
		.amdhsa_tg_split 0
		.amdhsa_exception_fp_ieee_invalid_op 0
		.amdhsa_exception_fp_denorm_src 0
		.amdhsa_exception_fp_ieee_div_zero 0
		.amdhsa_exception_fp_ieee_overflow 0
		.amdhsa_exception_fp_ieee_underflow 0
		.amdhsa_exception_fp_ieee_inexact 0
		.amdhsa_exception_int_div_zero 0
	.end_amdhsa_kernel
	.section	.text._ZN7rocprim17ROCPRIM_400000_NS6detail17trampoline_kernelINS0_14default_configENS1_22reduce_config_selectorIfEEZNS1_11reduce_implILb1ES3_N6thrust23THRUST_200600_302600_NS6detail15normal_iteratorINS8_10device_ptrIfEEEEPff9plus_mod3IfEEE10hipError_tPvRmT1_T2_T3_mT4_P12ihipStream_tbEUlT_E1_NS1_11comp_targetILNS1_3genE5ELNS1_11target_archE942ELNS1_3gpuE9ELNS1_3repE0EEENS1_30default_config_static_selectorELNS0_4arch9wavefront6targetE1EEEvSK_,"axG",@progbits,_ZN7rocprim17ROCPRIM_400000_NS6detail17trampoline_kernelINS0_14default_configENS1_22reduce_config_selectorIfEEZNS1_11reduce_implILb1ES3_N6thrust23THRUST_200600_302600_NS6detail15normal_iteratorINS8_10device_ptrIfEEEEPff9plus_mod3IfEEE10hipError_tPvRmT1_T2_T3_mT4_P12ihipStream_tbEUlT_E1_NS1_11comp_targetILNS1_3genE5ELNS1_11target_archE942ELNS1_3gpuE9ELNS1_3repE0EEENS1_30default_config_static_selectorELNS0_4arch9wavefront6targetE1EEEvSK_,comdat
.Lfunc_end759:
	.size	_ZN7rocprim17ROCPRIM_400000_NS6detail17trampoline_kernelINS0_14default_configENS1_22reduce_config_selectorIfEEZNS1_11reduce_implILb1ES3_N6thrust23THRUST_200600_302600_NS6detail15normal_iteratorINS8_10device_ptrIfEEEEPff9plus_mod3IfEEE10hipError_tPvRmT1_T2_T3_mT4_P12ihipStream_tbEUlT_E1_NS1_11comp_targetILNS1_3genE5ELNS1_11target_archE942ELNS1_3gpuE9ELNS1_3repE0EEENS1_30default_config_static_selectorELNS0_4arch9wavefront6targetE1EEEvSK_, .Lfunc_end759-_ZN7rocprim17ROCPRIM_400000_NS6detail17trampoline_kernelINS0_14default_configENS1_22reduce_config_selectorIfEEZNS1_11reduce_implILb1ES3_N6thrust23THRUST_200600_302600_NS6detail15normal_iteratorINS8_10device_ptrIfEEEEPff9plus_mod3IfEEE10hipError_tPvRmT1_T2_T3_mT4_P12ihipStream_tbEUlT_E1_NS1_11comp_targetILNS1_3genE5ELNS1_11target_archE942ELNS1_3gpuE9ELNS1_3repE0EEENS1_30default_config_static_selectorELNS0_4arch9wavefront6targetE1EEEvSK_
                                        ; -- End function
	.set _ZN7rocprim17ROCPRIM_400000_NS6detail17trampoline_kernelINS0_14default_configENS1_22reduce_config_selectorIfEEZNS1_11reduce_implILb1ES3_N6thrust23THRUST_200600_302600_NS6detail15normal_iteratorINS8_10device_ptrIfEEEEPff9plus_mod3IfEEE10hipError_tPvRmT1_T2_T3_mT4_P12ihipStream_tbEUlT_E1_NS1_11comp_targetILNS1_3genE5ELNS1_11target_archE942ELNS1_3gpuE9ELNS1_3repE0EEENS1_30default_config_static_selectorELNS0_4arch9wavefront6targetE1EEEvSK_.num_vgpr, 0
	.set _ZN7rocprim17ROCPRIM_400000_NS6detail17trampoline_kernelINS0_14default_configENS1_22reduce_config_selectorIfEEZNS1_11reduce_implILb1ES3_N6thrust23THRUST_200600_302600_NS6detail15normal_iteratorINS8_10device_ptrIfEEEEPff9plus_mod3IfEEE10hipError_tPvRmT1_T2_T3_mT4_P12ihipStream_tbEUlT_E1_NS1_11comp_targetILNS1_3genE5ELNS1_11target_archE942ELNS1_3gpuE9ELNS1_3repE0EEENS1_30default_config_static_selectorELNS0_4arch9wavefront6targetE1EEEvSK_.num_agpr, 0
	.set _ZN7rocprim17ROCPRIM_400000_NS6detail17trampoline_kernelINS0_14default_configENS1_22reduce_config_selectorIfEEZNS1_11reduce_implILb1ES3_N6thrust23THRUST_200600_302600_NS6detail15normal_iteratorINS8_10device_ptrIfEEEEPff9plus_mod3IfEEE10hipError_tPvRmT1_T2_T3_mT4_P12ihipStream_tbEUlT_E1_NS1_11comp_targetILNS1_3genE5ELNS1_11target_archE942ELNS1_3gpuE9ELNS1_3repE0EEENS1_30default_config_static_selectorELNS0_4arch9wavefront6targetE1EEEvSK_.numbered_sgpr, 0
	.set _ZN7rocprim17ROCPRIM_400000_NS6detail17trampoline_kernelINS0_14default_configENS1_22reduce_config_selectorIfEEZNS1_11reduce_implILb1ES3_N6thrust23THRUST_200600_302600_NS6detail15normal_iteratorINS8_10device_ptrIfEEEEPff9plus_mod3IfEEE10hipError_tPvRmT1_T2_T3_mT4_P12ihipStream_tbEUlT_E1_NS1_11comp_targetILNS1_3genE5ELNS1_11target_archE942ELNS1_3gpuE9ELNS1_3repE0EEENS1_30default_config_static_selectorELNS0_4arch9wavefront6targetE1EEEvSK_.num_named_barrier, 0
	.set _ZN7rocprim17ROCPRIM_400000_NS6detail17trampoline_kernelINS0_14default_configENS1_22reduce_config_selectorIfEEZNS1_11reduce_implILb1ES3_N6thrust23THRUST_200600_302600_NS6detail15normal_iteratorINS8_10device_ptrIfEEEEPff9plus_mod3IfEEE10hipError_tPvRmT1_T2_T3_mT4_P12ihipStream_tbEUlT_E1_NS1_11comp_targetILNS1_3genE5ELNS1_11target_archE942ELNS1_3gpuE9ELNS1_3repE0EEENS1_30default_config_static_selectorELNS0_4arch9wavefront6targetE1EEEvSK_.private_seg_size, 0
	.set _ZN7rocprim17ROCPRIM_400000_NS6detail17trampoline_kernelINS0_14default_configENS1_22reduce_config_selectorIfEEZNS1_11reduce_implILb1ES3_N6thrust23THRUST_200600_302600_NS6detail15normal_iteratorINS8_10device_ptrIfEEEEPff9plus_mod3IfEEE10hipError_tPvRmT1_T2_T3_mT4_P12ihipStream_tbEUlT_E1_NS1_11comp_targetILNS1_3genE5ELNS1_11target_archE942ELNS1_3gpuE9ELNS1_3repE0EEENS1_30default_config_static_selectorELNS0_4arch9wavefront6targetE1EEEvSK_.uses_vcc, 0
	.set _ZN7rocprim17ROCPRIM_400000_NS6detail17trampoline_kernelINS0_14default_configENS1_22reduce_config_selectorIfEEZNS1_11reduce_implILb1ES3_N6thrust23THRUST_200600_302600_NS6detail15normal_iteratorINS8_10device_ptrIfEEEEPff9plus_mod3IfEEE10hipError_tPvRmT1_T2_T3_mT4_P12ihipStream_tbEUlT_E1_NS1_11comp_targetILNS1_3genE5ELNS1_11target_archE942ELNS1_3gpuE9ELNS1_3repE0EEENS1_30default_config_static_selectorELNS0_4arch9wavefront6targetE1EEEvSK_.uses_flat_scratch, 0
	.set _ZN7rocprim17ROCPRIM_400000_NS6detail17trampoline_kernelINS0_14default_configENS1_22reduce_config_selectorIfEEZNS1_11reduce_implILb1ES3_N6thrust23THRUST_200600_302600_NS6detail15normal_iteratorINS8_10device_ptrIfEEEEPff9plus_mod3IfEEE10hipError_tPvRmT1_T2_T3_mT4_P12ihipStream_tbEUlT_E1_NS1_11comp_targetILNS1_3genE5ELNS1_11target_archE942ELNS1_3gpuE9ELNS1_3repE0EEENS1_30default_config_static_selectorELNS0_4arch9wavefront6targetE1EEEvSK_.has_dyn_sized_stack, 0
	.set _ZN7rocprim17ROCPRIM_400000_NS6detail17trampoline_kernelINS0_14default_configENS1_22reduce_config_selectorIfEEZNS1_11reduce_implILb1ES3_N6thrust23THRUST_200600_302600_NS6detail15normal_iteratorINS8_10device_ptrIfEEEEPff9plus_mod3IfEEE10hipError_tPvRmT1_T2_T3_mT4_P12ihipStream_tbEUlT_E1_NS1_11comp_targetILNS1_3genE5ELNS1_11target_archE942ELNS1_3gpuE9ELNS1_3repE0EEENS1_30default_config_static_selectorELNS0_4arch9wavefront6targetE1EEEvSK_.has_recursion, 0
	.set _ZN7rocprim17ROCPRIM_400000_NS6detail17trampoline_kernelINS0_14default_configENS1_22reduce_config_selectorIfEEZNS1_11reduce_implILb1ES3_N6thrust23THRUST_200600_302600_NS6detail15normal_iteratorINS8_10device_ptrIfEEEEPff9plus_mod3IfEEE10hipError_tPvRmT1_T2_T3_mT4_P12ihipStream_tbEUlT_E1_NS1_11comp_targetILNS1_3genE5ELNS1_11target_archE942ELNS1_3gpuE9ELNS1_3repE0EEENS1_30default_config_static_selectorELNS0_4arch9wavefront6targetE1EEEvSK_.has_indirect_call, 0
	.section	.AMDGPU.csdata,"",@progbits
; Kernel info:
; codeLenInByte = 0
; TotalNumSgprs: 6
; NumVgprs: 0
; NumAgprs: 0
; TotalNumVgprs: 0
; ScratchSize: 0
; MemoryBound: 0
; FloatMode: 240
; IeeeMode: 1
; LDSByteSize: 0 bytes/workgroup (compile time only)
; SGPRBlocks: 0
; VGPRBlocks: 0
; NumSGPRsForWavesPerEU: 6
; NumVGPRsForWavesPerEU: 1
; AccumOffset: 4
; Occupancy: 8
; WaveLimiterHint : 0
; COMPUTE_PGM_RSRC2:SCRATCH_EN: 0
; COMPUTE_PGM_RSRC2:USER_SGPR: 2
; COMPUTE_PGM_RSRC2:TRAP_HANDLER: 0
; COMPUTE_PGM_RSRC2:TGID_X_EN: 1
; COMPUTE_PGM_RSRC2:TGID_Y_EN: 0
; COMPUTE_PGM_RSRC2:TGID_Z_EN: 0
; COMPUTE_PGM_RSRC2:TIDIG_COMP_CNT: 0
; COMPUTE_PGM_RSRC3_GFX90A:ACCUM_OFFSET: 0
; COMPUTE_PGM_RSRC3_GFX90A:TG_SPLIT: 0
	.section	.text._ZN7rocprim17ROCPRIM_400000_NS6detail17trampoline_kernelINS0_14default_configENS1_22reduce_config_selectorIfEEZNS1_11reduce_implILb1ES3_N6thrust23THRUST_200600_302600_NS6detail15normal_iteratorINS8_10device_ptrIfEEEEPff9plus_mod3IfEEE10hipError_tPvRmT1_T2_T3_mT4_P12ihipStream_tbEUlT_E1_NS1_11comp_targetILNS1_3genE4ELNS1_11target_archE910ELNS1_3gpuE8ELNS1_3repE0EEENS1_30default_config_static_selectorELNS0_4arch9wavefront6targetE1EEEvSK_,"axG",@progbits,_ZN7rocprim17ROCPRIM_400000_NS6detail17trampoline_kernelINS0_14default_configENS1_22reduce_config_selectorIfEEZNS1_11reduce_implILb1ES3_N6thrust23THRUST_200600_302600_NS6detail15normal_iteratorINS8_10device_ptrIfEEEEPff9plus_mod3IfEEE10hipError_tPvRmT1_T2_T3_mT4_P12ihipStream_tbEUlT_E1_NS1_11comp_targetILNS1_3genE4ELNS1_11target_archE910ELNS1_3gpuE8ELNS1_3repE0EEENS1_30default_config_static_selectorELNS0_4arch9wavefront6targetE1EEEvSK_,comdat
	.protected	_ZN7rocprim17ROCPRIM_400000_NS6detail17trampoline_kernelINS0_14default_configENS1_22reduce_config_selectorIfEEZNS1_11reduce_implILb1ES3_N6thrust23THRUST_200600_302600_NS6detail15normal_iteratorINS8_10device_ptrIfEEEEPff9plus_mod3IfEEE10hipError_tPvRmT1_T2_T3_mT4_P12ihipStream_tbEUlT_E1_NS1_11comp_targetILNS1_3genE4ELNS1_11target_archE910ELNS1_3gpuE8ELNS1_3repE0EEENS1_30default_config_static_selectorELNS0_4arch9wavefront6targetE1EEEvSK_ ; -- Begin function _ZN7rocprim17ROCPRIM_400000_NS6detail17trampoline_kernelINS0_14default_configENS1_22reduce_config_selectorIfEEZNS1_11reduce_implILb1ES3_N6thrust23THRUST_200600_302600_NS6detail15normal_iteratorINS8_10device_ptrIfEEEEPff9plus_mod3IfEEE10hipError_tPvRmT1_T2_T3_mT4_P12ihipStream_tbEUlT_E1_NS1_11comp_targetILNS1_3genE4ELNS1_11target_archE910ELNS1_3gpuE8ELNS1_3repE0EEENS1_30default_config_static_selectorELNS0_4arch9wavefront6targetE1EEEvSK_
	.globl	_ZN7rocprim17ROCPRIM_400000_NS6detail17trampoline_kernelINS0_14default_configENS1_22reduce_config_selectorIfEEZNS1_11reduce_implILb1ES3_N6thrust23THRUST_200600_302600_NS6detail15normal_iteratorINS8_10device_ptrIfEEEEPff9plus_mod3IfEEE10hipError_tPvRmT1_T2_T3_mT4_P12ihipStream_tbEUlT_E1_NS1_11comp_targetILNS1_3genE4ELNS1_11target_archE910ELNS1_3gpuE8ELNS1_3repE0EEENS1_30default_config_static_selectorELNS0_4arch9wavefront6targetE1EEEvSK_
	.p2align	8
	.type	_ZN7rocprim17ROCPRIM_400000_NS6detail17trampoline_kernelINS0_14default_configENS1_22reduce_config_selectorIfEEZNS1_11reduce_implILb1ES3_N6thrust23THRUST_200600_302600_NS6detail15normal_iteratorINS8_10device_ptrIfEEEEPff9plus_mod3IfEEE10hipError_tPvRmT1_T2_T3_mT4_P12ihipStream_tbEUlT_E1_NS1_11comp_targetILNS1_3genE4ELNS1_11target_archE910ELNS1_3gpuE8ELNS1_3repE0EEENS1_30default_config_static_selectorELNS0_4arch9wavefront6targetE1EEEvSK_,@function
_ZN7rocprim17ROCPRIM_400000_NS6detail17trampoline_kernelINS0_14default_configENS1_22reduce_config_selectorIfEEZNS1_11reduce_implILb1ES3_N6thrust23THRUST_200600_302600_NS6detail15normal_iteratorINS8_10device_ptrIfEEEEPff9plus_mod3IfEEE10hipError_tPvRmT1_T2_T3_mT4_P12ihipStream_tbEUlT_E1_NS1_11comp_targetILNS1_3genE4ELNS1_11target_archE910ELNS1_3gpuE8ELNS1_3repE0EEENS1_30default_config_static_selectorELNS0_4arch9wavefront6targetE1EEEvSK_: ; @_ZN7rocprim17ROCPRIM_400000_NS6detail17trampoline_kernelINS0_14default_configENS1_22reduce_config_selectorIfEEZNS1_11reduce_implILb1ES3_N6thrust23THRUST_200600_302600_NS6detail15normal_iteratorINS8_10device_ptrIfEEEEPff9plus_mod3IfEEE10hipError_tPvRmT1_T2_T3_mT4_P12ihipStream_tbEUlT_E1_NS1_11comp_targetILNS1_3genE4ELNS1_11target_archE910ELNS1_3gpuE8ELNS1_3repE0EEENS1_30default_config_static_selectorELNS0_4arch9wavefront6targetE1EEEvSK_
; %bb.0:
	.section	.rodata,"a",@progbits
	.p2align	6, 0x0
	.amdhsa_kernel _ZN7rocprim17ROCPRIM_400000_NS6detail17trampoline_kernelINS0_14default_configENS1_22reduce_config_selectorIfEEZNS1_11reduce_implILb1ES3_N6thrust23THRUST_200600_302600_NS6detail15normal_iteratorINS8_10device_ptrIfEEEEPff9plus_mod3IfEEE10hipError_tPvRmT1_T2_T3_mT4_P12ihipStream_tbEUlT_E1_NS1_11comp_targetILNS1_3genE4ELNS1_11target_archE910ELNS1_3gpuE8ELNS1_3repE0EEENS1_30default_config_static_selectorELNS0_4arch9wavefront6targetE1EEEvSK_
		.amdhsa_group_segment_fixed_size 0
		.amdhsa_private_segment_fixed_size 0
		.amdhsa_kernarg_size 48
		.amdhsa_user_sgpr_count 2
		.amdhsa_user_sgpr_dispatch_ptr 0
		.amdhsa_user_sgpr_queue_ptr 0
		.amdhsa_user_sgpr_kernarg_segment_ptr 1
		.amdhsa_user_sgpr_dispatch_id 0
		.amdhsa_user_sgpr_kernarg_preload_length 0
		.amdhsa_user_sgpr_kernarg_preload_offset 0
		.amdhsa_user_sgpr_private_segment_size 0
		.amdhsa_uses_dynamic_stack 0
		.amdhsa_enable_private_segment 0
		.amdhsa_system_sgpr_workgroup_id_x 1
		.amdhsa_system_sgpr_workgroup_id_y 0
		.amdhsa_system_sgpr_workgroup_id_z 0
		.amdhsa_system_sgpr_workgroup_info 0
		.amdhsa_system_vgpr_workitem_id 0
		.amdhsa_next_free_vgpr 1
		.amdhsa_next_free_sgpr 0
		.amdhsa_accum_offset 4
		.amdhsa_reserve_vcc 0
		.amdhsa_float_round_mode_32 0
		.amdhsa_float_round_mode_16_64 0
		.amdhsa_float_denorm_mode_32 3
		.amdhsa_float_denorm_mode_16_64 3
		.amdhsa_dx10_clamp 1
		.amdhsa_ieee_mode 1
		.amdhsa_fp16_overflow 0
		.amdhsa_tg_split 0
		.amdhsa_exception_fp_ieee_invalid_op 0
		.amdhsa_exception_fp_denorm_src 0
		.amdhsa_exception_fp_ieee_div_zero 0
		.amdhsa_exception_fp_ieee_overflow 0
		.amdhsa_exception_fp_ieee_underflow 0
		.amdhsa_exception_fp_ieee_inexact 0
		.amdhsa_exception_int_div_zero 0
	.end_amdhsa_kernel
	.section	.text._ZN7rocprim17ROCPRIM_400000_NS6detail17trampoline_kernelINS0_14default_configENS1_22reduce_config_selectorIfEEZNS1_11reduce_implILb1ES3_N6thrust23THRUST_200600_302600_NS6detail15normal_iteratorINS8_10device_ptrIfEEEEPff9plus_mod3IfEEE10hipError_tPvRmT1_T2_T3_mT4_P12ihipStream_tbEUlT_E1_NS1_11comp_targetILNS1_3genE4ELNS1_11target_archE910ELNS1_3gpuE8ELNS1_3repE0EEENS1_30default_config_static_selectorELNS0_4arch9wavefront6targetE1EEEvSK_,"axG",@progbits,_ZN7rocprim17ROCPRIM_400000_NS6detail17trampoline_kernelINS0_14default_configENS1_22reduce_config_selectorIfEEZNS1_11reduce_implILb1ES3_N6thrust23THRUST_200600_302600_NS6detail15normal_iteratorINS8_10device_ptrIfEEEEPff9plus_mod3IfEEE10hipError_tPvRmT1_T2_T3_mT4_P12ihipStream_tbEUlT_E1_NS1_11comp_targetILNS1_3genE4ELNS1_11target_archE910ELNS1_3gpuE8ELNS1_3repE0EEENS1_30default_config_static_selectorELNS0_4arch9wavefront6targetE1EEEvSK_,comdat
.Lfunc_end760:
	.size	_ZN7rocprim17ROCPRIM_400000_NS6detail17trampoline_kernelINS0_14default_configENS1_22reduce_config_selectorIfEEZNS1_11reduce_implILb1ES3_N6thrust23THRUST_200600_302600_NS6detail15normal_iteratorINS8_10device_ptrIfEEEEPff9plus_mod3IfEEE10hipError_tPvRmT1_T2_T3_mT4_P12ihipStream_tbEUlT_E1_NS1_11comp_targetILNS1_3genE4ELNS1_11target_archE910ELNS1_3gpuE8ELNS1_3repE0EEENS1_30default_config_static_selectorELNS0_4arch9wavefront6targetE1EEEvSK_, .Lfunc_end760-_ZN7rocprim17ROCPRIM_400000_NS6detail17trampoline_kernelINS0_14default_configENS1_22reduce_config_selectorIfEEZNS1_11reduce_implILb1ES3_N6thrust23THRUST_200600_302600_NS6detail15normal_iteratorINS8_10device_ptrIfEEEEPff9plus_mod3IfEEE10hipError_tPvRmT1_T2_T3_mT4_P12ihipStream_tbEUlT_E1_NS1_11comp_targetILNS1_3genE4ELNS1_11target_archE910ELNS1_3gpuE8ELNS1_3repE0EEENS1_30default_config_static_selectorELNS0_4arch9wavefront6targetE1EEEvSK_
                                        ; -- End function
	.set _ZN7rocprim17ROCPRIM_400000_NS6detail17trampoline_kernelINS0_14default_configENS1_22reduce_config_selectorIfEEZNS1_11reduce_implILb1ES3_N6thrust23THRUST_200600_302600_NS6detail15normal_iteratorINS8_10device_ptrIfEEEEPff9plus_mod3IfEEE10hipError_tPvRmT1_T2_T3_mT4_P12ihipStream_tbEUlT_E1_NS1_11comp_targetILNS1_3genE4ELNS1_11target_archE910ELNS1_3gpuE8ELNS1_3repE0EEENS1_30default_config_static_selectorELNS0_4arch9wavefront6targetE1EEEvSK_.num_vgpr, 0
	.set _ZN7rocprim17ROCPRIM_400000_NS6detail17trampoline_kernelINS0_14default_configENS1_22reduce_config_selectorIfEEZNS1_11reduce_implILb1ES3_N6thrust23THRUST_200600_302600_NS6detail15normal_iteratorINS8_10device_ptrIfEEEEPff9plus_mod3IfEEE10hipError_tPvRmT1_T2_T3_mT4_P12ihipStream_tbEUlT_E1_NS1_11comp_targetILNS1_3genE4ELNS1_11target_archE910ELNS1_3gpuE8ELNS1_3repE0EEENS1_30default_config_static_selectorELNS0_4arch9wavefront6targetE1EEEvSK_.num_agpr, 0
	.set _ZN7rocprim17ROCPRIM_400000_NS6detail17trampoline_kernelINS0_14default_configENS1_22reduce_config_selectorIfEEZNS1_11reduce_implILb1ES3_N6thrust23THRUST_200600_302600_NS6detail15normal_iteratorINS8_10device_ptrIfEEEEPff9plus_mod3IfEEE10hipError_tPvRmT1_T2_T3_mT4_P12ihipStream_tbEUlT_E1_NS1_11comp_targetILNS1_3genE4ELNS1_11target_archE910ELNS1_3gpuE8ELNS1_3repE0EEENS1_30default_config_static_selectorELNS0_4arch9wavefront6targetE1EEEvSK_.numbered_sgpr, 0
	.set _ZN7rocprim17ROCPRIM_400000_NS6detail17trampoline_kernelINS0_14default_configENS1_22reduce_config_selectorIfEEZNS1_11reduce_implILb1ES3_N6thrust23THRUST_200600_302600_NS6detail15normal_iteratorINS8_10device_ptrIfEEEEPff9plus_mod3IfEEE10hipError_tPvRmT1_T2_T3_mT4_P12ihipStream_tbEUlT_E1_NS1_11comp_targetILNS1_3genE4ELNS1_11target_archE910ELNS1_3gpuE8ELNS1_3repE0EEENS1_30default_config_static_selectorELNS0_4arch9wavefront6targetE1EEEvSK_.num_named_barrier, 0
	.set _ZN7rocprim17ROCPRIM_400000_NS6detail17trampoline_kernelINS0_14default_configENS1_22reduce_config_selectorIfEEZNS1_11reduce_implILb1ES3_N6thrust23THRUST_200600_302600_NS6detail15normal_iteratorINS8_10device_ptrIfEEEEPff9plus_mod3IfEEE10hipError_tPvRmT1_T2_T3_mT4_P12ihipStream_tbEUlT_E1_NS1_11comp_targetILNS1_3genE4ELNS1_11target_archE910ELNS1_3gpuE8ELNS1_3repE0EEENS1_30default_config_static_selectorELNS0_4arch9wavefront6targetE1EEEvSK_.private_seg_size, 0
	.set _ZN7rocprim17ROCPRIM_400000_NS6detail17trampoline_kernelINS0_14default_configENS1_22reduce_config_selectorIfEEZNS1_11reduce_implILb1ES3_N6thrust23THRUST_200600_302600_NS6detail15normal_iteratorINS8_10device_ptrIfEEEEPff9plus_mod3IfEEE10hipError_tPvRmT1_T2_T3_mT4_P12ihipStream_tbEUlT_E1_NS1_11comp_targetILNS1_3genE4ELNS1_11target_archE910ELNS1_3gpuE8ELNS1_3repE0EEENS1_30default_config_static_selectorELNS0_4arch9wavefront6targetE1EEEvSK_.uses_vcc, 0
	.set _ZN7rocprim17ROCPRIM_400000_NS6detail17trampoline_kernelINS0_14default_configENS1_22reduce_config_selectorIfEEZNS1_11reduce_implILb1ES3_N6thrust23THRUST_200600_302600_NS6detail15normal_iteratorINS8_10device_ptrIfEEEEPff9plus_mod3IfEEE10hipError_tPvRmT1_T2_T3_mT4_P12ihipStream_tbEUlT_E1_NS1_11comp_targetILNS1_3genE4ELNS1_11target_archE910ELNS1_3gpuE8ELNS1_3repE0EEENS1_30default_config_static_selectorELNS0_4arch9wavefront6targetE1EEEvSK_.uses_flat_scratch, 0
	.set _ZN7rocprim17ROCPRIM_400000_NS6detail17trampoline_kernelINS0_14default_configENS1_22reduce_config_selectorIfEEZNS1_11reduce_implILb1ES3_N6thrust23THRUST_200600_302600_NS6detail15normal_iteratorINS8_10device_ptrIfEEEEPff9plus_mod3IfEEE10hipError_tPvRmT1_T2_T3_mT4_P12ihipStream_tbEUlT_E1_NS1_11comp_targetILNS1_3genE4ELNS1_11target_archE910ELNS1_3gpuE8ELNS1_3repE0EEENS1_30default_config_static_selectorELNS0_4arch9wavefront6targetE1EEEvSK_.has_dyn_sized_stack, 0
	.set _ZN7rocprim17ROCPRIM_400000_NS6detail17trampoline_kernelINS0_14default_configENS1_22reduce_config_selectorIfEEZNS1_11reduce_implILb1ES3_N6thrust23THRUST_200600_302600_NS6detail15normal_iteratorINS8_10device_ptrIfEEEEPff9plus_mod3IfEEE10hipError_tPvRmT1_T2_T3_mT4_P12ihipStream_tbEUlT_E1_NS1_11comp_targetILNS1_3genE4ELNS1_11target_archE910ELNS1_3gpuE8ELNS1_3repE0EEENS1_30default_config_static_selectorELNS0_4arch9wavefront6targetE1EEEvSK_.has_recursion, 0
	.set _ZN7rocprim17ROCPRIM_400000_NS6detail17trampoline_kernelINS0_14default_configENS1_22reduce_config_selectorIfEEZNS1_11reduce_implILb1ES3_N6thrust23THRUST_200600_302600_NS6detail15normal_iteratorINS8_10device_ptrIfEEEEPff9plus_mod3IfEEE10hipError_tPvRmT1_T2_T3_mT4_P12ihipStream_tbEUlT_E1_NS1_11comp_targetILNS1_3genE4ELNS1_11target_archE910ELNS1_3gpuE8ELNS1_3repE0EEENS1_30default_config_static_selectorELNS0_4arch9wavefront6targetE1EEEvSK_.has_indirect_call, 0
	.section	.AMDGPU.csdata,"",@progbits
; Kernel info:
; codeLenInByte = 0
; TotalNumSgprs: 6
; NumVgprs: 0
; NumAgprs: 0
; TotalNumVgprs: 0
; ScratchSize: 0
; MemoryBound: 0
; FloatMode: 240
; IeeeMode: 1
; LDSByteSize: 0 bytes/workgroup (compile time only)
; SGPRBlocks: 0
; VGPRBlocks: 0
; NumSGPRsForWavesPerEU: 6
; NumVGPRsForWavesPerEU: 1
; AccumOffset: 4
; Occupancy: 8
; WaveLimiterHint : 0
; COMPUTE_PGM_RSRC2:SCRATCH_EN: 0
; COMPUTE_PGM_RSRC2:USER_SGPR: 2
; COMPUTE_PGM_RSRC2:TRAP_HANDLER: 0
; COMPUTE_PGM_RSRC2:TGID_X_EN: 1
; COMPUTE_PGM_RSRC2:TGID_Y_EN: 0
; COMPUTE_PGM_RSRC2:TGID_Z_EN: 0
; COMPUTE_PGM_RSRC2:TIDIG_COMP_CNT: 0
; COMPUTE_PGM_RSRC3_GFX90A:ACCUM_OFFSET: 0
; COMPUTE_PGM_RSRC3_GFX90A:TG_SPLIT: 0
	.section	.text._ZN7rocprim17ROCPRIM_400000_NS6detail17trampoline_kernelINS0_14default_configENS1_22reduce_config_selectorIfEEZNS1_11reduce_implILb1ES3_N6thrust23THRUST_200600_302600_NS6detail15normal_iteratorINS8_10device_ptrIfEEEEPff9plus_mod3IfEEE10hipError_tPvRmT1_T2_T3_mT4_P12ihipStream_tbEUlT_E1_NS1_11comp_targetILNS1_3genE3ELNS1_11target_archE908ELNS1_3gpuE7ELNS1_3repE0EEENS1_30default_config_static_selectorELNS0_4arch9wavefront6targetE1EEEvSK_,"axG",@progbits,_ZN7rocprim17ROCPRIM_400000_NS6detail17trampoline_kernelINS0_14default_configENS1_22reduce_config_selectorIfEEZNS1_11reduce_implILb1ES3_N6thrust23THRUST_200600_302600_NS6detail15normal_iteratorINS8_10device_ptrIfEEEEPff9plus_mod3IfEEE10hipError_tPvRmT1_T2_T3_mT4_P12ihipStream_tbEUlT_E1_NS1_11comp_targetILNS1_3genE3ELNS1_11target_archE908ELNS1_3gpuE7ELNS1_3repE0EEENS1_30default_config_static_selectorELNS0_4arch9wavefront6targetE1EEEvSK_,comdat
	.protected	_ZN7rocprim17ROCPRIM_400000_NS6detail17trampoline_kernelINS0_14default_configENS1_22reduce_config_selectorIfEEZNS1_11reduce_implILb1ES3_N6thrust23THRUST_200600_302600_NS6detail15normal_iteratorINS8_10device_ptrIfEEEEPff9plus_mod3IfEEE10hipError_tPvRmT1_T2_T3_mT4_P12ihipStream_tbEUlT_E1_NS1_11comp_targetILNS1_3genE3ELNS1_11target_archE908ELNS1_3gpuE7ELNS1_3repE0EEENS1_30default_config_static_selectorELNS0_4arch9wavefront6targetE1EEEvSK_ ; -- Begin function _ZN7rocprim17ROCPRIM_400000_NS6detail17trampoline_kernelINS0_14default_configENS1_22reduce_config_selectorIfEEZNS1_11reduce_implILb1ES3_N6thrust23THRUST_200600_302600_NS6detail15normal_iteratorINS8_10device_ptrIfEEEEPff9plus_mod3IfEEE10hipError_tPvRmT1_T2_T3_mT4_P12ihipStream_tbEUlT_E1_NS1_11comp_targetILNS1_3genE3ELNS1_11target_archE908ELNS1_3gpuE7ELNS1_3repE0EEENS1_30default_config_static_selectorELNS0_4arch9wavefront6targetE1EEEvSK_
	.globl	_ZN7rocprim17ROCPRIM_400000_NS6detail17trampoline_kernelINS0_14default_configENS1_22reduce_config_selectorIfEEZNS1_11reduce_implILb1ES3_N6thrust23THRUST_200600_302600_NS6detail15normal_iteratorINS8_10device_ptrIfEEEEPff9plus_mod3IfEEE10hipError_tPvRmT1_T2_T3_mT4_P12ihipStream_tbEUlT_E1_NS1_11comp_targetILNS1_3genE3ELNS1_11target_archE908ELNS1_3gpuE7ELNS1_3repE0EEENS1_30default_config_static_selectorELNS0_4arch9wavefront6targetE1EEEvSK_
	.p2align	8
	.type	_ZN7rocprim17ROCPRIM_400000_NS6detail17trampoline_kernelINS0_14default_configENS1_22reduce_config_selectorIfEEZNS1_11reduce_implILb1ES3_N6thrust23THRUST_200600_302600_NS6detail15normal_iteratorINS8_10device_ptrIfEEEEPff9plus_mod3IfEEE10hipError_tPvRmT1_T2_T3_mT4_P12ihipStream_tbEUlT_E1_NS1_11comp_targetILNS1_3genE3ELNS1_11target_archE908ELNS1_3gpuE7ELNS1_3repE0EEENS1_30default_config_static_selectorELNS0_4arch9wavefront6targetE1EEEvSK_,@function
_ZN7rocprim17ROCPRIM_400000_NS6detail17trampoline_kernelINS0_14default_configENS1_22reduce_config_selectorIfEEZNS1_11reduce_implILb1ES3_N6thrust23THRUST_200600_302600_NS6detail15normal_iteratorINS8_10device_ptrIfEEEEPff9plus_mod3IfEEE10hipError_tPvRmT1_T2_T3_mT4_P12ihipStream_tbEUlT_E1_NS1_11comp_targetILNS1_3genE3ELNS1_11target_archE908ELNS1_3gpuE7ELNS1_3repE0EEENS1_30default_config_static_selectorELNS0_4arch9wavefront6targetE1EEEvSK_: ; @_ZN7rocprim17ROCPRIM_400000_NS6detail17trampoline_kernelINS0_14default_configENS1_22reduce_config_selectorIfEEZNS1_11reduce_implILb1ES3_N6thrust23THRUST_200600_302600_NS6detail15normal_iteratorINS8_10device_ptrIfEEEEPff9plus_mod3IfEEE10hipError_tPvRmT1_T2_T3_mT4_P12ihipStream_tbEUlT_E1_NS1_11comp_targetILNS1_3genE3ELNS1_11target_archE908ELNS1_3gpuE7ELNS1_3repE0EEENS1_30default_config_static_selectorELNS0_4arch9wavefront6targetE1EEEvSK_
; %bb.0:
	.section	.rodata,"a",@progbits
	.p2align	6, 0x0
	.amdhsa_kernel _ZN7rocprim17ROCPRIM_400000_NS6detail17trampoline_kernelINS0_14default_configENS1_22reduce_config_selectorIfEEZNS1_11reduce_implILb1ES3_N6thrust23THRUST_200600_302600_NS6detail15normal_iteratorINS8_10device_ptrIfEEEEPff9plus_mod3IfEEE10hipError_tPvRmT1_T2_T3_mT4_P12ihipStream_tbEUlT_E1_NS1_11comp_targetILNS1_3genE3ELNS1_11target_archE908ELNS1_3gpuE7ELNS1_3repE0EEENS1_30default_config_static_selectorELNS0_4arch9wavefront6targetE1EEEvSK_
		.amdhsa_group_segment_fixed_size 0
		.amdhsa_private_segment_fixed_size 0
		.amdhsa_kernarg_size 48
		.amdhsa_user_sgpr_count 2
		.amdhsa_user_sgpr_dispatch_ptr 0
		.amdhsa_user_sgpr_queue_ptr 0
		.amdhsa_user_sgpr_kernarg_segment_ptr 1
		.amdhsa_user_sgpr_dispatch_id 0
		.amdhsa_user_sgpr_kernarg_preload_length 0
		.amdhsa_user_sgpr_kernarg_preload_offset 0
		.amdhsa_user_sgpr_private_segment_size 0
		.amdhsa_uses_dynamic_stack 0
		.amdhsa_enable_private_segment 0
		.amdhsa_system_sgpr_workgroup_id_x 1
		.amdhsa_system_sgpr_workgroup_id_y 0
		.amdhsa_system_sgpr_workgroup_id_z 0
		.amdhsa_system_sgpr_workgroup_info 0
		.amdhsa_system_vgpr_workitem_id 0
		.amdhsa_next_free_vgpr 1
		.amdhsa_next_free_sgpr 0
		.amdhsa_accum_offset 4
		.amdhsa_reserve_vcc 0
		.amdhsa_float_round_mode_32 0
		.amdhsa_float_round_mode_16_64 0
		.amdhsa_float_denorm_mode_32 3
		.amdhsa_float_denorm_mode_16_64 3
		.amdhsa_dx10_clamp 1
		.amdhsa_ieee_mode 1
		.amdhsa_fp16_overflow 0
		.amdhsa_tg_split 0
		.amdhsa_exception_fp_ieee_invalid_op 0
		.amdhsa_exception_fp_denorm_src 0
		.amdhsa_exception_fp_ieee_div_zero 0
		.amdhsa_exception_fp_ieee_overflow 0
		.amdhsa_exception_fp_ieee_underflow 0
		.amdhsa_exception_fp_ieee_inexact 0
		.amdhsa_exception_int_div_zero 0
	.end_amdhsa_kernel
	.section	.text._ZN7rocprim17ROCPRIM_400000_NS6detail17trampoline_kernelINS0_14default_configENS1_22reduce_config_selectorIfEEZNS1_11reduce_implILb1ES3_N6thrust23THRUST_200600_302600_NS6detail15normal_iteratorINS8_10device_ptrIfEEEEPff9plus_mod3IfEEE10hipError_tPvRmT1_T2_T3_mT4_P12ihipStream_tbEUlT_E1_NS1_11comp_targetILNS1_3genE3ELNS1_11target_archE908ELNS1_3gpuE7ELNS1_3repE0EEENS1_30default_config_static_selectorELNS0_4arch9wavefront6targetE1EEEvSK_,"axG",@progbits,_ZN7rocprim17ROCPRIM_400000_NS6detail17trampoline_kernelINS0_14default_configENS1_22reduce_config_selectorIfEEZNS1_11reduce_implILb1ES3_N6thrust23THRUST_200600_302600_NS6detail15normal_iteratorINS8_10device_ptrIfEEEEPff9plus_mod3IfEEE10hipError_tPvRmT1_T2_T3_mT4_P12ihipStream_tbEUlT_E1_NS1_11comp_targetILNS1_3genE3ELNS1_11target_archE908ELNS1_3gpuE7ELNS1_3repE0EEENS1_30default_config_static_selectorELNS0_4arch9wavefront6targetE1EEEvSK_,comdat
.Lfunc_end761:
	.size	_ZN7rocprim17ROCPRIM_400000_NS6detail17trampoline_kernelINS0_14default_configENS1_22reduce_config_selectorIfEEZNS1_11reduce_implILb1ES3_N6thrust23THRUST_200600_302600_NS6detail15normal_iteratorINS8_10device_ptrIfEEEEPff9plus_mod3IfEEE10hipError_tPvRmT1_T2_T3_mT4_P12ihipStream_tbEUlT_E1_NS1_11comp_targetILNS1_3genE3ELNS1_11target_archE908ELNS1_3gpuE7ELNS1_3repE0EEENS1_30default_config_static_selectorELNS0_4arch9wavefront6targetE1EEEvSK_, .Lfunc_end761-_ZN7rocprim17ROCPRIM_400000_NS6detail17trampoline_kernelINS0_14default_configENS1_22reduce_config_selectorIfEEZNS1_11reduce_implILb1ES3_N6thrust23THRUST_200600_302600_NS6detail15normal_iteratorINS8_10device_ptrIfEEEEPff9plus_mod3IfEEE10hipError_tPvRmT1_T2_T3_mT4_P12ihipStream_tbEUlT_E1_NS1_11comp_targetILNS1_3genE3ELNS1_11target_archE908ELNS1_3gpuE7ELNS1_3repE0EEENS1_30default_config_static_selectorELNS0_4arch9wavefront6targetE1EEEvSK_
                                        ; -- End function
	.set _ZN7rocprim17ROCPRIM_400000_NS6detail17trampoline_kernelINS0_14default_configENS1_22reduce_config_selectorIfEEZNS1_11reduce_implILb1ES3_N6thrust23THRUST_200600_302600_NS6detail15normal_iteratorINS8_10device_ptrIfEEEEPff9plus_mod3IfEEE10hipError_tPvRmT1_T2_T3_mT4_P12ihipStream_tbEUlT_E1_NS1_11comp_targetILNS1_3genE3ELNS1_11target_archE908ELNS1_3gpuE7ELNS1_3repE0EEENS1_30default_config_static_selectorELNS0_4arch9wavefront6targetE1EEEvSK_.num_vgpr, 0
	.set _ZN7rocprim17ROCPRIM_400000_NS6detail17trampoline_kernelINS0_14default_configENS1_22reduce_config_selectorIfEEZNS1_11reduce_implILb1ES3_N6thrust23THRUST_200600_302600_NS6detail15normal_iteratorINS8_10device_ptrIfEEEEPff9plus_mod3IfEEE10hipError_tPvRmT1_T2_T3_mT4_P12ihipStream_tbEUlT_E1_NS1_11comp_targetILNS1_3genE3ELNS1_11target_archE908ELNS1_3gpuE7ELNS1_3repE0EEENS1_30default_config_static_selectorELNS0_4arch9wavefront6targetE1EEEvSK_.num_agpr, 0
	.set _ZN7rocprim17ROCPRIM_400000_NS6detail17trampoline_kernelINS0_14default_configENS1_22reduce_config_selectorIfEEZNS1_11reduce_implILb1ES3_N6thrust23THRUST_200600_302600_NS6detail15normal_iteratorINS8_10device_ptrIfEEEEPff9plus_mod3IfEEE10hipError_tPvRmT1_T2_T3_mT4_P12ihipStream_tbEUlT_E1_NS1_11comp_targetILNS1_3genE3ELNS1_11target_archE908ELNS1_3gpuE7ELNS1_3repE0EEENS1_30default_config_static_selectorELNS0_4arch9wavefront6targetE1EEEvSK_.numbered_sgpr, 0
	.set _ZN7rocprim17ROCPRIM_400000_NS6detail17trampoline_kernelINS0_14default_configENS1_22reduce_config_selectorIfEEZNS1_11reduce_implILb1ES3_N6thrust23THRUST_200600_302600_NS6detail15normal_iteratorINS8_10device_ptrIfEEEEPff9plus_mod3IfEEE10hipError_tPvRmT1_T2_T3_mT4_P12ihipStream_tbEUlT_E1_NS1_11comp_targetILNS1_3genE3ELNS1_11target_archE908ELNS1_3gpuE7ELNS1_3repE0EEENS1_30default_config_static_selectorELNS0_4arch9wavefront6targetE1EEEvSK_.num_named_barrier, 0
	.set _ZN7rocprim17ROCPRIM_400000_NS6detail17trampoline_kernelINS0_14default_configENS1_22reduce_config_selectorIfEEZNS1_11reduce_implILb1ES3_N6thrust23THRUST_200600_302600_NS6detail15normal_iteratorINS8_10device_ptrIfEEEEPff9plus_mod3IfEEE10hipError_tPvRmT1_T2_T3_mT4_P12ihipStream_tbEUlT_E1_NS1_11comp_targetILNS1_3genE3ELNS1_11target_archE908ELNS1_3gpuE7ELNS1_3repE0EEENS1_30default_config_static_selectorELNS0_4arch9wavefront6targetE1EEEvSK_.private_seg_size, 0
	.set _ZN7rocprim17ROCPRIM_400000_NS6detail17trampoline_kernelINS0_14default_configENS1_22reduce_config_selectorIfEEZNS1_11reduce_implILb1ES3_N6thrust23THRUST_200600_302600_NS6detail15normal_iteratorINS8_10device_ptrIfEEEEPff9plus_mod3IfEEE10hipError_tPvRmT1_T2_T3_mT4_P12ihipStream_tbEUlT_E1_NS1_11comp_targetILNS1_3genE3ELNS1_11target_archE908ELNS1_3gpuE7ELNS1_3repE0EEENS1_30default_config_static_selectorELNS0_4arch9wavefront6targetE1EEEvSK_.uses_vcc, 0
	.set _ZN7rocprim17ROCPRIM_400000_NS6detail17trampoline_kernelINS0_14default_configENS1_22reduce_config_selectorIfEEZNS1_11reduce_implILb1ES3_N6thrust23THRUST_200600_302600_NS6detail15normal_iteratorINS8_10device_ptrIfEEEEPff9plus_mod3IfEEE10hipError_tPvRmT1_T2_T3_mT4_P12ihipStream_tbEUlT_E1_NS1_11comp_targetILNS1_3genE3ELNS1_11target_archE908ELNS1_3gpuE7ELNS1_3repE0EEENS1_30default_config_static_selectorELNS0_4arch9wavefront6targetE1EEEvSK_.uses_flat_scratch, 0
	.set _ZN7rocprim17ROCPRIM_400000_NS6detail17trampoline_kernelINS0_14default_configENS1_22reduce_config_selectorIfEEZNS1_11reduce_implILb1ES3_N6thrust23THRUST_200600_302600_NS6detail15normal_iteratorINS8_10device_ptrIfEEEEPff9plus_mod3IfEEE10hipError_tPvRmT1_T2_T3_mT4_P12ihipStream_tbEUlT_E1_NS1_11comp_targetILNS1_3genE3ELNS1_11target_archE908ELNS1_3gpuE7ELNS1_3repE0EEENS1_30default_config_static_selectorELNS0_4arch9wavefront6targetE1EEEvSK_.has_dyn_sized_stack, 0
	.set _ZN7rocprim17ROCPRIM_400000_NS6detail17trampoline_kernelINS0_14default_configENS1_22reduce_config_selectorIfEEZNS1_11reduce_implILb1ES3_N6thrust23THRUST_200600_302600_NS6detail15normal_iteratorINS8_10device_ptrIfEEEEPff9plus_mod3IfEEE10hipError_tPvRmT1_T2_T3_mT4_P12ihipStream_tbEUlT_E1_NS1_11comp_targetILNS1_3genE3ELNS1_11target_archE908ELNS1_3gpuE7ELNS1_3repE0EEENS1_30default_config_static_selectorELNS0_4arch9wavefront6targetE1EEEvSK_.has_recursion, 0
	.set _ZN7rocprim17ROCPRIM_400000_NS6detail17trampoline_kernelINS0_14default_configENS1_22reduce_config_selectorIfEEZNS1_11reduce_implILb1ES3_N6thrust23THRUST_200600_302600_NS6detail15normal_iteratorINS8_10device_ptrIfEEEEPff9plus_mod3IfEEE10hipError_tPvRmT1_T2_T3_mT4_P12ihipStream_tbEUlT_E1_NS1_11comp_targetILNS1_3genE3ELNS1_11target_archE908ELNS1_3gpuE7ELNS1_3repE0EEENS1_30default_config_static_selectorELNS0_4arch9wavefront6targetE1EEEvSK_.has_indirect_call, 0
	.section	.AMDGPU.csdata,"",@progbits
; Kernel info:
; codeLenInByte = 0
; TotalNumSgprs: 6
; NumVgprs: 0
; NumAgprs: 0
; TotalNumVgprs: 0
; ScratchSize: 0
; MemoryBound: 0
; FloatMode: 240
; IeeeMode: 1
; LDSByteSize: 0 bytes/workgroup (compile time only)
; SGPRBlocks: 0
; VGPRBlocks: 0
; NumSGPRsForWavesPerEU: 6
; NumVGPRsForWavesPerEU: 1
; AccumOffset: 4
; Occupancy: 8
; WaveLimiterHint : 0
; COMPUTE_PGM_RSRC2:SCRATCH_EN: 0
; COMPUTE_PGM_RSRC2:USER_SGPR: 2
; COMPUTE_PGM_RSRC2:TRAP_HANDLER: 0
; COMPUTE_PGM_RSRC2:TGID_X_EN: 1
; COMPUTE_PGM_RSRC2:TGID_Y_EN: 0
; COMPUTE_PGM_RSRC2:TGID_Z_EN: 0
; COMPUTE_PGM_RSRC2:TIDIG_COMP_CNT: 0
; COMPUTE_PGM_RSRC3_GFX90A:ACCUM_OFFSET: 0
; COMPUTE_PGM_RSRC3_GFX90A:TG_SPLIT: 0
	.section	.text._ZN7rocprim17ROCPRIM_400000_NS6detail17trampoline_kernelINS0_14default_configENS1_22reduce_config_selectorIfEEZNS1_11reduce_implILb1ES3_N6thrust23THRUST_200600_302600_NS6detail15normal_iteratorINS8_10device_ptrIfEEEEPff9plus_mod3IfEEE10hipError_tPvRmT1_T2_T3_mT4_P12ihipStream_tbEUlT_E1_NS1_11comp_targetILNS1_3genE2ELNS1_11target_archE906ELNS1_3gpuE6ELNS1_3repE0EEENS1_30default_config_static_selectorELNS0_4arch9wavefront6targetE1EEEvSK_,"axG",@progbits,_ZN7rocprim17ROCPRIM_400000_NS6detail17trampoline_kernelINS0_14default_configENS1_22reduce_config_selectorIfEEZNS1_11reduce_implILb1ES3_N6thrust23THRUST_200600_302600_NS6detail15normal_iteratorINS8_10device_ptrIfEEEEPff9plus_mod3IfEEE10hipError_tPvRmT1_T2_T3_mT4_P12ihipStream_tbEUlT_E1_NS1_11comp_targetILNS1_3genE2ELNS1_11target_archE906ELNS1_3gpuE6ELNS1_3repE0EEENS1_30default_config_static_selectorELNS0_4arch9wavefront6targetE1EEEvSK_,comdat
	.protected	_ZN7rocprim17ROCPRIM_400000_NS6detail17trampoline_kernelINS0_14default_configENS1_22reduce_config_selectorIfEEZNS1_11reduce_implILb1ES3_N6thrust23THRUST_200600_302600_NS6detail15normal_iteratorINS8_10device_ptrIfEEEEPff9plus_mod3IfEEE10hipError_tPvRmT1_T2_T3_mT4_P12ihipStream_tbEUlT_E1_NS1_11comp_targetILNS1_3genE2ELNS1_11target_archE906ELNS1_3gpuE6ELNS1_3repE0EEENS1_30default_config_static_selectorELNS0_4arch9wavefront6targetE1EEEvSK_ ; -- Begin function _ZN7rocprim17ROCPRIM_400000_NS6detail17trampoline_kernelINS0_14default_configENS1_22reduce_config_selectorIfEEZNS1_11reduce_implILb1ES3_N6thrust23THRUST_200600_302600_NS6detail15normal_iteratorINS8_10device_ptrIfEEEEPff9plus_mod3IfEEE10hipError_tPvRmT1_T2_T3_mT4_P12ihipStream_tbEUlT_E1_NS1_11comp_targetILNS1_3genE2ELNS1_11target_archE906ELNS1_3gpuE6ELNS1_3repE0EEENS1_30default_config_static_selectorELNS0_4arch9wavefront6targetE1EEEvSK_
	.globl	_ZN7rocprim17ROCPRIM_400000_NS6detail17trampoline_kernelINS0_14default_configENS1_22reduce_config_selectorIfEEZNS1_11reduce_implILb1ES3_N6thrust23THRUST_200600_302600_NS6detail15normal_iteratorINS8_10device_ptrIfEEEEPff9plus_mod3IfEEE10hipError_tPvRmT1_T2_T3_mT4_P12ihipStream_tbEUlT_E1_NS1_11comp_targetILNS1_3genE2ELNS1_11target_archE906ELNS1_3gpuE6ELNS1_3repE0EEENS1_30default_config_static_selectorELNS0_4arch9wavefront6targetE1EEEvSK_
	.p2align	8
	.type	_ZN7rocprim17ROCPRIM_400000_NS6detail17trampoline_kernelINS0_14default_configENS1_22reduce_config_selectorIfEEZNS1_11reduce_implILb1ES3_N6thrust23THRUST_200600_302600_NS6detail15normal_iteratorINS8_10device_ptrIfEEEEPff9plus_mod3IfEEE10hipError_tPvRmT1_T2_T3_mT4_P12ihipStream_tbEUlT_E1_NS1_11comp_targetILNS1_3genE2ELNS1_11target_archE906ELNS1_3gpuE6ELNS1_3repE0EEENS1_30default_config_static_selectorELNS0_4arch9wavefront6targetE1EEEvSK_,@function
_ZN7rocprim17ROCPRIM_400000_NS6detail17trampoline_kernelINS0_14default_configENS1_22reduce_config_selectorIfEEZNS1_11reduce_implILb1ES3_N6thrust23THRUST_200600_302600_NS6detail15normal_iteratorINS8_10device_ptrIfEEEEPff9plus_mod3IfEEE10hipError_tPvRmT1_T2_T3_mT4_P12ihipStream_tbEUlT_E1_NS1_11comp_targetILNS1_3genE2ELNS1_11target_archE906ELNS1_3gpuE6ELNS1_3repE0EEENS1_30default_config_static_selectorELNS0_4arch9wavefront6targetE1EEEvSK_: ; @_ZN7rocprim17ROCPRIM_400000_NS6detail17trampoline_kernelINS0_14default_configENS1_22reduce_config_selectorIfEEZNS1_11reduce_implILb1ES3_N6thrust23THRUST_200600_302600_NS6detail15normal_iteratorINS8_10device_ptrIfEEEEPff9plus_mod3IfEEE10hipError_tPvRmT1_T2_T3_mT4_P12ihipStream_tbEUlT_E1_NS1_11comp_targetILNS1_3genE2ELNS1_11target_archE906ELNS1_3gpuE6ELNS1_3repE0EEENS1_30default_config_static_selectorELNS0_4arch9wavefront6targetE1EEEvSK_
; %bb.0:
	.section	.rodata,"a",@progbits
	.p2align	6, 0x0
	.amdhsa_kernel _ZN7rocprim17ROCPRIM_400000_NS6detail17trampoline_kernelINS0_14default_configENS1_22reduce_config_selectorIfEEZNS1_11reduce_implILb1ES3_N6thrust23THRUST_200600_302600_NS6detail15normal_iteratorINS8_10device_ptrIfEEEEPff9plus_mod3IfEEE10hipError_tPvRmT1_T2_T3_mT4_P12ihipStream_tbEUlT_E1_NS1_11comp_targetILNS1_3genE2ELNS1_11target_archE906ELNS1_3gpuE6ELNS1_3repE0EEENS1_30default_config_static_selectorELNS0_4arch9wavefront6targetE1EEEvSK_
		.amdhsa_group_segment_fixed_size 0
		.amdhsa_private_segment_fixed_size 0
		.amdhsa_kernarg_size 48
		.amdhsa_user_sgpr_count 2
		.amdhsa_user_sgpr_dispatch_ptr 0
		.amdhsa_user_sgpr_queue_ptr 0
		.amdhsa_user_sgpr_kernarg_segment_ptr 1
		.amdhsa_user_sgpr_dispatch_id 0
		.amdhsa_user_sgpr_kernarg_preload_length 0
		.amdhsa_user_sgpr_kernarg_preload_offset 0
		.amdhsa_user_sgpr_private_segment_size 0
		.amdhsa_uses_dynamic_stack 0
		.amdhsa_enable_private_segment 0
		.amdhsa_system_sgpr_workgroup_id_x 1
		.amdhsa_system_sgpr_workgroup_id_y 0
		.amdhsa_system_sgpr_workgroup_id_z 0
		.amdhsa_system_sgpr_workgroup_info 0
		.amdhsa_system_vgpr_workitem_id 0
		.amdhsa_next_free_vgpr 1
		.amdhsa_next_free_sgpr 0
		.amdhsa_accum_offset 4
		.amdhsa_reserve_vcc 0
		.amdhsa_float_round_mode_32 0
		.amdhsa_float_round_mode_16_64 0
		.amdhsa_float_denorm_mode_32 3
		.amdhsa_float_denorm_mode_16_64 3
		.amdhsa_dx10_clamp 1
		.amdhsa_ieee_mode 1
		.amdhsa_fp16_overflow 0
		.amdhsa_tg_split 0
		.amdhsa_exception_fp_ieee_invalid_op 0
		.amdhsa_exception_fp_denorm_src 0
		.amdhsa_exception_fp_ieee_div_zero 0
		.amdhsa_exception_fp_ieee_overflow 0
		.amdhsa_exception_fp_ieee_underflow 0
		.amdhsa_exception_fp_ieee_inexact 0
		.amdhsa_exception_int_div_zero 0
	.end_amdhsa_kernel
	.section	.text._ZN7rocprim17ROCPRIM_400000_NS6detail17trampoline_kernelINS0_14default_configENS1_22reduce_config_selectorIfEEZNS1_11reduce_implILb1ES3_N6thrust23THRUST_200600_302600_NS6detail15normal_iteratorINS8_10device_ptrIfEEEEPff9plus_mod3IfEEE10hipError_tPvRmT1_T2_T3_mT4_P12ihipStream_tbEUlT_E1_NS1_11comp_targetILNS1_3genE2ELNS1_11target_archE906ELNS1_3gpuE6ELNS1_3repE0EEENS1_30default_config_static_selectorELNS0_4arch9wavefront6targetE1EEEvSK_,"axG",@progbits,_ZN7rocprim17ROCPRIM_400000_NS6detail17trampoline_kernelINS0_14default_configENS1_22reduce_config_selectorIfEEZNS1_11reduce_implILb1ES3_N6thrust23THRUST_200600_302600_NS6detail15normal_iteratorINS8_10device_ptrIfEEEEPff9plus_mod3IfEEE10hipError_tPvRmT1_T2_T3_mT4_P12ihipStream_tbEUlT_E1_NS1_11comp_targetILNS1_3genE2ELNS1_11target_archE906ELNS1_3gpuE6ELNS1_3repE0EEENS1_30default_config_static_selectorELNS0_4arch9wavefront6targetE1EEEvSK_,comdat
.Lfunc_end762:
	.size	_ZN7rocprim17ROCPRIM_400000_NS6detail17trampoline_kernelINS0_14default_configENS1_22reduce_config_selectorIfEEZNS1_11reduce_implILb1ES3_N6thrust23THRUST_200600_302600_NS6detail15normal_iteratorINS8_10device_ptrIfEEEEPff9plus_mod3IfEEE10hipError_tPvRmT1_T2_T3_mT4_P12ihipStream_tbEUlT_E1_NS1_11comp_targetILNS1_3genE2ELNS1_11target_archE906ELNS1_3gpuE6ELNS1_3repE0EEENS1_30default_config_static_selectorELNS0_4arch9wavefront6targetE1EEEvSK_, .Lfunc_end762-_ZN7rocprim17ROCPRIM_400000_NS6detail17trampoline_kernelINS0_14default_configENS1_22reduce_config_selectorIfEEZNS1_11reduce_implILb1ES3_N6thrust23THRUST_200600_302600_NS6detail15normal_iteratorINS8_10device_ptrIfEEEEPff9plus_mod3IfEEE10hipError_tPvRmT1_T2_T3_mT4_P12ihipStream_tbEUlT_E1_NS1_11comp_targetILNS1_3genE2ELNS1_11target_archE906ELNS1_3gpuE6ELNS1_3repE0EEENS1_30default_config_static_selectorELNS0_4arch9wavefront6targetE1EEEvSK_
                                        ; -- End function
	.set _ZN7rocprim17ROCPRIM_400000_NS6detail17trampoline_kernelINS0_14default_configENS1_22reduce_config_selectorIfEEZNS1_11reduce_implILb1ES3_N6thrust23THRUST_200600_302600_NS6detail15normal_iteratorINS8_10device_ptrIfEEEEPff9plus_mod3IfEEE10hipError_tPvRmT1_T2_T3_mT4_P12ihipStream_tbEUlT_E1_NS1_11comp_targetILNS1_3genE2ELNS1_11target_archE906ELNS1_3gpuE6ELNS1_3repE0EEENS1_30default_config_static_selectorELNS0_4arch9wavefront6targetE1EEEvSK_.num_vgpr, 0
	.set _ZN7rocprim17ROCPRIM_400000_NS6detail17trampoline_kernelINS0_14default_configENS1_22reduce_config_selectorIfEEZNS1_11reduce_implILb1ES3_N6thrust23THRUST_200600_302600_NS6detail15normal_iteratorINS8_10device_ptrIfEEEEPff9plus_mod3IfEEE10hipError_tPvRmT1_T2_T3_mT4_P12ihipStream_tbEUlT_E1_NS1_11comp_targetILNS1_3genE2ELNS1_11target_archE906ELNS1_3gpuE6ELNS1_3repE0EEENS1_30default_config_static_selectorELNS0_4arch9wavefront6targetE1EEEvSK_.num_agpr, 0
	.set _ZN7rocprim17ROCPRIM_400000_NS6detail17trampoline_kernelINS0_14default_configENS1_22reduce_config_selectorIfEEZNS1_11reduce_implILb1ES3_N6thrust23THRUST_200600_302600_NS6detail15normal_iteratorINS8_10device_ptrIfEEEEPff9plus_mod3IfEEE10hipError_tPvRmT1_T2_T3_mT4_P12ihipStream_tbEUlT_E1_NS1_11comp_targetILNS1_3genE2ELNS1_11target_archE906ELNS1_3gpuE6ELNS1_3repE0EEENS1_30default_config_static_selectorELNS0_4arch9wavefront6targetE1EEEvSK_.numbered_sgpr, 0
	.set _ZN7rocprim17ROCPRIM_400000_NS6detail17trampoline_kernelINS0_14default_configENS1_22reduce_config_selectorIfEEZNS1_11reduce_implILb1ES3_N6thrust23THRUST_200600_302600_NS6detail15normal_iteratorINS8_10device_ptrIfEEEEPff9plus_mod3IfEEE10hipError_tPvRmT1_T2_T3_mT4_P12ihipStream_tbEUlT_E1_NS1_11comp_targetILNS1_3genE2ELNS1_11target_archE906ELNS1_3gpuE6ELNS1_3repE0EEENS1_30default_config_static_selectorELNS0_4arch9wavefront6targetE1EEEvSK_.num_named_barrier, 0
	.set _ZN7rocprim17ROCPRIM_400000_NS6detail17trampoline_kernelINS0_14default_configENS1_22reduce_config_selectorIfEEZNS1_11reduce_implILb1ES3_N6thrust23THRUST_200600_302600_NS6detail15normal_iteratorINS8_10device_ptrIfEEEEPff9plus_mod3IfEEE10hipError_tPvRmT1_T2_T3_mT4_P12ihipStream_tbEUlT_E1_NS1_11comp_targetILNS1_3genE2ELNS1_11target_archE906ELNS1_3gpuE6ELNS1_3repE0EEENS1_30default_config_static_selectorELNS0_4arch9wavefront6targetE1EEEvSK_.private_seg_size, 0
	.set _ZN7rocprim17ROCPRIM_400000_NS6detail17trampoline_kernelINS0_14default_configENS1_22reduce_config_selectorIfEEZNS1_11reduce_implILb1ES3_N6thrust23THRUST_200600_302600_NS6detail15normal_iteratorINS8_10device_ptrIfEEEEPff9plus_mod3IfEEE10hipError_tPvRmT1_T2_T3_mT4_P12ihipStream_tbEUlT_E1_NS1_11comp_targetILNS1_3genE2ELNS1_11target_archE906ELNS1_3gpuE6ELNS1_3repE0EEENS1_30default_config_static_selectorELNS0_4arch9wavefront6targetE1EEEvSK_.uses_vcc, 0
	.set _ZN7rocprim17ROCPRIM_400000_NS6detail17trampoline_kernelINS0_14default_configENS1_22reduce_config_selectorIfEEZNS1_11reduce_implILb1ES3_N6thrust23THRUST_200600_302600_NS6detail15normal_iteratorINS8_10device_ptrIfEEEEPff9plus_mod3IfEEE10hipError_tPvRmT1_T2_T3_mT4_P12ihipStream_tbEUlT_E1_NS1_11comp_targetILNS1_3genE2ELNS1_11target_archE906ELNS1_3gpuE6ELNS1_3repE0EEENS1_30default_config_static_selectorELNS0_4arch9wavefront6targetE1EEEvSK_.uses_flat_scratch, 0
	.set _ZN7rocprim17ROCPRIM_400000_NS6detail17trampoline_kernelINS0_14default_configENS1_22reduce_config_selectorIfEEZNS1_11reduce_implILb1ES3_N6thrust23THRUST_200600_302600_NS6detail15normal_iteratorINS8_10device_ptrIfEEEEPff9plus_mod3IfEEE10hipError_tPvRmT1_T2_T3_mT4_P12ihipStream_tbEUlT_E1_NS1_11comp_targetILNS1_3genE2ELNS1_11target_archE906ELNS1_3gpuE6ELNS1_3repE0EEENS1_30default_config_static_selectorELNS0_4arch9wavefront6targetE1EEEvSK_.has_dyn_sized_stack, 0
	.set _ZN7rocprim17ROCPRIM_400000_NS6detail17trampoline_kernelINS0_14default_configENS1_22reduce_config_selectorIfEEZNS1_11reduce_implILb1ES3_N6thrust23THRUST_200600_302600_NS6detail15normal_iteratorINS8_10device_ptrIfEEEEPff9plus_mod3IfEEE10hipError_tPvRmT1_T2_T3_mT4_P12ihipStream_tbEUlT_E1_NS1_11comp_targetILNS1_3genE2ELNS1_11target_archE906ELNS1_3gpuE6ELNS1_3repE0EEENS1_30default_config_static_selectorELNS0_4arch9wavefront6targetE1EEEvSK_.has_recursion, 0
	.set _ZN7rocprim17ROCPRIM_400000_NS6detail17trampoline_kernelINS0_14default_configENS1_22reduce_config_selectorIfEEZNS1_11reduce_implILb1ES3_N6thrust23THRUST_200600_302600_NS6detail15normal_iteratorINS8_10device_ptrIfEEEEPff9plus_mod3IfEEE10hipError_tPvRmT1_T2_T3_mT4_P12ihipStream_tbEUlT_E1_NS1_11comp_targetILNS1_3genE2ELNS1_11target_archE906ELNS1_3gpuE6ELNS1_3repE0EEENS1_30default_config_static_selectorELNS0_4arch9wavefront6targetE1EEEvSK_.has_indirect_call, 0
	.section	.AMDGPU.csdata,"",@progbits
; Kernel info:
; codeLenInByte = 0
; TotalNumSgprs: 6
; NumVgprs: 0
; NumAgprs: 0
; TotalNumVgprs: 0
; ScratchSize: 0
; MemoryBound: 0
; FloatMode: 240
; IeeeMode: 1
; LDSByteSize: 0 bytes/workgroup (compile time only)
; SGPRBlocks: 0
; VGPRBlocks: 0
; NumSGPRsForWavesPerEU: 6
; NumVGPRsForWavesPerEU: 1
; AccumOffset: 4
; Occupancy: 8
; WaveLimiterHint : 0
; COMPUTE_PGM_RSRC2:SCRATCH_EN: 0
; COMPUTE_PGM_RSRC2:USER_SGPR: 2
; COMPUTE_PGM_RSRC2:TRAP_HANDLER: 0
; COMPUTE_PGM_RSRC2:TGID_X_EN: 1
; COMPUTE_PGM_RSRC2:TGID_Y_EN: 0
; COMPUTE_PGM_RSRC2:TGID_Z_EN: 0
; COMPUTE_PGM_RSRC2:TIDIG_COMP_CNT: 0
; COMPUTE_PGM_RSRC3_GFX90A:ACCUM_OFFSET: 0
; COMPUTE_PGM_RSRC3_GFX90A:TG_SPLIT: 0
	.section	.text._ZN7rocprim17ROCPRIM_400000_NS6detail17trampoline_kernelINS0_14default_configENS1_22reduce_config_selectorIfEEZNS1_11reduce_implILb1ES3_N6thrust23THRUST_200600_302600_NS6detail15normal_iteratorINS8_10device_ptrIfEEEEPff9plus_mod3IfEEE10hipError_tPvRmT1_T2_T3_mT4_P12ihipStream_tbEUlT_E1_NS1_11comp_targetILNS1_3genE10ELNS1_11target_archE1201ELNS1_3gpuE5ELNS1_3repE0EEENS1_30default_config_static_selectorELNS0_4arch9wavefront6targetE1EEEvSK_,"axG",@progbits,_ZN7rocprim17ROCPRIM_400000_NS6detail17trampoline_kernelINS0_14default_configENS1_22reduce_config_selectorIfEEZNS1_11reduce_implILb1ES3_N6thrust23THRUST_200600_302600_NS6detail15normal_iteratorINS8_10device_ptrIfEEEEPff9plus_mod3IfEEE10hipError_tPvRmT1_T2_T3_mT4_P12ihipStream_tbEUlT_E1_NS1_11comp_targetILNS1_3genE10ELNS1_11target_archE1201ELNS1_3gpuE5ELNS1_3repE0EEENS1_30default_config_static_selectorELNS0_4arch9wavefront6targetE1EEEvSK_,comdat
	.protected	_ZN7rocprim17ROCPRIM_400000_NS6detail17trampoline_kernelINS0_14default_configENS1_22reduce_config_selectorIfEEZNS1_11reduce_implILb1ES3_N6thrust23THRUST_200600_302600_NS6detail15normal_iteratorINS8_10device_ptrIfEEEEPff9plus_mod3IfEEE10hipError_tPvRmT1_T2_T3_mT4_P12ihipStream_tbEUlT_E1_NS1_11comp_targetILNS1_3genE10ELNS1_11target_archE1201ELNS1_3gpuE5ELNS1_3repE0EEENS1_30default_config_static_selectorELNS0_4arch9wavefront6targetE1EEEvSK_ ; -- Begin function _ZN7rocprim17ROCPRIM_400000_NS6detail17trampoline_kernelINS0_14default_configENS1_22reduce_config_selectorIfEEZNS1_11reduce_implILb1ES3_N6thrust23THRUST_200600_302600_NS6detail15normal_iteratorINS8_10device_ptrIfEEEEPff9plus_mod3IfEEE10hipError_tPvRmT1_T2_T3_mT4_P12ihipStream_tbEUlT_E1_NS1_11comp_targetILNS1_3genE10ELNS1_11target_archE1201ELNS1_3gpuE5ELNS1_3repE0EEENS1_30default_config_static_selectorELNS0_4arch9wavefront6targetE1EEEvSK_
	.globl	_ZN7rocprim17ROCPRIM_400000_NS6detail17trampoline_kernelINS0_14default_configENS1_22reduce_config_selectorIfEEZNS1_11reduce_implILb1ES3_N6thrust23THRUST_200600_302600_NS6detail15normal_iteratorINS8_10device_ptrIfEEEEPff9plus_mod3IfEEE10hipError_tPvRmT1_T2_T3_mT4_P12ihipStream_tbEUlT_E1_NS1_11comp_targetILNS1_3genE10ELNS1_11target_archE1201ELNS1_3gpuE5ELNS1_3repE0EEENS1_30default_config_static_selectorELNS0_4arch9wavefront6targetE1EEEvSK_
	.p2align	8
	.type	_ZN7rocprim17ROCPRIM_400000_NS6detail17trampoline_kernelINS0_14default_configENS1_22reduce_config_selectorIfEEZNS1_11reduce_implILb1ES3_N6thrust23THRUST_200600_302600_NS6detail15normal_iteratorINS8_10device_ptrIfEEEEPff9plus_mod3IfEEE10hipError_tPvRmT1_T2_T3_mT4_P12ihipStream_tbEUlT_E1_NS1_11comp_targetILNS1_3genE10ELNS1_11target_archE1201ELNS1_3gpuE5ELNS1_3repE0EEENS1_30default_config_static_selectorELNS0_4arch9wavefront6targetE1EEEvSK_,@function
_ZN7rocprim17ROCPRIM_400000_NS6detail17trampoline_kernelINS0_14default_configENS1_22reduce_config_selectorIfEEZNS1_11reduce_implILb1ES3_N6thrust23THRUST_200600_302600_NS6detail15normal_iteratorINS8_10device_ptrIfEEEEPff9plus_mod3IfEEE10hipError_tPvRmT1_T2_T3_mT4_P12ihipStream_tbEUlT_E1_NS1_11comp_targetILNS1_3genE10ELNS1_11target_archE1201ELNS1_3gpuE5ELNS1_3repE0EEENS1_30default_config_static_selectorELNS0_4arch9wavefront6targetE1EEEvSK_: ; @_ZN7rocprim17ROCPRIM_400000_NS6detail17trampoline_kernelINS0_14default_configENS1_22reduce_config_selectorIfEEZNS1_11reduce_implILb1ES3_N6thrust23THRUST_200600_302600_NS6detail15normal_iteratorINS8_10device_ptrIfEEEEPff9plus_mod3IfEEE10hipError_tPvRmT1_T2_T3_mT4_P12ihipStream_tbEUlT_E1_NS1_11comp_targetILNS1_3genE10ELNS1_11target_archE1201ELNS1_3gpuE5ELNS1_3repE0EEENS1_30default_config_static_selectorELNS0_4arch9wavefront6targetE1EEEvSK_
; %bb.0:
	.section	.rodata,"a",@progbits
	.p2align	6, 0x0
	.amdhsa_kernel _ZN7rocprim17ROCPRIM_400000_NS6detail17trampoline_kernelINS0_14default_configENS1_22reduce_config_selectorIfEEZNS1_11reduce_implILb1ES3_N6thrust23THRUST_200600_302600_NS6detail15normal_iteratorINS8_10device_ptrIfEEEEPff9plus_mod3IfEEE10hipError_tPvRmT1_T2_T3_mT4_P12ihipStream_tbEUlT_E1_NS1_11comp_targetILNS1_3genE10ELNS1_11target_archE1201ELNS1_3gpuE5ELNS1_3repE0EEENS1_30default_config_static_selectorELNS0_4arch9wavefront6targetE1EEEvSK_
		.amdhsa_group_segment_fixed_size 0
		.amdhsa_private_segment_fixed_size 0
		.amdhsa_kernarg_size 48
		.amdhsa_user_sgpr_count 2
		.amdhsa_user_sgpr_dispatch_ptr 0
		.amdhsa_user_sgpr_queue_ptr 0
		.amdhsa_user_sgpr_kernarg_segment_ptr 1
		.amdhsa_user_sgpr_dispatch_id 0
		.amdhsa_user_sgpr_kernarg_preload_length 0
		.amdhsa_user_sgpr_kernarg_preload_offset 0
		.amdhsa_user_sgpr_private_segment_size 0
		.amdhsa_uses_dynamic_stack 0
		.amdhsa_enable_private_segment 0
		.amdhsa_system_sgpr_workgroup_id_x 1
		.amdhsa_system_sgpr_workgroup_id_y 0
		.amdhsa_system_sgpr_workgroup_id_z 0
		.amdhsa_system_sgpr_workgroup_info 0
		.amdhsa_system_vgpr_workitem_id 0
		.amdhsa_next_free_vgpr 1
		.amdhsa_next_free_sgpr 0
		.amdhsa_accum_offset 4
		.amdhsa_reserve_vcc 0
		.amdhsa_float_round_mode_32 0
		.amdhsa_float_round_mode_16_64 0
		.amdhsa_float_denorm_mode_32 3
		.amdhsa_float_denorm_mode_16_64 3
		.amdhsa_dx10_clamp 1
		.amdhsa_ieee_mode 1
		.amdhsa_fp16_overflow 0
		.amdhsa_tg_split 0
		.amdhsa_exception_fp_ieee_invalid_op 0
		.amdhsa_exception_fp_denorm_src 0
		.amdhsa_exception_fp_ieee_div_zero 0
		.amdhsa_exception_fp_ieee_overflow 0
		.amdhsa_exception_fp_ieee_underflow 0
		.amdhsa_exception_fp_ieee_inexact 0
		.amdhsa_exception_int_div_zero 0
	.end_amdhsa_kernel
	.section	.text._ZN7rocprim17ROCPRIM_400000_NS6detail17trampoline_kernelINS0_14default_configENS1_22reduce_config_selectorIfEEZNS1_11reduce_implILb1ES3_N6thrust23THRUST_200600_302600_NS6detail15normal_iteratorINS8_10device_ptrIfEEEEPff9plus_mod3IfEEE10hipError_tPvRmT1_T2_T3_mT4_P12ihipStream_tbEUlT_E1_NS1_11comp_targetILNS1_3genE10ELNS1_11target_archE1201ELNS1_3gpuE5ELNS1_3repE0EEENS1_30default_config_static_selectorELNS0_4arch9wavefront6targetE1EEEvSK_,"axG",@progbits,_ZN7rocprim17ROCPRIM_400000_NS6detail17trampoline_kernelINS0_14default_configENS1_22reduce_config_selectorIfEEZNS1_11reduce_implILb1ES3_N6thrust23THRUST_200600_302600_NS6detail15normal_iteratorINS8_10device_ptrIfEEEEPff9plus_mod3IfEEE10hipError_tPvRmT1_T2_T3_mT4_P12ihipStream_tbEUlT_E1_NS1_11comp_targetILNS1_3genE10ELNS1_11target_archE1201ELNS1_3gpuE5ELNS1_3repE0EEENS1_30default_config_static_selectorELNS0_4arch9wavefront6targetE1EEEvSK_,comdat
.Lfunc_end763:
	.size	_ZN7rocprim17ROCPRIM_400000_NS6detail17trampoline_kernelINS0_14default_configENS1_22reduce_config_selectorIfEEZNS1_11reduce_implILb1ES3_N6thrust23THRUST_200600_302600_NS6detail15normal_iteratorINS8_10device_ptrIfEEEEPff9plus_mod3IfEEE10hipError_tPvRmT1_T2_T3_mT4_P12ihipStream_tbEUlT_E1_NS1_11comp_targetILNS1_3genE10ELNS1_11target_archE1201ELNS1_3gpuE5ELNS1_3repE0EEENS1_30default_config_static_selectorELNS0_4arch9wavefront6targetE1EEEvSK_, .Lfunc_end763-_ZN7rocprim17ROCPRIM_400000_NS6detail17trampoline_kernelINS0_14default_configENS1_22reduce_config_selectorIfEEZNS1_11reduce_implILb1ES3_N6thrust23THRUST_200600_302600_NS6detail15normal_iteratorINS8_10device_ptrIfEEEEPff9plus_mod3IfEEE10hipError_tPvRmT1_T2_T3_mT4_P12ihipStream_tbEUlT_E1_NS1_11comp_targetILNS1_3genE10ELNS1_11target_archE1201ELNS1_3gpuE5ELNS1_3repE0EEENS1_30default_config_static_selectorELNS0_4arch9wavefront6targetE1EEEvSK_
                                        ; -- End function
	.set _ZN7rocprim17ROCPRIM_400000_NS6detail17trampoline_kernelINS0_14default_configENS1_22reduce_config_selectorIfEEZNS1_11reduce_implILb1ES3_N6thrust23THRUST_200600_302600_NS6detail15normal_iteratorINS8_10device_ptrIfEEEEPff9plus_mod3IfEEE10hipError_tPvRmT1_T2_T3_mT4_P12ihipStream_tbEUlT_E1_NS1_11comp_targetILNS1_3genE10ELNS1_11target_archE1201ELNS1_3gpuE5ELNS1_3repE0EEENS1_30default_config_static_selectorELNS0_4arch9wavefront6targetE1EEEvSK_.num_vgpr, 0
	.set _ZN7rocprim17ROCPRIM_400000_NS6detail17trampoline_kernelINS0_14default_configENS1_22reduce_config_selectorIfEEZNS1_11reduce_implILb1ES3_N6thrust23THRUST_200600_302600_NS6detail15normal_iteratorINS8_10device_ptrIfEEEEPff9plus_mod3IfEEE10hipError_tPvRmT1_T2_T3_mT4_P12ihipStream_tbEUlT_E1_NS1_11comp_targetILNS1_3genE10ELNS1_11target_archE1201ELNS1_3gpuE5ELNS1_3repE0EEENS1_30default_config_static_selectorELNS0_4arch9wavefront6targetE1EEEvSK_.num_agpr, 0
	.set _ZN7rocprim17ROCPRIM_400000_NS6detail17trampoline_kernelINS0_14default_configENS1_22reduce_config_selectorIfEEZNS1_11reduce_implILb1ES3_N6thrust23THRUST_200600_302600_NS6detail15normal_iteratorINS8_10device_ptrIfEEEEPff9plus_mod3IfEEE10hipError_tPvRmT1_T2_T3_mT4_P12ihipStream_tbEUlT_E1_NS1_11comp_targetILNS1_3genE10ELNS1_11target_archE1201ELNS1_3gpuE5ELNS1_3repE0EEENS1_30default_config_static_selectorELNS0_4arch9wavefront6targetE1EEEvSK_.numbered_sgpr, 0
	.set _ZN7rocprim17ROCPRIM_400000_NS6detail17trampoline_kernelINS0_14default_configENS1_22reduce_config_selectorIfEEZNS1_11reduce_implILb1ES3_N6thrust23THRUST_200600_302600_NS6detail15normal_iteratorINS8_10device_ptrIfEEEEPff9plus_mod3IfEEE10hipError_tPvRmT1_T2_T3_mT4_P12ihipStream_tbEUlT_E1_NS1_11comp_targetILNS1_3genE10ELNS1_11target_archE1201ELNS1_3gpuE5ELNS1_3repE0EEENS1_30default_config_static_selectorELNS0_4arch9wavefront6targetE1EEEvSK_.num_named_barrier, 0
	.set _ZN7rocprim17ROCPRIM_400000_NS6detail17trampoline_kernelINS0_14default_configENS1_22reduce_config_selectorIfEEZNS1_11reduce_implILb1ES3_N6thrust23THRUST_200600_302600_NS6detail15normal_iteratorINS8_10device_ptrIfEEEEPff9plus_mod3IfEEE10hipError_tPvRmT1_T2_T3_mT4_P12ihipStream_tbEUlT_E1_NS1_11comp_targetILNS1_3genE10ELNS1_11target_archE1201ELNS1_3gpuE5ELNS1_3repE0EEENS1_30default_config_static_selectorELNS0_4arch9wavefront6targetE1EEEvSK_.private_seg_size, 0
	.set _ZN7rocprim17ROCPRIM_400000_NS6detail17trampoline_kernelINS0_14default_configENS1_22reduce_config_selectorIfEEZNS1_11reduce_implILb1ES3_N6thrust23THRUST_200600_302600_NS6detail15normal_iteratorINS8_10device_ptrIfEEEEPff9plus_mod3IfEEE10hipError_tPvRmT1_T2_T3_mT4_P12ihipStream_tbEUlT_E1_NS1_11comp_targetILNS1_3genE10ELNS1_11target_archE1201ELNS1_3gpuE5ELNS1_3repE0EEENS1_30default_config_static_selectorELNS0_4arch9wavefront6targetE1EEEvSK_.uses_vcc, 0
	.set _ZN7rocprim17ROCPRIM_400000_NS6detail17trampoline_kernelINS0_14default_configENS1_22reduce_config_selectorIfEEZNS1_11reduce_implILb1ES3_N6thrust23THRUST_200600_302600_NS6detail15normal_iteratorINS8_10device_ptrIfEEEEPff9plus_mod3IfEEE10hipError_tPvRmT1_T2_T3_mT4_P12ihipStream_tbEUlT_E1_NS1_11comp_targetILNS1_3genE10ELNS1_11target_archE1201ELNS1_3gpuE5ELNS1_3repE0EEENS1_30default_config_static_selectorELNS0_4arch9wavefront6targetE1EEEvSK_.uses_flat_scratch, 0
	.set _ZN7rocprim17ROCPRIM_400000_NS6detail17trampoline_kernelINS0_14default_configENS1_22reduce_config_selectorIfEEZNS1_11reduce_implILb1ES3_N6thrust23THRUST_200600_302600_NS6detail15normal_iteratorINS8_10device_ptrIfEEEEPff9plus_mod3IfEEE10hipError_tPvRmT1_T2_T3_mT4_P12ihipStream_tbEUlT_E1_NS1_11comp_targetILNS1_3genE10ELNS1_11target_archE1201ELNS1_3gpuE5ELNS1_3repE0EEENS1_30default_config_static_selectorELNS0_4arch9wavefront6targetE1EEEvSK_.has_dyn_sized_stack, 0
	.set _ZN7rocprim17ROCPRIM_400000_NS6detail17trampoline_kernelINS0_14default_configENS1_22reduce_config_selectorIfEEZNS1_11reduce_implILb1ES3_N6thrust23THRUST_200600_302600_NS6detail15normal_iteratorINS8_10device_ptrIfEEEEPff9plus_mod3IfEEE10hipError_tPvRmT1_T2_T3_mT4_P12ihipStream_tbEUlT_E1_NS1_11comp_targetILNS1_3genE10ELNS1_11target_archE1201ELNS1_3gpuE5ELNS1_3repE0EEENS1_30default_config_static_selectorELNS0_4arch9wavefront6targetE1EEEvSK_.has_recursion, 0
	.set _ZN7rocprim17ROCPRIM_400000_NS6detail17trampoline_kernelINS0_14default_configENS1_22reduce_config_selectorIfEEZNS1_11reduce_implILb1ES3_N6thrust23THRUST_200600_302600_NS6detail15normal_iteratorINS8_10device_ptrIfEEEEPff9plus_mod3IfEEE10hipError_tPvRmT1_T2_T3_mT4_P12ihipStream_tbEUlT_E1_NS1_11comp_targetILNS1_3genE10ELNS1_11target_archE1201ELNS1_3gpuE5ELNS1_3repE0EEENS1_30default_config_static_selectorELNS0_4arch9wavefront6targetE1EEEvSK_.has_indirect_call, 0
	.section	.AMDGPU.csdata,"",@progbits
; Kernel info:
; codeLenInByte = 0
; TotalNumSgprs: 6
; NumVgprs: 0
; NumAgprs: 0
; TotalNumVgprs: 0
; ScratchSize: 0
; MemoryBound: 0
; FloatMode: 240
; IeeeMode: 1
; LDSByteSize: 0 bytes/workgroup (compile time only)
; SGPRBlocks: 0
; VGPRBlocks: 0
; NumSGPRsForWavesPerEU: 6
; NumVGPRsForWavesPerEU: 1
; AccumOffset: 4
; Occupancy: 8
; WaveLimiterHint : 0
; COMPUTE_PGM_RSRC2:SCRATCH_EN: 0
; COMPUTE_PGM_RSRC2:USER_SGPR: 2
; COMPUTE_PGM_RSRC2:TRAP_HANDLER: 0
; COMPUTE_PGM_RSRC2:TGID_X_EN: 1
; COMPUTE_PGM_RSRC2:TGID_Y_EN: 0
; COMPUTE_PGM_RSRC2:TGID_Z_EN: 0
; COMPUTE_PGM_RSRC2:TIDIG_COMP_CNT: 0
; COMPUTE_PGM_RSRC3_GFX90A:ACCUM_OFFSET: 0
; COMPUTE_PGM_RSRC3_GFX90A:TG_SPLIT: 0
	.section	.text._ZN7rocprim17ROCPRIM_400000_NS6detail17trampoline_kernelINS0_14default_configENS1_22reduce_config_selectorIfEEZNS1_11reduce_implILb1ES3_N6thrust23THRUST_200600_302600_NS6detail15normal_iteratorINS8_10device_ptrIfEEEEPff9plus_mod3IfEEE10hipError_tPvRmT1_T2_T3_mT4_P12ihipStream_tbEUlT_E1_NS1_11comp_targetILNS1_3genE10ELNS1_11target_archE1200ELNS1_3gpuE4ELNS1_3repE0EEENS1_30default_config_static_selectorELNS0_4arch9wavefront6targetE1EEEvSK_,"axG",@progbits,_ZN7rocprim17ROCPRIM_400000_NS6detail17trampoline_kernelINS0_14default_configENS1_22reduce_config_selectorIfEEZNS1_11reduce_implILb1ES3_N6thrust23THRUST_200600_302600_NS6detail15normal_iteratorINS8_10device_ptrIfEEEEPff9plus_mod3IfEEE10hipError_tPvRmT1_T2_T3_mT4_P12ihipStream_tbEUlT_E1_NS1_11comp_targetILNS1_3genE10ELNS1_11target_archE1200ELNS1_3gpuE4ELNS1_3repE0EEENS1_30default_config_static_selectorELNS0_4arch9wavefront6targetE1EEEvSK_,comdat
	.protected	_ZN7rocprim17ROCPRIM_400000_NS6detail17trampoline_kernelINS0_14default_configENS1_22reduce_config_selectorIfEEZNS1_11reduce_implILb1ES3_N6thrust23THRUST_200600_302600_NS6detail15normal_iteratorINS8_10device_ptrIfEEEEPff9plus_mod3IfEEE10hipError_tPvRmT1_T2_T3_mT4_P12ihipStream_tbEUlT_E1_NS1_11comp_targetILNS1_3genE10ELNS1_11target_archE1200ELNS1_3gpuE4ELNS1_3repE0EEENS1_30default_config_static_selectorELNS0_4arch9wavefront6targetE1EEEvSK_ ; -- Begin function _ZN7rocprim17ROCPRIM_400000_NS6detail17trampoline_kernelINS0_14default_configENS1_22reduce_config_selectorIfEEZNS1_11reduce_implILb1ES3_N6thrust23THRUST_200600_302600_NS6detail15normal_iteratorINS8_10device_ptrIfEEEEPff9plus_mod3IfEEE10hipError_tPvRmT1_T2_T3_mT4_P12ihipStream_tbEUlT_E1_NS1_11comp_targetILNS1_3genE10ELNS1_11target_archE1200ELNS1_3gpuE4ELNS1_3repE0EEENS1_30default_config_static_selectorELNS0_4arch9wavefront6targetE1EEEvSK_
	.globl	_ZN7rocprim17ROCPRIM_400000_NS6detail17trampoline_kernelINS0_14default_configENS1_22reduce_config_selectorIfEEZNS1_11reduce_implILb1ES3_N6thrust23THRUST_200600_302600_NS6detail15normal_iteratorINS8_10device_ptrIfEEEEPff9plus_mod3IfEEE10hipError_tPvRmT1_T2_T3_mT4_P12ihipStream_tbEUlT_E1_NS1_11comp_targetILNS1_3genE10ELNS1_11target_archE1200ELNS1_3gpuE4ELNS1_3repE0EEENS1_30default_config_static_selectorELNS0_4arch9wavefront6targetE1EEEvSK_
	.p2align	8
	.type	_ZN7rocprim17ROCPRIM_400000_NS6detail17trampoline_kernelINS0_14default_configENS1_22reduce_config_selectorIfEEZNS1_11reduce_implILb1ES3_N6thrust23THRUST_200600_302600_NS6detail15normal_iteratorINS8_10device_ptrIfEEEEPff9plus_mod3IfEEE10hipError_tPvRmT1_T2_T3_mT4_P12ihipStream_tbEUlT_E1_NS1_11comp_targetILNS1_3genE10ELNS1_11target_archE1200ELNS1_3gpuE4ELNS1_3repE0EEENS1_30default_config_static_selectorELNS0_4arch9wavefront6targetE1EEEvSK_,@function
_ZN7rocprim17ROCPRIM_400000_NS6detail17trampoline_kernelINS0_14default_configENS1_22reduce_config_selectorIfEEZNS1_11reduce_implILb1ES3_N6thrust23THRUST_200600_302600_NS6detail15normal_iteratorINS8_10device_ptrIfEEEEPff9plus_mod3IfEEE10hipError_tPvRmT1_T2_T3_mT4_P12ihipStream_tbEUlT_E1_NS1_11comp_targetILNS1_3genE10ELNS1_11target_archE1200ELNS1_3gpuE4ELNS1_3repE0EEENS1_30default_config_static_selectorELNS0_4arch9wavefront6targetE1EEEvSK_: ; @_ZN7rocprim17ROCPRIM_400000_NS6detail17trampoline_kernelINS0_14default_configENS1_22reduce_config_selectorIfEEZNS1_11reduce_implILb1ES3_N6thrust23THRUST_200600_302600_NS6detail15normal_iteratorINS8_10device_ptrIfEEEEPff9plus_mod3IfEEE10hipError_tPvRmT1_T2_T3_mT4_P12ihipStream_tbEUlT_E1_NS1_11comp_targetILNS1_3genE10ELNS1_11target_archE1200ELNS1_3gpuE4ELNS1_3repE0EEENS1_30default_config_static_selectorELNS0_4arch9wavefront6targetE1EEEvSK_
; %bb.0:
	.section	.rodata,"a",@progbits
	.p2align	6, 0x0
	.amdhsa_kernel _ZN7rocprim17ROCPRIM_400000_NS6detail17trampoline_kernelINS0_14default_configENS1_22reduce_config_selectorIfEEZNS1_11reduce_implILb1ES3_N6thrust23THRUST_200600_302600_NS6detail15normal_iteratorINS8_10device_ptrIfEEEEPff9plus_mod3IfEEE10hipError_tPvRmT1_T2_T3_mT4_P12ihipStream_tbEUlT_E1_NS1_11comp_targetILNS1_3genE10ELNS1_11target_archE1200ELNS1_3gpuE4ELNS1_3repE0EEENS1_30default_config_static_selectorELNS0_4arch9wavefront6targetE1EEEvSK_
		.amdhsa_group_segment_fixed_size 0
		.amdhsa_private_segment_fixed_size 0
		.amdhsa_kernarg_size 48
		.amdhsa_user_sgpr_count 2
		.amdhsa_user_sgpr_dispatch_ptr 0
		.amdhsa_user_sgpr_queue_ptr 0
		.amdhsa_user_sgpr_kernarg_segment_ptr 1
		.amdhsa_user_sgpr_dispatch_id 0
		.amdhsa_user_sgpr_kernarg_preload_length 0
		.amdhsa_user_sgpr_kernarg_preload_offset 0
		.amdhsa_user_sgpr_private_segment_size 0
		.amdhsa_uses_dynamic_stack 0
		.amdhsa_enable_private_segment 0
		.amdhsa_system_sgpr_workgroup_id_x 1
		.amdhsa_system_sgpr_workgroup_id_y 0
		.amdhsa_system_sgpr_workgroup_id_z 0
		.amdhsa_system_sgpr_workgroup_info 0
		.amdhsa_system_vgpr_workitem_id 0
		.amdhsa_next_free_vgpr 1
		.amdhsa_next_free_sgpr 0
		.amdhsa_accum_offset 4
		.amdhsa_reserve_vcc 0
		.amdhsa_float_round_mode_32 0
		.amdhsa_float_round_mode_16_64 0
		.amdhsa_float_denorm_mode_32 3
		.amdhsa_float_denorm_mode_16_64 3
		.amdhsa_dx10_clamp 1
		.amdhsa_ieee_mode 1
		.amdhsa_fp16_overflow 0
		.amdhsa_tg_split 0
		.amdhsa_exception_fp_ieee_invalid_op 0
		.amdhsa_exception_fp_denorm_src 0
		.amdhsa_exception_fp_ieee_div_zero 0
		.amdhsa_exception_fp_ieee_overflow 0
		.amdhsa_exception_fp_ieee_underflow 0
		.amdhsa_exception_fp_ieee_inexact 0
		.amdhsa_exception_int_div_zero 0
	.end_amdhsa_kernel
	.section	.text._ZN7rocprim17ROCPRIM_400000_NS6detail17trampoline_kernelINS0_14default_configENS1_22reduce_config_selectorIfEEZNS1_11reduce_implILb1ES3_N6thrust23THRUST_200600_302600_NS6detail15normal_iteratorINS8_10device_ptrIfEEEEPff9plus_mod3IfEEE10hipError_tPvRmT1_T2_T3_mT4_P12ihipStream_tbEUlT_E1_NS1_11comp_targetILNS1_3genE10ELNS1_11target_archE1200ELNS1_3gpuE4ELNS1_3repE0EEENS1_30default_config_static_selectorELNS0_4arch9wavefront6targetE1EEEvSK_,"axG",@progbits,_ZN7rocprim17ROCPRIM_400000_NS6detail17trampoline_kernelINS0_14default_configENS1_22reduce_config_selectorIfEEZNS1_11reduce_implILb1ES3_N6thrust23THRUST_200600_302600_NS6detail15normal_iteratorINS8_10device_ptrIfEEEEPff9plus_mod3IfEEE10hipError_tPvRmT1_T2_T3_mT4_P12ihipStream_tbEUlT_E1_NS1_11comp_targetILNS1_3genE10ELNS1_11target_archE1200ELNS1_3gpuE4ELNS1_3repE0EEENS1_30default_config_static_selectorELNS0_4arch9wavefront6targetE1EEEvSK_,comdat
.Lfunc_end764:
	.size	_ZN7rocprim17ROCPRIM_400000_NS6detail17trampoline_kernelINS0_14default_configENS1_22reduce_config_selectorIfEEZNS1_11reduce_implILb1ES3_N6thrust23THRUST_200600_302600_NS6detail15normal_iteratorINS8_10device_ptrIfEEEEPff9plus_mod3IfEEE10hipError_tPvRmT1_T2_T3_mT4_P12ihipStream_tbEUlT_E1_NS1_11comp_targetILNS1_3genE10ELNS1_11target_archE1200ELNS1_3gpuE4ELNS1_3repE0EEENS1_30default_config_static_selectorELNS0_4arch9wavefront6targetE1EEEvSK_, .Lfunc_end764-_ZN7rocprim17ROCPRIM_400000_NS6detail17trampoline_kernelINS0_14default_configENS1_22reduce_config_selectorIfEEZNS1_11reduce_implILb1ES3_N6thrust23THRUST_200600_302600_NS6detail15normal_iteratorINS8_10device_ptrIfEEEEPff9plus_mod3IfEEE10hipError_tPvRmT1_T2_T3_mT4_P12ihipStream_tbEUlT_E1_NS1_11comp_targetILNS1_3genE10ELNS1_11target_archE1200ELNS1_3gpuE4ELNS1_3repE0EEENS1_30default_config_static_selectorELNS0_4arch9wavefront6targetE1EEEvSK_
                                        ; -- End function
	.set _ZN7rocprim17ROCPRIM_400000_NS6detail17trampoline_kernelINS0_14default_configENS1_22reduce_config_selectorIfEEZNS1_11reduce_implILb1ES3_N6thrust23THRUST_200600_302600_NS6detail15normal_iteratorINS8_10device_ptrIfEEEEPff9plus_mod3IfEEE10hipError_tPvRmT1_T2_T3_mT4_P12ihipStream_tbEUlT_E1_NS1_11comp_targetILNS1_3genE10ELNS1_11target_archE1200ELNS1_3gpuE4ELNS1_3repE0EEENS1_30default_config_static_selectorELNS0_4arch9wavefront6targetE1EEEvSK_.num_vgpr, 0
	.set _ZN7rocprim17ROCPRIM_400000_NS6detail17trampoline_kernelINS0_14default_configENS1_22reduce_config_selectorIfEEZNS1_11reduce_implILb1ES3_N6thrust23THRUST_200600_302600_NS6detail15normal_iteratorINS8_10device_ptrIfEEEEPff9plus_mod3IfEEE10hipError_tPvRmT1_T2_T3_mT4_P12ihipStream_tbEUlT_E1_NS1_11comp_targetILNS1_3genE10ELNS1_11target_archE1200ELNS1_3gpuE4ELNS1_3repE0EEENS1_30default_config_static_selectorELNS0_4arch9wavefront6targetE1EEEvSK_.num_agpr, 0
	.set _ZN7rocprim17ROCPRIM_400000_NS6detail17trampoline_kernelINS0_14default_configENS1_22reduce_config_selectorIfEEZNS1_11reduce_implILb1ES3_N6thrust23THRUST_200600_302600_NS6detail15normal_iteratorINS8_10device_ptrIfEEEEPff9plus_mod3IfEEE10hipError_tPvRmT1_T2_T3_mT4_P12ihipStream_tbEUlT_E1_NS1_11comp_targetILNS1_3genE10ELNS1_11target_archE1200ELNS1_3gpuE4ELNS1_3repE0EEENS1_30default_config_static_selectorELNS0_4arch9wavefront6targetE1EEEvSK_.numbered_sgpr, 0
	.set _ZN7rocprim17ROCPRIM_400000_NS6detail17trampoline_kernelINS0_14default_configENS1_22reduce_config_selectorIfEEZNS1_11reduce_implILb1ES3_N6thrust23THRUST_200600_302600_NS6detail15normal_iteratorINS8_10device_ptrIfEEEEPff9plus_mod3IfEEE10hipError_tPvRmT1_T2_T3_mT4_P12ihipStream_tbEUlT_E1_NS1_11comp_targetILNS1_3genE10ELNS1_11target_archE1200ELNS1_3gpuE4ELNS1_3repE0EEENS1_30default_config_static_selectorELNS0_4arch9wavefront6targetE1EEEvSK_.num_named_barrier, 0
	.set _ZN7rocprim17ROCPRIM_400000_NS6detail17trampoline_kernelINS0_14default_configENS1_22reduce_config_selectorIfEEZNS1_11reduce_implILb1ES3_N6thrust23THRUST_200600_302600_NS6detail15normal_iteratorINS8_10device_ptrIfEEEEPff9plus_mod3IfEEE10hipError_tPvRmT1_T2_T3_mT4_P12ihipStream_tbEUlT_E1_NS1_11comp_targetILNS1_3genE10ELNS1_11target_archE1200ELNS1_3gpuE4ELNS1_3repE0EEENS1_30default_config_static_selectorELNS0_4arch9wavefront6targetE1EEEvSK_.private_seg_size, 0
	.set _ZN7rocprim17ROCPRIM_400000_NS6detail17trampoline_kernelINS0_14default_configENS1_22reduce_config_selectorIfEEZNS1_11reduce_implILb1ES3_N6thrust23THRUST_200600_302600_NS6detail15normal_iteratorINS8_10device_ptrIfEEEEPff9plus_mod3IfEEE10hipError_tPvRmT1_T2_T3_mT4_P12ihipStream_tbEUlT_E1_NS1_11comp_targetILNS1_3genE10ELNS1_11target_archE1200ELNS1_3gpuE4ELNS1_3repE0EEENS1_30default_config_static_selectorELNS0_4arch9wavefront6targetE1EEEvSK_.uses_vcc, 0
	.set _ZN7rocprim17ROCPRIM_400000_NS6detail17trampoline_kernelINS0_14default_configENS1_22reduce_config_selectorIfEEZNS1_11reduce_implILb1ES3_N6thrust23THRUST_200600_302600_NS6detail15normal_iteratorINS8_10device_ptrIfEEEEPff9plus_mod3IfEEE10hipError_tPvRmT1_T2_T3_mT4_P12ihipStream_tbEUlT_E1_NS1_11comp_targetILNS1_3genE10ELNS1_11target_archE1200ELNS1_3gpuE4ELNS1_3repE0EEENS1_30default_config_static_selectorELNS0_4arch9wavefront6targetE1EEEvSK_.uses_flat_scratch, 0
	.set _ZN7rocprim17ROCPRIM_400000_NS6detail17trampoline_kernelINS0_14default_configENS1_22reduce_config_selectorIfEEZNS1_11reduce_implILb1ES3_N6thrust23THRUST_200600_302600_NS6detail15normal_iteratorINS8_10device_ptrIfEEEEPff9plus_mod3IfEEE10hipError_tPvRmT1_T2_T3_mT4_P12ihipStream_tbEUlT_E1_NS1_11comp_targetILNS1_3genE10ELNS1_11target_archE1200ELNS1_3gpuE4ELNS1_3repE0EEENS1_30default_config_static_selectorELNS0_4arch9wavefront6targetE1EEEvSK_.has_dyn_sized_stack, 0
	.set _ZN7rocprim17ROCPRIM_400000_NS6detail17trampoline_kernelINS0_14default_configENS1_22reduce_config_selectorIfEEZNS1_11reduce_implILb1ES3_N6thrust23THRUST_200600_302600_NS6detail15normal_iteratorINS8_10device_ptrIfEEEEPff9plus_mod3IfEEE10hipError_tPvRmT1_T2_T3_mT4_P12ihipStream_tbEUlT_E1_NS1_11comp_targetILNS1_3genE10ELNS1_11target_archE1200ELNS1_3gpuE4ELNS1_3repE0EEENS1_30default_config_static_selectorELNS0_4arch9wavefront6targetE1EEEvSK_.has_recursion, 0
	.set _ZN7rocprim17ROCPRIM_400000_NS6detail17trampoline_kernelINS0_14default_configENS1_22reduce_config_selectorIfEEZNS1_11reduce_implILb1ES3_N6thrust23THRUST_200600_302600_NS6detail15normal_iteratorINS8_10device_ptrIfEEEEPff9plus_mod3IfEEE10hipError_tPvRmT1_T2_T3_mT4_P12ihipStream_tbEUlT_E1_NS1_11comp_targetILNS1_3genE10ELNS1_11target_archE1200ELNS1_3gpuE4ELNS1_3repE0EEENS1_30default_config_static_selectorELNS0_4arch9wavefront6targetE1EEEvSK_.has_indirect_call, 0
	.section	.AMDGPU.csdata,"",@progbits
; Kernel info:
; codeLenInByte = 0
; TotalNumSgprs: 6
; NumVgprs: 0
; NumAgprs: 0
; TotalNumVgprs: 0
; ScratchSize: 0
; MemoryBound: 0
; FloatMode: 240
; IeeeMode: 1
; LDSByteSize: 0 bytes/workgroup (compile time only)
; SGPRBlocks: 0
; VGPRBlocks: 0
; NumSGPRsForWavesPerEU: 6
; NumVGPRsForWavesPerEU: 1
; AccumOffset: 4
; Occupancy: 8
; WaveLimiterHint : 0
; COMPUTE_PGM_RSRC2:SCRATCH_EN: 0
; COMPUTE_PGM_RSRC2:USER_SGPR: 2
; COMPUTE_PGM_RSRC2:TRAP_HANDLER: 0
; COMPUTE_PGM_RSRC2:TGID_X_EN: 1
; COMPUTE_PGM_RSRC2:TGID_Y_EN: 0
; COMPUTE_PGM_RSRC2:TGID_Z_EN: 0
; COMPUTE_PGM_RSRC2:TIDIG_COMP_CNT: 0
; COMPUTE_PGM_RSRC3_GFX90A:ACCUM_OFFSET: 0
; COMPUTE_PGM_RSRC3_GFX90A:TG_SPLIT: 0
	.section	.text._ZN7rocprim17ROCPRIM_400000_NS6detail17trampoline_kernelINS0_14default_configENS1_22reduce_config_selectorIfEEZNS1_11reduce_implILb1ES3_N6thrust23THRUST_200600_302600_NS6detail15normal_iteratorINS8_10device_ptrIfEEEEPff9plus_mod3IfEEE10hipError_tPvRmT1_T2_T3_mT4_P12ihipStream_tbEUlT_E1_NS1_11comp_targetILNS1_3genE9ELNS1_11target_archE1100ELNS1_3gpuE3ELNS1_3repE0EEENS1_30default_config_static_selectorELNS0_4arch9wavefront6targetE1EEEvSK_,"axG",@progbits,_ZN7rocprim17ROCPRIM_400000_NS6detail17trampoline_kernelINS0_14default_configENS1_22reduce_config_selectorIfEEZNS1_11reduce_implILb1ES3_N6thrust23THRUST_200600_302600_NS6detail15normal_iteratorINS8_10device_ptrIfEEEEPff9plus_mod3IfEEE10hipError_tPvRmT1_T2_T3_mT4_P12ihipStream_tbEUlT_E1_NS1_11comp_targetILNS1_3genE9ELNS1_11target_archE1100ELNS1_3gpuE3ELNS1_3repE0EEENS1_30default_config_static_selectorELNS0_4arch9wavefront6targetE1EEEvSK_,comdat
	.protected	_ZN7rocprim17ROCPRIM_400000_NS6detail17trampoline_kernelINS0_14default_configENS1_22reduce_config_selectorIfEEZNS1_11reduce_implILb1ES3_N6thrust23THRUST_200600_302600_NS6detail15normal_iteratorINS8_10device_ptrIfEEEEPff9plus_mod3IfEEE10hipError_tPvRmT1_T2_T3_mT4_P12ihipStream_tbEUlT_E1_NS1_11comp_targetILNS1_3genE9ELNS1_11target_archE1100ELNS1_3gpuE3ELNS1_3repE0EEENS1_30default_config_static_selectorELNS0_4arch9wavefront6targetE1EEEvSK_ ; -- Begin function _ZN7rocprim17ROCPRIM_400000_NS6detail17trampoline_kernelINS0_14default_configENS1_22reduce_config_selectorIfEEZNS1_11reduce_implILb1ES3_N6thrust23THRUST_200600_302600_NS6detail15normal_iteratorINS8_10device_ptrIfEEEEPff9plus_mod3IfEEE10hipError_tPvRmT1_T2_T3_mT4_P12ihipStream_tbEUlT_E1_NS1_11comp_targetILNS1_3genE9ELNS1_11target_archE1100ELNS1_3gpuE3ELNS1_3repE0EEENS1_30default_config_static_selectorELNS0_4arch9wavefront6targetE1EEEvSK_
	.globl	_ZN7rocprim17ROCPRIM_400000_NS6detail17trampoline_kernelINS0_14default_configENS1_22reduce_config_selectorIfEEZNS1_11reduce_implILb1ES3_N6thrust23THRUST_200600_302600_NS6detail15normal_iteratorINS8_10device_ptrIfEEEEPff9plus_mod3IfEEE10hipError_tPvRmT1_T2_T3_mT4_P12ihipStream_tbEUlT_E1_NS1_11comp_targetILNS1_3genE9ELNS1_11target_archE1100ELNS1_3gpuE3ELNS1_3repE0EEENS1_30default_config_static_selectorELNS0_4arch9wavefront6targetE1EEEvSK_
	.p2align	8
	.type	_ZN7rocprim17ROCPRIM_400000_NS6detail17trampoline_kernelINS0_14default_configENS1_22reduce_config_selectorIfEEZNS1_11reduce_implILb1ES3_N6thrust23THRUST_200600_302600_NS6detail15normal_iteratorINS8_10device_ptrIfEEEEPff9plus_mod3IfEEE10hipError_tPvRmT1_T2_T3_mT4_P12ihipStream_tbEUlT_E1_NS1_11comp_targetILNS1_3genE9ELNS1_11target_archE1100ELNS1_3gpuE3ELNS1_3repE0EEENS1_30default_config_static_selectorELNS0_4arch9wavefront6targetE1EEEvSK_,@function
_ZN7rocprim17ROCPRIM_400000_NS6detail17trampoline_kernelINS0_14default_configENS1_22reduce_config_selectorIfEEZNS1_11reduce_implILb1ES3_N6thrust23THRUST_200600_302600_NS6detail15normal_iteratorINS8_10device_ptrIfEEEEPff9plus_mod3IfEEE10hipError_tPvRmT1_T2_T3_mT4_P12ihipStream_tbEUlT_E1_NS1_11comp_targetILNS1_3genE9ELNS1_11target_archE1100ELNS1_3gpuE3ELNS1_3repE0EEENS1_30default_config_static_selectorELNS0_4arch9wavefront6targetE1EEEvSK_: ; @_ZN7rocprim17ROCPRIM_400000_NS6detail17trampoline_kernelINS0_14default_configENS1_22reduce_config_selectorIfEEZNS1_11reduce_implILb1ES3_N6thrust23THRUST_200600_302600_NS6detail15normal_iteratorINS8_10device_ptrIfEEEEPff9plus_mod3IfEEE10hipError_tPvRmT1_T2_T3_mT4_P12ihipStream_tbEUlT_E1_NS1_11comp_targetILNS1_3genE9ELNS1_11target_archE1100ELNS1_3gpuE3ELNS1_3repE0EEENS1_30default_config_static_selectorELNS0_4arch9wavefront6targetE1EEEvSK_
; %bb.0:
	.section	.rodata,"a",@progbits
	.p2align	6, 0x0
	.amdhsa_kernel _ZN7rocprim17ROCPRIM_400000_NS6detail17trampoline_kernelINS0_14default_configENS1_22reduce_config_selectorIfEEZNS1_11reduce_implILb1ES3_N6thrust23THRUST_200600_302600_NS6detail15normal_iteratorINS8_10device_ptrIfEEEEPff9plus_mod3IfEEE10hipError_tPvRmT1_T2_T3_mT4_P12ihipStream_tbEUlT_E1_NS1_11comp_targetILNS1_3genE9ELNS1_11target_archE1100ELNS1_3gpuE3ELNS1_3repE0EEENS1_30default_config_static_selectorELNS0_4arch9wavefront6targetE1EEEvSK_
		.amdhsa_group_segment_fixed_size 0
		.amdhsa_private_segment_fixed_size 0
		.amdhsa_kernarg_size 48
		.amdhsa_user_sgpr_count 2
		.amdhsa_user_sgpr_dispatch_ptr 0
		.amdhsa_user_sgpr_queue_ptr 0
		.amdhsa_user_sgpr_kernarg_segment_ptr 1
		.amdhsa_user_sgpr_dispatch_id 0
		.amdhsa_user_sgpr_kernarg_preload_length 0
		.amdhsa_user_sgpr_kernarg_preload_offset 0
		.amdhsa_user_sgpr_private_segment_size 0
		.amdhsa_uses_dynamic_stack 0
		.amdhsa_enable_private_segment 0
		.amdhsa_system_sgpr_workgroup_id_x 1
		.amdhsa_system_sgpr_workgroup_id_y 0
		.amdhsa_system_sgpr_workgroup_id_z 0
		.amdhsa_system_sgpr_workgroup_info 0
		.amdhsa_system_vgpr_workitem_id 0
		.amdhsa_next_free_vgpr 1
		.amdhsa_next_free_sgpr 0
		.amdhsa_accum_offset 4
		.amdhsa_reserve_vcc 0
		.amdhsa_float_round_mode_32 0
		.amdhsa_float_round_mode_16_64 0
		.amdhsa_float_denorm_mode_32 3
		.amdhsa_float_denorm_mode_16_64 3
		.amdhsa_dx10_clamp 1
		.amdhsa_ieee_mode 1
		.amdhsa_fp16_overflow 0
		.amdhsa_tg_split 0
		.amdhsa_exception_fp_ieee_invalid_op 0
		.amdhsa_exception_fp_denorm_src 0
		.amdhsa_exception_fp_ieee_div_zero 0
		.amdhsa_exception_fp_ieee_overflow 0
		.amdhsa_exception_fp_ieee_underflow 0
		.amdhsa_exception_fp_ieee_inexact 0
		.amdhsa_exception_int_div_zero 0
	.end_amdhsa_kernel
	.section	.text._ZN7rocprim17ROCPRIM_400000_NS6detail17trampoline_kernelINS0_14default_configENS1_22reduce_config_selectorIfEEZNS1_11reduce_implILb1ES3_N6thrust23THRUST_200600_302600_NS6detail15normal_iteratorINS8_10device_ptrIfEEEEPff9plus_mod3IfEEE10hipError_tPvRmT1_T2_T3_mT4_P12ihipStream_tbEUlT_E1_NS1_11comp_targetILNS1_3genE9ELNS1_11target_archE1100ELNS1_3gpuE3ELNS1_3repE0EEENS1_30default_config_static_selectorELNS0_4arch9wavefront6targetE1EEEvSK_,"axG",@progbits,_ZN7rocprim17ROCPRIM_400000_NS6detail17trampoline_kernelINS0_14default_configENS1_22reduce_config_selectorIfEEZNS1_11reduce_implILb1ES3_N6thrust23THRUST_200600_302600_NS6detail15normal_iteratorINS8_10device_ptrIfEEEEPff9plus_mod3IfEEE10hipError_tPvRmT1_T2_T3_mT4_P12ihipStream_tbEUlT_E1_NS1_11comp_targetILNS1_3genE9ELNS1_11target_archE1100ELNS1_3gpuE3ELNS1_3repE0EEENS1_30default_config_static_selectorELNS0_4arch9wavefront6targetE1EEEvSK_,comdat
.Lfunc_end765:
	.size	_ZN7rocprim17ROCPRIM_400000_NS6detail17trampoline_kernelINS0_14default_configENS1_22reduce_config_selectorIfEEZNS1_11reduce_implILb1ES3_N6thrust23THRUST_200600_302600_NS6detail15normal_iteratorINS8_10device_ptrIfEEEEPff9plus_mod3IfEEE10hipError_tPvRmT1_T2_T3_mT4_P12ihipStream_tbEUlT_E1_NS1_11comp_targetILNS1_3genE9ELNS1_11target_archE1100ELNS1_3gpuE3ELNS1_3repE0EEENS1_30default_config_static_selectorELNS0_4arch9wavefront6targetE1EEEvSK_, .Lfunc_end765-_ZN7rocprim17ROCPRIM_400000_NS6detail17trampoline_kernelINS0_14default_configENS1_22reduce_config_selectorIfEEZNS1_11reduce_implILb1ES3_N6thrust23THRUST_200600_302600_NS6detail15normal_iteratorINS8_10device_ptrIfEEEEPff9plus_mod3IfEEE10hipError_tPvRmT1_T2_T3_mT4_P12ihipStream_tbEUlT_E1_NS1_11comp_targetILNS1_3genE9ELNS1_11target_archE1100ELNS1_3gpuE3ELNS1_3repE0EEENS1_30default_config_static_selectorELNS0_4arch9wavefront6targetE1EEEvSK_
                                        ; -- End function
	.set _ZN7rocprim17ROCPRIM_400000_NS6detail17trampoline_kernelINS0_14default_configENS1_22reduce_config_selectorIfEEZNS1_11reduce_implILb1ES3_N6thrust23THRUST_200600_302600_NS6detail15normal_iteratorINS8_10device_ptrIfEEEEPff9plus_mod3IfEEE10hipError_tPvRmT1_T2_T3_mT4_P12ihipStream_tbEUlT_E1_NS1_11comp_targetILNS1_3genE9ELNS1_11target_archE1100ELNS1_3gpuE3ELNS1_3repE0EEENS1_30default_config_static_selectorELNS0_4arch9wavefront6targetE1EEEvSK_.num_vgpr, 0
	.set _ZN7rocprim17ROCPRIM_400000_NS6detail17trampoline_kernelINS0_14default_configENS1_22reduce_config_selectorIfEEZNS1_11reduce_implILb1ES3_N6thrust23THRUST_200600_302600_NS6detail15normal_iteratorINS8_10device_ptrIfEEEEPff9plus_mod3IfEEE10hipError_tPvRmT1_T2_T3_mT4_P12ihipStream_tbEUlT_E1_NS1_11comp_targetILNS1_3genE9ELNS1_11target_archE1100ELNS1_3gpuE3ELNS1_3repE0EEENS1_30default_config_static_selectorELNS0_4arch9wavefront6targetE1EEEvSK_.num_agpr, 0
	.set _ZN7rocprim17ROCPRIM_400000_NS6detail17trampoline_kernelINS0_14default_configENS1_22reduce_config_selectorIfEEZNS1_11reduce_implILb1ES3_N6thrust23THRUST_200600_302600_NS6detail15normal_iteratorINS8_10device_ptrIfEEEEPff9plus_mod3IfEEE10hipError_tPvRmT1_T2_T3_mT4_P12ihipStream_tbEUlT_E1_NS1_11comp_targetILNS1_3genE9ELNS1_11target_archE1100ELNS1_3gpuE3ELNS1_3repE0EEENS1_30default_config_static_selectorELNS0_4arch9wavefront6targetE1EEEvSK_.numbered_sgpr, 0
	.set _ZN7rocprim17ROCPRIM_400000_NS6detail17trampoline_kernelINS0_14default_configENS1_22reduce_config_selectorIfEEZNS1_11reduce_implILb1ES3_N6thrust23THRUST_200600_302600_NS6detail15normal_iteratorINS8_10device_ptrIfEEEEPff9plus_mod3IfEEE10hipError_tPvRmT1_T2_T3_mT4_P12ihipStream_tbEUlT_E1_NS1_11comp_targetILNS1_3genE9ELNS1_11target_archE1100ELNS1_3gpuE3ELNS1_3repE0EEENS1_30default_config_static_selectorELNS0_4arch9wavefront6targetE1EEEvSK_.num_named_barrier, 0
	.set _ZN7rocprim17ROCPRIM_400000_NS6detail17trampoline_kernelINS0_14default_configENS1_22reduce_config_selectorIfEEZNS1_11reduce_implILb1ES3_N6thrust23THRUST_200600_302600_NS6detail15normal_iteratorINS8_10device_ptrIfEEEEPff9plus_mod3IfEEE10hipError_tPvRmT1_T2_T3_mT4_P12ihipStream_tbEUlT_E1_NS1_11comp_targetILNS1_3genE9ELNS1_11target_archE1100ELNS1_3gpuE3ELNS1_3repE0EEENS1_30default_config_static_selectorELNS0_4arch9wavefront6targetE1EEEvSK_.private_seg_size, 0
	.set _ZN7rocprim17ROCPRIM_400000_NS6detail17trampoline_kernelINS0_14default_configENS1_22reduce_config_selectorIfEEZNS1_11reduce_implILb1ES3_N6thrust23THRUST_200600_302600_NS6detail15normal_iteratorINS8_10device_ptrIfEEEEPff9plus_mod3IfEEE10hipError_tPvRmT1_T2_T3_mT4_P12ihipStream_tbEUlT_E1_NS1_11comp_targetILNS1_3genE9ELNS1_11target_archE1100ELNS1_3gpuE3ELNS1_3repE0EEENS1_30default_config_static_selectorELNS0_4arch9wavefront6targetE1EEEvSK_.uses_vcc, 0
	.set _ZN7rocprim17ROCPRIM_400000_NS6detail17trampoline_kernelINS0_14default_configENS1_22reduce_config_selectorIfEEZNS1_11reduce_implILb1ES3_N6thrust23THRUST_200600_302600_NS6detail15normal_iteratorINS8_10device_ptrIfEEEEPff9plus_mod3IfEEE10hipError_tPvRmT1_T2_T3_mT4_P12ihipStream_tbEUlT_E1_NS1_11comp_targetILNS1_3genE9ELNS1_11target_archE1100ELNS1_3gpuE3ELNS1_3repE0EEENS1_30default_config_static_selectorELNS0_4arch9wavefront6targetE1EEEvSK_.uses_flat_scratch, 0
	.set _ZN7rocprim17ROCPRIM_400000_NS6detail17trampoline_kernelINS0_14default_configENS1_22reduce_config_selectorIfEEZNS1_11reduce_implILb1ES3_N6thrust23THRUST_200600_302600_NS6detail15normal_iteratorINS8_10device_ptrIfEEEEPff9plus_mod3IfEEE10hipError_tPvRmT1_T2_T3_mT4_P12ihipStream_tbEUlT_E1_NS1_11comp_targetILNS1_3genE9ELNS1_11target_archE1100ELNS1_3gpuE3ELNS1_3repE0EEENS1_30default_config_static_selectorELNS0_4arch9wavefront6targetE1EEEvSK_.has_dyn_sized_stack, 0
	.set _ZN7rocprim17ROCPRIM_400000_NS6detail17trampoline_kernelINS0_14default_configENS1_22reduce_config_selectorIfEEZNS1_11reduce_implILb1ES3_N6thrust23THRUST_200600_302600_NS6detail15normal_iteratorINS8_10device_ptrIfEEEEPff9plus_mod3IfEEE10hipError_tPvRmT1_T2_T3_mT4_P12ihipStream_tbEUlT_E1_NS1_11comp_targetILNS1_3genE9ELNS1_11target_archE1100ELNS1_3gpuE3ELNS1_3repE0EEENS1_30default_config_static_selectorELNS0_4arch9wavefront6targetE1EEEvSK_.has_recursion, 0
	.set _ZN7rocprim17ROCPRIM_400000_NS6detail17trampoline_kernelINS0_14default_configENS1_22reduce_config_selectorIfEEZNS1_11reduce_implILb1ES3_N6thrust23THRUST_200600_302600_NS6detail15normal_iteratorINS8_10device_ptrIfEEEEPff9plus_mod3IfEEE10hipError_tPvRmT1_T2_T3_mT4_P12ihipStream_tbEUlT_E1_NS1_11comp_targetILNS1_3genE9ELNS1_11target_archE1100ELNS1_3gpuE3ELNS1_3repE0EEENS1_30default_config_static_selectorELNS0_4arch9wavefront6targetE1EEEvSK_.has_indirect_call, 0
	.section	.AMDGPU.csdata,"",@progbits
; Kernel info:
; codeLenInByte = 0
; TotalNumSgprs: 6
; NumVgprs: 0
; NumAgprs: 0
; TotalNumVgprs: 0
; ScratchSize: 0
; MemoryBound: 0
; FloatMode: 240
; IeeeMode: 1
; LDSByteSize: 0 bytes/workgroup (compile time only)
; SGPRBlocks: 0
; VGPRBlocks: 0
; NumSGPRsForWavesPerEU: 6
; NumVGPRsForWavesPerEU: 1
; AccumOffset: 4
; Occupancy: 8
; WaveLimiterHint : 0
; COMPUTE_PGM_RSRC2:SCRATCH_EN: 0
; COMPUTE_PGM_RSRC2:USER_SGPR: 2
; COMPUTE_PGM_RSRC2:TRAP_HANDLER: 0
; COMPUTE_PGM_RSRC2:TGID_X_EN: 1
; COMPUTE_PGM_RSRC2:TGID_Y_EN: 0
; COMPUTE_PGM_RSRC2:TGID_Z_EN: 0
; COMPUTE_PGM_RSRC2:TIDIG_COMP_CNT: 0
; COMPUTE_PGM_RSRC3_GFX90A:ACCUM_OFFSET: 0
; COMPUTE_PGM_RSRC3_GFX90A:TG_SPLIT: 0
	.section	.text._ZN7rocprim17ROCPRIM_400000_NS6detail17trampoline_kernelINS0_14default_configENS1_22reduce_config_selectorIfEEZNS1_11reduce_implILb1ES3_N6thrust23THRUST_200600_302600_NS6detail15normal_iteratorINS8_10device_ptrIfEEEEPff9plus_mod3IfEEE10hipError_tPvRmT1_T2_T3_mT4_P12ihipStream_tbEUlT_E1_NS1_11comp_targetILNS1_3genE8ELNS1_11target_archE1030ELNS1_3gpuE2ELNS1_3repE0EEENS1_30default_config_static_selectorELNS0_4arch9wavefront6targetE1EEEvSK_,"axG",@progbits,_ZN7rocprim17ROCPRIM_400000_NS6detail17trampoline_kernelINS0_14default_configENS1_22reduce_config_selectorIfEEZNS1_11reduce_implILb1ES3_N6thrust23THRUST_200600_302600_NS6detail15normal_iteratorINS8_10device_ptrIfEEEEPff9plus_mod3IfEEE10hipError_tPvRmT1_T2_T3_mT4_P12ihipStream_tbEUlT_E1_NS1_11comp_targetILNS1_3genE8ELNS1_11target_archE1030ELNS1_3gpuE2ELNS1_3repE0EEENS1_30default_config_static_selectorELNS0_4arch9wavefront6targetE1EEEvSK_,comdat
	.protected	_ZN7rocprim17ROCPRIM_400000_NS6detail17trampoline_kernelINS0_14default_configENS1_22reduce_config_selectorIfEEZNS1_11reduce_implILb1ES3_N6thrust23THRUST_200600_302600_NS6detail15normal_iteratorINS8_10device_ptrIfEEEEPff9plus_mod3IfEEE10hipError_tPvRmT1_T2_T3_mT4_P12ihipStream_tbEUlT_E1_NS1_11comp_targetILNS1_3genE8ELNS1_11target_archE1030ELNS1_3gpuE2ELNS1_3repE0EEENS1_30default_config_static_selectorELNS0_4arch9wavefront6targetE1EEEvSK_ ; -- Begin function _ZN7rocprim17ROCPRIM_400000_NS6detail17trampoline_kernelINS0_14default_configENS1_22reduce_config_selectorIfEEZNS1_11reduce_implILb1ES3_N6thrust23THRUST_200600_302600_NS6detail15normal_iteratorINS8_10device_ptrIfEEEEPff9plus_mod3IfEEE10hipError_tPvRmT1_T2_T3_mT4_P12ihipStream_tbEUlT_E1_NS1_11comp_targetILNS1_3genE8ELNS1_11target_archE1030ELNS1_3gpuE2ELNS1_3repE0EEENS1_30default_config_static_selectorELNS0_4arch9wavefront6targetE1EEEvSK_
	.globl	_ZN7rocprim17ROCPRIM_400000_NS6detail17trampoline_kernelINS0_14default_configENS1_22reduce_config_selectorIfEEZNS1_11reduce_implILb1ES3_N6thrust23THRUST_200600_302600_NS6detail15normal_iteratorINS8_10device_ptrIfEEEEPff9plus_mod3IfEEE10hipError_tPvRmT1_T2_T3_mT4_P12ihipStream_tbEUlT_E1_NS1_11comp_targetILNS1_3genE8ELNS1_11target_archE1030ELNS1_3gpuE2ELNS1_3repE0EEENS1_30default_config_static_selectorELNS0_4arch9wavefront6targetE1EEEvSK_
	.p2align	8
	.type	_ZN7rocprim17ROCPRIM_400000_NS6detail17trampoline_kernelINS0_14default_configENS1_22reduce_config_selectorIfEEZNS1_11reduce_implILb1ES3_N6thrust23THRUST_200600_302600_NS6detail15normal_iteratorINS8_10device_ptrIfEEEEPff9plus_mod3IfEEE10hipError_tPvRmT1_T2_T3_mT4_P12ihipStream_tbEUlT_E1_NS1_11comp_targetILNS1_3genE8ELNS1_11target_archE1030ELNS1_3gpuE2ELNS1_3repE0EEENS1_30default_config_static_selectorELNS0_4arch9wavefront6targetE1EEEvSK_,@function
_ZN7rocprim17ROCPRIM_400000_NS6detail17trampoline_kernelINS0_14default_configENS1_22reduce_config_selectorIfEEZNS1_11reduce_implILb1ES3_N6thrust23THRUST_200600_302600_NS6detail15normal_iteratorINS8_10device_ptrIfEEEEPff9plus_mod3IfEEE10hipError_tPvRmT1_T2_T3_mT4_P12ihipStream_tbEUlT_E1_NS1_11comp_targetILNS1_3genE8ELNS1_11target_archE1030ELNS1_3gpuE2ELNS1_3repE0EEENS1_30default_config_static_selectorELNS0_4arch9wavefront6targetE1EEEvSK_: ; @_ZN7rocprim17ROCPRIM_400000_NS6detail17trampoline_kernelINS0_14default_configENS1_22reduce_config_selectorIfEEZNS1_11reduce_implILb1ES3_N6thrust23THRUST_200600_302600_NS6detail15normal_iteratorINS8_10device_ptrIfEEEEPff9plus_mod3IfEEE10hipError_tPvRmT1_T2_T3_mT4_P12ihipStream_tbEUlT_E1_NS1_11comp_targetILNS1_3genE8ELNS1_11target_archE1030ELNS1_3gpuE2ELNS1_3repE0EEENS1_30default_config_static_selectorELNS0_4arch9wavefront6targetE1EEEvSK_
; %bb.0:
	.section	.rodata,"a",@progbits
	.p2align	6, 0x0
	.amdhsa_kernel _ZN7rocprim17ROCPRIM_400000_NS6detail17trampoline_kernelINS0_14default_configENS1_22reduce_config_selectorIfEEZNS1_11reduce_implILb1ES3_N6thrust23THRUST_200600_302600_NS6detail15normal_iteratorINS8_10device_ptrIfEEEEPff9plus_mod3IfEEE10hipError_tPvRmT1_T2_T3_mT4_P12ihipStream_tbEUlT_E1_NS1_11comp_targetILNS1_3genE8ELNS1_11target_archE1030ELNS1_3gpuE2ELNS1_3repE0EEENS1_30default_config_static_selectorELNS0_4arch9wavefront6targetE1EEEvSK_
		.amdhsa_group_segment_fixed_size 0
		.amdhsa_private_segment_fixed_size 0
		.amdhsa_kernarg_size 48
		.amdhsa_user_sgpr_count 2
		.amdhsa_user_sgpr_dispatch_ptr 0
		.amdhsa_user_sgpr_queue_ptr 0
		.amdhsa_user_sgpr_kernarg_segment_ptr 1
		.amdhsa_user_sgpr_dispatch_id 0
		.amdhsa_user_sgpr_kernarg_preload_length 0
		.amdhsa_user_sgpr_kernarg_preload_offset 0
		.amdhsa_user_sgpr_private_segment_size 0
		.amdhsa_uses_dynamic_stack 0
		.amdhsa_enable_private_segment 0
		.amdhsa_system_sgpr_workgroup_id_x 1
		.amdhsa_system_sgpr_workgroup_id_y 0
		.amdhsa_system_sgpr_workgroup_id_z 0
		.amdhsa_system_sgpr_workgroup_info 0
		.amdhsa_system_vgpr_workitem_id 0
		.amdhsa_next_free_vgpr 1
		.amdhsa_next_free_sgpr 0
		.amdhsa_accum_offset 4
		.amdhsa_reserve_vcc 0
		.amdhsa_float_round_mode_32 0
		.amdhsa_float_round_mode_16_64 0
		.amdhsa_float_denorm_mode_32 3
		.amdhsa_float_denorm_mode_16_64 3
		.amdhsa_dx10_clamp 1
		.amdhsa_ieee_mode 1
		.amdhsa_fp16_overflow 0
		.amdhsa_tg_split 0
		.amdhsa_exception_fp_ieee_invalid_op 0
		.amdhsa_exception_fp_denorm_src 0
		.amdhsa_exception_fp_ieee_div_zero 0
		.amdhsa_exception_fp_ieee_overflow 0
		.amdhsa_exception_fp_ieee_underflow 0
		.amdhsa_exception_fp_ieee_inexact 0
		.amdhsa_exception_int_div_zero 0
	.end_amdhsa_kernel
	.section	.text._ZN7rocprim17ROCPRIM_400000_NS6detail17trampoline_kernelINS0_14default_configENS1_22reduce_config_selectorIfEEZNS1_11reduce_implILb1ES3_N6thrust23THRUST_200600_302600_NS6detail15normal_iteratorINS8_10device_ptrIfEEEEPff9plus_mod3IfEEE10hipError_tPvRmT1_T2_T3_mT4_P12ihipStream_tbEUlT_E1_NS1_11comp_targetILNS1_3genE8ELNS1_11target_archE1030ELNS1_3gpuE2ELNS1_3repE0EEENS1_30default_config_static_selectorELNS0_4arch9wavefront6targetE1EEEvSK_,"axG",@progbits,_ZN7rocprim17ROCPRIM_400000_NS6detail17trampoline_kernelINS0_14default_configENS1_22reduce_config_selectorIfEEZNS1_11reduce_implILb1ES3_N6thrust23THRUST_200600_302600_NS6detail15normal_iteratorINS8_10device_ptrIfEEEEPff9plus_mod3IfEEE10hipError_tPvRmT1_T2_T3_mT4_P12ihipStream_tbEUlT_E1_NS1_11comp_targetILNS1_3genE8ELNS1_11target_archE1030ELNS1_3gpuE2ELNS1_3repE0EEENS1_30default_config_static_selectorELNS0_4arch9wavefront6targetE1EEEvSK_,comdat
.Lfunc_end766:
	.size	_ZN7rocprim17ROCPRIM_400000_NS6detail17trampoline_kernelINS0_14default_configENS1_22reduce_config_selectorIfEEZNS1_11reduce_implILb1ES3_N6thrust23THRUST_200600_302600_NS6detail15normal_iteratorINS8_10device_ptrIfEEEEPff9plus_mod3IfEEE10hipError_tPvRmT1_T2_T3_mT4_P12ihipStream_tbEUlT_E1_NS1_11comp_targetILNS1_3genE8ELNS1_11target_archE1030ELNS1_3gpuE2ELNS1_3repE0EEENS1_30default_config_static_selectorELNS0_4arch9wavefront6targetE1EEEvSK_, .Lfunc_end766-_ZN7rocprim17ROCPRIM_400000_NS6detail17trampoline_kernelINS0_14default_configENS1_22reduce_config_selectorIfEEZNS1_11reduce_implILb1ES3_N6thrust23THRUST_200600_302600_NS6detail15normal_iteratorINS8_10device_ptrIfEEEEPff9plus_mod3IfEEE10hipError_tPvRmT1_T2_T3_mT4_P12ihipStream_tbEUlT_E1_NS1_11comp_targetILNS1_3genE8ELNS1_11target_archE1030ELNS1_3gpuE2ELNS1_3repE0EEENS1_30default_config_static_selectorELNS0_4arch9wavefront6targetE1EEEvSK_
                                        ; -- End function
	.set _ZN7rocprim17ROCPRIM_400000_NS6detail17trampoline_kernelINS0_14default_configENS1_22reduce_config_selectorIfEEZNS1_11reduce_implILb1ES3_N6thrust23THRUST_200600_302600_NS6detail15normal_iteratorINS8_10device_ptrIfEEEEPff9plus_mod3IfEEE10hipError_tPvRmT1_T2_T3_mT4_P12ihipStream_tbEUlT_E1_NS1_11comp_targetILNS1_3genE8ELNS1_11target_archE1030ELNS1_3gpuE2ELNS1_3repE0EEENS1_30default_config_static_selectorELNS0_4arch9wavefront6targetE1EEEvSK_.num_vgpr, 0
	.set _ZN7rocprim17ROCPRIM_400000_NS6detail17trampoline_kernelINS0_14default_configENS1_22reduce_config_selectorIfEEZNS1_11reduce_implILb1ES3_N6thrust23THRUST_200600_302600_NS6detail15normal_iteratorINS8_10device_ptrIfEEEEPff9plus_mod3IfEEE10hipError_tPvRmT1_T2_T3_mT4_P12ihipStream_tbEUlT_E1_NS1_11comp_targetILNS1_3genE8ELNS1_11target_archE1030ELNS1_3gpuE2ELNS1_3repE0EEENS1_30default_config_static_selectorELNS0_4arch9wavefront6targetE1EEEvSK_.num_agpr, 0
	.set _ZN7rocprim17ROCPRIM_400000_NS6detail17trampoline_kernelINS0_14default_configENS1_22reduce_config_selectorIfEEZNS1_11reduce_implILb1ES3_N6thrust23THRUST_200600_302600_NS6detail15normal_iteratorINS8_10device_ptrIfEEEEPff9plus_mod3IfEEE10hipError_tPvRmT1_T2_T3_mT4_P12ihipStream_tbEUlT_E1_NS1_11comp_targetILNS1_3genE8ELNS1_11target_archE1030ELNS1_3gpuE2ELNS1_3repE0EEENS1_30default_config_static_selectorELNS0_4arch9wavefront6targetE1EEEvSK_.numbered_sgpr, 0
	.set _ZN7rocprim17ROCPRIM_400000_NS6detail17trampoline_kernelINS0_14default_configENS1_22reduce_config_selectorIfEEZNS1_11reduce_implILb1ES3_N6thrust23THRUST_200600_302600_NS6detail15normal_iteratorINS8_10device_ptrIfEEEEPff9plus_mod3IfEEE10hipError_tPvRmT1_T2_T3_mT4_P12ihipStream_tbEUlT_E1_NS1_11comp_targetILNS1_3genE8ELNS1_11target_archE1030ELNS1_3gpuE2ELNS1_3repE0EEENS1_30default_config_static_selectorELNS0_4arch9wavefront6targetE1EEEvSK_.num_named_barrier, 0
	.set _ZN7rocprim17ROCPRIM_400000_NS6detail17trampoline_kernelINS0_14default_configENS1_22reduce_config_selectorIfEEZNS1_11reduce_implILb1ES3_N6thrust23THRUST_200600_302600_NS6detail15normal_iteratorINS8_10device_ptrIfEEEEPff9plus_mod3IfEEE10hipError_tPvRmT1_T2_T3_mT4_P12ihipStream_tbEUlT_E1_NS1_11comp_targetILNS1_3genE8ELNS1_11target_archE1030ELNS1_3gpuE2ELNS1_3repE0EEENS1_30default_config_static_selectorELNS0_4arch9wavefront6targetE1EEEvSK_.private_seg_size, 0
	.set _ZN7rocprim17ROCPRIM_400000_NS6detail17trampoline_kernelINS0_14default_configENS1_22reduce_config_selectorIfEEZNS1_11reduce_implILb1ES3_N6thrust23THRUST_200600_302600_NS6detail15normal_iteratorINS8_10device_ptrIfEEEEPff9plus_mod3IfEEE10hipError_tPvRmT1_T2_T3_mT4_P12ihipStream_tbEUlT_E1_NS1_11comp_targetILNS1_3genE8ELNS1_11target_archE1030ELNS1_3gpuE2ELNS1_3repE0EEENS1_30default_config_static_selectorELNS0_4arch9wavefront6targetE1EEEvSK_.uses_vcc, 0
	.set _ZN7rocprim17ROCPRIM_400000_NS6detail17trampoline_kernelINS0_14default_configENS1_22reduce_config_selectorIfEEZNS1_11reduce_implILb1ES3_N6thrust23THRUST_200600_302600_NS6detail15normal_iteratorINS8_10device_ptrIfEEEEPff9plus_mod3IfEEE10hipError_tPvRmT1_T2_T3_mT4_P12ihipStream_tbEUlT_E1_NS1_11comp_targetILNS1_3genE8ELNS1_11target_archE1030ELNS1_3gpuE2ELNS1_3repE0EEENS1_30default_config_static_selectorELNS0_4arch9wavefront6targetE1EEEvSK_.uses_flat_scratch, 0
	.set _ZN7rocprim17ROCPRIM_400000_NS6detail17trampoline_kernelINS0_14default_configENS1_22reduce_config_selectorIfEEZNS1_11reduce_implILb1ES3_N6thrust23THRUST_200600_302600_NS6detail15normal_iteratorINS8_10device_ptrIfEEEEPff9plus_mod3IfEEE10hipError_tPvRmT1_T2_T3_mT4_P12ihipStream_tbEUlT_E1_NS1_11comp_targetILNS1_3genE8ELNS1_11target_archE1030ELNS1_3gpuE2ELNS1_3repE0EEENS1_30default_config_static_selectorELNS0_4arch9wavefront6targetE1EEEvSK_.has_dyn_sized_stack, 0
	.set _ZN7rocprim17ROCPRIM_400000_NS6detail17trampoline_kernelINS0_14default_configENS1_22reduce_config_selectorIfEEZNS1_11reduce_implILb1ES3_N6thrust23THRUST_200600_302600_NS6detail15normal_iteratorINS8_10device_ptrIfEEEEPff9plus_mod3IfEEE10hipError_tPvRmT1_T2_T3_mT4_P12ihipStream_tbEUlT_E1_NS1_11comp_targetILNS1_3genE8ELNS1_11target_archE1030ELNS1_3gpuE2ELNS1_3repE0EEENS1_30default_config_static_selectorELNS0_4arch9wavefront6targetE1EEEvSK_.has_recursion, 0
	.set _ZN7rocprim17ROCPRIM_400000_NS6detail17trampoline_kernelINS0_14default_configENS1_22reduce_config_selectorIfEEZNS1_11reduce_implILb1ES3_N6thrust23THRUST_200600_302600_NS6detail15normal_iteratorINS8_10device_ptrIfEEEEPff9plus_mod3IfEEE10hipError_tPvRmT1_T2_T3_mT4_P12ihipStream_tbEUlT_E1_NS1_11comp_targetILNS1_3genE8ELNS1_11target_archE1030ELNS1_3gpuE2ELNS1_3repE0EEENS1_30default_config_static_selectorELNS0_4arch9wavefront6targetE1EEEvSK_.has_indirect_call, 0
	.section	.AMDGPU.csdata,"",@progbits
; Kernel info:
; codeLenInByte = 0
; TotalNumSgprs: 6
; NumVgprs: 0
; NumAgprs: 0
; TotalNumVgprs: 0
; ScratchSize: 0
; MemoryBound: 0
; FloatMode: 240
; IeeeMode: 1
; LDSByteSize: 0 bytes/workgroup (compile time only)
; SGPRBlocks: 0
; VGPRBlocks: 0
; NumSGPRsForWavesPerEU: 6
; NumVGPRsForWavesPerEU: 1
; AccumOffset: 4
; Occupancy: 8
; WaveLimiterHint : 0
; COMPUTE_PGM_RSRC2:SCRATCH_EN: 0
; COMPUTE_PGM_RSRC2:USER_SGPR: 2
; COMPUTE_PGM_RSRC2:TRAP_HANDLER: 0
; COMPUTE_PGM_RSRC2:TGID_X_EN: 1
; COMPUTE_PGM_RSRC2:TGID_Y_EN: 0
; COMPUTE_PGM_RSRC2:TGID_Z_EN: 0
; COMPUTE_PGM_RSRC2:TIDIG_COMP_CNT: 0
; COMPUTE_PGM_RSRC3_GFX90A:ACCUM_OFFSET: 0
; COMPUTE_PGM_RSRC3_GFX90A:TG_SPLIT: 0
	.section	.text._ZN7rocprim17ROCPRIM_400000_NS6detail17trampoline_kernelINS0_14default_configENS1_22reduce_config_selectorIyEEZNS1_11reduce_implILb1ES3_PyS7_y9plus_mod3IyEEE10hipError_tPvRmT1_T2_T3_mT4_P12ihipStream_tbEUlT_E0_NS1_11comp_targetILNS1_3genE0ELNS1_11target_archE4294967295ELNS1_3gpuE0ELNS1_3repE0EEENS1_30default_config_static_selectorELNS0_4arch9wavefront6targetE1EEEvSD_,"axG",@progbits,_ZN7rocprim17ROCPRIM_400000_NS6detail17trampoline_kernelINS0_14default_configENS1_22reduce_config_selectorIyEEZNS1_11reduce_implILb1ES3_PyS7_y9plus_mod3IyEEE10hipError_tPvRmT1_T2_T3_mT4_P12ihipStream_tbEUlT_E0_NS1_11comp_targetILNS1_3genE0ELNS1_11target_archE4294967295ELNS1_3gpuE0ELNS1_3repE0EEENS1_30default_config_static_selectorELNS0_4arch9wavefront6targetE1EEEvSD_,comdat
	.protected	_ZN7rocprim17ROCPRIM_400000_NS6detail17trampoline_kernelINS0_14default_configENS1_22reduce_config_selectorIyEEZNS1_11reduce_implILb1ES3_PyS7_y9plus_mod3IyEEE10hipError_tPvRmT1_T2_T3_mT4_P12ihipStream_tbEUlT_E0_NS1_11comp_targetILNS1_3genE0ELNS1_11target_archE4294967295ELNS1_3gpuE0ELNS1_3repE0EEENS1_30default_config_static_selectorELNS0_4arch9wavefront6targetE1EEEvSD_ ; -- Begin function _ZN7rocprim17ROCPRIM_400000_NS6detail17trampoline_kernelINS0_14default_configENS1_22reduce_config_selectorIyEEZNS1_11reduce_implILb1ES3_PyS7_y9plus_mod3IyEEE10hipError_tPvRmT1_T2_T3_mT4_P12ihipStream_tbEUlT_E0_NS1_11comp_targetILNS1_3genE0ELNS1_11target_archE4294967295ELNS1_3gpuE0ELNS1_3repE0EEENS1_30default_config_static_selectorELNS0_4arch9wavefront6targetE1EEEvSD_
	.globl	_ZN7rocprim17ROCPRIM_400000_NS6detail17trampoline_kernelINS0_14default_configENS1_22reduce_config_selectorIyEEZNS1_11reduce_implILb1ES3_PyS7_y9plus_mod3IyEEE10hipError_tPvRmT1_T2_T3_mT4_P12ihipStream_tbEUlT_E0_NS1_11comp_targetILNS1_3genE0ELNS1_11target_archE4294967295ELNS1_3gpuE0ELNS1_3repE0EEENS1_30default_config_static_selectorELNS0_4arch9wavefront6targetE1EEEvSD_
	.p2align	8
	.type	_ZN7rocprim17ROCPRIM_400000_NS6detail17trampoline_kernelINS0_14default_configENS1_22reduce_config_selectorIyEEZNS1_11reduce_implILb1ES3_PyS7_y9plus_mod3IyEEE10hipError_tPvRmT1_T2_T3_mT4_P12ihipStream_tbEUlT_E0_NS1_11comp_targetILNS1_3genE0ELNS1_11target_archE4294967295ELNS1_3gpuE0ELNS1_3repE0EEENS1_30default_config_static_selectorELNS0_4arch9wavefront6targetE1EEEvSD_,@function
_ZN7rocprim17ROCPRIM_400000_NS6detail17trampoline_kernelINS0_14default_configENS1_22reduce_config_selectorIyEEZNS1_11reduce_implILb1ES3_PyS7_y9plus_mod3IyEEE10hipError_tPvRmT1_T2_T3_mT4_P12ihipStream_tbEUlT_E0_NS1_11comp_targetILNS1_3genE0ELNS1_11target_archE4294967295ELNS1_3gpuE0ELNS1_3repE0EEENS1_30default_config_static_selectorELNS0_4arch9wavefront6targetE1EEEvSD_: ; @_ZN7rocprim17ROCPRIM_400000_NS6detail17trampoline_kernelINS0_14default_configENS1_22reduce_config_selectorIyEEZNS1_11reduce_implILb1ES3_PyS7_y9plus_mod3IyEEE10hipError_tPvRmT1_T2_T3_mT4_P12ihipStream_tbEUlT_E0_NS1_11comp_targetILNS1_3genE0ELNS1_11target_archE4294967295ELNS1_3gpuE0ELNS1_3repE0EEENS1_30default_config_static_selectorELNS0_4arch9wavefront6targetE1EEEvSD_
; %bb.0:
	s_load_dwordx16 s[36:51], s[0:1], 0x0
	s_mov_b32 s1, 0
	s_mov_b32 s3, s1
	v_lshlrev_b32_e32 v34, 3, v0
	v_mbcnt_lo_u32_b32 v1, -1, 0
	s_waitcnt lgkmcnt(0)
	s_lshl_b64 s[4:5], s[38:39], 3
	s_add_u32 s8, s36, s4
	s_addc_u32 s9, s37, s5
	s_lshl_b32 s0, s2, 12
	s_lshr_b64 s[4:5], s[40:41], 12
	s_lshl_b64 s[6:7], s[0:1], 3
	s_add_u32 s34, s8, s6
	s_addc_u32 s35, s9, s7
	s_cmp_lg_u64 s[4:5], s[2:3]
	s_cbranch_scc0 .LBB767_6
; %bb.1:
	global_load_dword v5, v34, s[34:35]
	global_load_dword v8, v34, s[34:35] offset:2048
	v_mov_b32_e32 v35, 0
	v_lshl_add_u64 v[2:3], s[34:35], 0, v[34:35]
	v_mov_b32_e32 v4, v35
	v_add_co_u32_e32 v6, vcc, 0x1000, v2
	s_waitcnt vmcnt(0)
	v_add_u32_e32 v5, v8, v5
	v_ashrrev_i64 v[4:5], 29, v[4:5]
	v_addc_co_u32_e32 v7, vcc, 0, v3, vcc
	v_lshl_add_u64 v[4:5], s[50:51], 0, v[4:5]
	global_load_dword v14, v[6:7], off
	v_add_co_u32_e32 v8, vcc, 0x2000, v2
	global_load_dword v5, v[4:5], off
	s_nop 0
	v_addc_co_u32_e32 v9, vcc, 0, v3, vcc
	v_mov_b32_e32 v4, v35
	v_add_co_u32_e32 v10, vcc, 0x3000, v2
	s_waitcnt vmcnt(0)
	v_add_u32_e32 v5, v5, v14
	v_addc_co_u32_e32 v11, vcc, 0, v3, vcc
	v_ashrrev_i64 v[4:5], 29, v[4:5]
	v_add_co_u32_e32 v12, vcc, 0x4000, v2
	v_lshl_add_u64 v[4:5], s[50:51], 0, v[4:5]
	s_nop 0
	v_addc_co_u32_e32 v13, vcc, 0, v3, vcc
	global_load_dword v15, v[6:7], off offset:2048
	global_load_dword v16, v[8:9], off
	global_load_dword v17, v[8:9], off offset:2048
	global_load_dword v18, v[10:11], off
	;; [unrolled: 2-line block ×3, first 2 shown]
	global_load_dword v21, v[12:13], off offset:2048
	v_add_co_u32_e32 v6, vcc, 0x5000, v2
	global_load_dword v5, v[4:5], off
	v_mov_b32_e32 v4, v35
	v_addc_co_u32_e32 v7, vcc, 0, v3, vcc
	global_load_dword v10, v[6:7], off
	v_add_co_u32_e32 v8, vcc, 0x6000, v2
	s_waitcnt vmcnt(1)
	v_add_u32_e32 v5, v5, v15
	v_ashrrev_i64 v[4:5], 29, v[4:5]
	v_lshl_add_u64 v[4:5], s[50:51], 0, v[4:5]
	global_load_dword v5, v[4:5], off
	v_mov_b32_e32 v4, v35
	v_addc_co_u32_e32 v9, vcc, 0, v3, vcc
	v_add_co_u32_e32 v2, vcc, 0x7000, v2
	s_waitcnt vmcnt(0)
	v_add_u32_e32 v5, v5, v16
	v_ashrrev_i64 v[4:5], 29, v[4:5]
	v_lshl_add_u64 v[4:5], s[50:51], 0, v[4:5]
	global_load_dword v5, v[4:5], off
	v_mov_b32_e32 v4, v35
	v_addc_co_u32_e32 v3, vcc, 0, v3, vcc
	s_waitcnt vmcnt(0)
	v_add_u32_e32 v5, v5, v17
	v_ashrrev_i64 v[4:5], 29, v[4:5]
	v_lshl_add_u64 v[4:5], s[50:51], 0, v[4:5]
	global_load_dword v5, v[4:5], off
	v_mov_b32_e32 v4, v35
	s_waitcnt vmcnt(0)
	v_add_u32_e32 v5, v5, v18
	v_ashrrev_i64 v[4:5], 29, v[4:5]
	v_lshl_add_u64 v[4:5], s[50:51], 0, v[4:5]
	global_load_dword v5, v[4:5], off
	v_mov_b32_e32 v4, v35
	;; [unrolled: 6-line block ×5, first 2 shown]
	global_load_dword v11, v[6:7], off offset:2048
	global_load_dword v12, v[8:9], off
	global_load_dword v13, v[8:9], off offset:2048
	global_load_dword v14, v[2:3], off
	global_load_dword v15, v[2:3], off offset:2048
	v_mbcnt_hi_u32_b32 v6, -1, v1
	v_cmp_eq_u32_e32 vcc, 0, v6
	s_waitcnt vmcnt(5)
	v_add_u32_e32 v5, v5, v10
	v_ashrrev_i64 v[2:3], 29, v[4:5]
	v_lshl_add_u64 v[2:3], s[50:51], 0, v[2:3]
	global_load_dword v3, v[2:3], off
	v_mov_b32_e32 v2, v35
	v_lshlrev_b32_e32 v5, 2, v6
	v_or_b32_e32 v4, 0xfc, v5
	s_waitcnt vmcnt(0)
	v_add_u32_e32 v3, v3, v11
	v_ashrrev_i64 v[2:3], 29, v[2:3]
	v_lshl_add_u64 v[2:3], s[50:51], 0, v[2:3]
	global_load_dword v3, v[2:3], off
	v_mov_b32_e32 v2, v35
	s_waitcnt vmcnt(0)
	v_add_u32_e32 v3, v3, v12
	v_ashrrev_i64 v[2:3], 29, v[2:3]
	v_lshl_add_u64 v[2:3], s[50:51], 0, v[2:3]
	global_load_dword v3, v[2:3], off
	v_mov_b32_e32 v2, v35
	;; [unrolled: 6-line block ×5, first 2 shown]
	s_waitcnt vmcnt(0)
	v_add_u32_dpp v3, v3, v3 quad_perm:[1,0,3,2] row_mask:0xf bank_mask:0xf bound_ctrl:1
	v_ashrrev_i64 v[2:3], 29, v[2:3]
	v_lshl_add_u64 v[2:3], s[50:51], 0, v[2:3]
	global_load_dword v3, v[2:3], off
	v_mov_b32_e32 v2, v35
	s_waitcnt vmcnt(0)
	v_add_u32_dpp v3, v3, v3 quad_perm:[2,3,0,1] row_mask:0xf bank_mask:0xf bound_ctrl:1
	v_ashrrev_i64 v[2:3], 29, v[2:3]
	v_lshl_add_u64 v[2:3], s[50:51], 0, v[2:3]
	global_load_dword v3, v[2:3], off
	v_mov_b32_e32 v2, v35
	s_waitcnt vmcnt(0)
	v_add_u32_dpp v3, v3, v3 row_ror:4 row_mask:0xf bank_mask:0xf bound_ctrl:1
	v_ashrrev_i64 v[2:3], 29, v[2:3]
	v_lshl_add_u64 v[2:3], s[50:51], 0, v[2:3]
	global_load_dword v3, v[2:3], off
	v_mov_b32_e32 v2, v35
	s_waitcnt vmcnt(0)
	v_add_u32_dpp v3, v3, v3 row_ror:8 row_mask:0xf bank_mask:0xf bound_ctrl:1
	v_ashrrev_i64 v[2:3], 29, v[2:3]
	v_lshl_add_u64 v[2:3], s[50:51], 0, v[2:3]
	global_load_dword v3, v[2:3], off
	v_mov_b32_e32 v2, v35
	s_waitcnt vmcnt(0)
	v_add_u32_dpp v3, v3, v3 row_bcast:15 row_mask:0xf bank_mask:0xf bound_ctrl:1
	v_ashrrev_i64 v[2:3], 29, v[2:3]
	v_lshl_add_u64 v[2:3], s[50:51], 0, v[2:3]
	global_load_dword v3, v[2:3], off
	v_mov_b32_e32 v2, v35
	s_waitcnt vmcnt(0)
	v_add_u32_dpp v3, v3, v3 row_bcast:31 row_mask:0xf bank_mask:0xf bound_ctrl:1
	v_ashrrev_i64 v[2:3], 29, v[2:3]
	v_lshl_add_u64 v[2:3], s[50:51], 0, v[2:3]
	global_load_dwordx2 v[2:3], v[2:3], off
	s_waitcnt vmcnt(0)
	ds_bpermute_b32 v2, v4, v2
	ds_bpermute_b32 v3, v4, v3
	s_and_saveexec_b64 s[4:5], vcc
	s_cbranch_execz .LBB767_3
; %bb.2:
	v_lshrrev_b32_e32 v4, 3, v0
	v_and_b32_e32 v4, 24, v4
	s_waitcnt lgkmcnt(0)
	ds_write_b64 v4, v[2:3] offset:32
.LBB767_3:
	s_or_b64 exec, exec, s[4:5]
	v_cmp_gt_u32_e32 vcc, 64, v0
	s_mov_b64 s[4:5], 0
	s_mov_b64 s[30:31], 0
	s_waitcnt lgkmcnt(0)
	s_barrier
                                        ; implicit-def: $vgpr4
	s_and_saveexec_b64 s[6:7], vcc
	s_xor_b64 s[6:7], exec, s[6:7]
	s_cbranch_execz .LBB767_5
; %bb.4:
	v_and_b32_e32 v2, 3, v6
	v_lshlrev_b32_e32 v3, 3, v2
	ds_read_b32 v3, v3 offset:32
	v_cmp_ne_u32_e32 vcc, 3, v2
	v_or_b32_e32 v4, 8, v5
	s_mov_b64 s[30:31], exec
	v_addc_co_u32_e32 v2, vcc, 0, v6, vcc
	v_lshlrev_b32_e32 v2, 2, v2
	s_waitcnt lgkmcnt(0)
	ds_bpermute_b32 v2, v2, v3
	s_waitcnt lgkmcnt(0)
	v_add_u32_e32 v3, v3, v2
	v_mov_b32_e32 v2, 0
	v_ashrrev_i64 v[2:3], 29, v[2:3]
	v_lshl_add_u64 v[2:3], s[50:51], 0, v[2:3]
	global_load_dwordx2 v[2:3], v[2:3], off
	s_waitcnt vmcnt(0)
	ds_bpermute_b32 v4, v4, v2
.LBB767_5:
	s_or_b64 exec, exec, s[6:7]
	s_and_b64 vcc, exec, s[4:5]
	s_cbranch_vccnz .LBB767_7
	s_branch .LBB767_73
.LBB767_6:
	s_mov_b64 s[30:31], 0
                                        ; implicit-def: $vgpr4
                                        ; implicit-def: $vgpr2_vgpr3
	s_cbranch_execz .LBB767_73
.LBB767_7:
	s_sub_i32 s33, s40, s0
	v_mov_b32_e32 v2, 0
	v_cmp_gt_u32_e32 vcc, s33, v0
	v_mov_b32_e32 v3, v2
	s_waitcnt lgkmcnt(0)
	v_mov_b32_e32 v4, v2
	v_mov_b32_e32 v6, v2
	;; [unrolled: 1-line block ×15, first 2 shown]
	s_and_saveexec_b64 s[0:1], vcc
	s_cbranch_execz .LBB767_9
; %bb.8:
	global_load_dwordx2 v[36:37], v34, s[34:35]
	v_mov_b32_e32 v38, v2
	v_mov_b32_e32 v40, v2
	;; [unrolled: 1-line block ×15, first 2 shown]
	s_waitcnt vmcnt(0)
	v_mov_b64_e32 v[2:3], v[36:37]
	v_mov_b64_e32 v[4:5], v[38:39]
	;; [unrolled: 1-line block ×16, first 2 shown]
.LBB767_9:
	s_or_b64 exec, exec, s[0:1]
	v_or_b32_e32 v5, 0x100, v0
	v_cmp_gt_u32_e32 vcc, s33, v5
	s_and_saveexec_b64 s[0:1], vcc
	s_cbranch_execz .LBB767_11
; %bb.10:
	global_load_dwordx2 v[4:5], v34, s[34:35] offset:2048
.LBB767_11:
	s_or_b64 exec, exec, s[0:1]
	s_waitcnt vmcnt(0)
	v_or_b32_e32 v5, 0x200, v0
	v_cmp_gt_u32_e64 s[0:1], s33, v5
	s_and_saveexec_b64 s[4:5], s[0:1]
	s_cbranch_execz .LBB767_13
; %bb.12:
	v_lshlrev_b32_e32 v5, 3, v5
	global_load_dwordx2 v[6:7], v5, s[34:35]
.LBB767_13:
	s_or_b64 exec, exec, s[4:5]
	v_or_b32_e32 v5, 0x300, v0
	v_cmp_gt_u32_e64 s[4:5], s33, v5
	s_and_saveexec_b64 s[6:7], s[4:5]
	s_cbranch_execz .LBB767_15
; %bb.14:
	v_lshlrev_b32_e32 v5, 3, v5
	global_load_dwordx2 v[8:9], v5, s[34:35]
.LBB767_15:
	s_or_b64 exec, exec, s[6:7]
	;; [unrolled: 9-line block ×13, first 2 shown]
	v_or_b32_e32 v5, 0xf00, v0
	v_cmp_gt_u32_e64 s[28:29], s33, v5
	s_and_saveexec_b64 s[36:37], s[28:29]
	s_cbranch_execnz .LBB767_78
; %bb.38:
	s_or_b64 exec, exec, s[36:37]
	s_and_saveexec_b64 s[34:35], vcc
	s_cbranch_execnz .LBB767_79
.LBB767_39:
	s_or_b64 exec, exec, s[34:35]
	s_and_saveexec_b64 s[34:35], s[0:1]
	s_cbranch_execnz .LBB767_80
.LBB767_40:
	s_or_b64 exec, exec, s[34:35]
	s_and_saveexec_b64 s[0:1], s[4:5]
	s_cbranch_execnz .LBB767_81
.LBB767_41:
	s_or_b64 exec, exec, s[0:1]
	s_and_saveexec_b64 s[0:1], s[6:7]
	s_cbranch_execnz .LBB767_82
.LBB767_42:
	s_or_b64 exec, exec, s[0:1]
	s_and_saveexec_b64 s[0:1], s[8:9]
	s_cbranch_execnz .LBB767_83
.LBB767_43:
	s_or_b64 exec, exec, s[0:1]
	s_and_saveexec_b64 s[0:1], s[10:11]
	s_cbranch_execnz .LBB767_84
.LBB767_44:
	s_or_b64 exec, exec, s[0:1]
	s_and_saveexec_b64 s[0:1], s[12:13]
	s_cbranch_execnz .LBB767_85
.LBB767_45:
	s_or_b64 exec, exec, s[0:1]
	s_and_saveexec_b64 s[0:1], s[14:15]
	s_cbranch_execnz .LBB767_86
.LBB767_46:
	s_or_b64 exec, exec, s[0:1]
	s_and_saveexec_b64 s[0:1], s[16:17]
	s_cbranch_execnz .LBB767_87
.LBB767_47:
	s_or_b64 exec, exec, s[0:1]
	s_and_saveexec_b64 s[0:1], s[18:19]
	s_cbranch_execnz .LBB767_88
.LBB767_48:
	s_or_b64 exec, exec, s[0:1]
	s_and_saveexec_b64 s[0:1], s[20:21]
	s_cbranch_execnz .LBB767_89
.LBB767_49:
	s_or_b64 exec, exec, s[0:1]
	s_and_saveexec_b64 s[0:1], s[22:23]
	s_cbranch_execnz .LBB767_90
.LBB767_50:
	s_or_b64 exec, exec, s[0:1]
	s_and_saveexec_b64 s[0:1], s[24:25]
	s_cbranch_execnz .LBB767_91
.LBB767_51:
	s_or_b64 exec, exec, s[0:1]
	s_and_saveexec_b64 s[0:1], s[26:27]
	s_cbranch_execnz .LBB767_92
.LBB767_52:
	s_or_b64 exec, exec, s[0:1]
	s_and_saveexec_b64 s[0:1], s[28:29]
	s_cbranch_execz .LBB767_54
.LBB767_53:
	s_waitcnt vmcnt(0)
	v_add_u32_e32 v3, v2, v32
	v_mov_b32_e32 v2, 0
	v_ashrrev_i64 v[2:3], 29, v[2:3]
	v_lshl_add_u64 v[2:3], s[50:51], 0, v[2:3]
	global_load_dwordx2 v[2:3], v[2:3], off
.LBB767_54:
	s_or_b64 exec, exec, s[0:1]
	v_mbcnt_hi_u32_b32 v1, -1, v1
	v_and_b32_e32 v4, 63, v1
	v_cmp_ne_u32_e32 vcc, 63, v4
	s_min_u32 s4, s33, 0x100
	s_waitcnt vmcnt(0)
	v_add_u32_e32 v7, 1, v4
	v_addc_co_u32_e32 v5, vcc, 0, v1, vcc
	v_lshlrev_b32_e32 v5, 2, v5
	ds_bpermute_b32 v6, v5, v2
	v_and_b32_e32 v5, 0xc0, v0
	v_sub_u32_e64 v5, s4, v5 clamp
	v_cmp_lt_u32_e32 vcc, v7, v5
	s_and_saveexec_b64 s[0:1], vcc
	s_xor_b64 s[0:1], exec, s[0:1]
	s_cbranch_execz .LBB767_56
; %bb.55:
	s_waitcnt lgkmcnt(0)
	v_add_u32_e32 v3, v2, v6
	v_mov_b32_e32 v2, 0
	v_ashrrev_i64 v[2:3], 29, v[2:3]
	v_lshl_add_u64 v[2:3], s[50:51], 0, v[2:3]
	global_load_dwordx2 v[2:3], v[2:3], off
.LBB767_56:
	s_or_b64 exec, exec, s[0:1]
	v_cmp_gt_u32_e32 vcc, 62, v4
	v_add_u32_e32 v7, 2, v4
	s_waitcnt lgkmcnt(0)
	v_cndmask_b32_e64 v6, 0, 2, vcc
	v_add_lshl_u32 v6, v6, v1, 2
	s_waitcnt vmcnt(0)
	ds_bpermute_b32 v6, v6, v2
	v_cmp_lt_u32_e32 vcc, v7, v5
	s_and_saveexec_b64 s[0:1], vcc
	s_cbranch_execz .LBB767_58
; %bb.57:
	s_waitcnt lgkmcnt(0)
	v_add_u32_e32 v3, v2, v6
	v_mov_b32_e32 v2, 0
	v_ashrrev_i64 v[2:3], 29, v[2:3]
	v_lshl_add_u64 v[2:3], s[50:51], 0, v[2:3]
	global_load_dwordx2 v[2:3], v[2:3], off
.LBB767_58:
	s_or_b64 exec, exec, s[0:1]
	v_cmp_gt_u32_e32 vcc, 60, v4
	v_add_u32_e32 v7, 4, v4
	s_waitcnt lgkmcnt(0)
	v_cndmask_b32_e64 v6, 0, 4, vcc
	v_add_lshl_u32 v6, v6, v1, 2
	s_waitcnt vmcnt(0)
	ds_bpermute_b32 v6, v6, v2
	v_cmp_lt_u32_e32 vcc, v7, v5
	s_and_saveexec_b64 s[0:1], vcc
	;; [unrolled: 19-line block ×4, first 2 shown]
	s_cbranch_execz .LBB767_64
; %bb.63:
	s_waitcnt lgkmcnt(0)
	v_add_u32_e32 v3, v2, v6
	v_mov_b32_e32 v2, 0
	v_ashrrev_i64 v[2:3], 29, v[2:3]
	v_lshl_add_u64 v[2:3], s[50:51], 0, v[2:3]
	global_load_dwordx2 v[2:3], v[2:3], off
.LBB767_64:
	s_or_b64 exec, exec, s[0:1]
	s_waitcnt lgkmcnt(0)
	v_lshlrev_b32_e32 v6, 2, v1
	v_or_b32_e32 v7, 0x80, v6
	s_waitcnt vmcnt(0)
	ds_bpermute_b32 v7, v7, v2
	v_add_u32_e32 v4, 32, v4
	v_cmp_lt_u32_e32 vcc, v4, v5
	s_and_saveexec_b64 s[0:1], vcc
	s_cbranch_execz .LBB767_66
; %bb.65:
	s_waitcnt lgkmcnt(0)
	v_add_u32_e32 v3, v2, v7
	v_mov_b32_e32 v2, 0
	v_ashrrev_i64 v[2:3], 29, v[2:3]
	v_lshl_add_u64 v[2:3], s[50:51], 0, v[2:3]
	global_load_dwordx2 v[2:3], v[2:3], off
.LBB767_66:
	s_or_b64 exec, exec, s[0:1]
	v_cmp_eq_u32_e32 vcc, 0, v1
	s_and_saveexec_b64 s[0:1], vcc
	s_cbranch_execz .LBB767_68
; %bb.67:
	v_lshrrev_b32_e32 v4, 3, v0
	v_and_b32_e32 v4, 24, v4
	s_waitcnt vmcnt(0)
	ds_write_b64 v4, v[2:3]
.LBB767_68:
	s_or_b64 exec, exec, s[0:1]
	v_cmp_gt_u32_e32 vcc, 4, v0
	s_waitcnt lgkmcnt(0)
	s_barrier
                                        ; implicit-def: $vgpr4
	s_and_saveexec_b64 s[0:1], vcc
	s_cbranch_execz .LBB767_72
; %bb.69:
	s_waitcnt vmcnt(0)
	v_lshlrev_b32_e32 v2, 3, v1
	ds_read_b64 v[2:3], v2
	v_and_b32_e32 v4, 3, v1
	v_cmp_ne_u32_e32 vcc, 3, v4
	s_add_i32 s4, s4, 63
	s_lshr_b32 s6, s4, 6
	v_addc_co_u32_e32 v1, vcc, 0, v1, vcc
	v_lshlrev_b32_e32 v1, 2, v1
	s_waitcnt lgkmcnt(0)
	ds_bpermute_b32 v1, v1, v2
	v_add_u32_e32 v5, 1, v4
	v_cmp_gt_u32_e32 vcc, s6, v5
	s_and_saveexec_b64 s[4:5], vcc
	s_cbranch_execz .LBB767_71
; %bb.70:
	s_waitcnt lgkmcnt(0)
	v_add_u32_e32 v3, v2, v1
	v_mov_b32_e32 v2, 0
	v_ashrrev_i64 v[2:3], 29, v[2:3]
	v_lshl_add_u64 v[2:3], s[50:51], 0, v[2:3]
	global_load_dwordx2 v[2:3], v[2:3], off
.LBB767_71:
	s_or_b64 exec, exec, s[4:5]
	s_waitcnt lgkmcnt(0)
	v_add_u32_e32 v1, 2, v4
	v_or_b32_e32 v4, 8, v6
	s_waitcnt vmcnt(0)
	ds_bpermute_b32 v4, v4, v2
	v_cmp_gt_u32_e32 vcc, s6, v1
	s_andn2_b64 s[4:5], s[30:31], exec
	s_and_b64 s[6:7], vcc, exec
	s_or_b64 s[30:31], s[4:5], s[6:7]
.LBB767_72:
	s_or_b64 exec, exec, s[0:1]
.LBB767_73:
	s_and_saveexec_b64 s[0:1], s[30:31]
	s_cbranch_execnz .LBB767_76
; %bb.74:
	s_or_b64 exec, exec, s[0:1]
	v_cmp_eq_u32_e32 vcc, 0, v0
	s_and_saveexec_b64 s[0:1], vcc
	s_cbranch_execnz .LBB767_77
.LBB767_75:
	s_endpgm
.LBB767_76:
	s_waitcnt vmcnt(0) lgkmcnt(0)
	v_add_u32_e32 v3, v2, v4
	v_mov_b32_e32 v2, 0
	v_ashrrev_i64 v[2:3], 29, v[2:3]
	v_lshl_add_u64 v[2:3], s[50:51], 0, v[2:3]
	global_load_dwordx2 v[2:3], v[2:3], off
	s_or_b64 exec, exec, s[0:1]
	v_cmp_eq_u32_e32 vcc, 0, v0
	s_and_saveexec_b64 s[0:1], vcc
	s_cbranch_execz .LBB767_75
.LBB767_77:
	s_mul_i32 s0, s46, s45
	s_mul_hi_u32 s1, s46, s44
	s_add_i32 s0, s1, s0
	s_mul_i32 s1, s47, s44
	s_add_i32 s1, s0, s1
	s_mul_i32 s0, s46, s44
	s_lshl_b64 s[0:1], s[0:1], 3
	s_add_u32 s4, s42, s0
	s_addc_u32 s5, s43, s1
	s_cmp_eq_u64 s[40:41], 0
	v_mov_b32_e32 v0, s49
	s_cselect_b64 vcc, -1, 0
	s_lshl_b64 s[0:1], s[2:3], 3
	s_waitcnt vmcnt(0)
	v_cndmask_b32_e32 v1, v3, v0, vcc
	v_mov_b32_e32 v0, s48
	s_add_u32 s0, s4, s0
	v_cndmask_b32_e32 v0, v2, v0, vcc
	s_addc_u32 s1, s5, s1
	v_mov_b32_e32 v2, 0
	global_store_dwordx2 v2, v[0:1], s[0:1]
	s_endpgm
.LBB767_78:
	v_lshlrev_b32_e32 v5, 3, v5
	global_load_dwordx2 v[32:33], v5, s[34:35]
	s_or_b64 exec, exec, s[36:37]
	s_and_saveexec_b64 s[34:35], vcc
	s_cbranch_execz .LBB767_39
.LBB767_79:
	v_add_u32_e32 v3, v4, v2
	v_mov_b32_e32 v2, 0
	v_ashrrev_i64 v[2:3], 29, v[2:3]
	v_lshl_add_u64 v[2:3], s[50:51], 0, v[2:3]
	global_load_dwordx2 v[2:3], v[2:3], off
	s_or_b64 exec, exec, s[34:35]
	s_and_saveexec_b64 s[34:35], s[0:1]
	s_cbranch_execz .LBB767_40
.LBB767_80:
	s_waitcnt vmcnt(0)
	v_add_u32_e32 v3, v2, v6
	v_mov_b32_e32 v2, 0
	v_ashrrev_i64 v[2:3], 29, v[2:3]
	v_lshl_add_u64 v[2:3], s[50:51], 0, v[2:3]
	global_load_dwordx2 v[2:3], v[2:3], off
	s_or_b64 exec, exec, s[34:35]
	s_and_saveexec_b64 s[0:1], s[4:5]
	s_cbranch_execz .LBB767_41
.LBB767_81:
	s_waitcnt vmcnt(0)
	v_add_u32_e32 v3, v2, v8
	v_mov_b32_e32 v2, 0
	v_ashrrev_i64 v[2:3], 29, v[2:3]
	v_lshl_add_u64 v[2:3], s[50:51], 0, v[2:3]
	global_load_dwordx2 v[2:3], v[2:3], off
	s_or_b64 exec, exec, s[0:1]
	s_and_saveexec_b64 s[0:1], s[6:7]
	s_cbranch_execz .LBB767_42
.LBB767_82:
	s_waitcnt vmcnt(0)
	v_add_u32_e32 v3, v2, v10
	v_mov_b32_e32 v2, 0
	v_ashrrev_i64 v[2:3], 29, v[2:3]
	v_lshl_add_u64 v[2:3], s[50:51], 0, v[2:3]
	global_load_dwordx2 v[2:3], v[2:3], off
	s_or_b64 exec, exec, s[0:1]
	s_and_saveexec_b64 s[0:1], s[8:9]
	s_cbranch_execz .LBB767_43
.LBB767_83:
	s_waitcnt vmcnt(0)
	v_add_u32_e32 v3, v2, v12
	v_mov_b32_e32 v2, 0
	v_ashrrev_i64 v[2:3], 29, v[2:3]
	v_lshl_add_u64 v[2:3], s[50:51], 0, v[2:3]
	global_load_dwordx2 v[2:3], v[2:3], off
	s_or_b64 exec, exec, s[0:1]
	s_and_saveexec_b64 s[0:1], s[10:11]
	s_cbranch_execz .LBB767_44
.LBB767_84:
	s_waitcnt vmcnt(0)
	v_add_u32_e32 v3, v2, v14
	v_mov_b32_e32 v2, 0
	v_ashrrev_i64 v[2:3], 29, v[2:3]
	v_lshl_add_u64 v[2:3], s[50:51], 0, v[2:3]
	global_load_dwordx2 v[2:3], v[2:3], off
	s_or_b64 exec, exec, s[0:1]
	s_and_saveexec_b64 s[0:1], s[12:13]
	s_cbranch_execz .LBB767_45
.LBB767_85:
	s_waitcnt vmcnt(0)
	v_add_u32_e32 v3, v2, v16
	v_mov_b32_e32 v2, 0
	v_ashrrev_i64 v[2:3], 29, v[2:3]
	v_lshl_add_u64 v[2:3], s[50:51], 0, v[2:3]
	global_load_dwordx2 v[2:3], v[2:3], off
	s_or_b64 exec, exec, s[0:1]
	s_and_saveexec_b64 s[0:1], s[14:15]
	s_cbranch_execz .LBB767_46
.LBB767_86:
	s_waitcnt vmcnt(0)
	v_add_u32_e32 v3, v2, v18
	v_mov_b32_e32 v2, 0
	v_ashrrev_i64 v[2:3], 29, v[2:3]
	v_lshl_add_u64 v[2:3], s[50:51], 0, v[2:3]
	global_load_dwordx2 v[2:3], v[2:3], off
	s_or_b64 exec, exec, s[0:1]
	s_and_saveexec_b64 s[0:1], s[16:17]
	s_cbranch_execz .LBB767_47
.LBB767_87:
	s_waitcnt vmcnt(0)
	v_add_u32_e32 v3, v2, v20
	v_mov_b32_e32 v2, 0
	v_ashrrev_i64 v[2:3], 29, v[2:3]
	v_lshl_add_u64 v[2:3], s[50:51], 0, v[2:3]
	global_load_dwordx2 v[2:3], v[2:3], off
	s_or_b64 exec, exec, s[0:1]
	s_and_saveexec_b64 s[0:1], s[18:19]
	s_cbranch_execz .LBB767_48
.LBB767_88:
	s_waitcnt vmcnt(0)
	v_add_u32_e32 v3, v2, v22
	v_mov_b32_e32 v2, 0
	v_ashrrev_i64 v[2:3], 29, v[2:3]
	v_lshl_add_u64 v[2:3], s[50:51], 0, v[2:3]
	global_load_dwordx2 v[2:3], v[2:3], off
	s_or_b64 exec, exec, s[0:1]
	s_and_saveexec_b64 s[0:1], s[20:21]
	s_cbranch_execz .LBB767_49
.LBB767_89:
	s_waitcnt vmcnt(0)
	v_add_u32_e32 v3, v2, v24
	v_mov_b32_e32 v2, 0
	v_ashrrev_i64 v[2:3], 29, v[2:3]
	v_lshl_add_u64 v[2:3], s[50:51], 0, v[2:3]
	global_load_dwordx2 v[2:3], v[2:3], off
	s_or_b64 exec, exec, s[0:1]
	s_and_saveexec_b64 s[0:1], s[22:23]
	s_cbranch_execz .LBB767_50
.LBB767_90:
	s_waitcnt vmcnt(0)
	v_add_u32_e32 v3, v2, v26
	v_mov_b32_e32 v2, 0
	v_ashrrev_i64 v[2:3], 29, v[2:3]
	v_lshl_add_u64 v[2:3], s[50:51], 0, v[2:3]
	global_load_dwordx2 v[2:3], v[2:3], off
	s_or_b64 exec, exec, s[0:1]
	s_and_saveexec_b64 s[0:1], s[24:25]
	s_cbranch_execz .LBB767_51
.LBB767_91:
	s_waitcnt vmcnt(0)
	v_add_u32_e32 v3, v2, v28
	v_mov_b32_e32 v2, 0
	v_ashrrev_i64 v[2:3], 29, v[2:3]
	v_lshl_add_u64 v[2:3], s[50:51], 0, v[2:3]
	global_load_dwordx2 v[2:3], v[2:3], off
	s_or_b64 exec, exec, s[0:1]
	s_and_saveexec_b64 s[0:1], s[26:27]
	s_cbranch_execz .LBB767_52
.LBB767_92:
	s_waitcnt vmcnt(0)
	v_add_u32_e32 v3, v2, v30
	v_mov_b32_e32 v2, 0
	v_ashrrev_i64 v[2:3], 29, v[2:3]
	v_lshl_add_u64 v[2:3], s[50:51], 0, v[2:3]
	global_load_dwordx2 v[2:3], v[2:3], off
	s_or_b64 exec, exec, s[0:1]
	s_and_saveexec_b64 s[0:1], s[28:29]
	s_cbranch_execnz .LBB767_53
	s_branch .LBB767_54
	.section	.rodata,"a",@progbits
	.p2align	6, 0x0
	.amdhsa_kernel _ZN7rocprim17ROCPRIM_400000_NS6detail17trampoline_kernelINS0_14default_configENS1_22reduce_config_selectorIyEEZNS1_11reduce_implILb1ES3_PyS7_y9plus_mod3IyEEE10hipError_tPvRmT1_T2_T3_mT4_P12ihipStream_tbEUlT_E0_NS1_11comp_targetILNS1_3genE0ELNS1_11target_archE4294967295ELNS1_3gpuE0ELNS1_3repE0EEENS1_30default_config_static_selectorELNS0_4arch9wavefront6targetE1EEEvSD_
		.amdhsa_group_segment_fixed_size 64
		.amdhsa_private_segment_fixed_size 0
		.amdhsa_kernarg_size 64
		.amdhsa_user_sgpr_count 2
		.amdhsa_user_sgpr_dispatch_ptr 0
		.amdhsa_user_sgpr_queue_ptr 0
		.amdhsa_user_sgpr_kernarg_segment_ptr 1
		.amdhsa_user_sgpr_dispatch_id 0
		.amdhsa_user_sgpr_kernarg_preload_length 0
		.amdhsa_user_sgpr_kernarg_preload_offset 0
		.amdhsa_user_sgpr_private_segment_size 0
		.amdhsa_uses_dynamic_stack 0
		.amdhsa_enable_private_segment 0
		.amdhsa_system_sgpr_workgroup_id_x 1
		.amdhsa_system_sgpr_workgroup_id_y 0
		.amdhsa_system_sgpr_workgroup_id_z 0
		.amdhsa_system_sgpr_workgroup_info 0
		.amdhsa_system_vgpr_workitem_id 0
		.amdhsa_next_free_vgpr 68
		.amdhsa_next_free_sgpr 52
		.amdhsa_accum_offset 68
		.amdhsa_reserve_vcc 1
		.amdhsa_float_round_mode_32 0
		.amdhsa_float_round_mode_16_64 0
		.amdhsa_float_denorm_mode_32 3
		.amdhsa_float_denorm_mode_16_64 3
		.amdhsa_dx10_clamp 1
		.amdhsa_ieee_mode 1
		.amdhsa_fp16_overflow 0
		.amdhsa_tg_split 0
		.amdhsa_exception_fp_ieee_invalid_op 0
		.amdhsa_exception_fp_denorm_src 0
		.amdhsa_exception_fp_ieee_div_zero 0
		.amdhsa_exception_fp_ieee_overflow 0
		.amdhsa_exception_fp_ieee_underflow 0
		.amdhsa_exception_fp_ieee_inexact 0
		.amdhsa_exception_int_div_zero 0
	.end_amdhsa_kernel
	.section	.text._ZN7rocprim17ROCPRIM_400000_NS6detail17trampoline_kernelINS0_14default_configENS1_22reduce_config_selectorIyEEZNS1_11reduce_implILb1ES3_PyS7_y9plus_mod3IyEEE10hipError_tPvRmT1_T2_T3_mT4_P12ihipStream_tbEUlT_E0_NS1_11comp_targetILNS1_3genE0ELNS1_11target_archE4294967295ELNS1_3gpuE0ELNS1_3repE0EEENS1_30default_config_static_selectorELNS0_4arch9wavefront6targetE1EEEvSD_,"axG",@progbits,_ZN7rocprim17ROCPRIM_400000_NS6detail17trampoline_kernelINS0_14default_configENS1_22reduce_config_selectorIyEEZNS1_11reduce_implILb1ES3_PyS7_y9plus_mod3IyEEE10hipError_tPvRmT1_T2_T3_mT4_P12ihipStream_tbEUlT_E0_NS1_11comp_targetILNS1_3genE0ELNS1_11target_archE4294967295ELNS1_3gpuE0ELNS1_3repE0EEENS1_30default_config_static_selectorELNS0_4arch9wavefront6targetE1EEEvSD_,comdat
.Lfunc_end767:
	.size	_ZN7rocprim17ROCPRIM_400000_NS6detail17trampoline_kernelINS0_14default_configENS1_22reduce_config_selectorIyEEZNS1_11reduce_implILb1ES3_PyS7_y9plus_mod3IyEEE10hipError_tPvRmT1_T2_T3_mT4_P12ihipStream_tbEUlT_E0_NS1_11comp_targetILNS1_3genE0ELNS1_11target_archE4294967295ELNS1_3gpuE0ELNS1_3repE0EEENS1_30default_config_static_selectorELNS0_4arch9wavefront6targetE1EEEvSD_, .Lfunc_end767-_ZN7rocprim17ROCPRIM_400000_NS6detail17trampoline_kernelINS0_14default_configENS1_22reduce_config_selectorIyEEZNS1_11reduce_implILb1ES3_PyS7_y9plus_mod3IyEEE10hipError_tPvRmT1_T2_T3_mT4_P12ihipStream_tbEUlT_E0_NS1_11comp_targetILNS1_3genE0ELNS1_11target_archE4294967295ELNS1_3gpuE0ELNS1_3repE0EEENS1_30default_config_static_selectorELNS0_4arch9wavefront6targetE1EEEvSD_
                                        ; -- End function
	.set _ZN7rocprim17ROCPRIM_400000_NS6detail17trampoline_kernelINS0_14default_configENS1_22reduce_config_selectorIyEEZNS1_11reduce_implILb1ES3_PyS7_y9plus_mod3IyEEE10hipError_tPvRmT1_T2_T3_mT4_P12ihipStream_tbEUlT_E0_NS1_11comp_targetILNS1_3genE0ELNS1_11target_archE4294967295ELNS1_3gpuE0ELNS1_3repE0EEENS1_30default_config_static_selectorELNS0_4arch9wavefront6targetE1EEEvSD_.num_vgpr, 68
	.set _ZN7rocprim17ROCPRIM_400000_NS6detail17trampoline_kernelINS0_14default_configENS1_22reduce_config_selectorIyEEZNS1_11reduce_implILb1ES3_PyS7_y9plus_mod3IyEEE10hipError_tPvRmT1_T2_T3_mT4_P12ihipStream_tbEUlT_E0_NS1_11comp_targetILNS1_3genE0ELNS1_11target_archE4294967295ELNS1_3gpuE0ELNS1_3repE0EEENS1_30default_config_static_selectorELNS0_4arch9wavefront6targetE1EEEvSD_.num_agpr, 0
	.set _ZN7rocprim17ROCPRIM_400000_NS6detail17trampoline_kernelINS0_14default_configENS1_22reduce_config_selectorIyEEZNS1_11reduce_implILb1ES3_PyS7_y9plus_mod3IyEEE10hipError_tPvRmT1_T2_T3_mT4_P12ihipStream_tbEUlT_E0_NS1_11comp_targetILNS1_3genE0ELNS1_11target_archE4294967295ELNS1_3gpuE0ELNS1_3repE0EEENS1_30default_config_static_selectorELNS0_4arch9wavefront6targetE1EEEvSD_.numbered_sgpr, 52
	.set _ZN7rocprim17ROCPRIM_400000_NS6detail17trampoline_kernelINS0_14default_configENS1_22reduce_config_selectorIyEEZNS1_11reduce_implILb1ES3_PyS7_y9plus_mod3IyEEE10hipError_tPvRmT1_T2_T3_mT4_P12ihipStream_tbEUlT_E0_NS1_11comp_targetILNS1_3genE0ELNS1_11target_archE4294967295ELNS1_3gpuE0ELNS1_3repE0EEENS1_30default_config_static_selectorELNS0_4arch9wavefront6targetE1EEEvSD_.num_named_barrier, 0
	.set _ZN7rocprim17ROCPRIM_400000_NS6detail17trampoline_kernelINS0_14default_configENS1_22reduce_config_selectorIyEEZNS1_11reduce_implILb1ES3_PyS7_y9plus_mod3IyEEE10hipError_tPvRmT1_T2_T3_mT4_P12ihipStream_tbEUlT_E0_NS1_11comp_targetILNS1_3genE0ELNS1_11target_archE4294967295ELNS1_3gpuE0ELNS1_3repE0EEENS1_30default_config_static_selectorELNS0_4arch9wavefront6targetE1EEEvSD_.private_seg_size, 0
	.set _ZN7rocprim17ROCPRIM_400000_NS6detail17trampoline_kernelINS0_14default_configENS1_22reduce_config_selectorIyEEZNS1_11reduce_implILb1ES3_PyS7_y9plus_mod3IyEEE10hipError_tPvRmT1_T2_T3_mT4_P12ihipStream_tbEUlT_E0_NS1_11comp_targetILNS1_3genE0ELNS1_11target_archE4294967295ELNS1_3gpuE0ELNS1_3repE0EEENS1_30default_config_static_selectorELNS0_4arch9wavefront6targetE1EEEvSD_.uses_vcc, 1
	.set _ZN7rocprim17ROCPRIM_400000_NS6detail17trampoline_kernelINS0_14default_configENS1_22reduce_config_selectorIyEEZNS1_11reduce_implILb1ES3_PyS7_y9plus_mod3IyEEE10hipError_tPvRmT1_T2_T3_mT4_P12ihipStream_tbEUlT_E0_NS1_11comp_targetILNS1_3genE0ELNS1_11target_archE4294967295ELNS1_3gpuE0ELNS1_3repE0EEENS1_30default_config_static_selectorELNS0_4arch9wavefront6targetE1EEEvSD_.uses_flat_scratch, 0
	.set _ZN7rocprim17ROCPRIM_400000_NS6detail17trampoline_kernelINS0_14default_configENS1_22reduce_config_selectorIyEEZNS1_11reduce_implILb1ES3_PyS7_y9plus_mod3IyEEE10hipError_tPvRmT1_T2_T3_mT4_P12ihipStream_tbEUlT_E0_NS1_11comp_targetILNS1_3genE0ELNS1_11target_archE4294967295ELNS1_3gpuE0ELNS1_3repE0EEENS1_30default_config_static_selectorELNS0_4arch9wavefront6targetE1EEEvSD_.has_dyn_sized_stack, 0
	.set _ZN7rocprim17ROCPRIM_400000_NS6detail17trampoline_kernelINS0_14default_configENS1_22reduce_config_selectorIyEEZNS1_11reduce_implILb1ES3_PyS7_y9plus_mod3IyEEE10hipError_tPvRmT1_T2_T3_mT4_P12ihipStream_tbEUlT_E0_NS1_11comp_targetILNS1_3genE0ELNS1_11target_archE4294967295ELNS1_3gpuE0ELNS1_3repE0EEENS1_30default_config_static_selectorELNS0_4arch9wavefront6targetE1EEEvSD_.has_recursion, 0
	.set _ZN7rocprim17ROCPRIM_400000_NS6detail17trampoline_kernelINS0_14default_configENS1_22reduce_config_selectorIyEEZNS1_11reduce_implILb1ES3_PyS7_y9plus_mod3IyEEE10hipError_tPvRmT1_T2_T3_mT4_P12ihipStream_tbEUlT_E0_NS1_11comp_targetILNS1_3genE0ELNS1_11target_archE4294967295ELNS1_3gpuE0ELNS1_3repE0EEENS1_30default_config_static_selectorELNS0_4arch9wavefront6targetE1EEEvSD_.has_indirect_call, 0
	.section	.AMDGPU.csdata,"",@progbits
; Kernel info:
; codeLenInByte = 3988
; TotalNumSgprs: 58
; NumVgprs: 68
; NumAgprs: 0
; TotalNumVgprs: 68
; ScratchSize: 0
; MemoryBound: 0
; FloatMode: 240
; IeeeMode: 1
; LDSByteSize: 64 bytes/workgroup (compile time only)
; SGPRBlocks: 7
; VGPRBlocks: 8
; NumSGPRsForWavesPerEU: 58
; NumVGPRsForWavesPerEU: 68
; AccumOffset: 68
; Occupancy: 7
; WaveLimiterHint : 1
; COMPUTE_PGM_RSRC2:SCRATCH_EN: 0
; COMPUTE_PGM_RSRC2:USER_SGPR: 2
; COMPUTE_PGM_RSRC2:TRAP_HANDLER: 0
; COMPUTE_PGM_RSRC2:TGID_X_EN: 1
; COMPUTE_PGM_RSRC2:TGID_Y_EN: 0
; COMPUTE_PGM_RSRC2:TGID_Z_EN: 0
; COMPUTE_PGM_RSRC2:TIDIG_COMP_CNT: 0
; COMPUTE_PGM_RSRC3_GFX90A:ACCUM_OFFSET: 16
; COMPUTE_PGM_RSRC3_GFX90A:TG_SPLIT: 0
	.section	.text._ZN7rocprim17ROCPRIM_400000_NS6detail17trampoline_kernelINS0_14default_configENS1_22reduce_config_selectorIyEEZNS1_11reduce_implILb1ES3_PyS7_y9plus_mod3IyEEE10hipError_tPvRmT1_T2_T3_mT4_P12ihipStream_tbEUlT_E0_NS1_11comp_targetILNS1_3genE5ELNS1_11target_archE942ELNS1_3gpuE9ELNS1_3repE0EEENS1_30default_config_static_selectorELNS0_4arch9wavefront6targetE1EEEvSD_,"axG",@progbits,_ZN7rocprim17ROCPRIM_400000_NS6detail17trampoline_kernelINS0_14default_configENS1_22reduce_config_selectorIyEEZNS1_11reduce_implILb1ES3_PyS7_y9plus_mod3IyEEE10hipError_tPvRmT1_T2_T3_mT4_P12ihipStream_tbEUlT_E0_NS1_11comp_targetILNS1_3genE5ELNS1_11target_archE942ELNS1_3gpuE9ELNS1_3repE0EEENS1_30default_config_static_selectorELNS0_4arch9wavefront6targetE1EEEvSD_,comdat
	.protected	_ZN7rocprim17ROCPRIM_400000_NS6detail17trampoline_kernelINS0_14default_configENS1_22reduce_config_selectorIyEEZNS1_11reduce_implILb1ES3_PyS7_y9plus_mod3IyEEE10hipError_tPvRmT1_T2_T3_mT4_P12ihipStream_tbEUlT_E0_NS1_11comp_targetILNS1_3genE5ELNS1_11target_archE942ELNS1_3gpuE9ELNS1_3repE0EEENS1_30default_config_static_selectorELNS0_4arch9wavefront6targetE1EEEvSD_ ; -- Begin function _ZN7rocprim17ROCPRIM_400000_NS6detail17trampoline_kernelINS0_14default_configENS1_22reduce_config_selectorIyEEZNS1_11reduce_implILb1ES3_PyS7_y9plus_mod3IyEEE10hipError_tPvRmT1_T2_T3_mT4_P12ihipStream_tbEUlT_E0_NS1_11comp_targetILNS1_3genE5ELNS1_11target_archE942ELNS1_3gpuE9ELNS1_3repE0EEENS1_30default_config_static_selectorELNS0_4arch9wavefront6targetE1EEEvSD_
	.globl	_ZN7rocprim17ROCPRIM_400000_NS6detail17trampoline_kernelINS0_14default_configENS1_22reduce_config_selectorIyEEZNS1_11reduce_implILb1ES3_PyS7_y9plus_mod3IyEEE10hipError_tPvRmT1_T2_T3_mT4_P12ihipStream_tbEUlT_E0_NS1_11comp_targetILNS1_3genE5ELNS1_11target_archE942ELNS1_3gpuE9ELNS1_3repE0EEENS1_30default_config_static_selectorELNS0_4arch9wavefront6targetE1EEEvSD_
	.p2align	8
	.type	_ZN7rocprim17ROCPRIM_400000_NS6detail17trampoline_kernelINS0_14default_configENS1_22reduce_config_selectorIyEEZNS1_11reduce_implILb1ES3_PyS7_y9plus_mod3IyEEE10hipError_tPvRmT1_T2_T3_mT4_P12ihipStream_tbEUlT_E0_NS1_11comp_targetILNS1_3genE5ELNS1_11target_archE942ELNS1_3gpuE9ELNS1_3repE0EEENS1_30default_config_static_selectorELNS0_4arch9wavefront6targetE1EEEvSD_,@function
_ZN7rocprim17ROCPRIM_400000_NS6detail17trampoline_kernelINS0_14default_configENS1_22reduce_config_selectorIyEEZNS1_11reduce_implILb1ES3_PyS7_y9plus_mod3IyEEE10hipError_tPvRmT1_T2_T3_mT4_P12ihipStream_tbEUlT_E0_NS1_11comp_targetILNS1_3genE5ELNS1_11target_archE942ELNS1_3gpuE9ELNS1_3repE0EEENS1_30default_config_static_selectorELNS0_4arch9wavefront6targetE1EEEvSD_: ; @_ZN7rocprim17ROCPRIM_400000_NS6detail17trampoline_kernelINS0_14default_configENS1_22reduce_config_selectorIyEEZNS1_11reduce_implILb1ES3_PyS7_y9plus_mod3IyEEE10hipError_tPvRmT1_T2_T3_mT4_P12ihipStream_tbEUlT_E0_NS1_11comp_targetILNS1_3genE5ELNS1_11target_archE942ELNS1_3gpuE9ELNS1_3repE0EEENS1_30default_config_static_selectorELNS0_4arch9wavefront6targetE1EEEvSD_
; %bb.0:
	.section	.rodata,"a",@progbits
	.p2align	6, 0x0
	.amdhsa_kernel _ZN7rocprim17ROCPRIM_400000_NS6detail17trampoline_kernelINS0_14default_configENS1_22reduce_config_selectorIyEEZNS1_11reduce_implILb1ES3_PyS7_y9plus_mod3IyEEE10hipError_tPvRmT1_T2_T3_mT4_P12ihipStream_tbEUlT_E0_NS1_11comp_targetILNS1_3genE5ELNS1_11target_archE942ELNS1_3gpuE9ELNS1_3repE0EEENS1_30default_config_static_selectorELNS0_4arch9wavefront6targetE1EEEvSD_
		.amdhsa_group_segment_fixed_size 0
		.amdhsa_private_segment_fixed_size 0
		.amdhsa_kernarg_size 64
		.amdhsa_user_sgpr_count 2
		.amdhsa_user_sgpr_dispatch_ptr 0
		.amdhsa_user_sgpr_queue_ptr 0
		.amdhsa_user_sgpr_kernarg_segment_ptr 1
		.amdhsa_user_sgpr_dispatch_id 0
		.amdhsa_user_sgpr_kernarg_preload_length 0
		.amdhsa_user_sgpr_kernarg_preload_offset 0
		.amdhsa_user_sgpr_private_segment_size 0
		.amdhsa_uses_dynamic_stack 0
		.amdhsa_enable_private_segment 0
		.amdhsa_system_sgpr_workgroup_id_x 1
		.amdhsa_system_sgpr_workgroup_id_y 0
		.amdhsa_system_sgpr_workgroup_id_z 0
		.amdhsa_system_sgpr_workgroup_info 0
		.amdhsa_system_vgpr_workitem_id 0
		.amdhsa_next_free_vgpr 1
		.amdhsa_next_free_sgpr 0
		.amdhsa_accum_offset 4
		.amdhsa_reserve_vcc 0
		.amdhsa_float_round_mode_32 0
		.amdhsa_float_round_mode_16_64 0
		.amdhsa_float_denorm_mode_32 3
		.amdhsa_float_denorm_mode_16_64 3
		.amdhsa_dx10_clamp 1
		.amdhsa_ieee_mode 1
		.amdhsa_fp16_overflow 0
		.amdhsa_tg_split 0
		.amdhsa_exception_fp_ieee_invalid_op 0
		.amdhsa_exception_fp_denorm_src 0
		.amdhsa_exception_fp_ieee_div_zero 0
		.amdhsa_exception_fp_ieee_overflow 0
		.amdhsa_exception_fp_ieee_underflow 0
		.amdhsa_exception_fp_ieee_inexact 0
		.amdhsa_exception_int_div_zero 0
	.end_amdhsa_kernel
	.section	.text._ZN7rocprim17ROCPRIM_400000_NS6detail17trampoline_kernelINS0_14default_configENS1_22reduce_config_selectorIyEEZNS1_11reduce_implILb1ES3_PyS7_y9plus_mod3IyEEE10hipError_tPvRmT1_T2_T3_mT4_P12ihipStream_tbEUlT_E0_NS1_11comp_targetILNS1_3genE5ELNS1_11target_archE942ELNS1_3gpuE9ELNS1_3repE0EEENS1_30default_config_static_selectorELNS0_4arch9wavefront6targetE1EEEvSD_,"axG",@progbits,_ZN7rocprim17ROCPRIM_400000_NS6detail17trampoline_kernelINS0_14default_configENS1_22reduce_config_selectorIyEEZNS1_11reduce_implILb1ES3_PyS7_y9plus_mod3IyEEE10hipError_tPvRmT1_T2_T3_mT4_P12ihipStream_tbEUlT_E0_NS1_11comp_targetILNS1_3genE5ELNS1_11target_archE942ELNS1_3gpuE9ELNS1_3repE0EEENS1_30default_config_static_selectorELNS0_4arch9wavefront6targetE1EEEvSD_,comdat
.Lfunc_end768:
	.size	_ZN7rocprim17ROCPRIM_400000_NS6detail17trampoline_kernelINS0_14default_configENS1_22reduce_config_selectorIyEEZNS1_11reduce_implILb1ES3_PyS7_y9plus_mod3IyEEE10hipError_tPvRmT1_T2_T3_mT4_P12ihipStream_tbEUlT_E0_NS1_11comp_targetILNS1_3genE5ELNS1_11target_archE942ELNS1_3gpuE9ELNS1_3repE0EEENS1_30default_config_static_selectorELNS0_4arch9wavefront6targetE1EEEvSD_, .Lfunc_end768-_ZN7rocprim17ROCPRIM_400000_NS6detail17trampoline_kernelINS0_14default_configENS1_22reduce_config_selectorIyEEZNS1_11reduce_implILb1ES3_PyS7_y9plus_mod3IyEEE10hipError_tPvRmT1_T2_T3_mT4_P12ihipStream_tbEUlT_E0_NS1_11comp_targetILNS1_3genE5ELNS1_11target_archE942ELNS1_3gpuE9ELNS1_3repE0EEENS1_30default_config_static_selectorELNS0_4arch9wavefront6targetE1EEEvSD_
                                        ; -- End function
	.set _ZN7rocprim17ROCPRIM_400000_NS6detail17trampoline_kernelINS0_14default_configENS1_22reduce_config_selectorIyEEZNS1_11reduce_implILb1ES3_PyS7_y9plus_mod3IyEEE10hipError_tPvRmT1_T2_T3_mT4_P12ihipStream_tbEUlT_E0_NS1_11comp_targetILNS1_3genE5ELNS1_11target_archE942ELNS1_3gpuE9ELNS1_3repE0EEENS1_30default_config_static_selectorELNS0_4arch9wavefront6targetE1EEEvSD_.num_vgpr, 0
	.set _ZN7rocprim17ROCPRIM_400000_NS6detail17trampoline_kernelINS0_14default_configENS1_22reduce_config_selectorIyEEZNS1_11reduce_implILb1ES3_PyS7_y9plus_mod3IyEEE10hipError_tPvRmT1_T2_T3_mT4_P12ihipStream_tbEUlT_E0_NS1_11comp_targetILNS1_3genE5ELNS1_11target_archE942ELNS1_3gpuE9ELNS1_3repE0EEENS1_30default_config_static_selectorELNS0_4arch9wavefront6targetE1EEEvSD_.num_agpr, 0
	.set _ZN7rocprim17ROCPRIM_400000_NS6detail17trampoline_kernelINS0_14default_configENS1_22reduce_config_selectorIyEEZNS1_11reduce_implILb1ES3_PyS7_y9plus_mod3IyEEE10hipError_tPvRmT1_T2_T3_mT4_P12ihipStream_tbEUlT_E0_NS1_11comp_targetILNS1_3genE5ELNS1_11target_archE942ELNS1_3gpuE9ELNS1_3repE0EEENS1_30default_config_static_selectorELNS0_4arch9wavefront6targetE1EEEvSD_.numbered_sgpr, 0
	.set _ZN7rocprim17ROCPRIM_400000_NS6detail17trampoline_kernelINS0_14default_configENS1_22reduce_config_selectorIyEEZNS1_11reduce_implILb1ES3_PyS7_y9plus_mod3IyEEE10hipError_tPvRmT1_T2_T3_mT4_P12ihipStream_tbEUlT_E0_NS1_11comp_targetILNS1_3genE5ELNS1_11target_archE942ELNS1_3gpuE9ELNS1_3repE0EEENS1_30default_config_static_selectorELNS0_4arch9wavefront6targetE1EEEvSD_.num_named_barrier, 0
	.set _ZN7rocprim17ROCPRIM_400000_NS6detail17trampoline_kernelINS0_14default_configENS1_22reduce_config_selectorIyEEZNS1_11reduce_implILb1ES3_PyS7_y9plus_mod3IyEEE10hipError_tPvRmT1_T2_T3_mT4_P12ihipStream_tbEUlT_E0_NS1_11comp_targetILNS1_3genE5ELNS1_11target_archE942ELNS1_3gpuE9ELNS1_3repE0EEENS1_30default_config_static_selectorELNS0_4arch9wavefront6targetE1EEEvSD_.private_seg_size, 0
	.set _ZN7rocprim17ROCPRIM_400000_NS6detail17trampoline_kernelINS0_14default_configENS1_22reduce_config_selectorIyEEZNS1_11reduce_implILb1ES3_PyS7_y9plus_mod3IyEEE10hipError_tPvRmT1_T2_T3_mT4_P12ihipStream_tbEUlT_E0_NS1_11comp_targetILNS1_3genE5ELNS1_11target_archE942ELNS1_3gpuE9ELNS1_3repE0EEENS1_30default_config_static_selectorELNS0_4arch9wavefront6targetE1EEEvSD_.uses_vcc, 0
	.set _ZN7rocprim17ROCPRIM_400000_NS6detail17trampoline_kernelINS0_14default_configENS1_22reduce_config_selectorIyEEZNS1_11reduce_implILb1ES3_PyS7_y9plus_mod3IyEEE10hipError_tPvRmT1_T2_T3_mT4_P12ihipStream_tbEUlT_E0_NS1_11comp_targetILNS1_3genE5ELNS1_11target_archE942ELNS1_3gpuE9ELNS1_3repE0EEENS1_30default_config_static_selectorELNS0_4arch9wavefront6targetE1EEEvSD_.uses_flat_scratch, 0
	.set _ZN7rocprim17ROCPRIM_400000_NS6detail17trampoline_kernelINS0_14default_configENS1_22reduce_config_selectorIyEEZNS1_11reduce_implILb1ES3_PyS7_y9plus_mod3IyEEE10hipError_tPvRmT1_T2_T3_mT4_P12ihipStream_tbEUlT_E0_NS1_11comp_targetILNS1_3genE5ELNS1_11target_archE942ELNS1_3gpuE9ELNS1_3repE0EEENS1_30default_config_static_selectorELNS0_4arch9wavefront6targetE1EEEvSD_.has_dyn_sized_stack, 0
	.set _ZN7rocprim17ROCPRIM_400000_NS6detail17trampoline_kernelINS0_14default_configENS1_22reduce_config_selectorIyEEZNS1_11reduce_implILb1ES3_PyS7_y9plus_mod3IyEEE10hipError_tPvRmT1_T2_T3_mT4_P12ihipStream_tbEUlT_E0_NS1_11comp_targetILNS1_3genE5ELNS1_11target_archE942ELNS1_3gpuE9ELNS1_3repE0EEENS1_30default_config_static_selectorELNS0_4arch9wavefront6targetE1EEEvSD_.has_recursion, 0
	.set _ZN7rocprim17ROCPRIM_400000_NS6detail17trampoline_kernelINS0_14default_configENS1_22reduce_config_selectorIyEEZNS1_11reduce_implILb1ES3_PyS7_y9plus_mod3IyEEE10hipError_tPvRmT1_T2_T3_mT4_P12ihipStream_tbEUlT_E0_NS1_11comp_targetILNS1_3genE5ELNS1_11target_archE942ELNS1_3gpuE9ELNS1_3repE0EEENS1_30default_config_static_selectorELNS0_4arch9wavefront6targetE1EEEvSD_.has_indirect_call, 0
	.section	.AMDGPU.csdata,"",@progbits
; Kernel info:
; codeLenInByte = 0
; TotalNumSgprs: 6
; NumVgprs: 0
; NumAgprs: 0
; TotalNumVgprs: 0
; ScratchSize: 0
; MemoryBound: 0
; FloatMode: 240
; IeeeMode: 1
; LDSByteSize: 0 bytes/workgroup (compile time only)
; SGPRBlocks: 0
; VGPRBlocks: 0
; NumSGPRsForWavesPerEU: 6
; NumVGPRsForWavesPerEU: 1
; AccumOffset: 4
; Occupancy: 8
; WaveLimiterHint : 0
; COMPUTE_PGM_RSRC2:SCRATCH_EN: 0
; COMPUTE_PGM_RSRC2:USER_SGPR: 2
; COMPUTE_PGM_RSRC2:TRAP_HANDLER: 0
; COMPUTE_PGM_RSRC2:TGID_X_EN: 1
; COMPUTE_PGM_RSRC2:TGID_Y_EN: 0
; COMPUTE_PGM_RSRC2:TGID_Z_EN: 0
; COMPUTE_PGM_RSRC2:TIDIG_COMP_CNT: 0
; COMPUTE_PGM_RSRC3_GFX90A:ACCUM_OFFSET: 0
; COMPUTE_PGM_RSRC3_GFX90A:TG_SPLIT: 0
	.section	.text._ZN7rocprim17ROCPRIM_400000_NS6detail17trampoline_kernelINS0_14default_configENS1_22reduce_config_selectorIyEEZNS1_11reduce_implILb1ES3_PyS7_y9plus_mod3IyEEE10hipError_tPvRmT1_T2_T3_mT4_P12ihipStream_tbEUlT_E0_NS1_11comp_targetILNS1_3genE4ELNS1_11target_archE910ELNS1_3gpuE8ELNS1_3repE0EEENS1_30default_config_static_selectorELNS0_4arch9wavefront6targetE1EEEvSD_,"axG",@progbits,_ZN7rocprim17ROCPRIM_400000_NS6detail17trampoline_kernelINS0_14default_configENS1_22reduce_config_selectorIyEEZNS1_11reduce_implILb1ES3_PyS7_y9plus_mod3IyEEE10hipError_tPvRmT1_T2_T3_mT4_P12ihipStream_tbEUlT_E0_NS1_11comp_targetILNS1_3genE4ELNS1_11target_archE910ELNS1_3gpuE8ELNS1_3repE0EEENS1_30default_config_static_selectorELNS0_4arch9wavefront6targetE1EEEvSD_,comdat
	.protected	_ZN7rocprim17ROCPRIM_400000_NS6detail17trampoline_kernelINS0_14default_configENS1_22reduce_config_selectorIyEEZNS1_11reduce_implILb1ES3_PyS7_y9plus_mod3IyEEE10hipError_tPvRmT1_T2_T3_mT4_P12ihipStream_tbEUlT_E0_NS1_11comp_targetILNS1_3genE4ELNS1_11target_archE910ELNS1_3gpuE8ELNS1_3repE0EEENS1_30default_config_static_selectorELNS0_4arch9wavefront6targetE1EEEvSD_ ; -- Begin function _ZN7rocprim17ROCPRIM_400000_NS6detail17trampoline_kernelINS0_14default_configENS1_22reduce_config_selectorIyEEZNS1_11reduce_implILb1ES3_PyS7_y9plus_mod3IyEEE10hipError_tPvRmT1_T2_T3_mT4_P12ihipStream_tbEUlT_E0_NS1_11comp_targetILNS1_3genE4ELNS1_11target_archE910ELNS1_3gpuE8ELNS1_3repE0EEENS1_30default_config_static_selectorELNS0_4arch9wavefront6targetE1EEEvSD_
	.globl	_ZN7rocprim17ROCPRIM_400000_NS6detail17trampoline_kernelINS0_14default_configENS1_22reduce_config_selectorIyEEZNS1_11reduce_implILb1ES3_PyS7_y9plus_mod3IyEEE10hipError_tPvRmT1_T2_T3_mT4_P12ihipStream_tbEUlT_E0_NS1_11comp_targetILNS1_3genE4ELNS1_11target_archE910ELNS1_3gpuE8ELNS1_3repE0EEENS1_30default_config_static_selectorELNS0_4arch9wavefront6targetE1EEEvSD_
	.p2align	8
	.type	_ZN7rocprim17ROCPRIM_400000_NS6detail17trampoline_kernelINS0_14default_configENS1_22reduce_config_selectorIyEEZNS1_11reduce_implILb1ES3_PyS7_y9plus_mod3IyEEE10hipError_tPvRmT1_T2_T3_mT4_P12ihipStream_tbEUlT_E0_NS1_11comp_targetILNS1_3genE4ELNS1_11target_archE910ELNS1_3gpuE8ELNS1_3repE0EEENS1_30default_config_static_selectorELNS0_4arch9wavefront6targetE1EEEvSD_,@function
_ZN7rocprim17ROCPRIM_400000_NS6detail17trampoline_kernelINS0_14default_configENS1_22reduce_config_selectorIyEEZNS1_11reduce_implILb1ES3_PyS7_y9plus_mod3IyEEE10hipError_tPvRmT1_T2_T3_mT4_P12ihipStream_tbEUlT_E0_NS1_11comp_targetILNS1_3genE4ELNS1_11target_archE910ELNS1_3gpuE8ELNS1_3repE0EEENS1_30default_config_static_selectorELNS0_4arch9wavefront6targetE1EEEvSD_: ; @_ZN7rocprim17ROCPRIM_400000_NS6detail17trampoline_kernelINS0_14default_configENS1_22reduce_config_selectorIyEEZNS1_11reduce_implILb1ES3_PyS7_y9plus_mod3IyEEE10hipError_tPvRmT1_T2_T3_mT4_P12ihipStream_tbEUlT_E0_NS1_11comp_targetILNS1_3genE4ELNS1_11target_archE910ELNS1_3gpuE8ELNS1_3repE0EEENS1_30default_config_static_selectorELNS0_4arch9wavefront6targetE1EEEvSD_
; %bb.0:
	.section	.rodata,"a",@progbits
	.p2align	6, 0x0
	.amdhsa_kernel _ZN7rocprim17ROCPRIM_400000_NS6detail17trampoline_kernelINS0_14default_configENS1_22reduce_config_selectorIyEEZNS1_11reduce_implILb1ES3_PyS7_y9plus_mod3IyEEE10hipError_tPvRmT1_T2_T3_mT4_P12ihipStream_tbEUlT_E0_NS1_11comp_targetILNS1_3genE4ELNS1_11target_archE910ELNS1_3gpuE8ELNS1_3repE0EEENS1_30default_config_static_selectorELNS0_4arch9wavefront6targetE1EEEvSD_
		.amdhsa_group_segment_fixed_size 0
		.amdhsa_private_segment_fixed_size 0
		.amdhsa_kernarg_size 64
		.amdhsa_user_sgpr_count 2
		.amdhsa_user_sgpr_dispatch_ptr 0
		.amdhsa_user_sgpr_queue_ptr 0
		.amdhsa_user_sgpr_kernarg_segment_ptr 1
		.amdhsa_user_sgpr_dispatch_id 0
		.amdhsa_user_sgpr_kernarg_preload_length 0
		.amdhsa_user_sgpr_kernarg_preload_offset 0
		.amdhsa_user_sgpr_private_segment_size 0
		.amdhsa_uses_dynamic_stack 0
		.amdhsa_enable_private_segment 0
		.amdhsa_system_sgpr_workgroup_id_x 1
		.amdhsa_system_sgpr_workgroup_id_y 0
		.amdhsa_system_sgpr_workgroup_id_z 0
		.amdhsa_system_sgpr_workgroup_info 0
		.amdhsa_system_vgpr_workitem_id 0
		.amdhsa_next_free_vgpr 1
		.amdhsa_next_free_sgpr 0
		.amdhsa_accum_offset 4
		.amdhsa_reserve_vcc 0
		.amdhsa_float_round_mode_32 0
		.amdhsa_float_round_mode_16_64 0
		.amdhsa_float_denorm_mode_32 3
		.amdhsa_float_denorm_mode_16_64 3
		.amdhsa_dx10_clamp 1
		.amdhsa_ieee_mode 1
		.amdhsa_fp16_overflow 0
		.amdhsa_tg_split 0
		.amdhsa_exception_fp_ieee_invalid_op 0
		.amdhsa_exception_fp_denorm_src 0
		.amdhsa_exception_fp_ieee_div_zero 0
		.amdhsa_exception_fp_ieee_overflow 0
		.amdhsa_exception_fp_ieee_underflow 0
		.amdhsa_exception_fp_ieee_inexact 0
		.amdhsa_exception_int_div_zero 0
	.end_amdhsa_kernel
	.section	.text._ZN7rocprim17ROCPRIM_400000_NS6detail17trampoline_kernelINS0_14default_configENS1_22reduce_config_selectorIyEEZNS1_11reduce_implILb1ES3_PyS7_y9plus_mod3IyEEE10hipError_tPvRmT1_T2_T3_mT4_P12ihipStream_tbEUlT_E0_NS1_11comp_targetILNS1_3genE4ELNS1_11target_archE910ELNS1_3gpuE8ELNS1_3repE0EEENS1_30default_config_static_selectorELNS0_4arch9wavefront6targetE1EEEvSD_,"axG",@progbits,_ZN7rocprim17ROCPRIM_400000_NS6detail17trampoline_kernelINS0_14default_configENS1_22reduce_config_selectorIyEEZNS1_11reduce_implILb1ES3_PyS7_y9plus_mod3IyEEE10hipError_tPvRmT1_T2_T3_mT4_P12ihipStream_tbEUlT_E0_NS1_11comp_targetILNS1_3genE4ELNS1_11target_archE910ELNS1_3gpuE8ELNS1_3repE0EEENS1_30default_config_static_selectorELNS0_4arch9wavefront6targetE1EEEvSD_,comdat
.Lfunc_end769:
	.size	_ZN7rocprim17ROCPRIM_400000_NS6detail17trampoline_kernelINS0_14default_configENS1_22reduce_config_selectorIyEEZNS1_11reduce_implILb1ES3_PyS7_y9plus_mod3IyEEE10hipError_tPvRmT1_T2_T3_mT4_P12ihipStream_tbEUlT_E0_NS1_11comp_targetILNS1_3genE4ELNS1_11target_archE910ELNS1_3gpuE8ELNS1_3repE0EEENS1_30default_config_static_selectorELNS0_4arch9wavefront6targetE1EEEvSD_, .Lfunc_end769-_ZN7rocprim17ROCPRIM_400000_NS6detail17trampoline_kernelINS0_14default_configENS1_22reduce_config_selectorIyEEZNS1_11reduce_implILb1ES3_PyS7_y9plus_mod3IyEEE10hipError_tPvRmT1_T2_T3_mT4_P12ihipStream_tbEUlT_E0_NS1_11comp_targetILNS1_3genE4ELNS1_11target_archE910ELNS1_3gpuE8ELNS1_3repE0EEENS1_30default_config_static_selectorELNS0_4arch9wavefront6targetE1EEEvSD_
                                        ; -- End function
	.set _ZN7rocprim17ROCPRIM_400000_NS6detail17trampoline_kernelINS0_14default_configENS1_22reduce_config_selectorIyEEZNS1_11reduce_implILb1ES3_PyS7_y9plus_mod3IyEEE10hipError_tPvRmT1_T2_T3_mT4_P12ihipStream_tbEUlT_E0_NS1_11comp_targetILNS1_3genE4ELNS1_11target_archE910ELNS1_3gpuE8ELNS1_3repE0EEENS1_30default_config_static_selectorELNS0_4arch9wavefront6targetE1EEEvSD_.num_vgpr, 0
	.set _ZN7rocprim17ROCPRIM_400000_NS6detail17trampoline_kernelINS0_14default_configENS1_22reduce_config_selectorIyEEZNS1_11reduce_implILb1ES3_PyS7_y9plus_mod3IyEEE10hipError_tPvRmT1_T2_T3_mT4_P12ihipStream_tbEUlT_E0_NS1_11comp_targetILNS1_3genE4ELNS1_11target_archE910ELNS1_3gpuE8ELNS1_3repE0EEENS1_30default_config_static_selectorELNS0_4arch9wavefront6targetE1EEEvSD_.num_agpr, 0
	.set _ZN7rocprim17ROCPRIM_400000_NS6detail17trampoline_kernelINS0_14default_configENS1_22reduce_config_selectorIyEEZNS1_11reduce_implILb1ES3_PyS7_y9plus_mod3IyEEE10hipError_tPvRmT1_T2_T3_mT4_P12ihipStream_tbEUlT_E0_NS1_11comp_targetILNS1_3genE4ELNS1_11target_archE910ELNS1_3gpuE8ELNS1_3repE0EEENS1_30default_config_static_selectorELNS0_4arch9wavefront6targetE1EEEvSD_.numbered_sgpr, 0
	.set _ZN7rocprim17ROCPRIM_400000_NS6detail17trampoline_kernelINS0_14default_configENS1_22reduce_config_selectorIyEEZNS1_11reduce_implILb1ES3_PyS7_y9plus_mod3IyEEE10hipError_tPvRmT1_T2_T3_mT4_P12ihipStream_tbEUlT_E0_NS1_11comp_targetILNS1_3genE4ELNS1_11target_archE910ELNS1_3gpuE8ELNS1_3repE0EEENS1_30default_config_static_selectorELNS0_4arch9wavefront6targetE1EEEvSD_.num_named_barrier, 0
	.set _ZN7rocprim17ROCPRIM_400000_NS6detail17trampoline_kernelINS0_14default_configENS1_22reduce_config_selectorIyEEZNS1_11reduce_implILb1ES3_PyS7_y9plus_mod3IyEEE10hipError_tPvRmT1_T2_T3_mT4_P12ihipStream_tbEUlT_E0_NS1_11comp_targetILNS1_3genE4ELNS1_11target_archE910ELNS1_3gpuE8ELNS1_3repE0EEENS1_30default_config_static_selectorELNS0_4arch9wavefront6targetE1EEEvSD_.private_seg_size, 0
	.set _ZN7rocprim17ROCPRIM_400000_NS6detail17trampoline_kernelINS0_14default_configENS1_22reduce_config_selectorIyEEZNS1_11reduce_implILb1ES3_PyS7_y9plus_mod3IyEEE10hipError_tPvRmT1_T2_T3_mT4_P12ihipStream_tbEUlT_E0_NS1_11comp_targetILNS1_3genE4ELNS1_11target_archE910ELNS1_3gpuE8ELNS1_3repE0EEENS1_30default_config_static_selectorELNS0_4arch9wavefront6targetE1EEEvSD_.uses_vcc, 0
	.set _ZN7rocprim17ROCPRIM_400000_NS6detail17trampoline_kernelINS0_14default_configENS1_22reduce_config_selectorIyEEZNS1_11reduce_implILb1ES3_PyS7_y9plus_mod3IyEEE10hipError_tPvRmT1_T2_T3_mT4_P12ihipStream_tbEUlT_E0_NS1_11comp_targetILNS1_3genE4ELNS1_11target_archE910ELNS1_3gpuE8ELNS1_3repE0EEENS1_30default_config_static_selectorELNS0_4arch9wavefront6targetE1EEEvSD_.uses_flat_scratch, 0
	.set _ZN7rocprim17ROCPRIM_400000_NS6detail17trampoline_kernelINS0_14default_configENS1_22reduce_config_selectorIyEEZNS1_11reduce_implILb1ES3_PyS7_y9plus_mod3IyEEE10hipError_tPvRmT1_T2_T3_mT4_P12ihipStream_tbEUlT_E0_NS1_11comp_targetILNS1_3genE4ELNS1_11target_archE910ELNS1_3gpuE8ELNS1_3repE0EEENS1_30default_config_static_selectorELNS0_4arch9wavefront6targetE1EEEvSD_.has_dyn_sized_stack, 0
	.set _ZN7rocprim17ROCPRIM_400000_NS6detail17trampoline_kernelINS0_14default_configENS1_22reduce_config_selectorIyEEZNS1_11reduce_implILb1ES3_PyS7_y9plus_mod3IyEEE10hipError_tPvRmT1_T2_T3_mT4_P12ihipStream_tbEUlT_E0_NS1_11comp_targetILNS1_3genE4ELNS1_11target_archE910ELNS1_3gpuE8ELNS1_3repE0EEENS1_30default_config_static_selectorELNS0_4arch9wavefront6targetE1EEEvSD_.has_recursion, 0
	.set _ZN7rocprim17ROCPRIM_400000_NS6detail17trampoline_kernelINS0_14default_configENS1_22reduce_config_selectorIyEEZNS1_11reduce_implILb1ES3_PyS7_y9plus_mod3IyEEE10hipError_tPvRmT1_T2_T3_mT4_P12ihipStream_tbEUlT_E0_NS1_11comp_targetILNS1_3genE4ELNS1_11target_archE910ELNS1_3gpuE8ELNS1_3repE0EEENS1_30default_config_static_selectorELNS0_4arch9wavefront6targetE1EEEvSD_.has_indirect_call, 0
	.section	.AMDGPU.csdata,"",@progbits
; Kernel info:
; codeLenInByte = 0
; TotalNumSgprs: 6
; NumVgprs: 0
; NumAgprs: 0
; TotalNumVgprs: 0
; ScratchSize: 0
; MemoryBound: 0
; FloatMode: 240
; IeeeMode: 1
; LDSByteSize: 0 bytes/workgroup (compile time only)
; SGPRBlocks: 0
; VGPRBlocks: 0
; NumSGPRsForWavesPerEU: 6
; NumVGPRsForWavesPerEU: 1
; AccumOffset: 4
; Occupancy: 8
; WaveLimiterHint : 0
; COMPUTE_PGM_RSRC2:SCRATCH_EN: 0
; COMPUTE_PGM_RSRC2:USER_SGPR: 2
; COMPUTE_PGM_RSRC2:TRAP_HANDLER: 0
; COMPUTE_PGM_RSRC2:TGID_X_EN: 1
; COMPUTE_PGM_RSRC2:TGID_Y_EN: 0
; COMPUTE_PGM_RSRC2:TGID_Z_EN: 0
; COMPUTE_PGM_RSRC2:TIDIG_COMP_CNT: 0
; COMPUTE_PGM_RSRC3_GFX90A:ACCUM_OFFSET: 0
; COMPUTE_PGM_RSRC3_GFX90A:TG_SPLIT: 0
	.section	.text._ZN7rocprim17ROCPRIM_400000_NS6detail17trampoline_kernelINS0_14default_configENS1_22reduce_config_selectorIyEEZNS1_11reduce_implILb1ES3_PyS7_y9plus_mod3IyEEE10hipError_tPvRmT1_T2_T3_mT4_P12ihipStream_tbEUlT_E0_NS1_11comp_targetILNS1_3genE3ELNS1_11target_archE908ELNS1_3gpuE7ELNS1_3repE0EEENS1_30default_config_static_selectorELNS0_4arch9wavefront6targetE1EEEvSD_,"axG",@progbits,_ZN7rocprim17ROCPRIM_400000_NS6detail17trampoline_kernelINS0_14default_configENS1_22reduce_config_selectorIyEEZNS1_11reduce_implILb1ES3_PyS7_y9plus_mod3IyEEE10hipError_tPvRmT1_T2_T3_mT4_P12ihipStream_tbEUlT_E0_NS1_11comp_targetILNS1_3genE3ELNS1_11target_archE908ELNS1_3gpuE7ELNS1_3repE0EEENS1_30default_config_static_selectorELNS0_4arch9wavefront6targetE1EEEvSD_,comdat
	.protected	_ZN7rocprim17ROCPRIM_400000_NS6detail17trampoline_kernelINS0_14default_configENS1_22reduce_config_selectorIyEEZNS1_11reduce_implILb1ES3_PyS7_y9plus_mod3IyEEE10hipError_tPvRmT1_T2_T3_mT4_P12ihipStream_tbEUlT_E0_NS1_11comp_targetILNS1_3genE3ELNS1_11target_archE908ELNS1_3gpuE7ELNS1_3repE0EEENS1_30default_config_static_selectorELNS0_4arch9wavefront6targetE1EEEvSD_ ; -- Begin function _ZN7rocprim17ROCPRIM_400000_NS6detail17trampoline_kernelINS0_14default_configENS1_22reduce_config_selectorIyEEZNS1_11reduce_implILb1ES3_PyS7_y9plus_mod3IyEEE10hipError_tPvRmT1_T2_T3_mT4_P12ihipStream_tbEUlT_E0_NS1_11comp_targetILNS1_3genE3ELNS1_11target_archE908ELNS1_3gpuE7ELNS1_3repE0EEENS1_30default_config_static_selectorELNS0_4arch9wavefront6targetE1EEEvSD_
	.globl	_ZN7rocprim17ROCPRIM_400000_NS6detail17trampoline_kernelINS0_14default_configENS1_22reduce_config_selectorIyEEZNS1_11reduce_implILb1ES3_PyS7_y9plus_mod3IyEEE10hipError_tPvRmT1_T2_T3_mT4_P12ihipStream_tbEUlT_E0_NS1_11comp_targetILNS1_3genE3ELNS1_11target_archE908ELNS1_3gpuE7ELNS1_3repE0EEENS1_30default_config_static_selectorELNS0_4arch9wavefront6targetE1EEEvSD_
	.p2align	8
	.type	_ZN7rocprim17ROCPRIM_400000_NS6detail17trampoline_kernelINS0_14default_configENS1_22reduce_config_selectorIyEEZNS1_11reduce_implILb1ES3_PyS7_y9plus_mod3IyEEE10hipError_tPvRmT1_T2_T3_mT4_P12ihipStream_tbEUlT_E0_NS1_11comp_targetILNS1_3genE3ELNS1_11target_archE908ELNS1_3gpuE7ELNS1_3repE0EEENS1_30default_config_static_selectorELNS0_4arch9wavefront6targetE1EEEvSD_,@function
_ZN7rocprim17ROCPRIM_400000_NS6detail17trampoline_kernelINS0_14default_configENS1_22reduce_config_selectorIyEEZNS1_11reduce_implILb1ES3_PyS7_y9plus_mod3IyEEE10hipError_tPvRmT1_T2_T3_mT4_P12ihipStream_tbEUlT_E0_NS1_11comp_targetILNS1_3genE3ELNS1_11target_archE908ELNS1_3gpuE7ELNS1_3repE0EEENS1_30default_config_static_selectorELNS0_4arch9wavefront6targetE1EEEvSD_: ; @_ZN7rocprim17ROCPRIM_400000_NS6detail17trampoline_kernelINS0_14default_configENS1_22reduce_config_selectorIyEEZNS1_11reduce_implILb1ES3_PyS7_y9plus_mod3IyEEE10hipError_tPvRmT1_T2_T3_mT4_P12ihipStream_tbEUlT_E0_NS1_11comp_targetILNS1_3genE3ELNS1_11target_archE908ELNS1_3gpuE7ELNS1_3repE0EEENS1_30default_config_static_selectorELNS0_4arch9wavefront6targetE1EEEvSD_
; %bb.0:
	.section	.rodata,"a",@progbits
	.p2align	6, 0x0
	.amdhsa_kernel _ZN7rocprim17ROCPRIM_400000_NS6detail17trampoline_kernelINS0_14default_configENS1_22reduce_config_selectorIyEEZNS1_11reduce_implILb1ES3_PyS7_y9plus_mod3IyEEE10hipError_tPvRmT1_T2_T3_mT4_P12ihipStream_tbEUlT_E0_NS1_11comp_targetILNS1_3genE3ELNS1_11target_archE908ELNS1_3gpuE7ELNS1_3repE0EEENS1_30default_config_static_selectorELNS0_4arch9wavefront6targetE1EEEvSD_
		.amdhsa_group_segment_fixed_size 0
		.amdhsa_private_segment_fixed_size 0
		.amdhsa_kernarg_size 64
		.amdhsa_user_sgpr_count 2
		.amdhsa_user_sgpr_dispatch_ptr 0
		.amdhsa_user_sgpr_queue_ptr 0
		.amdhsa_user_sgpr_kernarg_segment_ptr 1
		.amdhsa_user_sgpr_dispatch_id 0
		.amdhsa_user_sgpr_kernarg_preload_length 0
		.amdhsa_user_sgpr_kernarg_preload_offset 0
		.amdhsa_user_sgpr_private_segment_size 0
		.amdhsa_uses_dynamic_stack 0
		.amdhsa_enable_private_segment 0
		.amdhsa_system_sgpr_workgroup_id_x 1
		.amdhsa_system_sgpr_workgroup_id_y 0
		.amdhsa_system_sgpr_workgroup_id_z 0
		.amdhsa_system_sgpr_workgroup_info 0
		.amdhsa_system_vgpr_workitem_id 0
		.amdhsa_next_free_vgpr 1
		.amdhsa_next_free_sgpr 0
		.amdhsa_accum_offset 4
		.amdhsa_reserve_vcc 0
		.amdhsa_float_round_mode_32 0
		.amdhsa_float_round_mode_16_64 0
		.amdhsa_float_denorm_mode_32 3
		.amdhsa_float_denorm_mode_16_64 3
		.amdhsa_dx10_clamp 1
		.amdhsa_ieee_mode 1
		.amdhsa_fp16_overflow 0
		.amdhsa_tg_split 0
		.amdhsa_exception_fp_ieee_invalid_op 0
		.amdhsa_exception_fp_denorm_src 0
		.amdhsa_exception_fp_ieee_div_zero 0
		.amdhsa_exception_fp_ieee_overflow 0
		.amdhsa_exception_fp_ieee_underflow 0
		.amdhsa_exception_fp_ieee_inexact 0
		.amdhsa_exception_int_div_zero 0
	.end_amdhsa_kernel
	.section	.text._ZN7rocprim17ROCPRIM_400000_NS6detail17trampoline_kernelINS0_14default_configENS1_22reduce_config_selectorIyEEZNS1_11reduce_implILb1ES3_PyS7_y9plus_mod3IyEEE10hipError_tPvRmT1_T2_T3_mT4_P12ihipStream_tbEUlT_E0_NS1_11comp_targetILNS1_3genE3ELNS1_11target_archE908ELNS1_3gpuE7ELNS1_3repE0EEENS1_30default_config_static_selectorELNS0_4arch9wavefront6targetE1EEEvSD_,"axG",@progbits,_ZN7rocprim17ROCPRIM_400000_NS6detail17trampoline_kernelINS0_14default_configENS1_22reduce_config_selectorIyEEZNS1_11reduce_implILb1ES3_PyS7_y9plus_mod3IyEEE10hipError_tPvRmT1_T2_T3_mT4_P12ihipStream_tbEUlT_E0_NS1_11comp_targetILNS1_3genE3ELNS1_11target_archE908ELNS1_3gpuE7ELNS1_3repE0EEENS1_30default_config_static_selectorELNS0_4arch9wavefront6targetE1EEEvSD_,comdat
.Lfunc_end770:
	.size	_ZN7rocprim17ROCPRIM_400000_NS6detail17trampoline_kernelINS0_14default_configENS1_22reduce_config_selectorIyEEZNS1_11reduce_implILb1ES3_PyS7_y9plus_mod3IyEEE10hipError_tPvRmT1_T2_T3_mT4_P12ihipStream_tbEUlT_E0_NS1_11comp_targetILNS1_3genE3ELNS1_11target_archE908ELNS1_3gpuE7ELNS1_3repE0EEENS1_30default_config_static_selectorELNS0_4arch9wavefront6targetE1EEEvSD_, .Lfunc_end770-_ZN7rocprim17ROCPRIM_400000_NS6detail17trampoline_kernelINS0_14default_configENS1_22reduce_config_selectorIyEEZNS1_11reduce_implILb1ES3_PyS7_y9plus_mod3IyEEE10hipError_tPvRmT1_T2_T3_mT4_P12ihipStream_tbEUlT_E0_NS1_11comp_targetILNS1_3genE3ELNS1_11target_archE908ELNS1_3gpuE7ELNS1_3repE0EEENS1_30default_config_static_selectorELNS0_4arch9wavefront6targetE1EEEvSD_
                                        ; -- End function
	.set _ZN7rocprim17ROCPRIM_400000_NS6detail17trampoline_kernelINS0_14default_configENS1_22reduce_config_selectorIyEEZNS1_11reduce_implILb1ES3_PyS7_y9plus_mod3IyEEE10hipError_tPvRmT1_T2_T3_mT4_P12ihipStream_tbEUlT_E0_NS1_11comp_targetILNS1_3genE3ELNS1_11target_archE908ELNS1_3gpuE7ELNS1_3repE0EEENS1_30default_config_static_selectorELNS0_4arch9wavefront6targetE1EEEvSD_.num_vgpr, 0
	.set _ZN7rocprim17ROCPRIM_400000_NS6detail17trampoline_kernelINS0_14default_configENS1_22reduce_config_selectorIyEEZNS1_11reduce_implILb1ES3_PyS7_y9plus_mod3IyEEE10hipError_tPvRmT1_T2_T3_mT4_P12ihipStream_tbEUlT_E0_NS1_11comp_targetILNS1_3genE3ELNS1_11target_archE908ELNS1_3gpuE7ELNS1_3repE0EEENS1_30default_config_static_selectorELNS0_4arch9wavefront6targetE1EEEvSD_.num_agpr, 0
	.set _ZN7rocprim17ROCPRIM_400000_NS6detail17trampoline_kernelINS0_14default_configENS1_22reduce_config_selectorIyEEZNS1_11reduce_implILb1ES3_PyS7_y9plus_mod3IyEEE10hipError_tPvRmT1_T2_T3_mT4_P12ihipStream_tbEUlT_E0_NS1_11comp_targetILNS1_3genE3ELNS1_11target_archE908ELNS1_3gpuE7ELNS1_3repE0EEENS1_30default_config_static_selectorELNS0_4arch9wavefront6targetE1EEEvSD_.numbered_sgpr, 0
	.set _ZN7rocprim17ROCPRIM_400000_NS6detail17trampoline_kernelINS0_14default_configENS1_22reduce_config_selectorIyEEZNS1_11reduce_implILb1ES3_PyS7_y9plus_mod3IyEEE10hipError_tPvRmT1_T2_T3_mT4_P12ihipStream_tbEUlT_E0_NS1_11comp_targetILNS1_3genE3ELNS1_11target_archE908ELNS1_3gpuE7ELNS1_3repE0EEENS1_30default_config_static_selectorELNS0_4arch9wavefront6targetE1EEEvSD_.num_named_barrier, 0
	.set _ZN7rocprim17ROCPRIM_400000_NS6detail17trampoline_kernelINS0_14default_configENS1_22reduce_config_selectorIyEEZNS1_11reduce_implILb1ES3_PyS7_y9plus_mod3IyEEE10hipError_tPvRmT1_T2_T3_mT4_P12ihipStream_tbEUlT_E0_NS1_11comp_targetILNS1_3genE3ELNS1_11target_archE908ELNS1_3gpuE7ELNS1_3repE0EEENS1_30default_config_static_selectorELNS0_4arch9wavefront6targetE1EEEvSD_.private_seg_size, 0
	.set _ZN7rocprim17ROCPRIM_400000_NS6detail17trampoline_kernelINS0_14default_configENS1_22reduce_config_selectorIyEEZNS1_11reduce_implILb1ES3_PyS7_y9plus_mod3IyEEE10hipError_tPvRmT1_T2_T3_mT4_P12ihipStream_tbEUlT_E0_NS1_11comp_targetILNS1_3genE3ELNS1_11target_archE908ELNS1_3gpuE7ELNS1_3repE0EEENS1_30default_config_static_selectorELNS0_4arch9wavefront6targetE1EEEvSD_.uses_vcc, 0
	.set _ZN7rocprim17ROCPRIM_400000_NS6detail17trampoline_kernelINS0_14default_configENS1_22reduce_config_selectorIyEEZNS1_11reduce_implILb1ES3_PyS7_y9plus_mod3IyEEE10hipError_tPvRmT1_T2_T3_mT4_P12ihipStream_tbEUlT_E0_NS1_11comp_targetILNS1_3genE3ELNS1_11target_archE908ELNS1_3gpuE7ELNS1_3repE0EEENS1_30default_config_static_selectorELNS0_4arch9wavefront6targetE1EEEvSD_.uses_flat_scratch, 0
	.set _ZN7rocprim17ROCPRIM_400000_NS6detail17trampoline_kernelINS0_14default_configENS1_22reduce_config_selectorIyEEZNS1_11reduce_implILb1ES3_PyS7_y9plus_mod3IyEEE10hipError_tPvRmT1_T2_T3_mT4_P12ihipStream_tbEUlT_E0_NS1_11comp_targetILNS1_3genE3ELNS1_11target_archE908ELNS1_3gpuE7ELNS1_3repE0EEENS1_30default_config_static_selectorELNS0_4arch9wavefront6targetE1EEEvSD_.has_dyn_sized_stack, 0
	.set _ZN7rocprim17ROCPRIM_400000_NS6detail17trampoline_kernelINS0_14default_configENS1_22reduce_config_selectorIyEEZNS1_11reduce_implILb1ES3_PyS7_y9plus_mod3IyEEE10hipError_tPvRmT1_T2_T3_mT4_P12ihipStream_tbEUlT_E0_NS1_11comp_targetILNS1_3genE3ELNS1_11target_archE908ELNS1_3gpuE7ELNS1_3repE0EEENS1_30default_config_static_selectorELNS0_4arch9wavefront6targetE1EEEvSD_.has_recursion, 0
	.set _ZN7rocprim17ROCPRIM_400000_NS6detail17trampoline_kernelINS0_14default_configENS1_22reduce_config_selectorIyEEZNS1_11reduce_implILb1ES3_PyS7_y9plus_mod3IyEEE10hipError_tPvRmT1_T2_T3_mT4_P12ihipStream_tbEUlT_E0_NS1_11comp_targetILNS1_3genE3ELNS1_11target_archE908ELNS1_3gpuE7ELNS1_3repE0EEENS1_30default_config_static_selectorELNS0_4arch9wavefront6targetE1EEEvSD_.has_indirect_call, 0
	.section	.AMDGPU.csdata,"",@progbits
; Kernel info:
; codeLenInByte = 0
; TotalNumSgprs: 6
; NumVgprs: 0
; NumAgprs: 0
; TotalNumVgprs: 0
; ScratchSize: 0
; MemoryBound: 0
; FloatMode: 240
; IeeeMode: 1
; LDSByteSize: 0 bytes/workgroup (compile time only)
; SGPRBlocks: 0
; VGPRBlocks: 0
; NumSGPRsForWavesPerEU: 6
; NumVGPRsForWavesPerEU: 1
; AccumOffset: 4
; Occupancy: 8
; WaveLimiterHint : 0
; COMPUTE_PGM_RSRC2:SCRATCH_EN: 0
; COMPUTE_PGM_RSRC2:USER_SGPR: 2
; COMPUTE_PGM_RSRC2:TRAP_HANDLER: 0
; COMPUTE_PGM_RSRC2:TGID_X_EN: 1
; COMPUTE_PGM_RSRC2:TGID_Y_EN: 0
; COMPUTE_PGM_RSRC2:TGID_Z_EN: 0
; COMPUTE_PGM_RSRC2:TIDIG_COMP_CNT: 0
; COMPUTE_PGM_RSRC3_GFX90A:ACCUM_OFFSET: 0
; COMPUTE_PGM_RSRC3_GFX90A:TG_SPLIT: 0
	.section	.text._ZN7rocprim17ROCPRIM_400000_NS6detail17trampoline_kernelINS0_14default_configENS1_22reduce_config_selectorIyEEZNS1_11reduce_implILb1ES3_PyS7_y9plus_mod3IyEEE10hipError_tPvRmT1_T2_T3_mT4_P12ihipStream_tbEUlT_E0_NS1_11comp_targetILNS1_3genE2ELNS1_11target_archE906ELNS1_3gpuE6ELNS1_3repE0EEENS1_30default_config_static_selectorELNS0_4arch9wavefront6targetE1EEEvSD_,"axG",@progbits,_ZN7rocprim17ROCPRIM_400000_NS6detail17trampoline_kernelINS0_14default_configENS1_22reduce_config_selectorIyEEZNS1_11reduce_implILb1ES3_PyS7_y9plus_mod3IyEEE10hipError_tPvRmT1_T2_T3_mT4_P12ihipStream_tbEUlT_E0_NS1_11comp_targetILNS1_3genE2ELNS1_11target_archE906ELNS1_3gpuE6ELNS1_3repE0EEENS1_30default_config_static_selectorELNS0_4arch9wavefront6targetE1EEEvSD_,comdat
	.protected	_ZN7rocprim17ROCPRIM_400000_NS6detail17trampoline_kernelINS0_14default_configENS1_22reduce_config_selectorIyEEZNS1_11reduce_implILb1ES3_PyS7_y9plus_mod3IyEEE10hipError_tPvRmT1_T2_T3_mT4_P12ihipStream_tbEUlT_E0_NS1_11comp_targetILNS1_3genE2ELNS1_11target_archE906ELNS1_3gpuE6ELNS1_3repE0EEENS1_30default_config_static_selectorELNS0_4arch9wavefront6targetE1EEEvSD_ ; -- Begin function _ZN7rocprim17ROCPRIM_400000_NS6detail17trampoline_kernelINS0_14default_configENS1_22reduce_config_selectorIyEEZNS1_11reduce_implILb1ES3_PyS7_y9plus_mod3IyEEE10hipError_tPvRmT1_T2_T3_mT4_P12ihipStream_tbEUlT_E0_NS1_11comp_targetILNS1_3genE2ELNS1_11target_archE906ELNS1_3gpuE6ELNS1_3repE0EEENS1_30default_config_static_selectorELNS0_4arch9wavefront6targetE1EEEvSD_
	.globl	_ZN7rocprim17ROCPRIM_400000_NS6detail17trampoline_kernelINS0_14default_configENS1_22reduce_config_selectorIyEEZNS1_11reduce_implILb1ES3_PyS7_y9plus_mod3IyEEE10hipError_tPvRmT1_T2_T3_mT4_P12ihipStream_tbEUlT_E0_NS1_11comp_targetILNS1_3genE2ELNS1_11target_archE906ELNS1_3gpuE6ELNS1_3repE0EEENS1_30default_config_static_selectorELNS0_4arch9wavefront6targetE1EEEvSD_
	.p2align	8
	.type	_ZN7rocprim17ROCPRIM_400000_NS6detail17trampoline_kernelINS0_14default_configENS1_22reduce_config_selectorIyEEZNS1_11reduce_implILb1ES3_PyS7_y9plus_mod3IyEEE10hipError_tPvRmT1_T2_T3_mT4_P12ihipStream_tbEUlT_E0_NS1_11comp_targetILNS1_3genE2ELNS1_11target_archE906ELNS1_3gpuE6ELNS1_3repE0EEENS1_30default_config_static_selectorELNS0_4arch9wavefront6targetE1EEEvSD_,@function
_ZN7rocprim17ROCPRIM_400000_NS6detail17trampoline_kernelINS0_14default_configENS1_22reduce_config_selectorIyEEZNS1_11reduce_implILb1ES3_PyS7_y9plus_mod3IyEEE10hipError_tPvRmT1_T2_T3_mT4_P12ihipStream_tbEUlT_E0_NS1_11comp_targetILNS1_3genE2ELNS1_11target_archE906ELNS1_3gpuE6ELNS1_3repE0EEENS1_30default_config_static_selectorELNS0_4arch9wavefront6targetE1EEEvSD_: ; @_ZN7rocprim17ROCPRIM_400000_NS6detail17trampoline_kernelINS0_14default_configENS1_22reduce_config_selectorIyEEZNS1_11reduce_implILb1ES3_PyS7_y9plus_mod3IyEEE10hipError_tPvRmT1_T2_T3_mT4_P12ihipStream_tbEUlT_E0_NS1_11comp_targetILNS1_3genE2ELNS1_11target_archE906ELNS1_3gpuE6ELNS1_3repE0EEENS1_30default_config_static_selectorELNS0_4arch9wavefront6targetE1EEEvSD_
; %bb.0:
	.section	.rodata,"a",@progbits
	.p2align	6, 0x0
	.amdhsa_kernel _ZN7rocprim17ROCPRIM_400000_NS6detail17trampoline_kernelINS0_14default_configENS1_22reduce_config_selectorIyEEZNS1_11reduce_implILb1ES3_PyS7_y9plus_mod3IyEEE10hipError_tPvRmT1_T2_T3_mT4_P12ihipStream_tbEUlT_E0_NS1_11comp_targetILNS1_3genE2ELNS1_11target_archE906ELNS1_3gpuE6ELNS1_3repE0EEENS1_30default_config_static_selectorELNS0_4arch9wavefront6targetE1EEEvSD_
		.amdhsa_group_segment_fixed_size 0
		.amdhsa_private_segment_fixed_size 0
		.amdhsa_kernarg_size 64
		.amdhsa_user_sgpr_count 2
		.amdhsa_user_sgpr_dispatch_ptr 0
		.amdhsa_user_sgpr_queue_ptr 0
		.amdhsa_user_sgpr_kernarg_segment_ptr 1
		.amdhsa_user_sgpr_dispatch_id 0
		.amdhsa_user_sgpr_kernarg_preload_length 0
		.amdhsa_user_sgpr_kernarg_preload_offset 0
		.amdhsa_user_sgpr_private_segment_size 0
		.amdhsa_uses_dynamic_stack 0
		.amdhsa_enable_private_segment 0
		.amdhsa_system_sgpr_workgroup_id_x 1
		.amdhsa_system_sgpr_workgroup_id_y 0
		.amdhsa_system_sgpr_workgroup_id_z 0
		.amdhsa_system_sgpr_workgroup_info 0
		.amdhsa_system_vgpr_workitem_id 0
		.amdhsa_next_free_vgpr 1
		.amdhsa_next_free_sgpr 0
		.amdhsa_accum_offset 4
		.amdhsa_reserve_vcc 0
		.amdhsa_float_round_mode_32 0
		.amdhsa_float_round_mode_16_64 0
		.amdhsa_float_denorm_mode_32 3
		.amdhsa_float_denorm_mode_16_64 3
		.amdhsa_dx10_clamp 1
		.amdhsa_ieee_mode 1
		.amdhsa_fp16_overflow 0
		.amdhsa_tg_split 0
		.amdhsa_exception_fp_ieee_invalid_op 0
		.amdhsa_exception_fp_denorm_src 0
		.amdhsa_exception_fp_ieee_div_zero 0
		.amdhsa_exception_fp_ieee_overflow 0
		.amdhsa_exception_fp_ieee_underflow 0
		.amdhsa_exception_fp_ieee_inexact 0
		.amdhsa_exception_int_div_zero 0
	.end_amdhsa_kernel
	.section	.text._ZN7rocprim17ROCPRIM_400000_NS6detail17trampoline_kernelINS0_14default_configENS1_22reduce_config_selectorIyEEZNS1_11reduce_implILb1ES3_PyS7_y9plus_mod3IyEEE10hipError_tPvRmT1_T2_T3_mT4_P12ihipStream_tbEUlT_E0_NS1_11comp_targetILNS1_3genE2ELNS1_11target_archE906ELNS1_3gpuE6ELNS1_3repE0EEENS1_30default_config_static_selectorELNS0_4arch9wavefront6targetE1EEEvSD_,"axG",@progbits,_ZN7rocprim17ROCPRIM_400000_NS6detail17trampoline_kernelINS0_14default_configENS1_22reduce_config_selectorIyEEZNS1_11reduce_implILb1ES3_PyS7_y9plus_mod3IyEEE10hipError_tPvRmT1_T2_T3_mT4_P12ihipStream_tbEUlT_E0_NS1_11comp_targetILNS1_3genE2ELNS1_11target_archE906ELNS1_3gpuE6ELNS1_3repE0EEENS1_30default_config_static_selectorELNS0_4arch9wavefront6targetE1EEEvSD_,comdat
.Lfunc_end771:
	.size	_ZN7rocprim17ROCPRIM_400000_NS6detail17trampoline_kernelINS0_14default_configENS1_22reduce_config_selectorIyEEZNS1_11reduce_implILb1ES3_PyS7_y9plus_mod3IyEEE10hipError_tPvRmT1_T2_T3_mT4_P12ihipStream_tbEUlT_E0_NS1_11comp_targetILNS1_3genE2ELNS1_11target_archE906ELNS1_3gpuE6ELNS1_3repE0EEENS1_30default_config_static_selectorELNS0_4arch9wavefront6targetE1EEEvSD_, .Lfunc_end771-_ZN7rocprim17ROCPRIM_400000_NS6detail17trampoline_kernelINS0_14default_configENS1_22reduce_config_selectorIyEEZNS1_11reduce_implILb1ES3_PyS7_y9plus_mod3IyEEE10hipError_tPvRmT1_T2_T3_mT4_P12ihipStream_tbEUlT_E0_NS1_11comp_targetILNS1_3genE2ELNS1_11target_archE906ELNS1_3gpuE6ELNS1_3repE0EEENS1_30default_config_static_selectorELNS0_4arch9wavefront6targetE1EEEvSD_
                                        ; -- End function
	.set _ZN7rocprim17ROCPRIM_400000_NS6detail17trampoline_kernelINS0_14default_configENS1_22reduce_config_selectorIyEEZNS1_11reduce_implILb1ES3_PyS7_y9plus_mod3IyEEE10hipError_tPvRmT1_T2_T3_mT4_P12ihipStream_tbEUlT_E0_NS1_11comp_targetILNS1_3genE2ELNS1_11target_archE906ELNS1_3gpuE6ELNS1_3repE0EEENS1_30default_config_static_selectorELNS0_4arch9wavefront6targetE1EEEvSD_.num_vgpr, 0
	.set _ZN7rocprim17ROCPRIM_400000_NS6detail17trampoline_kernelINS0_14default_configENS1_22reduce_config_selectorIyEEZNS1_11reduce_implILb1ES3_PyS7_y9plus_mod3IyEEE10hipError_tPvRmT1_T2_T3_mT4_P12ihipStream_tbEUlT_E0_NS1_11comp_targetILNS1_3genE2ELNS1_11target_archE906ELNS1_3gpuE6ELNS1_3repE0EEENS1_30default_config_static_selectorELNS0_4arch9wavefront6targetE1EEEvSD_.num_agpr, 0
	.set _ZN7rocprim17ROCPRIM_400000_NS6detail17trampoline_kernelINS0_14default_configENS1_22reduce_config_selectorIyEEZNS1_11reduce_implILb1ES3_PyS7_y9plus_mod3IyEEE10hipError_tPvRmT1_T2_T3_mT4_P12ihipStream_tbEUlT_E0_NS1_11comp_targetILNS1_3genE2ELNS1_11target_archE906ELNS1_3gpuE6ELNS1_3repE0EEENS1_30default_config_static_selectorELNS0_4arch9wavefront6targetE1EEEvSD_.numbered_sgpr, 0
	.set _ZN7rocprim17ROCPRIM_400000_NS6detail17trampoline_kernelINS0_14default_configENS1_22reduce_config_selectorIyEEZNS1_11reduce_implILb1ES3_PyS7_y9plus_mod3IyEEE10hipError_tPvRmT1_T2_T3_mT4_P12ihipStream_tbEUlT_E0_NS1_11comp_targetILNS1_3genE2ELNS1_11target_archE906ELNS1_3gpuE6ELNS1_3repE0EEENS1_30default_config_static_selectorELNS0_4arch9wavefront6targetE1EEEvSD_.num_named_barrier, 0
	.set _ZN7rocprim17ROCPRIM_400000_NS6detail17trampoline_kernelINS0_14default_configENS1_22reduce_config_selectorIyEEZNS1_11reduce_implILb1ES3_PyS7_y9plus_mod3IyEEE10hipError_tPvRmT1_T2_T3_mT4_P12ihipStream_tbEUlT_E0_NS1_11comp_targetILNS1_3genE2ELNS1_11target_archE906ELNS1_3gpuE6ELNS1_3repE0EEENS1_30default_config_static_selectorELNS0_4arch9wavefront6targetE1EEEvSD_.private_seg_size, 0
	.set _ZN7rocprim17ROCPRIM_400000_NS6detail17trampoline_kernelINS0_14default_configENS1_22reduce_config_selectorIyEEZNS1_11reduce_implILb1ES3_PyS7_y9plus_mod3IyEEE10hipError_tPvRmT1_T2_T3_mT4_P12ihipStream_tbEUlT_E0_NS1_11comp_targetILNS1_3genE2ELNS1_11target_archE906ELNS1_3gpuE6ELNS1_3repE0EEENS1_30default_config_static_selectorELNS0_4arch9wavefront6targetE1EEEvSD_.uses_vcc, 0
	.set _ZN7rocprim17ROCPRIM_400000_NS6detail17trampoline_kernelINS0_14default_configENS1_22reduce_config_selectorIyEEZNS1_11reduce_implILb1ES3_PyS7_y9plus_mod3IyEEE10hipError_tPvRmT1_T2_T3_mT4_P12ihipStream_tbEUlT_E0_NS1_11comp_targetILNS1_3genE2ELNS1_11target_archE906ELNS1_3gpuE6ELNS1_3repE0EEENS1_30default_config_static_selectorELNS0_4arch9wavefront6targetE1EEEvSD_.uses_flat_scratch, 0
	.set _ZN7rocprim17ROCPRIM_400000_NS6detail17trampoline_kernelINS0_14default_configENS1_22reduce_config_selectorIyEEZNS1_11reduce_implILb1ES3_PyS7_y9plus_mod3IyEEE10hipError_tPvRmT1_T2_T3_mT4_P12ihipStream_tbEUlT_E0_NS1_11comp_targetILNS1_3genE2ELNS1_11target_archE906ELNS1_3gpuE6ELNS1_3repE0EEENS1_30default_config_static_selectorELNS0_4arch9wavefront6targetE1EEEvSD_.has_dyn_sized_stack, 0
	.set _ZN7rocprim17ROCPRIM_400000_NS6detail17trampoline_kernelINS0_14default_configENS1_22reduce_config_selectorIyEEZNS1_11reduce_implILb1ES3_PyS7_y9plus_mod3IyEEE10hipError_tPvRmT1_T2_T3_mT4_P12ihipStream_tbEUlT_E0_NS1_11comp_targetILNS1_3genE2ELNS1_11target_archE906ELNS1_3gpuE6ELNS1_3repE0EEENS1_30default_config_static_selectorELNS0_4arch9wavefront6targetE1EEEvSD_.has_recursion, 0
	.set _ZN7rocprim17ROCPRIM_400000_NS6detail17trampoline_kernelINS0_14default_configENS1_22reduce_config_selectorIyEEZNS1_11reduce_implILb1ES3_PyS7_y9plus_mod3IyEEE10hipError_tPvRmT1_T2_T3_mT4_P12ihipStream_tbEUlT_E0_NS1_11comp_targetILNS1_3genE2ELNS1_11target_archE906ELNS1_3gpuE6ELNS1_3repE0EEENS1_30default_config_static_selectorELNS0_4arch9wavefront6targetE1EEEvSD_.has_indirect_call, 0
	.section	.AMDGPU.csdata,"",@progbits
; Kernel info:
; codeLenInByte = 0
; TotalNumSgprs: 6
; NumVgprs: 0
; NumAgprs: 0
; TotalNumVgprs: 0
; ScratchSize: 0
; MemoryBound: 0
; FloatMode: 240
; IeeeMode: 1
; LDSByteSize: 0 bytes/workgroup (compile time only)
; SGPRBlocks: 0
; VGPRBlocks: 0
; NumSGPRsForWavesPerEU: 6
; NumVGPRsForWavesPerEU: 1
; AccumOffset: 4
; Occupancy: 8
; WaveLimiterHint : 0
; COMPUTE_PGM_RSRC2:SCRATCH_EN: 0
; COMPUTE_PGM_RSRC2:USER_SGPR: 2
; COMPUTE_PGM_RSRC2:TRAP_HANDLER: 0
; COMPUTE_PGM_RSRC2:TGID_X_EN: 1
; COMPUTE_PGM_RSRC2:TGID_Y_EN: 0
; COMPUTE_PGM_RSRC2:TGID_Z_EN: 0
; COMPUTE_PGM_RSRC2:TIDIG_COMP_CNT: 0
; COMPUTE_PGM_RSRC3_GFX90A:ACCUM_OFFSET: 0
; COMPUTE_PGM_RSRC3_GFX90A:TG_SPLIT: 0
	.section	.text._ZN7rocprim17ROCPRIM_400000_NS6detail17trampoline_kernelINS0_14default_configENS1_22reduce_config_selectorIyEEZNS1_11reduce_implILb1ES3_PyS7_y9plus_mod3IyEEE10hipError_tPvRmT1_T2_T3_mT4_P12ihipStream_tbEUlT_E0_NS1_11comp_targetILNS1_3genE10ELNS1_11target_archE1201ELNS1_3gpuE5ELNS1_3repE0EEENS1_30default_config_static_selectorELNS0_4arch9wavefront6targetE1EEEvSD_,"axG",@progbits,_ZN7rocprim17ROCPRIM_400000_NS6detail17trampoline_kernelINS0_14default_configENS1_22reduce_config_selectorIyEEZNS1_11reduce_implILb1ES3_PyS7_y9plus_mod3IyEEE10hipError_tPvRmT1_T2_T3_mT4_P12ihipStream_tbEUlT_E0_NS1_11comp_targetILNS1_3genE10ELNS1_11target_archE1201ELNS1_3gpuE5ELNS1_3repE0EEENS1_30default_config_static_selectorELNS0_4arch9wavefront6targetE1EEEvSD_,comdat
	.protected	_ZN7rocprim17ROCPRIM_400000_NS6detail17trampoline_kernelINS0_14default_configENS1_22reduce_config_selectorIyEEZNS1_11reduce_implILb1ES3_PyS7_y9plus_mod3IyEEE10hipError_tPvRmT1_T2_T3_mT4_P12ihipStream_tbEUlT_E0_NS1_11comp_targetILNS1_3genE10ELNS1_11target_archE1201ELNS1_3gpuE5ELNS1_3repE0EEENS1_30default_config_static_selectorELNS0_4arch9wavefront6targetE1EEEvSD_ ; -- Begin function _ZN7rocprim17ROCPRIM_400000_NS6detail17trampoline_kernelINS0_14default_configENS1_22reduce_config_selectorIyEEZNS1_11reduce_implILb1ES3_PyS7_y9plus_mod3IyEEE10hipError_tPvRmT1_T2_T3_mT4_P12ihipStream_tbEUlT_E0_NS1_11comp_targetILNS1_3genE10ELNS1_11target_archE1201ELNS1_3gpuE5ELNS1_3repE0EEENS1_30default_config_static_selectorELNS0_4arch9wavefront6targetE1EEEvSD_
	.globl	_ZN7rocprim17ROCPRIM_400000_NS6detail17trampoline_kernelINS0_14default_configENS1_22reduce_config_selectorIyEEZNS1_11reduce_implILb1ES3_PyS7_y9plus_mod3IyEEE10hipError_tPvRmT1_T2_T3_mT4_P12ihipStream_tbEUlT_E0_NS1_11comp_targetILNS1_3genE10ELNS1_11target_archE1201ELNS1_3gpuE5ELNS1_3repE0EEENS1_30default_config_static_selectorELNS0_4arch9wavefront6targetE1EEEvSD_
	.p2align	8
	.type	_ZN7rocprim17ROCPRIM_400000_NS6detail17trampoline_kernelINS0_14default_configENS1_22reduce_config_selectorIyEEZNS1_11reduce_implILb1ES3_PyS7_y9plus_mod3IyEEE10hipError_tPvRmT1_T2_T3_mT4_P12ihipStream_tbEUlT_E0_NS1_11comp_targetILNS1_3genE10ELNS1_11target_archE1201ELNS1_3gpuE5ELNS1_3repE0EEENS1_30default_config_static_selectorELNS0_4arch9wavefront6targetE1EEEvSD_,@function
_ZN7rocprim17ROCPRIM_400000_NS6detail17trampoline_kernelINS0_14default_configENS1_22reduce_config_selectorIyEEZNS1_11reduce_implILb1ES3_PyS7_y9plus_mod3IyEEE10hipError_tPvRmT1_T2_T3_mT4_P12ihipStream_tbEUlT_E0_NS1_11comp_targetILNS1_3genE10ELNS1_11target_archE1201ELNS1_3gpuE5ELNS1_3repE0EEENS1_30default_config_static_selectorELNS0_4arch9wavefront6targetE1EEEvSD_: ; @_ZN7rocprim17ROCPRIM_400000_NS6detail17trampoline_kernelINS0_14default_configENS1_22reduce_config_selectorIyEEZNS1_11reduce_implILb1ES3_PyS7_y9plus_mod3IyEEE10hipError_tPvRmT1_T2_T3_mT4_P12ihipStream_tbEUlT_E0_NS1_11comp_targetILNS1_3genE10ELNS1_11target_archE1201ELNS1_3gpuE5ELNS1_3repE0EEENS1_30default_config_static_selectorELNS0_4arch9wavefront6targetE1EEEvSD_
; %bb.0:
	.section	.rodata,"a",@progbits
	.p2align	6, 0x0
	.amdhsa_kernel _ZN7rocprim17ROCPRIM_400000_NS6detail17trampoline_kernelINS0_14default_configENS1_22reduce_config_selectorIyEEZNS1_11reduce_implILb1ES3_PyS7_y9plus_mod3IyEEE10hipError_tPvRmT1_T2_T3_mT4_P12ihipStream_tbEUlT_E0_NS1_11comp_targetILNS1_3genE10ELNS1_11target_archE1201ELNS1_3gpuE5ELNS1_3repE0EEENS1_30default_config_static_selectorELNS0_4arch9wavefront6targetE1EEEvSD_
		.amdhsa_group_segment_fixed_size 0
		.amdhsa_private_segment_fixed_size 0
		.amdhsa_kernarg_size 64
		.amdhsa_user_sgpr_count 2
		.amdhsa_user_sgpr_dispatch_ptr 0
		.amdhsa_user_sgpr_queue_ptr 0
		.amdhsa_user_sgpr_kernarg_segment_ptr 1
		.amdhsa_user_sgpr_dispatch_id 0
		.amdhsa_user_sgpr_kernarg_preload_length 0
		.amdhsa_user_sgpr_kernarg_preload_offset 0
		.amdhsa_user_sgpr_private_segment_size 0
		.amdhsa_uses_dynamic_stack 0
		.amdhsa_enable_private_segment 0
		.amdhsa_system_sgpr_workgroup_id_x 1
		.amdhsa_system_sgpr_workgroup_id_y 0
		.amdhsa_system_sgpr_workgroup_id_z 0
		.amdhsa_system_sgpr_workgroup_info 0
		.amdhsa_system_vgpr_workitem_id 0
		.amdhsa_next_free_vgpr 1
		.amdhsa_next_free_sgpr 0
		.amdhsa_accum_offset 4
		.amdhsa_reserve_vcc 0
		.amdhsa_float_round_mode_32 0
		.amdhsa_float_round_mode_16_64 0
		.amdhsa_float_denorm_mode_32 3
		.amdhsa_float_denorm_mode_16_64 3
		.amdhsa_dx10_clamp 1
		.amdhsa_ieee_mode 1
		.amdhsa_fp16_overflow 0
		.amdhsa_tg_split 0
		.amdhsa_exception_fp_ieee_invalid_op 0
		.amdhsa_exception_fp_denorm_src 0
		.amdhsa_exception_fp_ieee_div_zero 0
		.amdhsa_exception_fp_ieee_overflow 0
		.amdhsa_exception_fp_ieee_underflow 0
		.amdhsa_exception_fp_ieee_inexact 0
		.amdhsa_exception_int_div_zero 0
	.end_amdhsa_kernel
	.section	.text._ZN7rocprim17ROCPRIM_400000_NS6detail17trampoline_kernelINS0_14default_configENS1_22reduce_config_selectorIyEEZNS1_11reduce_implILb1ES3_PyS7_y9plus_mod3IyEEE10hipError_tPvRmT1_T2_T3_mT4_P12ihipStream_tbEUlT_E0_NS1_11comp_targetILNS1_3genE10ELNS1_11target_archE1201ELNS1_3gpuE5ELNS1_3repE0EEENS1_30default_config_static_selectorELNS0_4arch9wavefront6targetE1EEEvSD_,"axG",@progbits,_ZN7rocprim17ROCPRIM_400000_NS6detail17trampoline_kernelINS0_14default_configENS1_22reduce_config_selectorIyEEZNS1_11reduce_implILb1ES3_PyS7_y9plus_mod3IyEEE10hipError_tPvRmT1_T2_T3_mT4_P12ihipStream_tbEUlT_E0_NS1_11comp_targetILNS1_3genE10ELNS1_11target_archE1201ELNS1_3gpuE5ELNS1_3repE0EEENS1_30default_config_static_selectorELNS0_4arch9wavefront6targetE1EEEvSD_,comdat
.Lfunc_end772:
	.size	_ZN7rocprim17ROCPRIM_400000_NS6detail17trampoline_kernelINS0_14default_configENS1_22reduce_config_selectorIyEEZNS1_11reduce_implILb1ES3_PyS7_y9plus_mod3IyEEE10hipError_tPvRmT1_T2_T3_mT4_P12ihipStream_tbEUlT_E0_NS1_11comp_targetILNS1_3genE10ELNS1_11target_archE1201ELNS1_3gpuE5ELNS1_3repE0EEENS1_30default_config_static_selectorELNS0_4arch9wavefront6targetE1EEEvSD_, .Lfunc_end772-_ZN7rocprim17ROCPRIM_400000_NS6detail17trampoline_kernelINS0_14default_configENS1_22reduce_config_selectorIyEEZNS1_11reduce_implILb1ES3_PyS7_y9plus_mod3IyEEE10hipError_tPvRmT1_T2_T3_mT4_P12ihipStream_tbEUlT_E0_NS1_11comp_targetILNS1_3genE10ELNS1_11target_archE1201ELNS1_3gpuE5ELNS1_3repE0EEENS1_30default_config_static_selectorELNS0_4arch9wavefront6targetE1EEEvSD_
                                        ; -- End function
	.set _ZN7rocprim17ROCPRIM_400000_NS6detail17trampoline_kernelINS0_14default_configENS1_22reduce_config_selectorIyEEZNS1_11reduce_implILb1ES3_PyS7_y9plus_mod3IyEEE10hipError_tPvRmT1_T2_T3_mT4_P12ihipStream_tbEUlT_E0_NS1_11comp_targetILNS1_3genE10ELNS1_11target_archE1201ELNS1_3gpuE5ELNS1_3repE0EEENS1_30default_config_static_selectorELNS0_4arch9wavefront6targetE1EEEvSD_.num_vgpr, 0
	.set _ZN7rocprim17ROCPRIM_400000_NS6detail17trampoline_kernelINS0_14default_configENS1_22reduce_config_selectorIyEEZNS1_11reduce_implILb1ES3_PyS7_y9plus_mod3IyEEE10hipError_tPvRmT1_T2_T3_mT4_P12ihipStream_tbEUlT_E0_NS1_11comp_targetILNS1_3genE10ELNS1_11target_archE1201ELNS1_3gpuE5ELNS1_3repE0EEENS1_30default_config_static_selectorELNS0_4arch9wavefront6targetE1EEEvSD_.num_agpr, 0
	.set _ZN7rocprim17ROCPRIM_400000_NS6detail17trampoline_kernelINS0_14default_configENS1_22reduce_config_selectorIyEEZNS1_11reduce_implILb1ES3_PyS7_y9plus_mod3IyEEE10hipError_tPvRmT1_T2_T3_mT4_P12ihipStream_tbEUlT_E0_NS1_11comp_targetILNS1_3genE10ELNS1_11target_archE1201ELNS1_3gpuE5ELNS1_3repE0EEENS1_30default_config_static_selectorELNS0_4arch9wavefront6targetE1EEEvSD_.numbered_sgpr, 0
	.set _ZN7rocprim17ROCPRIM_400000_NS6detail17trampoline_kernelINS0_14default_configENS1_22reduce_config_selectorIyEEZNS1_11reduce_implILb1ES3_PyS7_y9plus_mod3IyEEE10hipError_tPvRmT1_T2_T3_mT4_P12ihipStream_tbEUlT_E0_NS1_11comp_targetILNS1_3genE10ELNS1_11target_archE1201ELNS1_3gpuE5ELNS1_3repE0EEENS1_30default_config_static_selectorELNS0_4arch9wavefront6targetE1EEEvSD_.num_named_barrier, 0
	.set _ZN7rocprim17ROCPRIM_400000_NS6detail17trampoline_kernelINS0_14default_configENS1_22reduce_config_selectorIyEEZNS1_11reduce_implILb1ES3_PyS7_y9plus_mod3IyEEE10hipError_tPvRmT1_T2_T3_mT4_P12ihipStream_tbEUlT_E0_NS1_11comp_targetILNS1_3genE10ELNS1_11target_archE1201ELNS1_3gpuE5ELNS1_3repE0EEENS1_30default_config_static_selectorELNS0_4arch9wavefront6targetE1EEEvSD_.private_seg_size, 0
	.set _ZN7rocprim17ROCPRIM_400000_NS6detail17trampoline_kernelINS0_14default_configENS1_22reduce_config_selectorIyEEZNS1_11reduce_implILb1ES3_PyS7_y9plus_mod3IyEEE10hipError_tPvRmT1_T2_T3_mT4_P12ihipStream_tbEUlT_E0_NS1_11comp_targetILNS1_3genE10ELNS1_11target_archE1201ELNS1_3gpuE5ELNS1_3repE0EEENS1_30default_config_static_selectorELNS0_4arch9wavefront6targetE1EEEvSD_.uses_vcc, 0
	.set _ZN7rocprim17ROCPRIM_400000_NS6detail17trampoline_kernelINS0_14default_configENS1_22reduce_config_selectorIyEEZNS1_11reduce_implILb1ES3_PyS7_y9plus_mod3IyEEE10hipError_tPvRmT1_T2_T3_mT4_P12ihipStream_tbEUlT_E0_NS1_11comp_targetILNS1_3genE10ELNS1_11target_archE1201ELNS1_3gpuE5ELNS1_3repE0EEENS1_30default_config_static_selectorELNS0_4arch9wavefront6targetE1EEEvSD_.uses_flat_scratch, 0
	.set _ZN7rocprim17ROCPRIM_400000_NS6detail17trampoline_kernelINS0_14default_configENS1_22reduce_config_selectorIyEEZNS1_11reduce_implILb1ES3_PyS7_y9plus_mod3IyEEE10hipError_tPvRmT1_T2_T3_mT4_P12ihipStream_tbEUlT_E0_NS1_11comp_targetILNS1_3genE10ELNS1_11target_archE1201ELNS1_3gpuE5ELNS1_3repE0EEENS1_30default_config_static_selectorELNS0_4arch9wavefront6targetE1EEEvSD_.has_dyn_sized_stack, 0
	.set _ZN7rocprim17ROCPRIM_400000_NS6detail17trampoline_kernelINS0_14default_configENS1_22reduce_config_selectorIyEEZNS1_11reduce_implILb1ES3_PyS7_y9plus_mod3IyEEE10hipError_tPvRmT1_T2_T3_mT4_P12ihipStream_tbEUlT_E0_NS1_11comp_targetILNS1_3genE10ELNS1_11target_archE1201ELNS1_3gpuE5ELNS1_3repE0EEENS1_30default_config_static_selectorELNS0_4arch9wavefront6targetE1EEEvSD_.has_recursion, 0
	.set _ZN7rocprim17ROCPRIM_400000_NS6detail17trampoline_kernelINS0_14default_configENS1_22reduce_config_selectorIyEEZNS1_11reduce_implILb1ES3_PyS7_y9plus_mod3IyEEE10hipError_tPvRmT1_T2_T3_mT4_P12ihipStream_tbEUlT_E0_NS1_11comp_targetILNS1_3genE10ELNS1_11target_archE1201ELNS1_3gpuE5ELNS1_3repE0EEENS1_30default_config_static_selectorELNS0_4arch9wavefront6targetE1EEEvSD_.has_indirect_call, 0
	.section	.AMDGPU.csdata,"",@progbits
; Kernel info:
; codeLenInByte = 0
; TotalNumSgprs: 6
; NumVgprs: 0
; NumAgprs: 0
; TotalNumVgprs: 0
; ScratchSize: 0
; MemoryBound: 0
; FloatMode: 240
; IeeeMode: 1
; LDSByteSize: 0 bytes/workgroup (compile time only)
; SGPRBlocks: 0
; VGPRBlocks: 0
; NumSGPRsForWavesPerEU: 6
; NumVGPRsForWavesPerEU: 1
; AccumOffset: 4
; Occupancy: 8
; WaveLimiterHint : 0
; COMPUTE_PGM_RSRC2:SCRATCH_EN: 0
; COMPUTE_PGM_RSRC2:USER_SGPR: 2
; COMPUTE_PGM_RSRC2:TRAP_HANDLER: 0
; COMPUTE_PGM_RSRC2:TGID_X_EN: 1
; COMPUTE_PGM_RSRC2:TGID_Y_EN: 0
; COMPUTE_PGM_RSRC2:TGID_Z_EN: 0
; COMPUTE_PGM_RSRC2:TIDIG_COMP_CNT: 0
; COMPUTE_PGM_RSRC3_GFX90A:ACCUM_OFFSET: 0
; COMPUTE_PGM_RSRC3_GFX90A:TG_SPLIT: 0
	.section	.text._ZN7rocprim17ROCPRIM_400000_NS6detail17trampoline_kernelINS0_14default_configENS1_22reduce_config_selectorIyEEZNS1_11reduce_implILb1ES3_PyS7_y9plus_mod3IyEEE10hipError_tPvRmT1_T2_T3_mT4_P12ihipStream_tbEUlT_E0_NS1_11comp_targetILNS1_3genE10ELNS1_11target_archE1200ELNS1_3gpuE4ELNS1_3repE0EEENS1_30default_config_static_selectorELNS0_4arch9wavefront6targetE1EEEvSD_,"axG",@progbits,_ZN7rocprim17ROCPRIM_400000_NS6detail17trampoline_kernelINS0_14default_configENS1_22reduce_config_selectorIyEEZNS1_11reduce_implILb1ES3_PyS7_y9plus_mod3IyEEE10hipError_tPvRmT1_T2_T3_mT4_P12ihipStream_tbEUlT_E0_NS1_11comp_targetILNS1_3genE10ELNS1_11target_archE1200ELNS1_3gpuE4ELNS1_3repE0EEENS1_30default_config_static_selectorELNS0_4arch9wavefront6targetE1EEEvSD_,comdat
	.protected	_ZN7rocprim17ROCPRIM_400000_NS6detail17trampoline_kernelINS0_14default_configENS1_22reduce_config_selectorIyEEZNS1_11reduce_implILb1ES3_PyS7_y9plus_mod3IyEEE10hipError_tPvRmT1_T2_T3_mT4_P12ihipStream_tbEUlT_E0_NS1_11comp_targetILNS1_3genE10ELNS1_11target_archE1200ELNS1_3gpuE4ELNS1_3repE0EEENS1_30default_config_static_selectorELNS0_4arch9wavefront6targetE1EEEvSD_ ; -- Begin function _ZN7rocprim17ROCPRIM_400000_NS6detail17trampoline_kernelINS0_14default_configENS1_22reduce_config_selectorIyEEZNS1_11reduce_implILb1ES3_PyS7_y9plus_mod3IyEEE10hipError_tPvRmT1_T2_T3_mT4_P12ihipStream_tbEUlT_E0_NS1_11comp_targetILNS1_3genE10ELNS1_11target_archE1200ELNS1_3gpuE4ELNS1_3repE0EEENS1_30default_config_static_selectorELNS0_4arch9wavefront6targetE1EEEvSD_
	.globl	_ZN7rocprim17ROCPRIM_400000_NS6detail17trampoline_kernelINS0_14default_configENS1_22reduce_config_selectorIyEEZNS1_11reduce_implILb1ES3_PyS7_y9plus_mod3IyEEE10hipError_tPvRmT1_T2_T3_mT4_P12ihipStream_tbEUlT_E0_NS1_11comp_targetILNS1_3genE10ELNS1_11target_archE1200ELNS1_3gpuE4ELNS1_3repE0EEENS1_30default_config_static_selectorELNS0_4arch9wavefront6targetE1EEEvSD_
	.p2align	8
	.type	_ZN7rocprim17ROCPRIM_400000_NS6detail17trampoline_kernelINS0_14default_configENS1_22reduce_config_selectorIyEEZNS1_11reduce_implILb1ES3_PyS7_y9plus_mod3IyEEE10hipError_tPvRmT1_T2_T3_mT4_P12ihipStream_tbEUlT_E0_NS1_11comp_targetILNS1_3genE10ELNS1_11target_archE1200ELNS1_3gpuE4ELNS1_3repE0EEENS1_30default_config_static_selectorELNS0_4arch9wavefront6targetE1EEEvSD_,@function
_ZN7rocprim17ROCPRIM_400000_NS6detail17trampoline_kernelINS0_14default_configENS1_22reduce_config_selectorIyEEZNS1_11reduce_implILb1ES3_PyS7_y9plus_mod3IyEEE10hipError_tPvRmT1_T2_T3_mT4_P12ihipStream_tbEUlT_E0_NS1_11comp_targetILNS1_3genE10ELNS1_11target_archE1200ELNS1_3gpuE4ELNS1_3repE0EEENS1_30default_config_static_selectorELNS0_4arch9wavefront6targetE1EEEvSD_: ; @_ZN7rocprim17ROCPRIM_400000_NS6detail17trampoline_kernelINS0_14default_configENS1_22reduce_config_selectorIyEEZNS1_11reduce_implILb1ES3_PyS7_y9plus_mod3IyEEE10hipError_tPvRmT1_T2_T3_mT4_P12ihipStream_tbEUlT_E0_NS1_11comp_targetILNS1_3genE10ELNS1_11target_archE1200ELNS1_3gpuE4ELNS1_3repE0EEENS1_30default_config_static_selectorELNS0_4arch9wavefront6targetE1EEEvSD_
; %bb.0:
	.section	.rodata,"a",@progbits
	.p2align	6, 0x0
	.amdhsa_kernel _ZN7rocprim17ROCPRIM_400000_NS6detail17trampoline_kernelINS0_14default_configENS1_22reduce_config_selectorIyEEZNS1_11reduce_implILb1ES3_PyS7_y9plus_mod3IyEEE10hipError_tPvRmT1_T2_T3_mT4_P12ihipStream_tbEUlT_E0_NS1_11comp_targetILNS1_3genE10ELNS1_11target_archE1200ELNS1_3gpuE4ELNS1_3repE0EEENS1_30default_config_static_selectorELNS0_4arch9wavefront6targetE1EEEvSD_
		.amdhsa_group_segment_fixed_size 0
		.amdhsa_private_segment_fixed_size 0
		.amdhsa_kernarg_size 64
		.amdhsa_user_sgpr_count 2
		.amdhsa_user_sgpr_dispatch_ptr 0
		.amdhsa_user_sgpr_queue_ptr 0
		.amdhsa_user_sgpr_kernarg_segment_ptr 1
		.amdhsa_user_sgpr_dispatch_id 0
		.amdhsa_user_sgpr_kernarg_preload_length 0
		.amdhsa_user_sgpr_kernarg_preload_offset 0
		.amdhsa_user_sgpr_private_segment_size 0
		.amdhsa_uses_dynamic_stack 0
		.amdhsa_enable_private_segment 0
		.amdhsa_system_sgpr_workgroup_id_x 1
		.amdhsa_system_sgpr_workgroup_id_y 0
		.amdhsa_system_sgpr_workgroup_id_z 0
		.amdhsa_system_sgpr_workgroup_info 0
		.amdhsa_system_vgpr_workitem_id 0
		.amdhsa_next_free_vgpr 1
		.amdhsa_next_free_sgpr 0
		.amdhsa_accum_offset 4
		.amdhsa_reserve_vcc 0
		.amdhsa_float_round_mode_32 0
		.amdhsa_float_round_mode_16_64 0
		.amdhsa_float_denorm_mode_32 3
		.amdhsa_float_denorm_mode_16_64 3
		.amdhsa_dx10_clamp 1
		.amdhsa_ieee_mode 1
		.amdhsa_fp16_overflow 0
		.amdhsa_tg_split 0
		.amdhsa_exception_fp_ieee_invalid_op 0
		.amdhsa_exception_fp_denorm_src 0
		.amdhsa_exception_fp_ieee_div_zero 0
		.amdhsa_exception_fp_ieee_overflow 0
		.amdhsa_exception_fp_ieee_underflow 0
		.amdhsa_exception_fp_ieee_inexact 0
		.amdhsa_exception_int_div_zero 0
	.end_amdhsa_kernel
	.section	.text._ZN7rocprim17ROCPRIM_400000_NS6detail17trampoline_kernelINS0_14default_configENS1_22reduce_config_selectorIyEEZNS1_11reduce_implILb1ES3_PyS7_y9plus_mod3IyEEE10hipError_tPvRmT1_T2_T3_mT4_P12ihipStream_tbEUlT_E0_NS1_11comp_targetILNS1_3genE10ELNS1_11target_archE1200ELNS1_3gpuE4ELNS1_3repE0EEENS1_30default_config_static_selectorELNS0_4arch9wavefront6targetE1EEEvSD_,"axG",@progbits,_ZN7rocprim17ROCPRIM_400000_NS6detail17trampoline_kernelINS0_14default_configENS1_22reduce_config_selectorIyEEZNS1_11reduce_implILb1ES3_PyS7_y9plus_mod3IyEEE10hipError_tPvRmT1_T2_T3_mT4_P12ihipStream_tbEUlT_E0_NS1_11comp_targetILNS1_3genE10ELNS1_11target_archE1200ELNS1_3gpuE4ELNS1_3repE0EEENS1_30default_config_static_selectorELNS0_4arch9wavefront6targetE1EEEvSD_,comdat
.Lfunc_end773:
	.size	_ZN7rocprim17ROCPRIM_400000_NS6detail17trampoline_kernelINS0_14default_configENS1_22reduce_config_selectorIyEEZNS1_11reduce_implILb1ES3_PyS7_y9plus_mod3IyEEE10hipError_tPvRmT1_T2_T3_mT4_P12ihipStream_tbEUlT_E0_NS1_11comp_targetILNS1_3genE10ELNS1_11target_archE1200ELNS1_3gpuE4ELNS1_3repE0EEENS1_30default_config_static_selectorELNS0_4arch9wavefront6targetE1EEEvSD_, .Lfunc_end773-_ZN7rocprim17ROCPRIM_400000_NS6detail17trampoline_kernelINS0_14default_configENS1_22reduce_config_selectorIyEEZNS1_11reduce_implILb1ES3_PyS7_y9plus_mod3IyEEE10hipError_tPvRmT1_T2_T3_mT4_P12ihipStream_tbEUlT_E0_NS1_11comp_targetILNS1_3genE10ELNS1_11target_archE1200ELNS1_3gpuE4ELNS1_3repE0EEENS1_30default_config_static_selectorELNS0_4arch9wavefront6targetE1EEEvSD_
                                        ; -- End function
	.set _ZN7rocprim17ROCPRIM_400000_NS6detail17trampoline_kernelINS0_14default_configENS1_22reduce_config_selectorIyEEZNS1_11reduce_implILb1ES3_PyS7_y9plus_mod3IyEEE10hipError_tPvRmT1_T2_T3_mT4_P12ihipStream_tbEUlT_E0_NS1_11comp_targetILNS1_3genE10ELNS1_11target_archE1200ELNS1_3gpuE4ELNS1_3repE0EEENS1_30default_config_static_selectorELNS0_4arch9wavefront6targetE1EEEvSD_.num_vgpr, 0
	.set _ZN7rocprim17ROCPRIM_400000_NS6detail17trampoline_kernelINS0_14default_configENS1_22reduce_config_selectorIyEEZNS1_11reduce_implILb1ES3_PyS7_y9plus_mod3IyEEE10hipError_tPvRmT1_T2_T3_mT4_P12ihipStream_tbEUlT_E0_NS1_11comp_targetILNS1_3genE10ELNS1_11target_archE1200ELNS1_3gpuE4ELNS1_3repE0EEENS1_30default_config_static_selectorELNS0_4arch9wavefront6targetE1EEEvSD_.num_agpr, 0
	.set _ZN7rocprim17ROCPRIM_400000_NS6detail17trampoline_kernelINS0_14default_configENS1_22reduce_config_selectorIyEEZNS1_11reduce_implILb1ES3_PyS7_y9plus_mod3IyEEE10hipError_tPvRmT1_T2_T3_mT4_P12ihipStream_tbEUlT_E0_NS1_11comp_targetILNS1_3genE10ELNS1_11target_archE1200ELNS1_3gpuE4ELNS1_3repE0EEENS1_30default_config_static_selectorELNS0_4arch9wavefront6targetE1EEEvSD_.numbered_sgpr, 0
	.set _ZN7rocprim17ROCPRIM_400000_NS6detail17trampoline_kernelINS0_14default_configENS1_22reduce_config_selectorIyEEZNS1_11reduce_implILb1ES3_PyS7_y9plus_mod3IyEEE10hipError_tPvRmT1_T2_T3_mT4_P12ihipStream_tbEUlT_E0_NS1_11comp_targetILNS1_3genE10ELNS1_11target_archE1200ELNS1_3gpuE4ELNS1_3repE0EEENS1_30default_config_static_selectorELNS0_4arch9wavefront6targetE1EEEvSD_.num_named_barrier, 0
	.set _ZN7rocprim17ROCPRIM_400000_NS6detail17trampoline_kernelINS0_14default_configENS1_22reduce_config_selectorIyEEZNS1_11reduce_implILb1ES3_PyS7_y9plus_mod3IyEEE10hipError_tPvRmT1_T2_T3_mT4_P12ihipStream_tbEUlT_E0_NS1_11comp_targetILNS1_3genE10ELNS1_11target_archE1200ELNS1_3gpuE4ELNS1_3repE0EEENS1_30default_config_static_selectorELNS0_4arch9wavefront6targetE1EEEvSD_.private_seg_size, 0
	.set _ZN7rocprim17ROCPRIM_400000_NS6detail17trampoline_kernelINS0_14default_configENS1_22reduce_config_selectorIyEEZNS1_11reduce_implILb1ES3_PyS7_y9plus_mod3IyEEE10hipError_tPvRmT1_T2_T3_mT4_P12ihipStream_tbEUlT_E0_NS1_11comp_targetILNS1_3genE10ELNS1_11target_archE1200ELNS1_3gpuE4ELNS1_3repE0EEENS1_30default_config_static_selectorELNS0_4arch9wavefront6targetE1EEEvSD_.uses_vcc, 0
	.set _ZN7rocprim17ROCPRIM_400000_NS6detail17trampoline_kernelINS0_14default_configENS1_22reduce_config_selectorIyEEZNS1_11reduce_implILb1ES3_PyS7_y9plus_mod3IyEEE10hipError_tPvRmT1_T2_T3_mT4_P12ihipStream_tbEUlT_E0_NS1_11comp_targetILNS1_3genE10ELNS1_11target_archE1200ELNS1_3gpuE4ELNS1_3repE0EEENS1_30default_config_static_selectorELNS0_4arch9wavefront6targetE1EEEvSD_.uses_flat_scratch, 0
	.set _ZN7rocprim17ROCPRIM_400000_NS6detail17trampoline_kernelINS0_14default_configENS1_22reduce_config_selectorIyEEZNS1_11reduce_implILb1ES3_PyS7_y9plus_mod3IyEEE10hipError_tPvRmT1_T2_T3_mT4_P12ihipStream_tbEUlT_E0_NS1_11comp_targetILNS1_3genE10ELNS1_11target_archE1200ELNS1_3gpuE4ELNS1_3repE0EEENS1_30default_config_static_selectorELNS0_4arch9wavefront6targetE1EEEvSD_.has_dyn_sized_stack, 0
	.set _ZN7rocprim17ROCPRIM_400000_NS6detail17trampoline_kernelINS0_14default_configENS1_22reduce_config_selectorIyEEZNS1_11reduce_implILb1ES3_PyS7_y9plus_mod3IyEEE10hipError_tPvRmT1_T2_T3_mT4_P12ihipStream_tbEUlT_E0_NS1_11comp_targetILNS1_3genE10ELNS1_11target_archE1200ELNS1_3gpuE4ELNS1_3repE0EEENS1_30default_config_static_selectorELNS0_4arch9wavefront6targetE1EEEvSD_.has_recursion, 0
	.set _ZN7rocprim17ROCPRIM_400000_NS6detail17trampoline_kernelINS0_14default_configENS1_22reduce_config_selectorIyEEZNS1_11reduce_implILb1ES3_PyS7_y9plus_mod3IyEEE10hipError_tPvRmT1_T2_T3_mT4_P12ihipStream_tbEUlT_E0_NS1_11comp_targetILNS1_3genE10ELNS1_11target_archE1200ELNS1_3gpuE4ELNS1_3repE0EEENS1_30default_config_static_selectorELNS0_4arch9wavefront6targetE1EEEvSD_.has_indirect_call, 0
	.section	.AMDGPU.csdata,"",@progbits
; Kernel info:
; codeLenInByte = 0
; TotalNumSgprs: 6
; NumVgprs: 0
; NumAgprs: 0
; TotalNumVgprs: 0
; ScratchSize: 0
; MemoryBound: 0
; FloatMode: 240
; IeeeMode: 1
; LDSByteSize: 0 bytes/workgroup (compile time only)
; SGPRBlocks: 0
; VGPRBlocks: 0
; NumSGPRsForWavesPerEU: 6
; NumVGPRsForWavesPerEU: 1
; AccumOffset: 4
; Occupancy: 8
; WaveLimiterHint : 0
; COMPUTE_PGM_RSRC2:SCRATCH_EN: 0
; COMPUTE_PGM_RSRC2:USER_SGPR: 2
; COMPUTE_PGM_RSRC2:TRAP_HANDLER: 0
; COMPUTE_PGM_RSRC2:TGID_X_EN: 1
; COMPUTE_PGM_RSRC2:TGID_Y_EN: 0
; COMPUTE_PGM_RSRC2:TGID_Z_EN: 0
; COMPUTE_PGM_RSRC2:TIDIG_COMP_CNT: 0
; COMPUTE_PGM_RSRC3_GFX90A:ACCUM_OFFSET: 0
; COMPUTE_PGM_RSRC3_GFX90A:TG_SPLIT: 0
	.section	.text._ZN7rocprim17ROCPRIM_400000_NS6detail17trampoline_kernelINS0_14default_configENS1_22reduce_config_selectorIyEEZNS1_11reduce_implILb1ES3_PyS7_y9plus_mod3IyEEE10hipError_tPvRmT1_T2_T3_mT4_P12ihipStream_tbEUlT_E0_NS1_11comp_targetILNS1_3genE9ELNS1_11target_archE1100ELNS1_3gpuE3ELNS1_3repE0EEENS1_30default_config_static_selectorELNS0_4arch9wavefront6targetE1EEEvSD_,"axG",@progbits,_ZN7rocprim17ROCPRIM_400000_NS6detail17trampoline_kernelINS0_14default_configENS1_22reduce_config_selectorIyEEZNS1_11reduce_implILb1ES3_PyS7_y9plus_mod3IyEEE10hipError_tPvRmT1_T2_T3_mT4_P12ihipStream_tbEUlT_E0_NS1_11comp_targetILNS1_3genE9ELNS1_11target_archE1100ELNS1_3gpuE3ELNS1_3repE0EEENS1_30default_config_static_selectorELNS0_4arch9wavefront6targetE1EEEvSD_,comdat
	.protected	_ZN7rocprim17ROCPRIM_400000_NS6detail17trampoline_kernelINS0_14default_configENS1_22reduce_config_selectorIyEEZNS1_11reduce_implILb1ES3_PyS7_y9plus_mod3IyEEE10hipError_tPvRmT1_T2_T3_mT4_P12ihipStream_tbEUlT_E0_NS1_11comp_targetILNS1_3genE9ELNS1_11target_archE1100ELNS1_3gpuE3ELNS1_3repE0EEENS1_30default_config_static_selectorELNS0_4arch9wavefront6targetE1EEEvSD_ ; -- Begin function _ZN7rocprim17ROCPRIM_400000_NS6detail17trampoline_kernelINS0_14default_configENS1_22reduce_config_selectorIyEEZNS1_11reduce_implILb1ES3_PyS7_y9plus_mod3IyEEE10hipError_tPvRmT1_T2_T3_mT4_P12ihipStream_tbEUlT_E0_NS1_11comp_targetILNS1_3genE9ELNS1_11target_archE1100ELNS1_3gpuE3ELNS1_3repE0EEENS1_30default_config_static_selectorELNS0_4arch9wavefront6targetE1EEEvSD_
	.globl	_ZN7rocprim17ROCPRIM_400000_NS6detail17trampoline_kernelINS0_14default_configENS1_22reduce_config_selectorIyEEZNS1_11reduce_implILb1ES3_PyS7_y9plus_mod3IyEEE10hipError_tPvRmT1_T2_T3_mT4_P12ihipStream_tbEUlT_E0_NS1_11comp_targetILNS1_3genE9ELNS1_11target_archE1100ELNS1_3gpuE3ELNS1_3repE0EEENS1_30default_config_static_selectorELNS0_4arch9wavefront6targetE1EEEvSD_
	.p2align	8
	.type	_ZN7rocprim17ROCPRIM_400000_NS6detail17trampoline_kernelINS0_14default_configENS1_22reduce_config_selectorIyEEZNS1_11reduce_implILb1ES3_PyS7_y9plus_mod3IyEEE10hipError_tPvRmT1_T2_T3_mT4_P12ihipStream_tbEUlT_E0_NS1_11comp_targetILNS1_3genE9ELNS1_11target_archE1100ELNS1_3gpuE3ELNS1_3repE0EEENS1_30default_config_static_selectorELNS0_4arch9wavefront6targetE1EEEvSD_,@function
_ZN7rocprim17ROCPRIM_400000_NS6detail17trampoline_kernelINS0_14default_configENS1_22reduce_config_selectorIyEEZNS1_11reduce_implILb1ES3_PyS7_y9plus_mod3IyEEE10hipError_tPvRmT1_T2_T3_mT4_P12ihipStream_tbEUlT_E0_NS1_11comp_targetILNS1_3genE9ELNS1_11target_archE1100ELNS1_3gpuE3ELNS1_3repE0EEENS1_30default_config_static_selectorELNS0_4arch9wavefront6targetE1EEEvSD_: ; @_ZN7rocprim17ROCPRIM_400000_NS6detail17trampoline_kernelINS0_14default_configENS1_22reduce_config_selectorIyEEZNS1_11reduce_implILb1ES3_PyS7_y9plus_mod3IyEEE10hipError_tPvRmT1_T2_T3_mT4_P12ihipStream_tbEUlT_E0_NS1_11comp_targetILNS1_3genE9ELNS1_11target_archE1100ELNS1_3gpuE3ELNS1_3repE0EEENS1_30default_config_static_selectorELNS0_4arch9wavefront6targetE1EEEvSD_
; %bb.0:
	.section	.rodata,"a",@progbits
	.p2align	6, 0x0
	.amdhsa_kernel _ZN7rocprim17ROCPRIM_400000_NS6detail17trampoline_kernelINS0_14default_configENS1_22reduce_config_selectorIyEEZNS1_11reduce_implILb1ES3_PyS7_y9plus_mod3IyEEE10hipError_tPvRmT1_T2_T3_mT4_P12ihipStream_tbEUlT_E0_NS1_11comp_targetILNS1_3genE9ELNS1_11target_archE1100ELNS1_3gpuE3ELNS1_3repE0EEENS1_30default_config_static_selectorELNS0_4arch9wavefront6targetE1EEEvSD_
		.amdhsa_group_segment_fixed_size 0
		.amdhsa_private_segment_fixed_size 0
		.amdhsa_kernarg_size 64
		.amdhsa_user_sgpr_count 2
		.amdhsa_user_sgpr_dispatch_ptr 0
		.amdhsa_user_sgpr_queue_ptr 0
		.amdhsa_user_sgpr_kernarg_segment_ptr 1
		.amdhsa_user_sgpr_dispatch_id 0
		.amdhsa_user_sgpr_kernarg_preload_length 0
		.amdhsa_user_sgpr_kernarg_preload_offset 0
		.amdhsa_user_sgpr_private_segment_size 0
		.amdhsa_uses_dynamic_stack 0
		.amdhsa_enable_private_segment 0
		.amdhsa_system_sgpr_workgroup_id_x 1
		.amdhsa_system_sgpr_workgroup_id_y 0
		.amdhsa_system_sgpr_workgroup_id_z 0
		.amdhsa_system_sgpr_workgroup_info 0
		.amdhsa_system_vgpr_workitem_id 0
		.amdhsa_next_free_vgpr 1
		.amdhsa_next_free_sgpr 0
		.amdhsa_accum_offset 4
		.amdhsa_reserve_vcc 0
		.amdhsa_float_round_mode_32 0
		.amdhsa_float_round_mode_16_64 0
		.amdhsa_float_denorm_mode_32 3
		.amdhsa_float_denorm_mode_16_64 3
		.amdhsa_dx10_clamp 1
		.amdhsa_ieee_mode 1
		.amdhsa_fp16_overflow 0
		.amdhsa_tg_split 0
		.amdhsa_exception_fp_ieee_invalid_op 0
		.amdhsa_exception_fp_denorm_src 0
		.amdhsa_exception_fp_ieee_div_zero 0
		.amdhsa_exception_fp_ieee_overflow 0
		.amdhsa_exception_fp_ieee_underflow 0
		.amdhsa_exception_fp_ieee_inexact 0
		.amdhsa_exception_int_div_zero 0
	.end_amdhsa_kernel
	.section	.text._ZN7rocprim17ROCPRIM_400000_NS6detail17trampoline_kernelINS0_14default_configENS1_22reduce_config_selectorIyEEZNS1_11reduce_implILb1ES3_PyS7_y9plus_mod3IyEEE10hipError_tPvRmT1_T2_T3_mT4_P12ihipStream_tbEUlT_E0_NS1_11comp_targetILNS1_3genE9ELNS1_11target_archE1100ELNS1_3gpuE3ELNS1_3repE0EEENS1_30default_config_static_selectorELNS0_4arch9wavefront6targetE1EEEvSD_,"axG",@progbits,_ZN7rocprim17ROCPRIM_400000_NS6detail17trampoline_kernelINS0_14default_configENS1_22reduce_config_selectorIyEEZNS1_11reduce_implILb1ES3_PyS7_y9plus_mod3IyEEE10hipError_tPvRmT1_T2_T3_mT4_P12ihipStream_tbEUlT_E0_NS1_11comp_targetILNS1_3genE9ELNS1_11target_archE1100ELNS1_3gpuE3ELNS1_3repE0EEENS1_30default_config_static_selectorELNS0_4arch9wavefront6targetE1EEEvSD_,comdat
.Lfunc_end774:
	.size	_ZN7rocprim17ROCPRIM_400000_NS6detail17trampoline_kernelINS0_14default_configENS1_22reduce_config_selectorIyEEZNS1_11reduce_implILb1ES3_PyS7_y9plus_mod3IyEEE10hipError_tPvRmT1_T2_T3_mT4_P12ihipStream_tbEUlT_E0_NS1_11comp_targetILNS1_3genE9ELNS1_11target_archE1100ELNS1_3gpuE3ELNS1_3repE0EEENS1_30default_config_static_selectorELNS0_4arch9wavefront6targetE1EEEvSD_, .Lfunc_end774-_ZN7rocprim17ROCPRIM_400000_NS6detail17trampoline_kernelINS0_14default_configENS1_22reduce_config_selectorIyEEZNS1_11reduce_implILb1ES3_PyS7_y9plus_mod3IyEEE10hipError_tPvRmT1_T2_T3_mT4_P12ihipStream_tbEUlT_E0_NS1_11comp_targetILNS1_3genE9ELNS1_11target_archE1100ELNS1_3gpuE3ELNS1_3repE0EEENS1_30default_config_static_selectorELNS0_4arch9wavefront6targetE1EEEvSD_
                                        ; -- End function
	.set _ZN7rocprim17ROCPRIM_400000_NS6detail17trampoline_kernelINS0_14default_configENS1_22reduce_config_selectorIyEEZNS1_11reduce_implILb1ES3_PyS7_y9plus_mod3IyEEE10hipError_tPvRmT1_T2_T3_mT4_P12ihipStream_tbEUlT_E0_NS1_11comp_targetILNS1_3genE9ELNS1_11target_archE1100ELNS1_3gpuE3ELNS1_3repE0EEENS1_30default_config_static_selectorELNS0_4arch9wavefront6targetE1EEEvSD_.num_vgpr, 0
	.set _ZN7rocprim17ROCPRIM_400000_NS6detail17trampoline_kernelINS0_14default_configENS1_22reduce_config_selectorIyEEZNS1_11reduce_implILb1ES3_PyS7_y9plus_mod3IyEEE10hipError_tPvRmT1_T2_T3_mT4_P12ihipStream_tbEUlT_E0_NS1_11comp_targetILNS1_3genE9ELNS1_11target_archE1100ELNS1_3gpuE3ELNS1_3repE0EEENS1_30default_config_static_selectorELNS0_4arch9wavefront6targetE1EEEvSD_.num_agpr, 0
	.set _ZN7rocprim17ROCPRIM_400000_NS6detail17trampoline_kernelINS0_14default_configENS1_22reduce_config_selectorIyEEZNS1_11reduce_implILb1ES3_PyS7_y9plus_mod3IyEEE10hipError_tPvRmT1_T2_T3_mT4_P12ihipStream_tbEUlT_E0_NS1_11comp_targetILNS1_3genE9ELNS1_11target_archE1100ELNS1_3gpuE3ELNS1_3repE0EEENS1_30default_config_static_selectorELNS0_4arch9wavefront6targetE1EEEvSD_.numbered_sgpr, 0
	.set _ZN7rocprim17ROCPRIM_400000_NS6detail17trampoline_kernelINS0_14default_configENS1_22reduce_config_selectorIyEEZNS1_11reduce_implILb1ES3_PyS7_y9plus_mod3IyEEE10hipError_tPvRmT1_T2_T3_mT4_P12ihipStream_tbEUlT_E0_NS1_11comp_targetILNS1_3genE9ELNS1_11target_archE1100ELNS1_3gpuE3ELNS1_3repE0EEENS1_30default_config_static_selectorELNS0_4arch9wavefront6targetE1EEEvSD_.num_named_barrier, 0
	.set _ZN7rocprim17ROCPRIM_400000_NS6detail17trampoline_kernelINS0_14default_configENS1_22reduce_config_selectorIyEEZNS1_11reduce_implILb1ES3_PyS7_y9plus_mod3IyEEE10hipError_tPvRmT1_T2_T3_mT4_P12ihipStream_tbEUlT_E0_NS1_11comp_targetILNS1_3genE9ELNS1_11target_archE1100ELNS1_3gpuE3ELNS1_3repE0EEENS1_30default_config_static_selectorELNS0_4arch9wavefront6targetE1EEEvSD_.private_seg_size, 0
	.set _ZN7rocprim17ROCPRIM_400000_NS6detail17trampoline_kernelINS0_14default_configENS1_22reduce_config_selectorIyEEZNS1_11reduce_implILb1ES3_PyS7_y9plus_mod3IyEEE10hipError_tPvRmT1_T2_T3_mT4_P12ihipStream_tbEUlT_E0_NS1_11comp_targetILNS1_3genE9ELNS1_11target_archE1100ELNS1_3gpuE3ELNS1_3repE0EEENS1_30default_config_static_selectorELNS0_4arch9wavefront6targetE1EEEvSD_.uses_vcc, 0
	.set _ZN7rocprim17ROCPRIM_400000_NS6detail17trampoline_kernelINS0_14default_configENS1_22reduce_config_selectorIyEEZNS1_11reduce_implILb1ES3_PyS7_y9plus_mod3IyEEE10hipError_tPvRmT1_T2_T3_mT4_P12ihipStream_tbEUlT_E0_NS1_11comp_targetILNS1_3genE9ELNS1_11target_archE1100ELNS1_3gpuE3ELNS1_3repE0EEENS1_30default_config_static_selectorELNS0_4arch9wavefront6targetE1EEEvSD_.uses_flat_scratch, 0
	.set _ZN7rocprim17ROCPRIM_400000_NS6detail17trampoline_kernelINS0_14default_configENS1_22reduce_config_selectorIyEEZNS1_11reduce_implILb1ES3_PyS7_y9plus_mod3IyEEE10hipError_tPvRmT1_T2_T3_mT4_P12ihipStream_tbEUlT_E0_NS1_11comp_targetILNS1_3genE9ELNS1_11target_archE1100ELNS1_3gpuE3ELNS1_3repE0EEENS1_30default_config_static_selectorELNS0_4arch9wavefront6targetE1EEEvSD_.has_dyn_sized_stack, 0
	.set _ZN7rocprim17ROCPRIM_400000_NS6detail17trampoline_kernelINS0_14default_configENS1_22reduce_config_selectorIyEEZNS1_11reduce_implILb1ES3_PyS7_y9plus_mod3IyEEE10hipError_tPvRmT1_T2_T3_mT4_P12ihipStream_tbEUlT_E0_NS1_11comp_targetILNS1_3genE9ELNS1_11target_archE1100ELNS1_3gpuE3ELNS1_3repE0EEENS1_30default_config_static_selectorELNS0_4arch9wavefront6targetE1EEEvSD_.has_recursion, 0
	.set _ZN7rocprim17ROCPRIM_400000_NS6detail17trampoline_kernelINS0_14default_configENS1_22reduce_config_selectorIyEEZNS1_11reduce_implILb1ES3_PyS7_y9plus_mod3IyEEE10hipError_tPvRmT1_T2_T3_mT4_P12ihipStream_tbEUlT_E0_NS1_11comp_targetILNS1_3genE9ELNS1_11target_archE1100ELNS1_3gpuE3ELNS1_3repE0EEENS1_30default_config_static_selectorELNS0_4arch9wavefront6targetE1EEEvSD_.has_indirect_call, 0
	.section	.AMDGPU.csdata,"",@progbits
; Kernel info:
; codeLenInByte = 0
; TotalNumSgprs: 6
; NumVgprs: 0
; NumAgprs: 0
; TotalNumVgprs: 0
; ScratchSize: 0
; MemoryBound: 0
; FloatMode: 240
; IeeeMode: 1
; LDSByteSize: 0 bytes/workgroup (compile time only)
; SGPRBlocks: 0
; VGPRBlocks: 0
; NumSGPRsForWavesPerEU: 6
; NumVGPRsForWavesPerEU: 1
; AccumOffset: 4
; Occupancy: 8
; WaveLimiterHint : 0
; COMPUTE_PGM_RSRC2:SCRATCH_EN: 0
; COMPUTE_PGM_RSRC2:USER_SGPR: 2
; COMPUTE_PGM_RSRC2:TRAP_HANDLER: 0
; COMPUTE_PGM_RSRC2:TGID_X_EN: 1
; COMPUTE_PGM_RSRC2:TGID_Y_EN: 0
; COMPUTE_PGM_RSRC2:TGID_Z_EN: 0
; COMPUTE_PGM_RSRC2:TIDIG_COMP_CNT: 0
; COMPUTE_PGM_RSRC3_GFX90A:ACCUM_OFFSET: 0
; COMPUTE_PGM_RSRC3_GFX90A:TG_SPLIT: 0
	.section	.text._ZN7rocprim17ROCPRIM_400000_NS6detail17trampoline_kernelINS0_14default_configENS1_22reduce_config_selectorIyEEZNS1_11reduce_implILb1ES3_PyS7_y9plus_mod3IyEEE10hipError_tPvRmT1_T2_T3_mT4_P12ihipStream_tbEUlT_E0_NS1_11comp_targetILNS1_3genE8ELNS1_11target_archE1030ELNS1_3gpuE2ELNS1_3repE0EEENS1_30default_config_static_selectorELNS0_4arch9wavefront6targetE1EEEvSD_,"axG",@progbits,_ZN7rocprim17ROCPRIM_400000_NS6detail17trampoline_kernelINS0_14default_configENS1_22reduce_config_selectorIyEEZNS1_11reduce_implILb1ES3_PyS7_y9plus_mod3IyEEE10hipError_tPvRmT1_T2_T3_mT4_P12ihipStream_tbEUlT_E0_NS1_11comp_targetILNS1_3genE8ELNS1_11target_archE1030ELNS1_3gpuE2ELNS1_3repE0EEENS1_30default_config_static_selectorELNS0_4arch9wavefront6targetE1EEEvSD_,comdat
	.protected	_ZN7rocprim17ROCPRIM_400000_NS6detail17trampoline_kernelINS0_14default_configENS1_22reduce_config_selectorIyEEZNS1_11reduce_implILb1ES3_PyS7_y9plus_mod3IyEEE10hipError_tPvRmT1_T2_T3_mT4_P12ihipStream_tbEUlT_E0_NS1_11comp_targetILNS1_3genE8ELNS1_11target_archE1030ELNS1_3gpuE2ELNS1_3repE0EEENS1_30default_config_static_selectorELNS0_4arch9wavefront6targetE1EEEvSD_ ; -- Begin function _ZN7rocprim17ROCPRIM_400000_NS6detail17trampoline_kernelINS0_14default_configENS1_22reduce_config_selectorIyEEZNS1_11reduce_implILb1ES3_PyS7_y9plus_mod3IyEEE10hipError_tPvRmT1_T2_T3_mT4_P12ihipStream_tbEUlT_E0_NS1_11comp_targetILNS1_3genE8ELNS1_11target_archE1030ELNS1_3gpuE2ELNS1_3repE0EEENS1_30default_config_static_selectorELNS0_4arch9wavefront6targetE1EEEvSD_
	.globl	_ZN7rocprim17ROCPRIM_400000_NS6detail17trampoline_kernelINS0_14default_configENS1_22reduce_config_selectorIyEEZNS1_11reduce_implILb1ES3_PyS7_y9plus_mod3IyEEE10hipError_tPvRmT1_T2_T3_mT4_P12ihipStream_tbEUlT_E0_NS1_11comp_targetILNS1_3genE8ELNS1_11target_archE1030ELNS1_3gpuE2ELNS1_3repE0EEENS1_30default_config_static_selectorELNS0_4arch9wavefront6targetE1EEEvSD_
	.p2align	8
	.type	_ZN7rocprim17ROCPRIM_400000_NS6detail17trampoline_kernelINS0_14default_configENS1_22reduce_config_selectorIyEEZNS1_11reduce_implILb1ES3_PyS7_y9plus_mod3IyEEE10hipError_tPvRmT1_T2_T3_mT4_P12ihipStream_tbEUlT_E0_NS1_11comp_targetILNS1_3genE8ELNS1_11target_archE1030ELNS1_3gpuE2ELNS1_3repE0EEENS1_30default_config_static_selectorELNS0_4arch9wavefront6targetE1EEEvSD_,@function
_ZN7rocprim17ROCPRIM_400000_NS6detail17trampoline_kernelINS0_14default_configENS1_22reduce_config_selectorIyEEZNS1_11reduce_implILb1ES3_PyS7_y9plus_mod3IyEEE10hipError_tPvRmT1_T2_T3_mT4_P12ihipStream_tbEUlT_E0_NS1_11comp_targetILNS1_3genE8ELNS1_11target_archE1030ELNS1_3gpuE2ELNS1_3repE0EEENS1_30default_config_static_selectorELNS0_4arch9wavefront6targetE1EEEvSD_: ; @_ZN7rocprim17ROCPRIM_400000_NS6detail17trampoline_kernelINS0_14default_configENS1_22reduce_config_selectorIyEEZNS1_11reduce_implILb1ES3_PyS7_y9plus_mod3IyEEE10hipError_tPvRmT1_T2_T3_mT4_P12ihipStream_tbEUlT_E0_NS1_11comp_targetILNS1_3genE8ELNS1_11target_archE1030ELNS1_3gpuE2ELNS1_3repE0EEENS1_30default_config_static_selectorELNS0_4arch9wavefront6targetE1EEEvSD_
; %bb.0:
	.section	.rodata,"a",@progbits
	.p2align	6, 0x0
	.amdhsa_kernel _ZN7rocprim17ROCPRIM_400000_NS6detail17trampoline_kernelINS0_14default_configENS1_22reduce_config_selectorIyEEZNS1_11reduce_implILb1ES3_PyS7_y9plus_mod3IyEEE10hipError_tPvRmT1_T2_T3_mT4_P12ihipStream_tbEUlT_E0_NS1_11comp_targetILNS1_3genE8ELNS1_11target_archE1030ELNS1_3gpuE2ELNS1_3repE0EEENS1_30default_config_static_selectorELNS0_4arch9wavefront6targetE1EEEvSD_
		.amdhsa_group_segment_fixed_size 0
		.amdhsa_private_segment_fixed_size 0
		.amdhsa_kernarg_size 64
		.amdhsa_user_sgpr_count 2
		.amdhsa_user_sgpr_dispatch_ptr 0
		.amdhsa_user_sgpr_queue_ptr 0
		.amdhsa_user_sgpr_kernarg_segment_ptr 1
		.amdhsa_user_sgpr_dispatch_id 0
		.amdhsa_user_sgpr_kernarg_preload_length 0
		.amdhsa_user_sgpr_kernarg_preload_offset 0
		.amdhsa_user_sgpr_private_segment_size 0
		.amdhsa_uses_dynamic_stack 0
		.amdhsa_enable_private_segment 0
		.amdhsa_system_sgpr_workgroup_id_x 1
		.amdhsa_system_sgpr_workgroup_id_y 0
		.amdhsa_system_sgpr_workgroup_id_z 0
		.amdhsa_system_sgpr_workgroup_info 0
		.amdhsa_system_vgpr_workitem_id 0
		.amdhsa_next_free_vgpr 1
		.amdhsa_next_free_sgpr 0
		.amdhsa_accum_offset 4
		.amdhsa_reserve_vcc 0
		.amdhsa_float_round_mode_32 0
		.amdhsa_float_round_mode_16_64 0
		.amdhsa_float_denorm_mode_32 3
		.amdhsa_float_denorm_mode_16_64 3
		.amdhsa_dx10_clamp 1
		.amdhsa_ieee_mode 1
		.amdhsa_fp16_overflow 0
		.amdhsa_tg_split 0
		.amdhsa_exception_fp_ieee_invalid_op 0
		.amdhsa_exception_fp_denorm_src 0
		.amdhsa_exception_fp_ieee_div_zero 0
		.amdhsa_exception_fp_ieee_overflow 0
		.amdhsa_exception_fp_ieee_underflow 0
		.amdhsa_exception_fp_ieee_inexact 0
		.amdhsa_exception_int_div_zero 0
	.end_amdhsa_kernel
	.section	.text._ZN7rocprim17ROCPRIM_400000_NS6detail17trampoline_kernelINS0_14default_configENS1_22reduce_config_selectorIyEEZNS1_11reduce_implILb1ES3_PyS7_y9plus_mod3IyEEE10hipError_tPvRmT1_T2_T3_mT4_P12ihipStream_tbEUlT_E0_NS1_11comp_targetILNS1_3genE8ELNS1_11target_archE1030ELNS1_3gpuE2ELNS1_3repE0EEENS1_30default_config_static_selectorELNS0_4arch9wavefront6targetE1EEEvSD_,"axG",@progbits,_ZN7rocprim17ROCPRIM_400000_NS6detail17trampoline_kernelINS0_14default_configENS1_22reduce_config_selectorIyEEZNS1_11reduce_implILb1ES3_PyS7_y9plus_mod3IyEEE10hipError_tPvRmT1_T2_T3_mT4_P12ihipStream_tbEUlT_E0_NS1_11comp_targetILNS1_3genE8ELNS1_11target_archE1030ELNS1_3gpuE2ELNS1_3repE0EEENS1_30default_config_static_selectorELNS0_4arch9wavefront6targetE1EEEvSD_,comdat
.Lfunc_end775:
	.size	_ZN7rocprim17ROCPRIM_400000_NS6detail17trampoline_kernelINS0_14default_configENS1_22reduce_config_selectorIyEEZNS1_11reduce_implILb1ES3_PyS7_y9plus_mod3IyEEE10hipError_tPvRmT1_T2_T3_mT4_P12ihipStream_tbEUlT_E0_NS1_11comp_targetILNS1_3genE8ELNS1_11target_archE1030ELNS1_3gpuE2ELNS1_3repE0EEENS1_30default_config_static_selectorELNS0_4arch9wavefront6targetE1EEEvSD_, .Lfunc_end775-_ZN7rocprim17ROCPRIM_400000_NS6detail17trampoline_kernelINS0_14default_configENS1_22reduce_config_selectorIyEEZNS1_11reduce_implILb1ES3_PyS7_y9plus_mod3IyEEE10hipError_tPvRmT1_T2_T3_mT4_P12ihipStream_tbEUlT_E0_NS1_11comp_targetILNS1_3genE8ELNS1_11target_archE1030ELNS1_3gpuE2ELNS1_3repE0EEENS1_30default_config_static_selectorELNS0_4arch9wavefront6targetE1EEEvSD_
                                        ; -- End function
	.set _ZN7rocprim17ROCPRIM_400000_NS6detail17trampoline_kernelINS0_14default_configENS1_22reduce_config_selectorIyEEZNS1_11reduce_implILb1ES3_PyS7_y9plus_mod3IyEEE10hipError_tPvRmT1_T2_T3_mT4_P12ihipStream_tbEUlT_E0_NS1_11comp_targetILNS1_3genE8ELNS1_11target_archE1030ELNS1_3gpuE2ELNS1_3repE0EEENS1_30default_config_static_selectorELNS0_4arch9wavefront6targetE1EEEvSD_.num_vgpr, 0
	.set _ZN7rocprim17ROCPRIM_400000_NS6detail17trampoline_kernelINS0_14default_configENS1_22reduce_config_selectorIyEEZNS1_11reduce_implILb1ES3_PyS7_y9plus_mod3IyEEE10hipError_tPvRmT1_T2_T3_mT4_P12ihipStream_tbEUlT_E0_NS1_11comp_targetILNS1_3genE8ELNS1_11target_archE1030ELNS1_3gpuE2ELNS1_3repE0EEENS1_30default_config_static_selectorELNS0_4arch9wavefront6targetE1EEEvSD_.num_agpr, 0
	.set _ZN7rocprim17ROCPRIM_400000_NS6detail17trampoline_kernelINS0_14default_configENS1_22reduce_config_selectorIyEEZNS1_11reduce_implILb1ES3_PyS7_y9plus_mod3IyEEE10hipError_tPvRmT1_T2_T3_mT4_P12ihipStream_tbEUlT_E0_NS1_11comp_targetILNS1_3genE8ELNS1_11target_archE1030ELNS1_3gpuE2ELNS1_3repE0EEENS1_30default_config_static_selectorELNS0_4arch9wavefront6targetE1EEEvSD_.numbered_sgpr, 0
	.set _ZN7rocprim17ROCPRIM_400000_NS6detail17trampoline_kernelINS0_14default_configENS1_22reduce_config_selectorIyEEZNS1_11reduce_implILb1ES3_PyS7_y9plus_mod3IyEEE10hipError_tPvRmT1_T2_T3_mT4_P12ihipStream_tbEUlT_E0_NS1_11comp_targetILNS1_3genE8ELNS1_11target_archE1030ELNS1_3gpuE2ELNS1_3repE0EEENS1_30default_config_static_selectorELNS0_4arch9wavefront6targetE1EEEvSD_.num_named_barrier, 0
	.set _ZN7rocprim17ROCPRIM_400000_NS6detail17trampoline_kernelINS0_14default_configENS1_22reduce_config_selectorIyEEZNS1_11reduce_implILb1ES3_PyS7_y9plus_mod3IyEEE10hipError_tPvRmT1_T2_T3_mT4_P12ihipStream_tbEUlT_E0_NS1_11comp_targetILNS1_3genE8ELNS1_11target_archE1030ELNS1_3gpuE2ELNS1_3repE0EEENS1_30default_config_static_selectorELNS0_4arch9wavefront6targetE1EEEvSD_.private_seg_size, 0
	.set _ZN7rocprim17ROCPRIM_400000_NS6detail17trampoline_kernelINS0_14default_configENS1_22reduce_config_selectorIyEEZNS1_11reduce_implILb1ES3_PyS7_y9plus_mod3IyEEE10hipError_tPvRmT1_T2_T3_mT4_P12ihipStream_tbEUlT_E0_NS1_11comp_targetILNS1_3genE8ELNS1_11target_archE1030ELNS1_3gpuE2ELNS1_3repE0EEENS1_30default_config_static_selectorELNS0_4arch9wavefront6targetE1EEEvSD_.uses_vcc, 0
	.set _ZN7rocprim17ROCPRIM_400000_NS6detail17trampoline_kernelINS0_14default_configENS1_22reduce_config_selectorIyEEZNS1_11reduce_implILb1ES3_PyS7_y9plus_mod3IyEEE10hipError_tPvRmT1_T2_T3_mT4_P12ihipStream_tbEUlT_E0_NS1_11comp_targetILNS1_3genE8ELNS1_11target_archE1030ELNS1_3gpuE2ELNS1_3repE0EEENS1_30default_config_static_selectorELNS0_4arch9wavefront6targetE1EEEvSD_.uses_flat_scratch, 0
	.set _ZN7rocprim17ROCPRIM_400000_NS6detail17trampoline_kernelINS0_14default_configENS1_22reduce_config_selectorIyEEZNS1_11reduce_implILb1ES3_PyS7_y9plus_mod3IyEEE10hipError_tPvRmT1_T2_T3_mT4_P12ihipStream_tbEUlT_E0_NS1_11comp_targetILNS1_3genE8ELNS1_11target_archE1030ELNS1_3gpuE2ELNS1_3repE0EEENS1_30default_config_static_selectorELNS0_4arch9wavefront6targetE1EEEvSD_.has_dyn_sized_stack, 0
	.set _ZN7rocprim17ROCPRIM_400000_NS6detail17trampoline_kernelINS0_14default_configENS1_22reduce_config_selectorIyEEZNS1_11reduce_implILb1ES3_PyS7_y9plus_mod3IyEEE10hipError_tPvRmT1_T2_T3_mT4_P12ihipStream_tbEUlT_E0_NS1_11comp_targetILNS1_3genE8ELNS1_11target_archE1030ELNS1_3gpuE2ELNS1_3repE0EEENS1_30default_config_static_selectorELNS0_4arch9wavefront6targetE1EEEvSD_.has_recursion, 0
	.set _ZN7rocprim17ROCPRIM_400000_NS6detail17trampoline_kernelINS0_14default_configENS1_22reduce_config_selectorIyEEZNS1_11reduce_implILb1ES3_PyS7_y9plus_mod3IyEEE10hipError_tPvRmT1_T2_T3_mT4_P12ihipStream_tbEUlT_E0_NS1_11comp_targetILNS1_3genE8ELNS1_11target_archE1030ELNS1_3gpuE2ELNS1_3repE0EEENS1_30default_config_static_selectorELNS0_4arch9wavefront6targetE1EEEvSD_.has_indirect_call, 0
	.section	.AMDGPU.csdata,"",@progbits
; Kernel info:
; codeLenInByte = 0
; TotalNumSgprs: 6
; NumVgprs: 0
; NumAgprs: 0
; TotalNumVgprs: 0
; ScratchSize: 0
; MemoryBound: 0
; FloatMode: 240
; IeeeMode: 1
; LDSByteSize: 0 bytes/workgroup (compile time only)
; SGPRBlocks: 0
; VGPRBlocks: 0
; NumSGPRsForWavesPerEU: 6
; NumVGPRsForWavesPerEU: 1
; AccumOffset: 4
; Occupancy: 8
; WaveLimiterHint : 0
; COMPUTE_PGM_RSRC2:SCRATCH_EN: 0
; COMPUTE_PGM_RSRC2:USER_SGPR: 2
; COMPUTE_PGM_RSRC2:TRAP_HANDLER: 0
; COMPUTE_PGM_RSRC2:TGID_X_EN: 1
; COMPUTE_PGM_RSRC2:TGID_Y_EN: 0
; COMPUTE_PGM_RSRC2:TGID_Z_EN: 0
; COMPUTE_PGM_RSRC2:TIDIG_COMP_CNT: 0
; COMPUTE_PGM_RSRC3_GFX90A:ACCUM_OFFSET: 0
; COMPUTE_PGM_RSRC3_GFX90A:TG_SPLIT: 0
	.section	.text._ZN7rocprim17ROCPRIM_400000_NS6detail17trampoline_kernelINS0_14default_configENS1_22reduce_config_selectorIyEEZNS1_11reduce_implILb1ES3_PyS7_y9plus_mod3IyEEE10hipError_tPvRmT1_T2_T3_mT4_P12ihipStream_tbEUlT_E1_NS1_11comp_targetILNS1_3genE0ELNS1_11target_archE4294967295ELNS1_3gpuE0ELNS1_3repE0EEENS1_30default_config_static_selectorELNS0_4arch9wavefront6targetE1EEEvSD_,"axG",@progbits,_ZN7rocprim17ROCPRIM_400000_NS6detail17trampoline_kernelINS0_14default_configENS1_22reduce_config_selectorIyEEZNS1_11reduce_implILb1ES3_PyS7_y9plus_mod3IyEEE10hipError_tPvRmT1_T2_T3_mT4_P12ihipStream_tbEUlT_E1_NS1_11comp_targetILNS1_3genE0ELNS1_11target_archE4294967295ELNS1_3gpuE0ELNS1_3repE0EEENS1_30default_config_static_selectorELNS0_4arch9wavefront6targetE1EEEvSD_,comdat
	.protected	_ZN7rocprim17ROCPRIM_400000_NS6detail17trampoline_kernelINS0_14default_configENS1_22reduce_config_selectorIyEEZNS1_11reduce_implILb1ES3_PyS7_y9plus_mod3IyEEE10hipError_tPvRmT1_T2_T3_mT4_P12ihipStream_tbEUlT_E1_NS1_11comp_targetILNS1_3genE0ELNS1_11target_archE4294967295ELNS1_3gpuE0ELNS1_3repE0EEENS1_30default_config_static_selectorELNS0_4arch9wavefront6targetE1EEEvSD_ ; -- Begin function _ZN7rocprim17ROCPRIM_400000_NS6detail17trampoline_kernelINS0_14default_configENS1_22reduce_config_selectorIyEEZNS1_11reduce_implILb1ES3_PyS7_y9plus_mod3IyEEE10hipError_tPvRmT1_T2_T3_mT4_P12ihipStream_tbEUlT_E1_NS1_11comp_targetILNS1_3genE0ELNS1_11target_archE4294967295ELNS1_3gpuE0ELNS1_3repE0EEENS1_30default_config_static_selectorELNS0_4arch9wavefront6targetE1EEEvSD_
	.globl	_ZN7rocprim17ROCPRIM_400000_NS6detail17trampoline_kernelINS0_14default_configENS1_22reduce_config_selectorIyEEZNS1_11reduce_implILb1ES3_PyS7_y9plus_mod3IyEEE10hipError_tPvRmT1_T2_T3_mT4_P12ihipStream_tbEUlT_E1_NS1_11comp_targetILNS1_3genE0ELNS1_11target_archE4294967295ELNS1_3gpuE0ELNS1_3repE0EEENS1_30default_config_static_selectorELNS0_4arch9wavefront6targetE1EEEvSD_
	.p2align	8
	.type	_ZN7rocprim17ROCPRIM_400000_NS6detail17trampoline_kernelINS0_14default_configENS1_22reduce_config_selectorIyEEZNS1_11reduce_implILb1ES3_PyS7_y9plus_mod3IyEEE10hipError_tPvRmT1_T2_T3_mT4_P12ihipStream_tbEUlT_E1_NS1_11comp_targetILNS1_3genE0ELNS1_11target_archE4294967295ELNS1_3gpuE0ELNS1_3repE0EEENS1_30default_config_static_selectorELNS0_4arch9wavefront6targetE1EEEvSD_,@function
_ZN7rocprim17ROCPRIM_400000_NS6detail17trampoline_kernelINS0_14default_configENS1_22reduce_config_selectorIyEEZNS1_11reduce_implILb1ES3_PyS7_y9plus_mod3IyEEE10hipError_tPvRmT1_T2_T3_mT4_P12ihipStream_tbEUlT_E1_NS1_11comp_targetILNS1_3genE0ELNS1_11target_archE4294967295ELNS1_3gpuE0ELNS1_3repE0EEENS1_30default_config_static_selectorELNS0_4arch9wavefront6targetE1EEEvSD_: ; @_ZN7rocprim17ROCPRIM_400000_NS6detail17trampoline_kernelINS0_14default_configENS1_22reduce_config_selectorIyEEZNS1_11reduce_implILb1ES3_PyS7_y9plus_mod3IyEEE10hipError_tPvRmT1_T2_T3_mT4_P12ihipStream_tbEUlT_E1_NS1_11comp_targetILNS1_3genE0ELNS1_11target_archE4294967295ELNS1_3gpuE0ELNS1_3repE0EEENS1_30default_config_static_selectorELNS0_4arch9wavefront6targetE1EEEvSD_
; %bb.0:
	s_load_dword s33, s[0:1], 0x4
	s_load_dwordx8 s[36:43], s[0:1], 0x8
	s_load_dwordx2 s[30:31], s[0:1], 0x28
	s_waitcnt lgkmcnt(0)
	s_cmp_lt_i32 s33, 4
	s_cbranch_scc1 .LBB776_10
; %bb.1:
	s_cmp_gt_i32 s33, 7
	s_cbranch_scc0 .LBB776_11
; %bb.2:
	s_cmp_gt_i32 s33, 15
	s_cbranch_scc0 .LBB776_12
; %bb.3:
	s_mov_b64 s[34:35], 0
	s_cmp_eq_u32 s33, 16
	s_mov_b64 s[16:17], 0
	s_mov_b64 s[14:15], 0
                                        ; implicit-def: $vgpr2_vgpr3
	s_cbranch_scc0 .LBB776_13
; %bb.4:
	s_mov_b32 s3, 0
	s_lshl_b32 s0, s2, 12
	s_mov_b32 s1, s3
	s_lshr_b64 s[4:5], s[38:39], 12
	s_lshl_b64 s[6:7], s[0:1], 3
	s_add_u32 s46, s36, s6
	s_addc_u32 s47, s37, s7
	s_cmp_lg_u64 s[4:5], s[2:3]
	s_cbranch_scc0 .LBB776_22
; %bb.5:
	v_lshlrev_b32_e32 v2, 3, v0
	global_load_dword v1, v2, s[46:47]
	global_load_dword v7, v2, s[46:47] offset:2048
	v_mov_b32_e32 v3, 0
	v_lshl_add_u64 v[4:5], s[46:47], 0, v[2:3]
	v_mov_b32_e32 v6, v3
	v_add_co_u32_e32 v8, vcc, 0x1000, v4
	s_waitcnt vmcnt(0)
	v_add_u32_e32 v7, v7, v1
	v_ashrrev_i64 v[6:7], 29, v[6:7]
	v_addc_co_u32_e32 v9, vcc, 0, v5, vcc
	v_lshl_add_u64 v[6:7], s[30:31], 0, v[6:7]
	global_load_dword v2, v[8:9], off
	global_load_dword v1, v[6:7], off
	v_add_co_u32_e32 v10, vcc, 0x2000, v4
	v_mov_b32_e32 v6, v3
	s_nop 0
	v_addc_co_u32_e32 v11, vcc, 0, v5, vcc
	v_add_co_u32_e32 v12, vcc, 0x3000, v4
	s_waitcnt vmcnt(0)
	v_add_u32_e32 v7, v1, v2
	v_addc_co_u32_e32 v13, vcc, 0, v5, vcc
	v_ashrrev_i64 v[6:7], 29, v[6:7]
	v_add_co_u32_e32 v14, vcc, 0x4000, v4
	v_lshl_add_u64 v[6:7], s[30:31], 0, v[6:7]
	s_nop 0
	v_addc_co_u32_e32 v15, vcc, 0, v5, vcc
	global_load_dword v16, v[8:9], off offset:2048
	global_load_dword v17, v[10:11], off
	global_load_dword v18, v[10:11], off offset:2048
	global_load_dword v19, v[12:13], off
	;; [unrolled: 2-line block ×4, first 2 shown]
	v_mov_b32_e32 v6, v3
	v_add_co_u32_e32 v8, vcc, 0x5000, v4
	s_waitcnt vmcnt(0)
	v_add_u32_e32 v7, v1, v16
	v_ashrrev_i64 v[6:7], 29, v[6:7]
	v_lshl_add_u64 v[6:7], s[30:31], 0, v[6:7]
	global_load_dword v1, v[6:7], off
	v_mov_b32_e32 v6, v3
	v_addc_co_u32_e32 v9, vcc, 0, v5, vcc
	global_load_dword v2, v[8:9], off
	v_add_co_u32_e32 v10, vcc, 0x6000, v4
	s_waitcnt vmcnt(1)
	v_add_u32_e32 v7, v1, v17
	v_ashrrev_i64 v[6:7], 29, v[6:7]
	v_lshl_add_u64 v[6:7], s[30:31], 0, v[6:7]
	global_load_dword v1, v[6:7], off
	v_mov_b32_e32 v6, v3
	v_addc_co_u32_e32 v11, vcc, 0, v5, vcc
	v_add_co_u32_e32 v4, vcc, 0x7000, v4
	s_waitcnt vmcnt(0)
	v_add_u32_e32 v7, v1, v18
	v_ashrrev_i64 v[6:7], 29, v[6:7]
	v_lshl_add_u64 v[6:7], s[30:31], 0, v[6:7]
	global_load_dword v1, v[6:7], off
	v_mov_b32_e32 v6, v3
	v_addc_co_u32_e32 v5, vcc, 0, v5, vcc
	s_waitcnt vmcnt(0)
	v_add_u32_e32 v7, v1, v19
	v_ashrrev_i64 v[6:7], 29, v[6:7]
	v_lshl_add_u64 v[6:7], s[30:31], 0, v[6:7]
	global_load_dword v1, v[6:7], off
	v_mov_b32_e32 v6, v3
	s_waitcnt vmcnt(0)
	v_add_u32_e32 v7, v1, v20
	v_ashrrev_i64 v[6:7], 29, v[6:7]
	v_lshl_add_u64 v[6:7], s[30:31], 0, v[6:7]
	global_load_dword v1, v[6:7], off
	v_mov_b32_e32 v6, v3
	;; [unrolled: 6-line block ×4, first 2 shown]
	global_load_dword v12, v[8:9], off offset:2048
	global_load_dword v13, v[10:11], off
	global_load_dword v14, v[10:11], off offset:2048
	global_load_dword v15, v[4:5], off
	global_load_dword v16, v[4:5], off offset:2048
	s_waitcnt vmcnt(5)
	v_add_u32_e32 v7, v1, v2
	v_ashrrev_i64 v[4:5], 29, v[6:7]
	v_lshl_add_u64 v[4:5], s[30:31], 0, v[4:5]
	global_load_dword v1, v[4:5], off
	v_mov_b32_e32 v4, v3
	v_mov_b32_e32 v2, v3
	s_waitcnt vmcnt(0)
	v_add_u32_e32 v5, v1, v12
	v_ashrrev_i64 v[4:5], 29, v[4:5]
	v_lshl_add_u64 v[4:5], s[30:31], 0, v[4:5]
	global_load_dword v1, v[4:5], off
	v_mov_b32_e32 v4, v3
	s_waitcnt vmcnt(0)
	v_add_u32_e32 v5, v1, v13
	v_ashrrev_i64 v[4:5], 29, v[4:5]
	v_lshl_add_u64 v[4:5], s[30:31], 0, v[4:5]
	global_load_dword v1, v[4:5], off
	;; [unrolled: 6-line block ×5, first 2 shown]
	v_mov_b32_e32 v4, v3
	s_waitcnt vmcnt(0)
	v_add_u32_dpp v5, v1, v1 quad_perm:[1,0,3,2] row_mask:0xf bank_mask:0xf bound_ctrl:1
	v_ashrrev_i64 v[4:5], 29, v[4:5]
	v_lshl_add_u64 v[4:5], s[30:31], 0, v[4:5]
	global_load_dword v1, v[4:5], off
	v_mov_b32_e32 v4, v3
	s_waitcnt vmcnt(0)
	v_add_u32_dpp v5, v1, v1 quad_perm:[2,3,0,1] row_mask:0xf bank_mask:0xf bound_ctrl:1
	v_ashrrev_i64 v[4:5], 29, v[4:5]
	v_lshl_add_u64 v[4:5], s[30:31], 0, v[4:5]
	global_load_dword v1, v[4:5], off
	v_mov_b32_e32 v4, v3
	s_waitcnt vmcnt(0)
	v_add_u32_dpp v5, v1, v1 row_ror:4 row_mask:0xf bank_mask:0xf bound_ctrl:1
	v_ashrrev_i64 v[4:5], 29, v[4:5]
	v_lshl_add_u64 v[4:5], s[30:31], 0, v[4:5]
	global_load_dword v1, v[4:5], off
	v_mov_b32_e32 v4, v3
	s_waitcnt vmcnt(0)
	v_add_u32_dpp v5, v1, v1 row_ror:8 row_mask:0xf bank_mask:0xf bound_ctrl:1
	v_ashrrev_i64 v[4:5], 29, v[4:5]
	v_lshl_add_u64 v[4:5], s[30:31], 0, v[4:5]
	global_load_dword v1, v[4:5], off
	v_mov_b32_e32 v4, v3
	s_waitcnt vmcnt(0)
	v_add_u32_dpp v5, v1, v1 row_bcast:15 row_mask:0xf bank_mask:0xf bound_ctrl:1
	v_ashrrev_i64 v[4:5], 29, v[4:5]
	v_lshl_add_u64 v[4:5], s[30:31], 0, v[4:5]
	global_load_dword v1, v[4:5], off
	s_waitcnt vmcnt(0)
	s_nop 0
	v_add_u32_dpp v3, v1, v1 row_bcast:31 row_mask:0xf bank_mask:0xf bound_ctrl:1
	v_ashrrev_i64 v[2:3], 29, v[2:3]
	v_lshl_add_u64 v[2:3], s[30:31], 0, v[2:3]
	global_load_dwordx2 v[2:3], v[2:3], off
	v_mbcnt_lo_u32_b32 v1, -1, 0
	v_mbcnt_hi_u32_b32 v5, -1, v1
	v_lshlrev_b32_e32 v1, 2, v5
	v_or_b32_e32 v4, 0xfc, v1
	v_cmp_eq_u32_e32 vcc, 0, v5
	s_waitcnt vmcnt(0)
	ds_bpermute_b32 v2, v4, v2
	ds_bpermute_b32 v3, v4, v3
	s_and_saveexec_b64 s[4:5], vcc
	s_cbranch_execz .LBB776_7
; %bb.6:
	v_lshrrev_b32_e32 v4, 3, v0
	v_and_b32_e32 v4, 24, v4
	s_waitcnt lgkmcnt(0)
	ds_write_b64 v4, v[2:3] offset:32
.LBB776_7:
	s_or_b64 exec, exec, s[4:5]
	v_cmp_gt_u32_e32 vcc, 64, v0
	s_mov_b64 s[4:5], 0
	s_mov_b64 s[44:45], 0
	s_waitcnt lgkmcnt(0)
	s_barrier
                                        ; implicit-def: $vgpr4
	s_and_saveexec_b64 s[6:7], vcc
	s_xor_b64 s[6:7], exec, s[6:7]
	s_cbranch_execz .LBB776_9
; %bb.8:
	v_and_b32_e32 v2, 3, v5
	v_lshlrev_b32_e32 v3, 3, v2
	ds_read_b32 v3, v3 offset:32
	v_cmp_ne_u32_e32 vcc, 3, v2
	v_or_b32_e32 v1, 8, v1
	s_mov_b64 s[44:45], exec
	v_addc_co_u32_e32 v2, vcc, 0, v5, vcc
	v_lshlrev_b32_e32 v2, 2, v2
	s_waitcnt lgkmcnt(0)
	ds_bpermute_b32 v2, v2, v3
	s_waitcnt lgkmcnt(0)
	v_add_u32_e32 v3, v3, v2
	v_mov_b32_e32 v2, 0
	v_ashrrev_i64 v[2:3], 29, v[2:3]
	v_lshl_add_u64 v[2:3], s[30:31], 0, v[2:3]
	global_load_dwordx2 v[2:3], v[2:3], off
	s_waitcnt vmcnt(0)
	ds_bpermute_b32 v4, v1, v2
.LBB776_9:
	s_or_b64 exec, exec, s[6:7]
	s_branch .LBB776_23
.LBB776_10:
	s_mov_b64 s[16:17], 0
	s_mov_b64 s[14:15], 0
                                        ; implicit-def: $vgpr2_vgpr3
	s_cbranch_execnz .LBB776_190
	s_branch .LBB776_239
.LBB776_11:
	s_mov_b64 s[16:17], 0
	s_mov_b64 s[14:15], 0
                                        ; implicit-def: $vgpr2_vgpr3
	s_cbranch_execnz .LBB776_145
	s_branch .LBB776_153
.LBB776_12:
	s_mov_b64 s[34:35], -1
	s_mov_b64 s[16:17], 0
	s_mov_b64 s[14:15], 0
                                        ; implicit-def: $vgpr2_vgpr3
.LBB776_13:
	s_and_b64 vcc, exec, s[34:35]
	s_cbranch_vccz .LBB776_95
.LBB776_14:
	s_cmp_eq_u32 s33, 8
	s_cbranch_scc0 .LBB776_21
; %bb.15:
	s_mov_b32 s3, 0
	s_lshl_b32 s0, s2, 11
	s_mov_b32 s1, s3
	s_lshr_b64 s[4:5], s[38:39], 11
	s_lshl_b64 s[6:7], s[0:1], 3
	s_add_u32 s20, s36, s6
	s_addc_u32 s21, s37, s7
	s_cmp_lg_u64 s[4:5], s[2:3]
	s_cbranch_scc0 .LBB776_96
; %bb.16:
	s_waitcnt vmcnt(0)
	v_lshlrev_b32_e32 v2, 3, v0
	global_load_dword v1, v2, s[20:21]
	global_load_dword v7, v2, s[20:21] offset:2048
	v_mov_b32_e32 v3, 0
	s_waitcnt lgkmcnt(0)
	v_lshl_add_u64 v[4:5], s[20:21], 0, v[2:3]
	v_mov_b32_e32 v6, v3
	v_add_co_u32_e32 v8, vcc, 0x1000, v4
	s_waitcnt vmcnt(0)
	v_add_u32_e32 v7, v7, v1
	v_ashrrev_i64 v[6:7], 29, v[6:7]
	v_addc_co_u32_e32 v9, vcc, 0, v5, vcc
	v_lshl_add_u64 v[6:7], s[30:31], 0, v[6:7]
	global_load_dword v2, v[8:9], off
	global_load_dword v1, v[6:7], off
	v_add_co_u32_e32 v10, vcc, 0x2000, v4
	v_mov_b32_e32 v6, v3
	s_nop 0
	v_addc_co_u32_e32 v11, vcc, 0, v5, vcc
	v_add_co_u32_e32 v4, vcc, 0x3000, v4
	s_waitcnt vmcnt(0)
	v_add_u32_e32 v7, v1, v2
	v_addc_co_u32_e32 v5, vcc, 0, v5, vcc
	global_load_dword v12, v[8:9], off offset:2048
	global_load_dword v13, v[10:11], off
	global_load_dword v14, v[10:11], off offset:2048
	global_load_dword v15, v[4:5], off
	global_load_dword v16, v[4:5], off offset:2048
	v_ashrrev_i64 v[4:5], 29, v[6:7]
	v_lshl_add_u64 v[4:5], s[30:31], 0, v[4:5]
	global_load_dword v1, v[4:5], off
	v_mov_b32_e32 v4, v3
	v_mov_b32_e32 v2, v3
	s_waitcnt vmcnt(0)
	v_add_u32_e32 v5, v1, v12
	v_ashrrev_i64 v[4:5], 29, v[4:5]
	v_lshl_add_u64 v[4:5], s[30:31], 0, v[4:5]
	global_load_dword v1, v[4:5], off
	v_mov_b32_e32 v4, v3
	s_waitcnt vmcnt(0)
	v_add_u32_e32 v5, v1, v13
	v_ashrrev_i64 v[4:5], 29, v[4:5]
	v_lshl_add_u64 v[4:5], s[30:31], 0, v[4:5]
	global_load_dword v1, v[4:5], off
	;; [unrolled: 6-line block ×5, first 2 shown]
	v_mov_b32_e32 v4, v3
	s_waitcnt vmcnt(0)
	v_add_u32_dpp v5, v1, v1 quad_perm:[1,0,3,2] row_mask:0xf bank_mask:0xf bound_ctrl:1
	v_ashrrev_i64 v[4:5], 29, v[4:5]
	v_lshl_add_u64 v[4:5], s[30:31], 0, v[4:5]
	global_load_dword v1, v[4:5], off
	v_mov_b32_e32 v4, v3
	s_waitcnt vmcnt(0)
	v_add_u32_dpp v5, v1, v1 quad_perm:[2,3,0,1] row_mask:0xf bank_mask:0xf bound_ctrl:1
	v_ashrrev_i64 v[4:5], 29, v[4:5]
	v_lshl_add_u64 v[4:5], s[30:31], 0, v[4:5]
	global_load_dword v1, v[4:5], off
	v_mov_b32_e32 v4, v3
	s_waitcnt vmcnt(0)
	v_add_u32_dpp v5, v1, v1 row_ror:4 row_mask:0xf bank_mask:0xf bound_ctrl:1
	v_ashrrev_i64 v[4:5], 29, v[4:5]
	v_lshl_add_u64 v[4:5], s[30:31], 0, v[4:5]
	global_load_dword v1, v[4:5], off
	v_mov_b32_e32 v4, v3
	s_waitcnt vmcnt(0)
	v_add_u32_dpp v5, v1, v1 row_ror:8 row_mask:0xf bank_mask:0xf bound_ctrl:1
	v_ashrrev_i64 v[4:5], 29, v[4:5]
	v_lshl_add_u64 v[4:5], s[30:31], 0, v[4:5]
	global_load_dword v1, v[4:5], off
	v_mov_b32_e32 v4, v3
	s_waitcnt vmcnt(0)
	v_add_u32_dpp v5, v1, v1 row_bcast:15 row_mask:0xf bank_mask:0xf bound_ctrl:1
	v_ashrrev_i64 v[4:5], 29, v[4:5]
	v_lshl_add_u64 v[4:5], s[30:31], 0, v[4:5]
	global_load_dword v1, v[4:5], off
	s_waitcnt vmcnt(0)
	s_nop 0
	v_add_u32_dpp v3, v1, v1 row_bcast:31 row_mask:0xf bank_mask:0xf bound_ctrl:1
	v_ashrrev_i64 v[2:3], 29, v[2:3]
	v_lshl_add_u64 v[2:3], s[30:31], 0, v[2:3]
	global_load_dwordx2 v[2:3], v[2:3], off
	v_mbcnt_lo_u32_b32 v1, -1, 0
	v_mbcnt_hi_u32_b32 v5, -1, v1
	v_lshlrev_b32_e32 v1, 2, v5
	v_or_b32_e32 v4, 0xfc, v1
	v_cmp_eq_u32_e32 vcc, 0, v5
	s_waitcnt vmcnt(0)
	ds_bpermute_b32 v2, v4, v2
	ds_bpermute_b32 v3, v4, v3
	s_and_saveexec_b64 s[4:5], vcc
	s_cbranch_execz .LBB776_18
; %bb.17:
	v_lshrrev_b32_e32 v4, 3, v0
	v_and_b32_e32 v4, 24, v4
	s_waitcnt lgkmcnt(0)
	ds_write_b64 v4, v[2:3] offset:160
.LBB776_18:
	s_or_b64 exec, exec, s[4:5]
	v_cmp_gt_u32_e32 vcc, 64, v0
	s_mov_b64 s[4:5], 0
	s_mov_b64 s[18:19], 0
	s_waitcnt lgkmcnt(0)
	s_barrier
                                        ; implicit-def: $vgpr4
	s_and_saveexec_b64 s[6:7], vcc
	s_xor_b64 s[6:7], exec, s[6:7]
	s_cbranch_execz .LBB776_20
; %bb.19:
	v_and_b32_e32 v2, 3, v5
	v_lshlrev_b32_e32 v3, 3, v2
	ds_read_b32 v3, v3 offset:160
	v_cmp_ne_u32_e32 vcc, 3, v2
	v_or_b32_e32 v1, 8, v1
	s_mov_b64 s[18:19], exec
	v_addc_co_u32_e32 v2, vcc, 0, v5, vcc
	v_lshlrev_b32_e32 v2, 2, v2
	s_waitcnt lgkmcnt(0)
	ds_bpermute_b32 v2, v2, v3
	s_waitcnt lgkmcnt(0)
	v_add_u32_e32 v3, v3, v2
	v_mov_b32_e32 v2, 0
	v_ashrrev_i64 v[2:3], 29, v[2:3]
	v_lshl_add_u64 v[2:3], s[30:31], 0, v[2:3]
	global_load_dwordx2 v[2:3], v[2:3], off
	s_waitcnt vmcnt(0)
	ds_bpermute_b32 v4, v1, v2
.LBB776_20:
	s_or_b64 exec, exec, s[6:7]
	s_branch .LBB776_97
.LBB776_21:
                                        ; implicit-def: $vgpr2_vgpr3
	s_branch .LBB776_153
.LBB776_22:
	s_mov_b64 s[4:5], -1
	s_mov_b64 s[44:45], 0
                                        ; implicit-def: $vgpr4
                                        ; implicit-def: $vgpr2_vgpr3
.LBB776_23:
	s_and_b64 vcc, exec, s[4:5]
	s_cbranch_vccz .LBB776_90
; %bb.24:
	s_sub_i32 s50, s38, s0
	v_mov_b32_e32 v2, 0
	v_cmp_gt_u32_e32 vcc, s50, v0
	v_mov_b32_e32 v3, v2
	s_waitcnt lgkmcnt(0)
	v_mov_b32_e32 v4, v2
	v_mov_b32_e32 v6, v2
	v_mov_b32_e32 v8, v2
	v_mov_b32_e32 v10, v2
	v_mov_b32_e32 v12, v2
	v_mov_b32_e32 v14, v2
	v_mov_b32_e32 v16, v2
	v_mov_b32_e32 v18, v2
	v_mov_b32_e32 v20, v2
	v_mov_b32_e32 v22, v2
	v_mov_b32_e32 v24, v2
	v_mov_b32_e32 v26, v2
	v_mov_b32_e32 v28, v2
	v_mov_b32_e32 v30, v2
	v_mov_b32_e32 v32, v2
	s_and_saveexec_b64 s[0:1], vcc
	s_cbranch_execz .LBB776_26
; %bb.25:
	v_lshlrev_b32_e32 v1, 3, v0
	global_load_dwordx2 v[4:5], v1, s[46:47]
	v_mov_b32_e32 v6, v2
	v_mov_b32_e32 v8, v2
	;; [unrolled: 1-line block ×15, first 2 shown]
	s_waitcnt vmcnt(0)
	v_mov_b64_e32 v[2:3], v[4:5]
	v_mov_b64_e32 v[4:5], v[6:7]
	;; [unrolled: 1-line block ×16, first 2 shown]
.LBB776_26:
	s_or_b64 exec, exec, s[0:1]
	v_or_b32_e32 v1, 0x100, v0
	v_cmp_gt_u32_e32 vcc, s50, v1
	s_and_saveexec_b64 s[0:1], vcc
	s_cbranch_execz .LBB776_28
; %bb.27:
	v_lshlrev_b32_e32 v1, 3, v0
	global_load_dwordx2 v[4:5], v1, s[46:47] offset:2048
.LBB776_28:
	s_or_b64 exec, exec, s[0:1]
	v_or_b32_e32 v1, 0x200, v0
	v_cmp_gt_u32_e64 s[0:1], s50, v1
	s_and_saveexec_b64 s[4:5], s[0:1]
	s_cbranch_execz .LBB776_30
; %bb.29:
	v_lshlrev_b32_e32 v1, 3, v1
	global_load_dwordx2 v[6:7], v1, s[46:47]
.LBB776_30:
	s_or_b64 exec, exec, s[4:5]
	v_or_b32_e32 v1, 0x300, v0
	v_cmp_gt_u32_e64 s[4:5], s50, v1
	s_and_saveexec_b64 s[6:7], s[4:5]
	s_cbranch_execz .LBB776_32
; %bb.31:
	v_lshlrev_b32_e32 v1, 3, v1
	global_load_dwordx2 v[8:9], v1, s[46:47]
.LBB776_32:
	;; [unrolled: 9-line block ×13, first 2 shown]
	s_or_b64 exec, exec, s[28:29]
	v_or_b32_e32 v1, 0xf00, v0
	v_cmp_gt_u32_e64 s[28:29], s50, v1
	s_and_saveexec_b64 s[48:49], s[28:29]
	s_cbranch_execnz .LBB776_274
; %bb.55:
	s_or_b64 exec, exec, s[48:49]
	s_and_saveexec_b64 s[46:47], vcc
	s_cbranch_execnz .LBB776_275
.LBB776_56:
	s_or_b64 exec, exec, s[46:47]
	s_and_saveexec_b64 s[46:47], s[0:1]
	s_cbranch_execnz .LBB776_276
.LBB776_57:
	s_or_b64 exec, exec, s[46:47]
	s_and_saveexec_b64 s[0:1], s[4:5]
	s_cbranch_execnz .LBB776_277
.LBB776_58:
	s_or_b64 exec, exec, s[0:1]
	s_and_saveexec_b64 s[0:1], s[6:7]
	s_cbranch_execnz .LBB776_278
.LBB776_59:
	s_or_b64 exec, exec, s[0:1]
	s_and_saveexec_b64 s[0:1], s[8:9]
	s_cbranch_execnz .LBB776_279
.LBB776_60:
	s_or_b64 exec, exec, s[0:1]
	s_and_saveexec_b64 s[0:1], s[10:11]
	s_cbranch_execnz .LBB776_280
.LBB776_61:
	s_or_b64 exec, exec, s[0:1]
	s_and_saveexec_b64 s[0:1], s[12:13]
	s_cbranch_execnz .LBB776_281
.LBB776_62:
	s_or_b64 exec, exec, s[0:1]
	s_and_saveexec_b64 s[0:1], s[14:15]
	s_cbranch_execnz .LBB776_282
.LBB776_63:
	s_or_b64 exec, exec, s[0:1]
	s_and_saveexec_b64 s[0:1], s[16:17]
	s_cbranch_execnz .LBB776_283
.LBB776_64:
	s_or_b64 exec, exec, s[0:1]
	s_and_saveexec_b64 s[0:1], s[18:19]
	s_cbranch_execnz .LBB776_284
.LBB776_65:
	s_or_b64 exec, exec, s[0:1]
	s_and_saveexec_b64 s[0:1], s[20:21]
	s_cbranch_execnz .LBB776_285
.LBB776_66:
	s_or_b64 exec, exec, s[0:1]
	s_and_saveexec_b64 s[0:1], s[22:23]
	s_cbranch_execnz .LBB776_286
.LBB776_67:
	s_or_b64 exec, exec, s[0:1]
	s_and_saveexec_b64 s[0:1], s[24:25]
	s_cbranch_execnz .LBB776_287
.LBB776_68:
	s_or_b64 exec, exec, s[0:1]
	s_and_saveexec_b64 s[0:1], s[26:27]
	s_cbranch_execnz .LBB776_288
.LBB776_69:
	s_or_b64 exec, exec, s[0:1]
	s_and_saveexec_b64 s[0:1], s[28:29]
	s_cbranch_execz .LBB776_71
.LBB776_70:
	s_waitcnt vmcnt(0)
	v_add_u32_e32 v3, v2, v32
	v_mov_b32_e32 v2, 0
	v_ashrrev_i64 v[2:3], 29, v[2:3]
	v_lshl_add_u64 v[2:3], s[30:31], 0, v[2:3]
	global_load_dwordx2 v[2:3], v[2:3], off
.LBB776_71:
	s_or_b64 exec, exec, s[0:1]
	v_mbcnt_lo_u32_b32 v1, -1, 0
	v_mbcnt_hi_u32_b32 v1, -1, v1
	s_waitcnt vmcnt(0)
	v_and_b32_e32 v4, 63, v1
	v_cmp_ne_u32_e32 vcc, 63, v4
	s_min_u32 s4, s50, 0x100
	v_add_u32_e32 v7, 1, v4
	v_addc_co_u32_e32 v5, vcc, 0, v1, vcc
	v_lshlrev_b32_e32 v5, 2, v5
	ds_bpermute_b32 v6, v5, v2
	v_and_b32_e32 v5, 0xc0, v0
	v_sub_u32_e64 v5, s4, v5 clamp
	v_cmp_lt_u32_e32 vcc, v7, v5
	s_and_saveexec_b64 s[0:1], vcc
	s_xor_b64 s[0:1], exec, s[0:1]
	s_cbranch_execz .LBB776_73
; %bb.72:
	s_waitcnt lgkmcnt(0)
	v_add_u32_e32 v3, v2, v6
	v_mov_b32_e32 v2, 0
	v_ashrrev_i64 v[2:3], 29, v[2:3]
	v_lshl_add_u64 v[2:3], s[30:31], 0, v[2:3]
	global_load_dwordx2 v[2:3], v[2:3], off
.LBB776_73:
	s_or_b64 exec, exec, s[0:1]
	v_cmp_gt_u32_e32 vcc, 62, v4
	v_add_u32_e32 v7, 2, v4
	s_waitcnt lgkmcnt(0)
	v_cndmask_b32_e64 v6, 0, 2, vcc
	v_add_lshl_u32 v6, v6, v1, 2
	s_waitcnt vmcnt(0)
	ds_bpermute_b32 v6, v6, v2
	v_cmp_lt_u32_e32 vcc, v7, v5
	s_and_saveexec_b64 s[0:1], vcc
	s_cbranch_execz .LBB776_75
; %bb.74:
	s_waitcnt lgkmcnt(0)
	v_add_u32_e32 v3, v2, v6
	v_mov_b32_e32 v2, 0
	v_ashrrev_i64 v[2:3], 29, v[2:3]
	v_lshl_add_u64 v[2:3], s[30:31], 0, v[2:3]
	global_load_dwordx2 v[2:3], v[2:3], off
.LBB776_75:
	s_or_b64 exec, exec, s[0:1]
	v_cmp_gt_u32_e32 vcc, 60, v4
	v_add_u32_e32 v7, 4, v4
	s_waitcnt lgkmcnt(0)
	v_cndmask_b32_e64 v6, 0, 4, vcc
	v_add_lshl_u32 v6, v6, v1, 2
	s_waitcnt vmcnt(0)
	ds_bpermute_b32 v6, v6, v2
	v_cmp_lt_u32_e32 vcc, v7, v5
	s_and_saveexec_b64 s[0:1], vcc
	;; [unrolled: 19-line block ×4, first 2 shown]
	s_cbranch_execz .LBB776_81
; %bb.80:
	s_waitcnt lgkmcnt(0)
	v_add_u32_e32 v3, v2, v6
	v_mov_b32_e32 v2, 0
	v_ashrrev_i64 v[2:3], 29, v[2:3]
	v_lshl_add_u64 v[2:3], s[30:31], 0, v[2:3]
	global_load_dwordx2 v[2:3], v[2:3], off
.LBB776_81:
	s_or_b64 exec, exec, s[0:1]
	s_waitcnt lgkmcnt(0)
	v_lshlrev_b32_e32 v6, 2, v1
	v_or_b32_e32 v7, 0x80, v6
	s_waitcnt vmcnt(0)
	ds_bpermute_b32 v7, v7, v2
	v_add_u32_e32 v4, 32, v4
	v_cmp_lt_u32_e32 vcc, v4, v5
	s_and_saveexec_b64 s[0:1], vcc
	s_cbranch_execz .LBB776_83
; %bb.82:
	s_waitcnt lgkmcnt(0)
	v_add_u32_e32 v3, v2, v7
	v_mov_b32_e32 v2, 0
	v_ashrrev_i64 v[2:3], 29, v[2:3]
	v_lshl_add_u64 v[2:3], s[30:31], 0, v[2:3]
	global_load_dwordx2 v[2:3], v[2:3], off
.LBB776_83:
	s_or_b64 exec, exec, s[0:1]
	v_cmp_eq_u32_e32 vcc, 0, v1
	s_and_saveexec_b64 s[0:1], vcc
	s_cbranch_execz .LBB776_85
; %bb.84:
	v_lshrrev_b32_e32 v4, 3, v0
	v_and_b32_e32 v4, 24, v4
	s_waitcnt vmcnt(0)
	ds_write_b64 v4, v[2:3]
.LBB776_85:
	s_or_b64 exec, exec, s[0:1]
	v_cmp_gt_u32_e32 vcc, 4, v0
	s_waitcnt lgkmcnt(0)
	s_barrier
                                        ; implicit-def: $vgpr4
	s_and_saveexec_b64 s[0:1], vcc
	s_cbranch_execz .LBB776_89
; %bb.86:
	s_waitcnt vmcnt(0)
	v_lshlrev_b32_e32 v2, 3, v1
	ds_read_b64 v[2:3], v2
	v_and_b32_e32 v4, 3, v1
	v_cmp_ne_u32_e32 vcc, 3, v4
	s_add_i32 s4, s4, 63
	s_lshr_b32 s6, s4, 6
	v_addc_co_u32_e32 v1, vcc, 0, v1, vcc
	v_lshlrev_b32_e32 v1, 2, v1
	s_waitcnt lgkmcnt(0)
	ds_bpermute_b32 v1, v1, v2
	v_add_u32_e32 v3, 1, v4
	v_cmp_gt_u32_e32 vcc, s6, v3
	s_and_saveexec_b64 s[4:5], vcc
	s_cbranch_execz .LBB776_88
; %bb.87:
	s_waitcnt lgkmcnt(0)
	v_add_u32_e32 v3, v2, v1
	v_mov_b32_e32 v2, 0
	v_ashrrev_i64 v[2:3], 29, v[2:3]
	v_lshl_add_u64 v[2:3], s[30:31], 0, v[2:3]
	global_load_dwordx2 v[2:3], v[2:3], off
.LBB776_88:
	s_or_b64 exec, exec, s[4:5]
	s_waitcnt vmcnt(0)
	v_or_b32_e32 v3, 8, v6
	s_waitcnt lgkmcnt(0)
	v_add_u32_e32 v1, 2, v4
	ds_bpermute_b32 v4, v3, v2
	v_cmp_gt_u32_e32 vcc, s6, v1
	s_andn2_b64 s[4:5], s[44:45], exec
	s_and_b64 s[6:7], vcc, exec
	s_or_b64 s[44:45], s[4:5], s[6:7]
.LBB776_89:
	s_or_b64 exec, exec, s[0:1]
.LBB776_90:
	s_and_saveexec_b64 s[0:1], s[44:45]
	s_cbranch_execz .LBB776_92
; %bb.91:
	s_waitcnt vmcnt(0) lgkmcnt(0)
	v_add_u32_e32 v3, v2, v4
	v_mov_b32_e32 v2, 0
	v_ashrrev_i64 v[2:3], 29, v[2:3]
	v_lshl_add_u64 v[2:3], s[30:31], 0, v[2:3]
	global_load_dwordx2 v[2:3], v[2:3], off
.LBB776_92:
	s_or_b64 exec, exec, s[0:1]
	v_cmp_eq_u32_e32 vcc, 0, v0
	s_mov_b64 s[16:17], 0
	s_mov_b64 s[14:15], 0
	s_and_saveexec_b64 s[0:1], vcc
	s_xor_b64 s[0:1], exec, s[0:1]
; %bb.93:
	s_cmp_eq_u64 s[38:39], 0
	s_cselect_b64 s[4:5], -1, 0
	s_cmp_lg_u64 s[38:39], 0
	s_cselect_b64 s[6:7], -1, 0
	s_and_b64 s[14:15], s[4:5], exec
	s_and_b64 s[16:17], s[6:7], exec
; %bb.94:
	s_or_b64 exec, exec, s[0:1]
	s_and_b64 vcc, exec, s[34:35]
	s_cbranch_vccnz .LBB776_14
.LBB776_95:
	s_branch .LBB776_153
.LBB776_96:
	s_mov_b64 s[4:5], -1
	s_mov_b64 s[18:19], 0
                                        ; implicit-def: $vgpr4
                                        ; implicit-def: $vgpr2_vgpr3
.LBB776_97:
	s_and_b64 vcc, exec, s[4:5]
	s_cbranch_vccz .LBB776_140
; %bb.98:
	s_sub_i32 s24, s38, s0
	s_waitcnt vmcnt(0)
	v_mov_b32_e32 v2, 0
	v_cmp_gt_u32_e32 vcc, s24, v0
	v_mov_b32_e32 v3, v2
	s_waitcnt lgkmcnt(0)
	v_mov_b32_e32 v4, v2
	v_mov_b32_e32 v6, v2
	;; [unrolled: 1-line block ×7, first 2 shown]
	s_and_saveexec_b64 s[0:1], vcc
	s_cbranch_execz .LBB776_100
; %bb.99:
	v_lshlrev_b32_e32 v1, 3, v0
	global_load_dwordx2 v[4:5], v1, s[20:21]
	v_mov_b32_e32 v6, v2
	v_mov_b32_e32 v8, v2
	v_mov_b32_e32 v10, v2
	v_mov_b32_e32 v12, v2
	v_mov_b32_e32 v14, v2
	v_mov_b32_e32 v16, v2
	v_mov_b32_e32 v18, v2
	s_waitcnt vmcnt(0)
	v_mov_b64_e32 v[2:3], v[4:5]
	v_mov_b64_e32 v[4:5], v[6:7]
	;; [unrolled: 1-line block ×8, first 2 shown]
.LBB776_100:
	s_or_b64 exec, exec, s[0:1]
	v_or_b32_e32 v1, 0x100, v0
	v_cmp_gt_u32_e32 vcc, s24, v1
	s_and_saveexec_b64 s[0:1], vcc
	s_cbranch_execz .LBB776_102
; %bb.101:
	v_lshlrev_b32_e32 v1, 3, v0
	global_load_dwordx2 v[4:5], v1, s[20:21] offset:2048
.LBB776_102:
	s_or_b64 exec, exec, s[0:1]
	v_or_b32_e32 v1, 0x200, v0
	v_cmp_gt_u32_e64 s[0:1], s24, v1
	s_and_saveexec_b64 s[4:5], s[0:1]
	s_cbranch_execz .LBB776_104
; %bb.103:
	v_lshlrev_b32_e32 v1, 3, v1
	global_load_dwordx2 v[6:7], v1, s[20:21]
.LBB776_104:
	s_or_b64 exec, exec, s[4:5]
	v_or_b32_e32 v1, 0x300, v0
	v_cmp_gt_u32_e64 s[4:5], s24, v1
	s_and_saveexec_b64 s[6:7], s[4:5]
	s_cbranch_execz .LBB776_106
; %bb.105:
	v_lshlrev_b32_e32 v1, 3, v1
	global_load_dwordx2 v[8:9], v1, s[20:21]
.LBB776_106:
	;; [unrolled: 9-line block ×5, first 2 shown]
	s_or_b64 exec, exec, s[12:13]
	v_or_b32_e32 v1, 0x700, v0
	v_cmp_gt_u32_e64 s[12:13], s24, v1
	s_and_saveexec_b64 s[22:23], s[12:13]
	s_cbranch_execnz .LBB776_289
; %bb.113:
	s_or_b64 exec, exec, s[22:23]
	s_and_saveexec_b64 s[20:21], vcc
	s_cbranch_execnz .LBB776_290
.LBB776_114:
	s_or_b64 exec, exec, s[20:21]
	s_and_saveexec_b64 s[20:21], s[0:1]
	s_cbranch_execnz .LBB776_291
.LBB776_115:
	s_or_b64 exec, exec, s[20:21]
	s_and_saveexec_b64 s[0:1], s[4:5]
	s_cbranch_execnz .LBB776_292
.LBB776_116:
	s_or_b64 exec, exec, s[0:1]
	s_and_saveexec_b64 s[0:1], s[6:7]
	s_cbranch_execnz .LBB776_293
.LBB776_117:
	s_or_b64 exec, exec, s[0:1]
	s_and_saveexec_b64 s[0:1], s[8:9]
	s_cbranch_execnz .LBB776_294
.LBB776_118:
	s_or_b64 exec, exec, s[0:1]
	s_and_saveexec_b64 s[0:1], s[10:11]
	s_cbranch_execnz .LBB776_295
.LBB776_119:
	s_or_b64 exec, exec, s[0:1]
	s_and_saveexec_b64 s[0:1], s[12:13]
	s_cbranch_execz .LBB776_121
.LBB776_120:
	s_waitcnt vmcnt(0)
	v_add_u32_e32 v3, v2, v16
	v_mov_b32_e32 v2, 0
	v_ashrrev_i64 v[2:3], 29, v[2:3]
	v_lshl_add_u64 v[2:3], s[30:31], 0, v[2:3]
	global_load_dwordx2 v[2:3], v[2:3], off
.LBB776_121:
	s_or_b64 exec, exec, s[0:1]
	v_mbcnt_lo_u32_b32 v1, -1, 0
	v_mbcnt_hi_u32_b32 v1, -1, v1
	s_waitcnt vmcnt(0)
	v_and_b32_e32 v4, 63, v1
	v_cmp_ne_u32_e32 vcc, 63, v4
	s_min_u32 s4, s24, 0x100
	v_add_u32_e32 v7, 1, v4
	v_addc_co_u32_e32 v5, vcc, 0, v1, vcc
	v_lshlrev_b32_e32 v5, 2, v5
	ds_bpermute_b32 v6, v5, v2
	v_and_b32_e32 v5, 0xc0, v0
	v_sub_u32_e64 v5, s4, v5 clamp
	v_cmp_lt_u32_e32 vcc, v7, v5
	s_and_saveexec_b64 s[0:1], vcc
	s_xor_b64 s[0:1], exec, s[0:1]
	s_cbranch_execz .LBB776_123
; %bb.122:
	s_waitcnt lgkmcnt(0)
	v_add_u32_e32 v3, v2, v6
	v_mov_b32_e32 v2, 0
	v_ashrrev_i64 v[2:3], 29, v[2:3]
	v_lshl_add_u64 v[2:3], s[30:31], 0, v[2:3]
	global_load_dwordx2 v[2:3], v[2:3], off
.LBB776_123:
	s_or_b64 exec, exec, s[0:1]
	v_cmp_gt_u32_e32 vcc, 62, v4
	v_add_u32_e32 v7, 2, v4
	s_waitcnt lgkmcnt(0)
	v_cndmask_b32_e64 v6, 0, 2, vcc
	v_add_lshl_u32 v6, v6, v1, 2
	s_waitcnt vmcnt(0)
	ds_bpermute_b32 v6, v6, v2
	v_cmp_lt_u32_e32 vcc, v7, v5
	s_and_saveexec_b64 s[0:1], vcc
	s_cbranch_execz .LBB776_125
; %bb.124:
	s_waitcnt lgkmcnt(0)
	v_add_u32_e32 v3, v2, v6
	v_mov_b32_e32 v2, 0
	v_ashrrev_i64 v[2:3], 29, v[2:3]
	v_lshl_add_u64 v[2:3], s[30:31], 0, v[2:3]
	global_load_dwordx2 v[2:3], v[2:3], off
.LBB776_125:
	s_or_b64 exec, exec, s[0:1]
	v_cmp_gt_u32_e32 vcc, 60, v4
	v_add_u32_e32 v7, 4, v4
	s_waitcnt lgkmcnt(0)
	v_cndmask_b32_e64 v6, 0, 4, vcc
	v_add_lshl_u32 v6, v6, v1, 2
	s_waitcnt vmcnt(0)
	ds_bpermute_b32 v6, v6, v2
	v_cmp_lt_u32_e32 vcc, v7, v5
	s_and_saveexec_b64 s[0:1], vcc
	;; [unrolled: 19-line block ×4, first 2 shown]
	s_cbranch_execz .LBB776_131
; %bb.130:
	s_waitcnt lgkmcnt(0)
	v_add_u32_e32 v3, v2, v6
	v_mov_b32_e32 v2, 0
	v_ashrrev_i64 v[2:3], 29, v[2:3]
	v_lshl_add_u64 v[2:3], s[30:31], 0, v[2:3]
	global_load_dwordx2 v[2:3], v[2:3], off
.LBB776_131:
	s_or_b64 exec, exec, s[0:1]
	s_waitcnt lgkmcnt(0)
	v_lshlrev_b32_e32 v6, 2, v1
	v_or_b32_e32 v7, 0x80, v6
	s_waitcnt vmcnt(0)
	ds_bpermute_b32 v7, v7, v2
	v_add_u32_e32 v4, 32, v4
	v_cmp_lt_u32_e32 vcc, v4, v5
	s_and_saveexec_b64 s[0:1], vcc
	s_cbranch_execz .LBB776_133
; %bb.132:
	s_waitcnt lgkmcnt(0)
	v_add_u32_e32 v3, v2, v7
	v_mov_b32_e32 v2, 0
	v_ashrrev_i64 v[2:3], 29, v[2:3]
	v_lshl_add_u64 v[2:3], s[30:31], 0, v[2:3]
	global_load_dwordx2 v[2:3], v[2:3], off
.LBB776_133:
	s_or_b64 exec, exec, s[0:1]
	v_cmp_eq_u32_e32 vcc, 0, v1
	s_and_saveexec_b64 s[0:1], vcc
	s_cbranch_execz .LBB776_135
; %bb.134:
	v_lshrrev_b32_e32 v4, 3, v0
	v_and_b32_e32 v4, 24, v4
	s_waitcnt vmcnt(0)
	ds_write_b64 v4, v[2:3]
.LBB776_135:
	s_or_b64 exec, exec, s[0:1]
	v_cmp_gt_u32_e32 vcc, 4, v0
	s_waitcnt lgkmcnt(0)
	s_barrier
                                        ; implicit-def: $vgpr4
	s_and_saveexec_b64 s[0:1], vcc
	s_cbranch_execz .LBB776_139
; %bb.136:
	s_waitcnt vmcnt(0)
	v_lshlrev_b32_e32 v2, 3, v1
	ds_read_b64 v[2:3], v2
	v_and_b32_e32 v4, 3, v1
	v_cmp_ne_u32_e32 vcc, 3, v4
	s_add_i32 s4, s4, 63
	s_lshr_b32 s6, s4, 6
	v_addc_co_u32_e32 v1, vcc, 0, v1, vcc
	v_lshlrev_b32_e32 v1, 2, v1
	s_waitcnt lgkmcnt(0)
	ds_bpermute_b32 v1, v1, v2
	v_add_u32_e32 v3, 1, v4
	v_cmp_gt_u32_e32 vcc, s6, v3
	s_and_saveexec_b64 s[4:5], vcc
	s_cbranch_execz .LBB776_138
; %bb.137:
	s_waitcnt lgkmcnt(0)
	v_add_u32_e32 v3, v2, v1
	v_mov_b32_e32 v2, 0
	v_ashrrev_i64 v[2:3], 29, v[2:3]
	v_lshl_add_u64 v[2:3], s[30:31], 0, v[2:3]
	global_load_dwordx2 v[2:3], v[2:3], off
.LBB776_138:
	s_or_b64 exec, exec, s[4:5]
	s_waitcnt vmcnt(0)
	v_or_b32_e32 v3, 8, v6
	s_waitcnt lgkmcnt(0)
	v_add_u32_e32 v1, 2, v4
	ds_bpermute_b32 v4, v3, v2
	v_cmp_gt_u32_e32 vcc, s6, v1
	s_andn2_b64 s[4:5], s[18:19], exec
	s_and_b64 s[6:7], vcc, exec
	s_or_b64 s[18:19], s[4:5], s[6:7]
.LBB776_139:
	s_or_b64 exec, exec, s[0:1]
.LBB776_140:
	s_and_saveexec_b64 s[0:1], s[18:19]
	s_cbranch_execz .LBB776_142
; %bb.141:
	s_waitcnt vmcnt(0) lgkmcnt(0)
	v_add_u32_e32 v3, v2, v4
	v_mov_b32_e32 v2, 0
	v_ashrrev_i64 v[2:3], 29, v[2:3]
	v_lshl_add_u64 v[2:3], s[30:31], 0, v[2:3]
	global_load_dwordx2 v[2:3], v[2:3], off
.LBB776_142:
	s_or_b64 exec, exec, s[0:1]
	v_cmp_eq_u32_e32 vcc, 0, v0
	s_and_saveexec_b64 s[0:1], vcc
	s_xor_b64 s[0:1], exec, s[0:1]
	s_cbranch_execz .LBB776_144
; %bb.143:
	s_cmp_eq_u64 s[38:39], 0
	s_cselect_b64 s[4:5], -1, 0
	s_cmp_lg_u64 s[38:39], 0
	s_cselect_b64 s[6:7], -1, 0
	s_andn2_b64 s[8:9], s[14:15], exec
	s_and_b64 s[4:5], s[4:5], exec
	s_or_b64 s[14:15], s[8:9], s[4:5]
	s_andn2_b64 s[4:5], s[16:17], exec
	s_and_b64 s[6:7], s[6:7], exec
	s_or_b64 s[16:17], s[4:5], s[6:7]
.LBB776_144:
	s_or_b64 exec, exec, s[0:1]
	s_branch .LBB776_153
.LBB776_145:
	s_cmp_eq_u32 s33, 4
	s_cbranch_scc0 .LBB776_152
; %bb.146:
	s_mov_b32 s3, 0
	s_lshl_b32 s0, s2, 10
	s_mov_b32 s1, s3
	s_lshr_b64 s[4:5], s[38:39], 10
	s_lshl_b64 s[6:7], s[0:1], 3
	s_add_u32 s8, s36, s6
	s_addc_u32 s9, s37, s7
	s_cmp_lg_u64 s[4:5], s[2:3]
	s_cbranch_scc0 .LBB776_154
; %bb.147:
	s_waitcnt vmcnt(0)
	v_lshlrev_b32_e32 v2, 3, v0
	global_load_dword v1, v2, s[8:9]
	global_load_dword v7, v2, s[8:9] offset:2048
	v_mov_b32_e32 v3, 0
	s_waitcnt lgkmcnt(0)
	v_lshl_add_u64 v[4:5], s[8:9], 0, v[2:3]
	v_mov_b32_e32 v6, v3
	v_add_co_u32_e32 v4, vcc, 0x1000, v4
	s_waitcnt vmcnt(0)
	v_add_u32_e32 v7, v7, v1
	v_ashrrev_i64 v[6:7], 29, v[6:7]
	v_addc_co_u32_e32 v5, vcc, 0, v5, vcc
	v_lshl_add_u64 v[6:7], s[30:31], 0, v[6:7]
	global_load_dword v2, v[4:5], off
	global_load_dword v8, v[4:5], off offset:2048
	global_load_dword v1, v[6:7], off
	v_mov_b32_e32 v6, v3
	s_waitcnt vmcnt(0)
	v_add_u32_e32 v7, v1, v2
	v_ashrrev_i64 v[4:5], 29, v[6:7]
	v_lshl_add_u64 v[4:5], s[30:31], 0, v[4:5]
	global_load_dword v1, v[4:5], off
	v_mov_b32_e32 v4, v3
	v_mov_b32_e32 v2, v3
	s_waitcnt vmcnt(0)
	v_add_u32_e32 v5, v1, v8
	v_ashrrev_i64 v[4:5], 29, v[4:5]
	v_lshl_add_u64 v[4:5], s[30:31], 0, v[4:5]
	global_load_dword v1, v[4:5], off
	v_mov_b32_e32 v4, v3
	s_waitcnt vmcnt(0)
	v_add_u32_dpp v5, v1, v1 quad_perm:[1,0,3,2] row_mask:0xf bank_mask:0xf bound_ctrl:1
	v_ashrrev_i64 v[4:5], 29, v[4:5]
	v_lshl_add_u64 v[4:5], s[30:31], 0, v[4:5]
	global_load_dword v1, v[4:5], off
	v_mov_b32_e32 v4, v3
	s_waitcnt vmcnt(0)
	v_add_u32_dpp v5, v1, v1 quad_perm:[2,3,0,1] row_mask:0xf bank_mask:0xf bound_ctrl:1
	v_ashrrev_i64 v[4:5], 29, v[4:5]
	v_lshl_add_u64 v[4:5], s[30:31], 0, v[4:5]
	global_load_dword v1, v[4:5], off
	v_mov_b32_e32 v4, v3
	s_waitcnt vmcnt(0)
	v_add_u32_dpp v5, v1, v1 row_ror:4 row_mask:0xf bank_mask:0xf bound_ctrl:1
	v_ashrrev_i64 v[4:5], 29, v[4:5]
	v_lshl_add_u64 v[4:5], s[30:31], 0, v[4:5]
	global_load_dword v1, v[4:5], off
	v_mov_b32_e32 v4, v3
	s_waitcnt vmcnt(0)
	v_add_u32_dpp v5, v1, v1 row_ror:8 row_mask:0xf bank_mask:0xf bound_ctrl:1
	v_ashrrev_i64 v[4:5], 29, v[4:5]
	v_lshl_add_u64 v[4:5], s[30:31], 0, v[4:5]
	global_load_dword v1, v[4:5], off
	v_mov_b32_e32 v4, v3
	s_waitcnt vmcnt(0)
	v_add_u32_dpp v5, v1, v1 row_bcast:15 row_mask:0xf bank_mask:0xf bound_ctrl:1
	v_ashrrev_i64 v[4:5], 29, v[4:5]
	v_lshl_add_u64 v[4:5], s[30:31], 0, v[4:5]
	global_load_dword v1, v[4:5], off
	s_waitcnt vmcnt(0)
	s_nop 0
	v_add_u32_dpp v3, v1, v1 row_bcast:31 row_mask:0xf bank_mask:0xf bound_ctrl:1
	v_ashrrev_i64 v[2:3], 29, v[2:3]
	v_lshl_add_u64 v[2:3], s[30:31], 0, v[2:3]
	global_load_dwordx2 v[2:3], v[2:3], off
	v_mbcnt_lo_u32_b32 v1, -1, 0
	v_mbcnt_hi_u32_b32 v5, -1, v1
	v_lshlrev_b32_e32 v1, 2, v5
	v_or_b32_e32 v4, 0xfc, v1
	v_cmp_eq_u32_e32 vcc, 0, v5
	s_waitcnt vmcnt(0)
	ds_bpermute_b32 v2, v4, v2
	ds_bpermute_b32 v3, v4, v3
	s_and_saveexec_b64 s[4:5], vcc
	s_cbranch_execz .LBB776_149
; %bb.148:
	v_lshrrev_b32_e32 v4, 3, v0
	v_and_b32_e32 v4, 24, v4
	s_waitcnt lgkmcnt(0)
	ds_write_b64 v4, v[2:3] offset:128
.LBB776_149:
	s_or_b64 exec, exec, s[4:5]
	v_cmp_gt_u32_e32 vcc, 64, v0
	s_mov_b64 s[4:5], 0
	s_mov_b64 s[6:7], 0
	s_waitcnt lgkmcnt(0)
	s_barrier
                                        ; implicit-def: $vgpr4
	s_and_saveexec_b64 s[10:11], vcc
	s_xor_b64 s[10:11], exec, s[10:11]
	s_cbranch_execz .LBB776_151
; %bb.150:
	v_and_b32_e32 v2, 3, v5
	v_lshlrev_b32_e32 v3, 3, v2
	ds_read_b32 v3, v3 offset:128
	v_cmp_ne_u32_e32 vcc, 3, v2
	v_or_b32_e32 v1, 8, v1
	s_mov_b64 s[6:7], exec
	v_addc_co_u32_e32 v2, vcc, 0, v5, vcc
	v_lshlrev_b32_e32 v2, 2, v2
	s_waitcnt lgkmcnt(0)
	ds_bpermute_b32 v2, v2, v3
	s_waitcnt lgkmcnt(0)
	v_add_u32_e32 v3, v3, v2
	v_mov_b32_e32 v2, 0
	v_ashrrev_i64 v[2:3], 29, v[2:3]
	v_lshl_add_u64 v[2:3], s[30:31], 0, v[2:3]
	global_load_dwordx2 v[2:3], v[2:3], off
	s_waitcnt vmcnt(0)
	ds_bpermute_b32 v4, v1, v2
.LBB776_151:
	s_or_b64 exec, exec, s[10:11]
	s_and_b64 vcc, exec, s[4:5]
	s_cbranch_vccnz .LBB776_155
	s_branch .LBB776_185
.LBB776_152:
                                        ; implicit-def: $vgpr2_vgpr3
.LBB776_153:
	s_branch .LBB776_239
.LBB776_154:
	s_mov_b64 s[6:7], 0
                                        ; implicit-def: $vgpr4
                                        ; implicit-def: $vgpr2_vgpr3
	s_cbranch_execz .LBB776_185
.LBB776_155:
	s_sub_i32 s12, s38, s0
	s_waitcnt vmcnt(0)
	v_mov_b32_e32 v2, 0
	v_cmp_gt_u32_e32 vcc, s12, v0
	v_mov_b32_e32 v3, v2
	s_waitcnt lgkmcnt(0)
	v_mov_b32_e32 v4, v2
	v_mov_b32_e32 v6, v2
	;; [unrolled: 1-line block ×3, first 2 shown]
	s_and_saveexec_b64 s[0:1], vcc
	s_cbranch_execz .LBB776_157
; %bb.156:
	v_lshlrev_b32_e32 v1, 3, v0
	global_load_dwordx2 v[4:5], v1, s[8:9]
	v_mov_b32_e32 v6, v2
	v_mov_b32_e32 v8, v2
	;; [unrolled: 1-line block ×3, first 2 shown]
	s_waitcnt vmcnt(0)
	v_mov_b64_e32 v[2:3], v[4:5]
	v_mov_b64_e32 v[4:5], v[6:7]
	;; [unrolled: 1-line block ×4, first 2 shown]
.LBB776_157:
	s_or_b64 exec, exec, s[0:1]
	v_or_b32_e32 v1, 0x100, v0
	v_cmp_gt_u32_e32 vcc, s12, v1
	s_and_saveexec_b64 s[0:1], vcc
	s_cbranch_execz .LBB776_159
; %bb.158:
	v_lshlrev_b32_e32 v1, 3, v0
	global_load_dwordx2 v[4:5], v1, s[8:9] offset:2048
.LBB776_159:
	s_or_b64 exec, exec, s[0:1]
	v_or_b32_e32 v1, 0x200, v0
	v_cmp_gt_u32_e64 s[0:1], s12, v1
	s_and_saveexec_b64 s[4:5], s[0:1]
	s_cbranch_execz .LBB776_161
; %bb.160:
	v_lshlrev_b32_e32 v1, 3, v1
	global_load_dwordx2 v[6:7], v1, s[8:9]
.LBB776_161:
	s_or_b64 exec, exec, s[4:5]
	v_or_b32_e32 v1, 0x300, v0
	v_cmp_gt_u32_e64 s[4:5], s12, v1
	s_and_saveexec_b64 s[10:11], s[4:5]
	s_cbranch_execnz .LBB776_271
; %bb.162:
	s_or_b64 exec, exec, s[10:11]
	s_and_saveexec_b64 s[8:9], vcc
	s_cbranch_execnz .LBB776_272
.LBB776_163:
	s_or_b64 exec, exec, s[8:9]
	s_and_saveexec_b64 s[8:9], s[0:1]
	s_cbranch_execnz .LBB776_273
.LBB776_164:
	s_or_b64 exec, exec, s[8:9]
	s_and_saveexec_b64 s[0:1], s[4:5]
	s_cbranch_execz .LBB776_166
.LBB776_165:
	s_waitcnt vmcnt(0)
	v_add_u32_e32 v3, v2, v8
	v_mov_b32_e32 v2, 0
	v_ashrrev_i64 v[2:3], 29, v[2:3]
	v_lshl_add_u64 v[2:3], s[30:31], 0, v[2:3]
	global_load_dwordx2 v[2:3], v[2:3], off
.LBB776_166:
	s_or_b64 exec, exec, s[0:1]
	v_mbcnt_lo_u32_b32 v1, -1, 0
	v_mbcnt_hi_u32_b32 v1, -1, v1
	s_waitcnt vmcnt(0)
	v_and_b32_e32 v4, 63, v1
	v_cmp_ne_u32_e32 vcc, 63, v4
	s_min_u32 s4, s12, 0x100
	v_add_u32_e32 v7, 1, v4
	v_addc_co_u32_e32 v5, vcc, 0, v1, vcc
	v_lshlrev_b32_e32 v5, 2, v5
	ds_bpermute_b32 v6, v5, v2
	v_and_b32_e32 v5, 0xc0, v0
	v_sub_u32_e64 v5, s4, v5 clamp
	v_cmp_lt_u32_e32 vcc, v7, v5
	s_and_saveexec_b64 s[0:1], vcc
	s_xor_b64 s[0:1], exec, s[0:1]
	s_cbranch_execz .LBB776_168
; %bb.167:
	s_waitcnt lgkmcnt(0)
	v_add_u32_e32 v3, v2, v6
	v_mov_b32_e32 v2, 0
	v_ashrrev_i64 v[2:3], 29, v[2:3]
	v_lshl_add_u64 v[2:3], s[30:31], 0, v[2:3]
	global_load_dwordx2 v[2:3], v[2:3], off
.LBB776_168:
	s_or_b64 exec, exec, s[0:1]
	v_cmp_gt_u32_e32 vcc, 62, v4
	v_add_u32_e32 v7, 2, v4
	s_waitcnt lgkmcnt(0)
	v_cndmask_b32_e64 v6, 0, 2, vcc
	v_add_lshl_u32 v6, v6, v1, 2
	s_waitcnt vmcnt(0)
	ds_bpermute_b32 v6, v6, v2
	v_cmp_lt_u32_e32 vcc, v7, v5
	s_and_saveexec_b64 s[0:1], vcc
	s_cbranch_execz .LBB776_170
; %bb.169:
	s_waitcnt lgkmcnt(0)
	v_add_u32_e32 v3, v2, v6
	v_mov_b32_e32 v2, 0
	v_ashrrev_i64 v[2:3], 29, v[2:3]
	v_lshl_add_u64 v[2:3], s[30:31], 0, v[2:3]
	global_load_dwordx2 v[2:3], v[2:3], off
.LBB776_170:
	s_or_b64 exec, exec, s[0:1]
	v_cmp_gt_u32_e32 vcc, 60, v4
	v_add_u32_e32 v7, 4, v4
	s_waitcnt lgkmcnt(0)
	v_cndmask_b32_e64 v6, 0, 4, vcc
	v_add_lshl_u32 v6, v6, v1, 2
	s_waitcnt vmcnt(0)
	ds_bpermute_b32 v6, v6, v2
	v_cmp_lt_u32_e32 vcc, v7, v5
	s_and_saveexec_b64 s[0:1], vcc
	;; [unrolled: 19-line block ×4, first 2 shown]
	s_cbranch_execz .LBB776_176
; %bb.175:
	s_waitcnt lgkmcnt(0)
	v_add_u32_e32 v3, v2, v6
	v_mov_b32_e32 v2, 0
	v_ashrrev_i64 v[2:3], 29, v[2:3]
	v_lshl_add_u64 v[2:3], s[30:31], 0, v[2:3]
	global_load_dwordx2 v[2:3], v[2:3], off
.LBB776_176:
	s_or_b64 exec, exec, s[0:1]
	s_waitcnt lgkmcnt(0)
	v_lshlrev_b32_e32 v6, 2, v1
	v_or_b32_e32 v7, 0x80, v6
	s_waitcnt vmcnt(0)
	ds_bpermute_b32 v7, v7, v2
	v_add_u32_e32 v4, 32, v4
	v_cmp_lt_u32_e32 vcc, v4, v5
	s_and_saveexec_b64 s[0:1], vcc
	s_cbranch_execz .LBB776_178
; %bb.177:
	s_waitcnt lgkmcnt(0)
	v_add_u32_e32 v3, v2, v7
	v_mov_b32_e32 v2, 0
	v_ashrrev_i64 v[2:3], 29, v[2:3]
	v_lshl_add_u64 v[2:3], s[30:31], 0, v[2:3]
	global_load_dwordx2 v[2:3], v[2:3], off
.LBB776_178:
	s_or_b64 exec, exec, s[0:1]
	v_cmp_eq_u32_e32 vcc, 0, v1
	s_and_saveexec_b64 s[0:1], vcc
	s_cbranch_execz .LBB776_180
; %bb.179:
	v_lshrrev_b32_e32 v4, 3, v0
	v_and_b32_e32 v4, 24, v4
	s_waitcnt vmcnt(0)
	ds_write_b64 v4, v[2:3]
.LBB776_180:
	s_or_b64 exec, exec, s[0:1]
	v_cmp_gt_u32_e32 vcc, 4, v0
	s_waitcnt lgkmcnt(0)
	s_barrier
                                        ; implicit-def: $vgpr4
	s_and_saveexec_b64 s[0:1], vcc
	s_cbranch_execz .LBB776_184
; %bb.181:
	s_waitcnt vmcnt(0)
	v_lshlrev_b32_e32 v2, 3, v1
	ds_read_b64 v[2:3], v2
	v_and_b32_e32 v4, 3, v1
	v_cmp_ne_u32_e32 vcc, 3, v4
	s_add_i32 s4, s4, 63
	s_lshr_b32 s8, s4, 6
	v_addc_co_u32_e32 v1, vcc, 0, v1, vcc
	v_lshlrev_b32_e32 v1, 2, v1
	s_waitcnt lgkmcnt(0)
	ds_bpermute_b32 v1, v1, v2
	v_add_u32_e32 v3, 1, v4
	v_cmp_gt_u32_e32 vcc, s8, v3
	s_and_saveexec_b64 s[4:5], vcc
	s_cbranch_execz .LBB776_183
; %bb.182:
	s_waitcnt lgkmcnt(0)
	v_add_u32_e32 v3, v2, v1
	v_mov_b32_e32 v2, 0
	v_ashrrev_i64 v[2:3], 29, v[2:3]
	v_lshl_add_u64 v[2:3], s[30:31], 0, v[2:3]
	global_load_dwordx2 v[2:3], v[2:3], off
.LBB776_183:
	s_or_b64 exec, exec, s[4:5]
	s_waitcnt vmcnt(0)
	v_or_b32_e32 v3, 8, v6
	s_waitcnt lgkmcnt(0)
	v_add_u32_e32 v1, 2, v4
	ds_bpermute_b32 v4, v3, v2
	v_cmp_gt_u32_e32 vcc, s8, v1
	s_andn2_b64 s[4:5], s[6:7], exec
	s_and_b64 s[6:7], vcc, exec
	s_or_b64 s[6:7], s[4:5], s[6:7]
.LBB776_184:
	s_or_b64 exec, exec, s[0:1]
.LBB776_185:
	s_and_saveexec_b64 s[0:1], s[6:7]
	s_cbranch_execz .LBB776_187
; %bb.186:
	s_waitcnt vmcnt(0) lgkmcnt(0)
	v_add_u32_e32 v3, v2, v4
	v_mov_b32_e32 v2, 0
	v_ashrrev_i64 v[2:3], 29, v[2:3]
	v_lshl_add_u64 v[2:3], s[30:31], 0, v[2:3]
	global_load_dwordx2 v[2:3], v[2:3], off
.LBB776_187:
	s_or_b64 exec, exec, s[0:1]
	v_cmp_eq_u32_e32 vcc, 0, v0
	s_and_saveexec_b64 s[0:1], vcc
	s_xor_b64 s[0:1], exec, s[0:1]
	s_cbranch_execz .LBB776_189
; %bb.188:
	s_cmp_eq_u64 s[38:39], 0
	s_cselect_b64 s[4:5], -1, 0
	s_cmp_lg_u64 s[38:39], 0
	s_cselect_b64 s[6:7], -1, 0
	s_andn2_b64 s[8:9], s[14:15], exec
	s_and_b64 s[4:5], s[4:5], exec
	s_or_b64 s[14:15], s[8:9], s[4:5]
	s_andn2_b64 s[4:5], s[16:17], exec
	s_and_b64 s[6:7], s[6:7], exec
	s_or_b64 s[16:17], s[4:5], s[6:7]
.LBB776_189:
	s_or_b64 exec, exec, s[0:1]
	s_branch .LBB776_239
.LBB776_190:
	s_cmp_gt_i32 s33, 1
	s_cbranch_scc0 .LBB776_198
; %bb.191:
	s_cmp_eq_u32 s33, 2
	s_cbranch_scc0 .LBB776_199
; %bb.192:
	s_mov_b32 s3, 0
	s_lshl_b32 s6, s2, 9
	s_mov_b32 s7, s3
	s_lshr_b64 s[0:1], s[38:39], 9
	s_lshl_b64 s[4:5], s[6:7], 3
	s_add_u32 s4, s36, s4
	s_addc_u32 s5, s37, s5
	s_cmp_lg_u64 s[0:1], s[2:3]
	s_cbranch_scc0 .LBB776_200
; %bb.193:
	v_lshlrev_b32_e32 v1, 3, v0
	global_load_dword v3, v1, s[4:5]
	s_waitcnt lgkmcnt(0)
	global_load_dword v4, v1, s[4:5] offset:2048
	s_waitcnt vmcnt(2)
	v_mov_b32_e32 v2, 0
	s_waitcnt vmcnt(0)
	v_add_u32_e32 v3, v4, v3
	v_ashrrev_i64 v[4:5], 29, v[2:3]
	v_lshl_add_u64 v[4:5], s[30:31], 0, v[4:5]
	global_load_dword v1, v[4:5], off
	s_waitcnt vmcnt(0)
	s_nop 0
	v_add_u32_dpp v3, v1, v1 quad_perm:[1,0,3,2] row_mask:0xf bank_mask:0xf bound_ctrl:1
	v_ashrrev_i64 v[4:5], 29, v[2:3]
	v_lshl_add_u64 v[4:5], s[30:31], 0, v[4:5]
	global_load_dword v1, v[4:5], off
	s_waitcnt vmcnt(0)
	s_nop 0
	v_add_u32_dpp v3, v1, v1 quad_perm:[2,3,0,1] row_mask:0xf bank_mask:0xf bound_ctrl:1
	v_ashrrev_i64 v[4:5], 29, v[2:3]
	v_lshl_add_u64 v[4:5], s[30:31], 0, v[4:5]
	global_load_dword v1, v[4:5], off
	s_waitcnt vmcnt(0)
	s_nop 0
	v_add_u32_dpp v3, v1, v1 row_ror:4 row_mask:0xf bank_mask:0xf bound_ctrl:1
	v_ashrrev_i64 v[4:5], 29, v[2:3]
	v_lshl_add_u64 v[4:5], s[30:31], 0, v[4:5]
	global_load_dword v1, v[4:5], off
	s_waitcnt vmcnt(0)
	s_nop 0
	v_add_u32_dpp v3, v1, v1 row_ror:8 row_mask:0xf bank_mask:0xf bound_ctrl:1
	v_ashrrev_i64 v[4:5], 29, v[2:3]
	v_lshl_add_u64 v[4:5], s[30:31], 0, v[4:5]
	global_load_dword v1, v[4:5], off
	s_waitcnt vmcnt(0)
	s_nop 0
	v_add_u32_dpp v3, v1, v1 row_bcast:15 row_mask:0xf bank_mask:0xf bound_ctrl:1
	v_ashrrev_i64 v[4:5], 29, v[2:3]
	v_lshl_add_u64 v[4:5], s[30:31], 0, v[4:5]
	global_load_dword v1, v[4:5], off
	s_waitcnt vmcnt(0)
	s_nop 0
	v_add_u32_dpp v3, v1, v1 row_bcast:31 row_mask:0xf bank_mask:0xf bound_ctrl:1
	v_ashrrev_i64 v[2:3], 29, v[2:3]
	v_lshl_add_u64 v[2:3], s[30:31], 0, v[2:3]
	global_load_dwordx2 v[2:3], v[2:3], off
	v_mbcnt_lo_u32_b32 v1, -1, 0
	v_mbcnt_hi_u32_b32 v5, -1, v1
	v_lshlrev_b32_e32 v1, 2, v5
	v_or_b32_e32 v4, 0xfc, v1
	v_cmp_eq_u32_e32 vcc, 0, v5
	s_waitcnt vmcnt(0)
	ds_bpermute_b32 v2, v4, v2
	ds_bpermute_b32 v3, v4, v3
	s_and_saveexec_b64 s[0:1], vcc
	s_cbranch_execz .LBB776_195
; %bb.194:
	v_lshrrev_b32_e32 v4, 3, v0
	v_and_b32_e32 v4, 24, v4
	s_waitcnt lgkmcnt(0)
	ds_write_b64 v4, v[2:3] offset:96
.LBB776_195:
	s_or_b64 exec, exec, s[0:1]
	v_cmp_gt_u32_e32 vcc, 64, v0
	s_mov_b64 s[8:9], 0
	s_mov_b64 s[0:1], 0
	s_waitcnt lgkmcnt(0)
	s_barrier
                                        ; implicit-def: $vgpr4
	s_and_saveexec_b64 s[10:11], vcc
	s_xor_b64 s[10:11], exec, s[10:11]
	s_cbranch_execz .LBB776_197
; %bb.196:
	v_and_b32_e32 v2, 3, v5
	v_lshlrev_b32_e32 v3, 3, v2
	ds_read_b32 v3, v3 offset:96
	v_cmp_ne_u32_e32 vcc, 3, v2
	v_or_b32_e32 v1, 8, v1
	s_mov_b64 s[0:1], exec
	v_addc_co_u32_e32 v2, vcc, 0, v5, vcc
	v_lshlrev_b32_e32 v2, 2, v2
	s_waitcnt lgkmcnt(0)
	ds_bpermute_b32 v2, v2, v3
	s_waitcnt lgkmcnt(0)
	v_add_u32_e32 v3, v3, v2
	v_mov_b32_e32 v2, 0
	v_ashrrev_i64 v[2:3], 29, v[2:3]
	v_lshl_add_u64 v[2:3], s[30:31], 0, v[2:3]
	global_load_dwordx2 v[2:3], v[2:3], off
	s_waitcnt vmcnt(0)
	ds_bpermute_b32 v4, v1, v2
.LBB776_197:
	s_or_b64 exec, exec, s[10:11]
	s_and_b64 vcc, exec, s[8:9]
	s_cbranch_vccnz .LBB776_201
	s_branch .LBB776_226
.LBB776_198:
                                        ; implicit-def: $vgpr2_vgpr3
	s_cbranch_execnz .LBB776_231
	s_branch .LBB776_239
.LBB776_199:
                                        ; implicit-def: $vgpr2_vgpr3
	s_branch .LBB776_239
.LBB776_200:
	s_mov_b64 s[0:1], 0
                                        ; implicit-def: $vgpr4
                                        ; implicit-def: $vgpr2_vgpr3
	s_cbranch_execz .LBB776_226
.LBB776_201:
	s_sub_i32 s8, s38, s6
	s_waitcnt vmcnt(0)
	v_mov_b32_e32 v2, 0
	v_cmp_gt_u32_e32 vcc, s8, v0
	v_mov_b32_e32 v3, v2
	s_waitcnt lgkmcnt(0)
	v_mov_b32_e32 v4, v2
	s_and_saveexec_b64 s[6:7], vcc
	s_cbranch_execz .LBB776_203
; %bb.202:
	v_lshlrev_b32_e32 v1, 3, v0
	global_load_dwordx2 v[4:5], v1, s[4:5]
	v_mov_b32_e32 v6, v2
	s_waitcnt vmcnt(0)
	v_mov_b64_e32 v[2:3], v[4:5]
	v_mov_b64_e32 v[4:5], v[6:7]
.LBB776_203:
	s_or_b64 exec, exec, s[6:7]
	v_or_b32_e32 v1, 0x100, v0
	v_cmp_gt_u32_e32 vcc, s8, v1
	s_and_saveexec_b64 s[6:7], vcc
	s_cbranch_execz .LBB776_205
; %bb.204:
	v_lshlrev_b32_e32 v1, 3, v0
	global_load_dwordx2 v[4:5], v1, s[4:5] offset:2048
.LBB776_205:
	s_or_b64 exec, exec, s[6:7]
	s_and_saveexec_b64 s[4:5], vcc
	s_cbranch_execz .LBB776_207
; %bb.206:
	s_waitcnt vmcnt(0)
	v_add_u32_e32 v3, v2, v4
	v_mov_b32_e32 v2, 0
	v_ashrrev_i64 v[2:3], 29, v[2:3]
	v_lshl_add_u64 v[2:3], s[30:31], 0, v[2:3]
	global_load_dwordx2 v[2:3], v[2:3], off
.LBB776_207:
	s_or_b64 exec, exec, s[4:5]
	v_mbcnt_lo_u32_b32 v1, -1, 0
	v_mbcnt_hi_u32_b32 v1, -1, v1
	s_waitcnt vmcnt(0)
	v_and_b32_e32 v4, 63, v1
	v_cmp_ne_u32_e32 vcc, 63, v4
	s_min_u32 s6, s8, 0x100
	v_add_u32_e32 v7, 1, v4
	v_addc_co_u32_e32 v5, vcc, 0, v1, vcc
	v_lshlrev_b32_e32 v5, 2, v5
	ds_bpermute_b32 v6, v5, v2
	v_and_b32_e32 v5, 0xc0, v0
	v_sub_u32_e64 v5, s6, v5 clamp
	v_cmp_lt_u32_e32 vcc, v7, v5
	s_and_saveexec_b64 s[4:5], vcc
	s_xor_b64 s[4:5], exec, s[4:5]
	s_cbranch_execz .LBB776_209
; %bb.208:
	s_waitcnt lgkmcnt(0)
	v_add_u32_e32 v3, v2, v6
	v_mov_b32_e32 v2, 0
	v_ashrrev_i64 v[2:3], 29, v[2:3]
	v_lshl_add_u64 v[2:3], s[30:31], 0, v[2:3]
	global_load_dwordx2 v[2:3], v[2:3], off
.LBB776_209:
	s_or_b64 exec, exec, s[4:5]
	v_cmp_gt_u32_e32 vcc, 62, v4
	v_add_u32_e32 v7, 2, v4
	s_waitcnt lgkmcnt(0)
	v_cndmask_b32_e64 v6, 0, 2, vcc
	v_add_lshl_u32 v6, v6, v1, 2
	s_waitcnt vmcnt(0)
	ds_bpermute_b32 v6, v6, v2
	v_cmp_lt_u32_e32 vcc, v7, v5
	s_and_saveexec_b64 s[4:5], vcc
	s_cbranch_execz .LBB776_211
; %bb.210:
	s_waitcnt lgkmcnt(0)
	v_add_u32_e32 v3, v2, v6
	v_mov_b32_e32 v2, 0
	v_ashrrev_i64 v[2:3], 29, v[2:3]
	v_lshl_add_u64 v[2:3], s[30:31], 0, v[2:3]
	global_load_dwordx2 v[2:3], v[2:3], off
.LBB776_211:
	s_or_b64 exec, exec, s[4:5]
	v_cmp_gt_u32_e32 vcc, 60, v4
	v_add_u32_e32 v7, 4, v4
	s_waitcnt lgkmcnt(0)
	v_cndmask_b32_e64 v6, 0, 4, vcc
	v_add_lshl_u32 v6, v6, v1, 2
	s_waitcnt vmcnt(0)
	ds_bpermute_b32 v6, v6, v2
	v_cmp_lt_u32_e32 vcc, v7, v5
	s_and_saveexec_b64 s[4:5], vcc
	;; [unrolled: 19-line block ×4, first 2 shown]
	s_cbranch_execz .LBB776_217
; %bb.216:
	s_waitcnt lgkmcnt(0)
	v_add_u32_e32 v3, v2, v6
	v_mov_b32_e32 v2, 0
	v_ashrrev_i64 v[2:3], 29, v[2:3]
	v_lshl_add_u64 v[2:3], s[30:31], 0, v[2:3]
	global_load_dwordx2 v[2:3], v[2:3], off
.LBB776_217:
	s_or_b64 exec, exec, s[4:5]
	s_waitcnt lgkmcnt(0)
	v_lshlrev_b32_e32 v6, 2, v1
	v_or_b32_e32 v7, 0x80, v6
	s_waitcnt vmcnt(0)
	ds_bpermute_b32 v7, v7, v2
	v_add_u32_e32 v4, 32, v4
	v_cmp_lt_u32_e32 vcc, v4, v5
	s_and_saveexec_b64 s[4:5], vcc
	s_cbranch_execz .LBB776_219
; %bb.218:
	s_waitcnt lgkmcnt(0)
	v_add_u32_e32 v3, v2, v7
	v_mov_b32_e32 v2, 0
	v_ashrrev_i64 v[2:3], 29, v[2:3]
	v_lshl_add_u64 v[2:3], s[30:31], 0, v[2:3]
	global_load_dwordx2 v[2:3], v[2:3], off
.LBB776_219:
	s_or_b64 exec, exec, s[4:5]
	v_cmp_eq_u32_e32 vcc, 0, v1
	s_and_saveexec_b64 s[4:5], vcc
	s_cbranch_execz .LBB776_221
; %bb.220:
	v_lshrrev_b32_e32 v4, 3, v0
	v_and_b32_e32 v4, 24, v4
	s_waitcnt vmcnt(0)
	ds_write_b64 v4, v[2:3]
.LBB776_221:
	s_or_b64 exec, exec, s[4:5]
	v_cmp_gt_u32_e32 vcc, 4, v0
	s_waitcnt lgkmcnt(0)
	s_barrier
                                        ; implicit-def: $vgpr4
	s_and_saveexec_b64 s[4:5], vcc
	s_cbranch_execz .LBB776_225
; %bb.222:
	s_waitcnt vmcnt(0)
	v_lshlrev_b32_e32 v2, 3, v1
	ds_read_b64 v[2:3], v2
	v_and_b32_e32 v4, 3, v1
	v_cmp_ne_u32_e32 vcc, 3, v4
	s_add_i32 s6, s6, 63
	s_lshr_b32 s8, s6, 6
	v_addc_co_u32_e32 v1, vcc, 0, v1, vcc
	v_lshlrev_b32_e32 v1, 2, v1
	s_waitcnt lgkmcnt(0)
	ds_bpermute_b32 v1, v1, v2
	v_add_u32_e32 v3, 1, v4
	v_cmp_gt_u32_e32 vcc, s8, v3
	s_and_saveexec_b64 s[6:7], vcc
	s_cbranch_execz .LBB776_224
; %bb.223:
	s_waitcnt lgkmcnt(0)
	v_add_u32_e32 v3, v2, v1
	v_mov_b32_e32 v2, 0
	v_ashrrev_i64 v[2:3], 29, v[2:3]
	v_lshl_add_u64 v[2:3], s[30:31], 0, v[2:3]
	global_load_dwordx2 v[2:3], v[2:3], off
.LBB776_224:
	s_or_b64 exec, exec, s[6:7]
	s_waitcnt vmcnt(0)
	v_or_b32_e32 v3, 8, v6
	s_waitcnt lgkmcnt(0)
	v_add_u32_e32 v1, 2, v4
	ds_bpermute_b32 v4, v3, v2
	v_cmp_gt_u32_e32 vcc, s8, v1
	s_andn2_b64 s[0:1], s[0:1], exec
	s_and_b64 s[6:7], vcc, exec
	s_or_b64 s[0:1], s[0:1], s[6:7]
.LBB776_225:
	s_or_b64 exec, exec, s[4:5]
.LBB776_226:
	s_and_saveexec_b64 s[4:5], s[0:1]
	s_cbranch_execz .LBB776_228
; %bb.227:
	s_waitcnt vmcnt(0) lgkmcnt(0)
	v_add_u32_e32 v3, v2, v4
	v_mov_b32_e32 v2, 0
	v_ashrrev_i64 v[2:3], 29, v[2:3]
	v_lshl_add_u64 v[2:3], s[30:31], 0, v[2:3]
	global_load_dwordx2 v[2:3], v[2:3], off
.LBB776_228:
	s_or_b64 exec, exec, s[4:5]
	v_cmp_eq_u32_e32 vcc, 0, v0
	s_and_saveexec_b64 s[0:1], vcc
	s_xor_b64 s[0:1], exec, s[0:1]
	s_cbranch_execz .LBB776_230
; %bb.229:
	s_cmp_eq_u64 s[38:39], 0
	s_cselect_b64 s[4:5], -1, 0
	s_cmp_lg_u64 s[38:39], 0
	s_cselect_b64 s[6:7], -1, 0
	s_andn2_b64 s[8:9], s[14:15], exec
	s_and_b64 s[4:5], s[4:5], exec
	s_or_b64 s[14:15], s[8:9], s[4:5]
	s_andn2_b64 s[4:5], s[16:17], exec
	s_and_b64 s[6:7], s[6:7], exec
	s_or_b64 s[16:17], s[4:5], s[6:7]
.LBB776_230:
	s_or_b64 exec, exec, s[0:1]
	s_branch .LBB776_239
.LBB776_231:
	s_cmp_eq_u32 s33, 1
	s_cbranch_scc0 .LBB776_238
; %bb.232:
	s_mov_b32 s5, 0
	s_lshl_b32 s4, s2, 8
	s_mov_b32 s3, s5
	s_lshr_b64 s[0:1], s[38:39], 8
	s_cmp_lg_u64 s[0:1], s[2:3]
	v_mbcnt_lo_u32_b32 v1, -1, 0
	s_cbranch_scc0 .LBB776_242
; %bb.233:
	s_lshl_b64 s[0:1], s[4:5], 3
	s_add_u32 s0, s36, s0
	s_addc_u32 s1, s37, s1
	s_waitcnt vmcnt(0)
	v_lshlrev_b32_e32 v2, 3, v0
	global_load_dword v3, v2, s[0:1]
	v_mov_b32_e32 v2, 0
	v_mbcnt_hi_u32_b32 v6, -1, v1
	v_cmp_eq_u32_e32 vcc, 0, v6
	s_waitcnt vmcnt(0)
	v_add_u32_dpp v3, v3, v3 quad_perm:[1,0,3,2] row_mask:0xf bank_mask:0xf bound_ctrl:1
	s_waitcnt lgkmcnt(0)
	v_ashrrev_i64 v[4:5], 29, v[2:3]
	v_lshl_add_u64 v[4:5], s[30:31], 0, v[4:5]
	global_load_dword v3, v[4:5], off
	s_waitcnt vmcnt(0)
	s_nop 0
	v_add_u32_dpp v3, v3, v3 quad_perm:[2,3,0,1] row_mask:0xf bank_mask:0xf bound_ctrl:1
	v_ashrrev_i64 v[4:5], 29, v[2:3]
	v_lshl_add_u64 v[4:5], s[30:31], 0, v[4:5]
	global_load_dword v3, v[4:5], off
	s_waitcnt vmcnt(0)
	s_nop 0
	v_add_u32_dpp v3, v3, v3 row_ror:4 row_mask:0xf bank_mask:0xf bound_ctrl:1
	v_ashrrev_i64 v[4:5], 29, v[2:3]
	v_lshl_add_u64 v[4:5], s[30:31], 0, v[4:5]
	global_load_dword v3, v[4:5], off
	s_waitcnt vmcnt(0)
	s_nop 0
	v_add_u32_dpp v3, v3, v3 row_ror:8 row_mask:0xf bank_mask:0xf bound_ctrl:1
	v_ashrrev_i64 v[4:5], 29, v[2:3]
	v_lshl_add_u64 v[4:5], s[30:31], 0, v[4:5]
	global_load_dword v3, v[4:5], off
	s_waitcnt vmcnt(0)
	s_nop 0
	v_add_u32_dpp v3, v3, v3 row_bcast:15 row_mask:0xf bank_mask:0xf bound_ctrl:1
	v_ashrrev_i64 v[4:5], 29, v[2:3]
	v_lshl_add_u64 v[4:5], s[30:31], 0, v[4:5]
	global_load_dword v3, v[4:5], off
	v_lshlrev_b32_e32 v5, 2, v6
	v_or_b32_e32 v4, 0xfc, v5
	s_waitcnt vmcnt(0)
	v_add_u32_dpp v3, v3, v3 row_bcast:31 row_mask:0xf bank_mask:0xf bound_ctrl:1
	v_ashrrev_i64 v[2:3], 29, v[2:3]
	v_lshl_add_u64 v[2:3], s[30:31], 0, v[2:3]
	global_load_dwordx2 v[2:3], v[2:3], off
	s_waitcnt vmcnt(0)
	ds_bpermute_b32 v2, v4, v2
	ds_bpermute_b32 v3, v4, v3
	s_and_saveexec_b64 s[0:1], vcc
	s_cbranch_execz .LBB776_235
; %bb.234:
	v_lshrrev_b32_e32 v4, 3, v0
	v_and_b32_e32 v4, 24, v4
	s_waitcnt lgkmcnt(0)
	ds_write_b64 v4, v[2:3] offset:64
.LBB776_235:
	s_or_b64 exec, exec, s[0:1]
	v_cmp_gt_u32_e32 vcc, 64, v0
	s_mov_b64 s[6:7], 0
	s_mov_b64 s[0:1], 0
	s_waitcnt lgkmcnt(0)
	s_barrier
                                        ; implicit-def: $vgpr4
	s_and_saveexec_b64 s[8:9], vcc
	s_xor_b64 s[8:9], exec, s[8:9]
	s_cbranch_execz .LBB776_237
; %bb.236:
	v_and_b32_e32 v2, 3, v6
	v_lshlrev_b32_e32 v3, 3, v2
	ds_read_b32 v3, v3 offset:64
	v_cmp_ne_u32_e32 vcc, 3, v2
	s_mov_b64 s[0:1], exec
	s_nop 0
	v_addc_co_u32_e32 v2, vcc, 0, v6, vcc
	v_lshlrev_b32_e32 v2, 2, v2
	s_waitcnt lgkmcnt(0)
	ds_bpermute_b32 v2, v2, v3
	s_waitcnt lgkmcnt(0)
	v_add_u32_e32 v3, v3, v2
	v_mov_b32_e32 v2, 0
	v_ashrrev_i64 v[2:3], 29, v[2:3]
	v_lshl_add_u64 v[2:3], s[30:31], 0, v[2:3]
	global_load_dwordx2 v[2:3], v[2:3], off
	s_waitcnt vmcnt(0)
	v_or_b32_e32 v3, 8, v5
	ds_bpermute_b32 v4, v3, v2
.LBB776_237:
	s_or_b64 exec, exec, s[8:9]
	s_and_b64 vcc, exec, s[6:7]
	s_cbranch_vccnz .LBB776_243
	s_branch .LBB776_264
.LBB776_238:
                                        ; implicit-def: $sgpr2_sgpr3
                                        ; implicit-def: $vgpr2_vgpr3
.LBB776_239:
	v_mov_b64_e32 v[0:1], s[42:43]
	s_and_saveexec_b64 s[0:1], s[16:17]
	s_cbranch_execnz .LBB776_269
.LBB776_240:
	s_or_b64 exec, exec, s[0:1]
	s_and_saveexec_b64 s[0:1], s[14:15]
	s_cbranch_execnz .LBB776_270
.LBB776_241:
	s_endpgm
.LBB776_242:
	s_mov_b64 s[0:1], 0
                                        ; implicit-def: $vgpr4
                                        ; implicit-def: $vgpr2_vgpr3
	s_cbranch_execz .LBB776_264
.LBB776_243:
	s_sub_i32 s8, s38, s4
	v_cmp_gt_u32_e32 vcc, s8, v0
                                        ; implicit-def: $vgpr2_vgpr3
	s_and_saveexec_b64 s[6:7], vcc
	s_cbranch_execz .LBB776_245
; %bb.244:
	s_lshl_b64 s[4:5], s[4:5], 3
	s_add_u32 s4, s36, s4
	s_addc_u32 s5, s37, s5
	s_waitcnt vmcnt(0)
	v_lshlrev_b32_e32 v2, 3, v0
	global_load_dwordx2 v[2:3], v2, s[4:5]
.LBB776_245:
	s_or_b64 exec, exec, s[6:7]
	v_mbcnt_hi_u32_b32 v1, -1, v1
	s_waitcnt lgkmcnt(0)
	v_and_b32_e32 v4, 63, v1
	v_cmp_ne_u32_e32 vcc, 63, v4
	s_min_u32 s6, s8, 0x100
	v_add_u32_e32 v7, 1, v4
	v_addc_co_u32_e32 v5, vcc, 0, v1, vcc
	v_lshlrev_b32_e32 v5, 2, v5
	s_waitcnt vmcnt(0)
	ds_bpermute_b32 v6, v5, v2
	v_and_b32_e32 v5, 0xc0, v0
	v_sub_u32_e64 v5, s6, v5 clamp
	v_cmp_lt_u32_e32 vcc, v7, v5
	s_and_saveexec_b64 s[4:5], vcc
	s_cbranch_execz .LBB776_247
; %bb.246:
	s_waitcnt lgkmcnt(0)
	v_add_u32_e32 v3, v2, v6
	v_mov_b32_e32 v2, 0
	v_ashrrev_i64 v[2:3], 29, v[2:3]
	v_lshl_add_u64 v[2:3], s[30:31], 0, v[2:3]
	global_load_dwordx2 v[2:3], v[2:3], off
.LBB776_247:
	s_or_b64 exec, exec, s[4:5]
	v_cmp_gt_u32_e32 vcc, 62, v4
	v_add_u32_e32 v7, 2, v4
	s_waitcnt lgkmcnt(0)
	v_cndmask_b32_e64 v6, 0, 2, vcc
	v_add_lshl_u32 v6, v6, v1, 2
	s_waitcnt vmcnt(0)
	ds_bpermute_b32 v6, v6, v2
	v_cmp_lt_u32_e32 vcc, v7, v5
	s_and_saveexec_b64 s[4:5], vcc
	s_cbranch_execz .LBB776_249
; %bb.248:
	s_waitcnt lgkmcnt(0)
	v_add_u32_e32 v3, v2, v6
	v_mov_b32_e32 v2, 0
	v_ashrrev_i64 v[2:3], 29, v[2:3]
	v_lshl_add_u64 v[2:3], s[30:31], 0, v[2:3]
	global_load_dwordx2 v[2:3], v[2:3], off
.LBB776_249:
	s_or_b64 exec, exec, s[4:5]
	v_cmp_gt_u32_e32 vcc, 60, v4
	v_add_u32_e32 v7, 4, v4
	s_waitcnt lgkmcnt(0)
	v_cndmask_b32_e64 v6, 0, 4, vcc
	v_add_lshl_u32 v6, v6, v1, 2
	s_waitcnt vmcnt(0)
	ds_bpermute_b32 v6, v6, v2
	;; [unrolled: 19-line block ×4, first 2 shown]
	v_cmp_lt_u32_e32 vcc, v7, v5
	s_and_saveexec_b64 s[4:5], vcc
	s_cbranch_execz .LBB776_255
; %bb.254:
	s_waitcnt lgkmcnt(0)
	v_add_u32_e32 v3, v2, v6
	v_mov_b32_e32 v2, 0
	v_ashrrev_i64 v[2:3], 29, v[2:3]
	v_lshl_add_u64 v[2:3], s[30:31], 0, v[2:3]
	global_load_dwordx2 v[2:3], v[2:3], off
.LBB776_255:
	s_or_b64 exec, exec, s[4:5]
	s_waitcnt lgkmcnt(0)
	v_lshlrev_b32_e32 v6, 2, v1
	v_or_b32_e32 v7, 0x80, v6
	s_waitcnt vmcnt(0)
	ds_bpermute_b32 v7, v7, v2
	v_add_u32_e32 v4, 32, v4
	v_cmp_lt_u32_e32 vcc, v4, v5
	s_and_saveexec_b64 s[4:5], vcc
	s_cbranch_execz .LBB776_257
; %bb.256:
	s_waitcnt lgkmcnt(0)
	v_add_u32_e32 v3, v2, v7
	v_mov_b32_e32 v2, 0
	v_ashrrev_i64 v[2:3], 29, v[2:3]
	v_lshl_add_u64 v[2:3], s[30:31], 0, v[2:3]
	global_load_dwordx2 v[2:3], v[2:3], off
.LBB776_257:
	s_or_b64 exec, exec, s[4:5]
	v_cmp_eq_u32_e32 vcc, 0, v1
	s_and_saveexec_b64 s[4:5], vcc
	s_cbranch_execz .LBB776_259
; %bb.258:
	v_lshrrev_b32_e32 v4, 3, v0
	v_and_b32_e32 v4, 24, v4
	s_waitcnt vmcnt(0)
	ds_write_b64 v4, v[2:3]
.LBB776_259:
	s_or_b64 exec, exec, s[4:5]
	v_cmp_gt_u32_e32 vcc, 4, v0
	s_waitcnt lgkmcnt(0)
	s_barrier
                                        ; implicit-def: $vgpr4
	s_and_saveexec_b64 s[4:5], vcc
	s_cbranch_execz .LBB776_263
; %bb.260:
	s_waitcnt vmcnt(0)
	v_lshlrev_b32_e32 v2, 3, v1
	ds_read_b64 v[2:3], v2
	v_and_b32_e32 v4, 3, v1
	v_cmp_ne_u32_e32 vcc, 3, v4
	s_add_i32 s6, s6, 63
	s_lshr_b32 s8, s6, 6
	v_addc_co_u32_e32 v1, vcc, 0, v1, vcc
	v_lshlrev_b32_e32 v1, 2, v1
	s_waitcnt lgkmcnt(0)
	ds_bpermute_b32 v1, v1, v2
	v_add_u32_e32 v3, 1, v4
	v_cmp_gt_u32_e32 vcc, s8, v3
	s_and_saveexec_b64 s[6:7], vcc
	s_cbranch_execz .LBB776_262
; %bb.261:
	s_waitcnt lgkmcnt(0)
	v_add_u32_e32 v3, v2, v1
	v_mov_b32_e32 v2, 0
	v_ashrrev_i64 v[2:3], 29, v[2:3]
	v_lshl_add_u64 v[2:3], s[30:31], 0, v[2:3]
	global_load_dwordx2 v[2:3], v[2:3], off
.LBB776_262:
	s_or_b64 exec, exec, s[6:7]
	s_waitcnt vmcnt(0)
	v_or_b32_e32 v3, 8, v6
	s_waitcnt lgkmcnt(0)
	v_add_u32_e32 v1, 2, v4
	ds_bpermute_b32 v4, v3, v2
	v_cmp_gt_u32_e32 vcc, s8, v1
	s_andn2_b64 s[0:1], s[0:1], exec
	s_and_b64 s[6:7], vcc, exec
	s_or_b64 s[0:1], s[0:1], s[6:7]
.LBB776_263:
	s_or_b64 exec, exec, s[4:5]
.LBB776_264:
	s_and_saveexec_b64 s[4:5], s[0:1]
	s_cbranch_execz .LBB776_266
; %bb.265:
	s_waitcnt vmcnt(0) lgkmcnt(0)
	v_add_u32_e32 v3, v2, v4
	v_mov_b32_e32 v2, 0
	v_ashrrev_i64 v[2:3], 29, v[2:3]
	v_lshl_add_u64 v[2:3], s[30:31], 0, v[2:3]
	global_load_dwordx2 v[2:3], v[2:3], off
.LBB776_266:
	s_or_b64 exec, exec, s[4:5]
	v_cmp_eq_u32_e32 vcc, 0, v0
	s_and_saveexec_b64 s[0:1], vcc
	s_cbranch_execz .LBB776_268
; %bb.267:
	s_cmp_eq_u64 s[38:39], 0
	s_cselect_b64 s[4:5], -1, 0
	s_cmp_lg_u64 s[38:39], 0
	s_cselect_b64 s[6:7], -1, 0
	s_andn2_b64 s[8:9], s[14:15], exec
	s_and_b64 s[4:5], s[4:5], exec
	s_or_b64 s[14:15], s[8:9], s[4:5]
	s_andn2_b64 s[4:5], s[16:17], exec
	s_and_b64 s[6:7], s[6:7], exec
	s_or_b64 s[16:17], s[4:5], s[6:7]
.LBB776_268:
	s_or_b64 exec, exec, s[0:1]
	v_mov_b64_e32 v[0:1], s[42:43]
	s_and_saveexec_b64 s[0:1], s[16:17]
	s_cbranch_execz .LBB776_240
.LBB776_269:
	s_waitcnt vmcnt(0)
	v_add_u32_e32 v1, s42, v2
	v_mov_b32_e32 v0, 0
	v_ashrrev_i64 v[0:1], 29, v[0:1]
	v_lshl_add_u64 v[0:1], s[30:31], 0, v[0:1]
	global_load_dwordx2 v[0:1], v[0:1], off
	s_or_b64 s[14:15], s[14:15], exec
	s_or_b64 exec, exec, s[0:1]
	s_and_saveexec_b64 s[0:1], s[14:15]
	s_cbranch_execz .LBB776_241
.LBB776_270:
	s_lshl_b64 s[0:1], s[2:3], 3
	s_add_u32 s0, s40, s0
	s_addc_u32 s1, s41, s1
	s_waitcnt vmcnt(0)
	v_mov_b32_e32 v2, 0
	global_store_dwordx2 v2, v[0:1], s[0:1]
	s_endpgm
.LBB776_271:
	v_lshlrev_b32_e32 v1, 3, v1
	global_load_dwordx2 v[8:9], v1, s[8:9]
	s_or_b64 exec, exec, s[10:11]
	s_and_saveexec_b64 s[8:9], vcc
	s_cbranch_execz .LBB776_163
.LBB776_272:
	s_waitcnt vmcnt(0)
	v_add_u32_e32 v3, v4, v2
	v_mov_b32_e32 v2, 0
	v_ashrrev_i64 v[2:3], 29, v[2:3]
	v_lshl_add_u64 v[2:3], s[30:31], 0, v[2:3]
	global_load_dwordx2 v[2:3], v[2:3], off
	s_or_b64 exec, exec, s[8:9]
	s_and_saveexec_b64 s[8:9], s[0:1]
	s_cbranch_execz .LBB776_164
.LBB776_273:
	s_waitcnt vmcnt(0)
	v_add_u32_e32 v3, v2, v6
	v_mov_b32_e32 v2, 0
	v_ashrrev_i64 v[2:3], 29, v[2:3]
	v_lshl_add_u64 v[2:3], s[30:31], 0, v[2:3]
	global_load_dwordx2 v[2:3], v[2:3], off
	s_or_b64 exec, exec, s[8:9]
	s_and_saveexec_b64 s[0:1], s[4:5]
	s_cbranch_execnz .LBB776_165
	s_branch .LBB776_166
.LBB776_274:
	v_lshlrev_b32_e32 v1, 3, v1
	global_load_dwordx2 v[32:33], v1, s[46:47]
	s_or_b64 exec, exec, s[48:49]
	s_and_saveexec_b64 s[46:47], vcc
	s_cbranch_execz .LBB776_56
.LBB776_275:
	s_waitcnt vmcnt(0)
	v_add_u32_e32 v3, v4, v2
	v_mov_b32_e32 v2, 0
	v_ashrrev_i64 v[2:3], 29, v[2:3]
	v_lshl_add_u64 v[2:3], s[30:31], 0, v[2:3]
	global_load_dwordx2 v[2:3], v[2:3], off
	s_or_b64 exec, exec, s[46:47]
	s_and_saveexec_b64 s[46:47], s[0:1]
	s_cbranch_execz .LBB776_57
.LBB776_276:
	s_waitcnt vmcnt(0)
	v_add_u32_e32 v3, v2, v6
	v_mov_b32_e32 v2, 0
	v_ashrrev_i64 v[2:3], 29, v[2:3]
	v_lshl_add_u64 v[2:3], s[30:31], 0, v[2:3]
	global_load_dwordx2 v[2:3], v[2:3], off
	s_or_b64 exec, exec, s[46:47]
	s_and_saveexec_b64 s[0:1], s[4:5]
	s_cbranch_execz .LBB776_58
.LBB776_277:
	s_waitcnt vmcnt(0)
	v_add_u32_e32 v3, v2, v8
	v_mov_b32_e32 v2, 0
	v_ashrrev_i64 v[2:3], 29, v[2:3]
	v_lshl_add_u64 v[2:3], s[30:31], 0, v[2:3]
	global_load_dwordx2 v[2:3], v[2:3], off
	s_or_b64 exec, exec, s[0:1]
	s_and_saveexec_b64 s[0:1], s[6:7]
	s_cbranch_execz .LBB776_59
.LBB776_278:
	s_waitcnt vmcnt(0)
	v_add_u32_e32 v3, v2, v10
	v_mov_b32_e32 v2, 0
	v_ashrrev_i64 v[2:3], 29, v[2:3]
	v_lshl_add_u64 v[2:3], s[30:31], 0, v[2:3]
	global_load_dwordx2 v[2:3], v[2:3], off
	s_or_b64 exec, exec, s[0:1]
	s_and_saveexec_b64 s[0:1], s[8:9]
	s_cbranch_execz .LBB776_60
.LBB776_279:
	s_waitcnt vmcnt(0)
	v_add_u32_e32 v3, v2, v12
	v_mov_b32_e32 v2, 0
	v_ashrrev_i64 v[2:3], 29, v[2:3]
	v_lshl_add_u64 v[2:3], s[30:31], 0, v[2:3]
	global_load_dwordx2 v[2:3], v[2:3], off
	s_or_b64 exec, exec, s[0:1]
	s_and_saveexec_b64 s[0:1], s[10:11]
	s_cbranch_execz .LBB776_61
.LBB776_280:
	s_waitcnt vmcnt(0)
	v_add_u32_e32 v3, v2, v14
	v_mov_b32_e32 v2, 0
	v_ashrrev_i64 v[2:3], 29, v[2:3]
	v_lshl_add_u64 v[2:3], s[30:31], 0, v[2:3]
	global_load_dwordx2 v[2:3], v[2:3], off
	s_or_b64 exec, exec, s[0:1]
	s_and_saveexec_b64 s[0:1], s[12:13]
	s_cbranch_execz .LBB776_62
.LBB776_281:
	s_waitcnt vmcnt(0)
	v_add_u32_e32 v3, v2, v16
	v_mov_b32_e32 v2, 0
	v_ashrrev_i64 v[2:3], 29, v[2:3]
	v_lshl_add_u64 v[2:3], s[30:31], 0, v[2:3]
	global_load_dwordx2 v[2:3], v[2:3], off
	s_or_b64 exec, exec, s[0:1]
	s_and_saveexec_b64 s[0:1], s[14:15]
	s_cbranch_execz .LBB776_63
.LBB776_282:
	s_waitcnt vmcnt(0)
	v_add_u32_e32 v3, v2, v18
	v_mov_b32_e32 v2, 0
	v_ashrrev_i64 v[2:3], 29, v[2:3]
	v_lshl_add_u64 v[2:3], s[30:31], 0, v[2:3]
	global_load_dwordx2 v[2:3], v[2:3], off
	s_or_b64 exec, exec, s[0:1]
	s_and_saveexec_b64 s[0:1], s[16:17]
	s_cbranch_execz .LBB776_64
.LBB776_283:
	s_waitcnt vmcnt(0)
	v_add_u32_e32 v3, v2, v20
	v_mov_b32_e32 v2, 0
	v_ashrrev_i64 v[2:3], 29, v[2:3]
	v_lshl_add_u64 v[2:3], s[30:31], 0, v[2:3]
	global_load_dwordx2 v[2:3], v[2:3], off
	s_or_b64 exec, exec, s[0:1]
	s_and_saveexec_b64 s[0:1], s[18:19]
	s_cbranch_execz .LBB776_65
.LBB776_284:
	s_waitcnt vmcnt(0)
	v_add_u32_e32 v3, v2, v22
	v_mov_b32_e32 v2, 0
	v_ashrrev_i64 v[2:3], 29, v[2:3]
	v_lshl_add_u64 v[2:3], s[30:31], 0, v[2:3]
	global_load_dwordx2 v[2:3], v[2:3], off
	s_or_b64 exec, exec, s[0:1]
	s_and_saveexec_b64 s[0:1], s[20:21]
	s_cbranch_execz .LBB776_66
.LBB776_285:
	s_waitcnt vmcnt(0)
	v_add_u32_e32 v3, v2, v24
	v_mov_b32_e32 v2, 0
	v_ashrrev_i64 v[2:3], 29, v[2:3]
	v_lshl_add_u64 v[2:3], s[30:31], 0, v[2:3]
	global_load_dwordx2 v[2:3], v[2:3], off
	s_or_b64 exec, exec, s[0:1]
	s_and_saveexec_b64 s[0:1], s[22:23]
	s_cbranch_execz .LBB776_67
.LBB776_286:
	s_waitcnt vmcnt(0)
	v_add_u32_e32 v3, v2, v26
	v_mov_b32_e32 v2, 0
	v_ashrrev_i64 v[2:3], 29, v[2:3]
	v_lshl_add_u64 v[2:3], s[30:31], 0, v[2:3]
	global_load_dwordx2 v[2:3], v[2:3], off
	s_or_b64 exec, exec, s[0:1]
	s_and_saveexec_b64 s[0:1], s[24:25]
	s_cbranch_execz .LBB776_68
.LBB776_287:
	s_waitcnt vmcnt(0)
	v_add_u32_e32 v3, v2, v28
	v_mov_b32_e32 v2, 0
	v_ashrrev_i64 v[2:3], 29, v[2:3]
	v_lshl_add_u64 v[2:3], s[30:31], 0, v[2:3]
	global_load_dwordx2 v[2:3], v[2:3], off
	s_or_b64 exec, exec, s[0:1]
	s_and_saveexec_b64 s[0:1], s[26:27]
	s_cbranch_execz .LBB776_69
.LBB776_288:
	s_waitcnt vmcnt(0)
	v_add_u32_e32 v3, v2, v30
	v_mov_b32_e32 v2, 0
	v_ashrrev_i64 v[2:3], 29, v[2:3]
	v_lshl_add_u64 v[2:3], s[30:31], 0, v[2:3]
	global_load_dwordx2 v[2:3], v[2:3], off
	s_or_b64 exec, exec, s[0:1]
	s_and_saveexec_b64 s[0:1], s[28:29]
	s_cbranch_execnz .LBB776_70
	s_branch .LBB776_71
.LBB776_289:
	v_lshlrev_b32_e32 v1, 3, v1
	global_load_dwordx2 v[16:17], v1, s[20:21]
	s_or_b64 exec, exec, s[22:23]
	s_and_saveexec_b64 s[20:21], vcc
	s_cbranch_execz .LBB776_114
.LBB776_290:
	s_waitcnt vmcnt(0)
	v_add_u32_e32 v3, v4, v2
	v_mov_b32_e32 v2, 0
	v_ashrrev_i64 v[2:3], 29, v[2:3]
	v_lshl_add_u64 v[2:3], s[30:31], 0, v[2:3]
	global_load_dwordx2 v[2:3], v[2:3], off
	s_or_b64 exec, exec, s[20:21]
	s_and_saveexec_b64 s[20:21], s[0:1]
	s_cbranch_execz .LBB776_115
.LBB776_291:
	s_waitcnt vmcnt(0)
	v_add_u32_e32 v3, v2, v6
	v_mov_b32_e32 v2, 0
	v_ashrrev_i64 v[2:3], 29, v[2:3]
	v_lshl_add_u64 v[2:3], s[30:31], 0, v[2:3]
	global_load_dwordx2 v[2:3], v[2:3], off
	s_or_b64 exec, exec, s[20:21]
	s_and_saveexec_b64 s[0:1], s[4:5]
	s_cbranch_execz .LBB776_116
.LBB776_292:
	s_waitcnt vmcnt(0)
	v_add_u32_e32 v3, v2, v8
	v_mov_b32_e32 v2, 0
	v_ashrrev_i64 v[2:3], 29, v[2:3]
	v_lshl_add_u64 v[2:3], s[30:31], 0, v[2:3]
	global_load_dwordx2 v[2:3], v[2:3], off
	s_or_b64 exec, exec, s[0:1]
	s_and_saveexec_b64 s[0:1], s[6:7]
	s_cbranch_execz .LBB776_117
.LBB776_293:
	s_waitcnt vmcnt(0)
	v_add_u32_e32 v3, v2, v10
	v_mov_b32_e32 v2, 0
	v_ashrrev_i64 v[2:3], 29, v[2:3]
	v_lshl_add_u64 v[2:3], s[30:31], 0, v[2:3]
	global_load_dwordx2 v[2:3], v[2:3], off
	s_or_b64 exec, exec, s[0:1]
	s_and_saveexec_b64 s[0:1], s[8:9]
	s_cbranch_execz .LBB776_118
.LBB776_294:
	s_waitcnt vmcnt(0)
	v_add_u32_e32 v3, v2, v12
	v_mov_b32_e32 v2, 0
	v_ashrrev_i64 v[2:3], 29, v[2:3]
	v_lshl_add_u64 v[2:3], s[30:31], 0, v[2:3]
	global_load_dwordx2 v[2:3], v[2:3], off
	s_or_b64 exec, exec, s[0:1]
	s_and_saveexec_b64 s[0:1], s[10:11]
	s_cbranch_execz .LBB776_119
.LBB776_295:
	s_waitcnt vmcnt(0)
	v_add_u32_e32 v3, v2, v14
	v_mov_b32_e32 v2, 0
	v_ashrrev_i64 v[2:3], 29, v[2:3]
	v_lshl_add_u64 v[2:3], s[30:31], 0, v[2:3]
	global_load_dwordx2 v[2:3], v[2:3], off
	s_or_b64 exec, exec, s[0:1]
	s_and_saveexec_b64 s[0:1], s[12:13]
	s_cbranch_execnz .LBB776_120
	s_branch .LBB776_121
	.section	.rodata,"a",@progbits
	.p2align	6, 0x0
	.amdhsa_kernel _ZN7rocprim17ROCPRIM_400000_NS6detail17trampoline_kernelINS0_14default_configENS1_22reduce_config_selectorIyEEZNS1_11reduce_implILb1ES3_PyS7_y9plus_mod3IyEEE10hipError_tPvRmT1_T2_T3_mT4_P12ihipStream_tbEUlT_E1_NS1_11comp_targetILNS1_3genE0ELNS1_11target_archE4294967295ELNS1_3gpuE0ELNS1_3repE0EEENS1_30default_config_static_selectorELNS0_4arch9wavefront6targetE1EEEvSD_
		.amdhsa_group_segment_fixed_size 192
		.amdhsa_private_segment_fixed_size 0
		.amdhsa_kernarg_size 48
		.amdhsa_user_sgpr_count 2
		.amdhsa_user_sgpr_dispatch_ptr 0
		.amdhsa_user_sgpr_queue_ptr 0
		.amdhsa_user_sgpr_kernarg_segment_ptr 1
		.amdhsa_user_sgpr_dispatch_id 0
		.amdhsa_user_sgpr_kernarg_preload_length 0
		.amdhsa_user_sgpr_kernarg_preload_offset 0
		.amdhsa_user_sgpr_private_segment_size 0
		.amdhsa_uses_dynamic_stack 0
		.amdhsa_enable_private_segment 0
		.amdhsa_system_sgpr_workgroup_id_x 1
		.amdhsa_system_sgpr_workgroup_id_y 0
		.amdhsa_system_sgpr_workgroup_id_z 0
		.amdhsa_system_sgpr_workgroup_info 0
		.amdhsa_system_vgpr_workitem_id 0
		.amdhsa_next_free_vgpr 36
		.amdhsa_next_free_sgpr 51
		.amdhsa_accum_offset 36
		.amdhsa_reserve_vcc 1
		.amdhsa_float_round_mode_32 0
		.amdhsa_float_round_mode_16_64 0
		.amdhsa_float_denorm_mode_32 3
		.amdhsa_float_denorm_mode_16_64 3
		.amdhsa_dx10_clamp 1
		.amdhsa_ieee_mode 1
		.amdhsa_fp16_overflow 0
		.amdhsa_tg_split 0
		.amdhsa_exception_fp_ieee_invalid_op 0
		.amdhsa_exception_fp_denorm_src 0
		.amdhsa_exception_fp_ieee_div_zero 0
		.amdhsa_exception_fp_ieee_overflow 0
		.amdhsa_exception_fp_ieee_underflow 0
		.amdhsa_exception_fp_ieee_inexact 0
		.amdhsa_exception_int_div_zero 0
	.end_amdhsa_kernel
	.section	.text._ZN7rocprim17ROCPRIM_400000_NS6detail17trampoline_kernelINS0_14default_configENS1_22reduce_config_selectorIyEEZNS1_11reduce_implILb1ES3_PyS7_y9plus_mod3IyEEE10hipError_tPvRmT1_T2_T3_mT4_P12ihipStream_tbEUlT_E1_NS1_11comp_targetILNS1_3genE0ELNS1_11target_archE4294967295ELNS1_3gpuE0ELNS1_3repE0EEENS1_30default_config_static_selectorELNS0_4arch9wavefront6targetE1EEEvSD_,"axG",@progbits,_ZN7rocprim17ROCPRIM_400000_NS6detail17trampoline_kernelINS0_14default_configENS1_22reduce_config_selectorIyEEZNS1_11reduce_implILb1ES3_PyS7_y9plus_mod3IyEEE10hipError_tPvRmT1_T2_T3_mT4_P12ihipStream_tbEUlT_E1_NS1_11comp_targetILNS1_3genE0ELNS1_11target_archE4294967295ELNS1_3gpuE0ELNS1_3repE0EEENS1_30default_config_static_selectorELNS0_4arch9wavefront6targetE1EEEvSD_,comdat
.Lfunc_end776:
	.size	_ZN7rocprim17ROCPRIM_400000_NS6detail17trampoline_kernelINS0_14default_configENS1_22reduce_config_selectorIyEEZNS1_11reduce_implILb1ES3_PyS7_y9plus_mod3IyEEE10hipError_tPvRmT1_T2_T3_mT4_P12ihipStream_tbEUlT_E1_NS1_11comp_targetILNS1_3genE0ELNS1_11target_archE4294967295ELNS1_3gpuE0ELNS1_3repE0EEENS1_30default_config_static_selectorELNS0_4arch9wavefront6targetE1EEEvSD_, .Lfunc_end776-_ZN7rocprim17ROCPRIM_400000_NS6detail17trampoline_kernelINS0_14default_configENS1_22reduce_config_selectorIyEEZNS1_11reduce_implILb1ES3_PyS7_y9plus_mod3IyEEE10hipError_tPvRmT1_T2_T3_mT4_P12ihipStream_tbEUlT_E1_NS1_11comp_targetILNS1_3genE0ELNS1_11target_archE4294967295ELNS1_3gpuE0ELNS1_3repE0EEENS1_30default_config_static_selectorELNS0_4arch9wavefront6targetE1EEEvSD_
                                        ; -- End function
	.set _ZN7rocprim17ROCPRIM_400000_NS6detail17trampoline_kernelINS0_14default_configENS1_22reduce_config_selectorIyEEZNS1_11reduce_implILb1ES3_PyS7_y9plus_mod3IyEEE10hipError_tPvRmT1_T2_T3_mT4_P12ihipStream_tbEUlT_E1_NS1_11comp_targetILNS1_3genE0ELNS1_11target_archE4294967295ELNS1_3gpuE0ELNS1_3repE0EEENS1_30default_config_static_selectorELNS0_4arch9wavefront6targetE1EEEvSD_.num_vgpr, 36
	.set _ZN7rocprim17ROCPRIM_400000_NS6detail17trampoline_kernelINS0_14default_configENS1_22reduce_config_selectorIyEEZNS1_11reduce_implILb1ES3_PyS7_y9plus_mod3IyEEE10hipError_tPvRmT1_T2_T3_mT4_P12ihipStream_tbEUlT_E1_NS1_11comp_targetILNS1_3genE0ELNS1_11target_archE4294967295ELNS1_3gpuE0ELNS1_3repE0EEENS1_30default_config_static_selectorELNS0_4arch9wavefront6targetE1EEEvSD_.num_agpr, 0
	.set _ZN7rocprim17ROCPRIM_400000_NS6detail17trampoline_kernelINS0_14default_configENS1_22reduce_config_selectorIyEEZNS1_11reduce_implILb1ES3_PyS7_y9plus_mod3IyEEE10hipError_tPvRmT1_T2_T3_mT4_P12ihipStream_tbEUlT_E1_NS1_11comp_targetILNS1_3genE0ELNS1_11target_archE4294967295ELNS1_3gpuE0ELNS1_3repE0EEENS1_30default_config_static_selectorELNS0_4arch9wavefront6targetE1EEEvSD_.numbered_sgpr, 51
	.set _ZN7rocprim17ROCPRIM_400000_NS6detail17trampoline_kernelINS0_14default_configENS1_22reduce_config_selectorIyEEZNS1_11reduce_implILb1ES3_PyS7_y9plus_mod3IyEEE10hipError_tPvRmT1_T2_T3_mT4_P12ihipStream_tbEUlT_E1_NS1_11comp_targetILNS1_3genE0ELNS1_11target_archE4294967295ELNS1_3gpuE0ELNS1_3repE0EEENS1_30default_config_static_selectorELNS0_4arch9wavefront6targetE1EEEvSD_.num_named_barrier, 0
	.set _ZN7rocprim17ROCPRIM_400000_NS6detail17trampoline_kernelINS0_14default_configENS1_22reduce_config_selectorIyEEZNS1_11reduce_implILb1ES3_PyS7_y9plus_mod3IyEEE10hipError_tPvRmT1_T2_T3_mT4_P12ihipStream_tbEUlT_E1_NS1_11comp_targetILNS1_3genE0ELNS1_11target_archE4294967295ELNS1_3gpuE0ELNS1_3repE0EEENS1_30default_config_static_selectorELNS0_4arch9wavefront6targetE1EEEvSD_.private_seg_size, 0
	.set _ZN7rocprim17ROCPRIM_400000_NS6detail17trampoline_kernelINS0_14default_configENS1_22reduce_config_selectorIyEEZNS1_11reduce_implILb1ES3_PyS7_y9plus_mod3IyEEE10hipError_tPvRmT1_T2_T3_mT4_P12ihipStream_tbEUlT_E1_NS1_11comp_targetILNS1_3genE0ELNS1_11target_archE4294967295ELNS1_3gpuE0ELNS1_3repE0EEENS1_30default_config_static_selectorELNS0_4arch9wavefront6targetE1EEEvSD_.uses_vcc, 1
	.set _ZN7rocprim17ROCPRIM_400000_NS6detail17trampoline_kernelINS0_14default_configENS1_22reduce_config_selectorIyEEZNS1_11reduce_implILb1ES3_PyS7_y9plus_mod3IyEEE10hipError_tPvRmT1_T2_T3_mT4_P12ihipStream_tbEUlT_E1_NS1_11comp_targetILNS1_3genE0ELNS1_11target_archE4294967295ELNS1_3gpuE0ELNS1_3repE0EEENS1_30default_config_static_selectorELNS0_4arch9wavefront6targetE1EEEvSD_.uses_flat_scratch, 0
	.set _ZN7rocprim17ROCPRIM_400000_NS6detail17trampoline_kernelINS0_14default_configENS1_22reduce_config_selectorIyEEZNS1_11reduce_implILb1ES3_PyS7_y9plus_mod3IyEEE10hipError_tPvRmT1_T2_T3_mT4_P12ihipStream_tbEUlT_E1_NS1_11comp_targetILNS1_3genE0ELNS1_11target_archE4294967295ELNS1_3gpuE0ELNS1_3repE0EEENS1_30default_config_static_selectorELNS0_4arch9wavefront6targetE1EEEvSD_.has_dyn_sized_stack, 0
	.set _ZN7rocprim17ROCPRIM_400000_NS6detail17trampoline_kernelINS0_14default_configENS1_22reduce_config_selectorIyEEZNS1_11reduce_implILb1ES3_PyS7_y9plus_mod3IyEEE10hipError_tPvRmT1_T2_T3_mT4_P12ihipStream_tbEUlT_E1_NS1_11comp_targetILNS1_3genE0ELNS1_11target_archE4294967295ELNS1_3gpuE0ELNS1_3repE0EEENS1_30default_config_static_selectorELNS0_4arch9wavefront6targetE1EEEvSD_.has_recursion, 0
	.set _ZN7rocprim17ROCPRIM_400000_NS6detail17trampoline_kernelINS0_14default_configENS1_22reduce_config_selectorIyEEZNS1_11reduce_implILb1ES3_PyS7_y9plus_mod3IyEEE10hipError_tPvRmT1_T2_T3_mT4_P12ihipStream_tbEUlT_E1_NS1_11comp_targetILNS1_3genE0ELNS1_11target_archE4294967295ELNS1_3gpuE0ELNS1_3repE0EEENS1_30default_config_static_selectorELNS0_4arch9wavefront6targetE1EEEvSD_.has_indirect_call, 0
	.section	.AMDGPU.csdata,"",@progbits
; Kernel info:
; codeLenInByte = 11940
; TotalNumSgprs: 57
; NumVgprs: 36
; NumAgprs: 0
; TotalNumVgprs: 36
; ScratchSize: 0
; MemoryBound: 0
; FloatMode: 240
; IeeeMode: 1
; LDSByteSize: 192 bytes/workgroup (compile time only)
; SGPRBlocks: 7
; VGPRBlocks: 4
; NumSGPRsForWavesPerEU: 57
; NumVGPRsForWavesPerEU: 36
; AccumOffset: 36
; Occupancy: 8
; WaveLimiterHint : 1
; COMPUTE_PGM_RSRC2:SCRATCH_EN: 0
; COMPUTE_PGM_RSRC2:USER_SGPR: 2
; COMPUTE_PGM_RSRC2:TRAP_HANDLER: 0
; COMPUTE_PGM_RSRC2:TGID_X_EN: 1
; COMPUTE_PGM_RSRC2:TGID_Y_EN: 0
; COMPUTE_PGM_RSRC2:TGID_Z_EN: 0
; COMPUTE_PGM_RSRC2:TIDIG_COMP_CNT: 0
; COMPUTE_PGM_RSRC3_GFX90A:ACCUM_OFFSET: 8
; COMPUTE_PGM_RSRC3_GFX90A:TG_SPLIT: 0
	.section	.text._ZN7rocprim17ROCPRIM_400000_NS6detail17trampoline_kernelINS0_14default_configENS1_22reduce_config_selectorIyEEZNS1_11reduce_implILb1ES3_PyS7_y9plus_mod3IyEEE10hipError_tPvRmT1_T2_T3_mT4_P12ihipStream_tbEUlT_E1_NS1_11comp_targetILNS1_3genE5ELNS1_11target_archE942ELNS1_3gpuE9ELNS1_3repE0EEENS1_30default_config_static_selectorELNS0_4arch9wavefront6targetE1EEEvSD_,"axG",@progbits,_ZN7rocprim17ROCPRIM_400000_NS6detail17trampoline_kernelINS0_14default_configENS1_22reduce_config_selectorIyEEZNS1_11reduce_implILb1ES3_PyS7_y9plus_mod3IyEEE10hipError_tPvRmT1_T2_T3_mT4_P12ihipStream_tbEUlT_E1_NS1_11comp_targetILNS1_3genE5ELNS1_11target_archE942ELNS1_3gpuE9ELNS1_3repE0EEENS1_30default_config_static_selectorELNS0_4arch9wavefront6targetE1EEEvSD_,comdat
	.protected	_ZN7rocprim17ROCPRIM_400000_NS6detail17trampoline_kernelINS0_14default_configENS1_22reduce_config_selectorIyEEZNS1_11reduce_implILb1ES3_PyS7_y9plus_mod3IyEEE10hipError_tPvRmT1_T2_T3_mT4_P12ihipStream_tbEUlT_E1_NS1_11comp_targetILNS1_3genE5ELNS1_11target_archE942ELNS1_3gpuE9ELNS1_3repE0EEENS1_30default_config_static_selectorELNS0_4arch9wavefront6targetE1EEEvSD_ ; -- Begin function _ZN7rocprim17ROCPRIM_400000_NS6detail17trampoline_kernelINS0_14default_configENS1_22reduce_config_selectorIyEEZNS1_11reduce_implILb1ES3_PyS7_y9plus_mod3IyEEE10hipError_tPvRmT1_T2_T3_mT4_P12ihipStream_tbEUlT_E1_NS1_11comp_targetILNS1_3genE5ELNS1_11target_archE942ELNS1_3gpuE9ELNS1_3repE0EEENS1_30default_config_static_selectorELNS0_4arch9wavefront6targetE1EEEvSD_
	.globl	_ZN7rocprim17ROCPRIM_400000_NS6detail17trampoline_kernelINS0_14default_configENS1_22reduce_config_selectorIyEEZNS1_11reduce_implILb1ES3_PyS7_y9plus_mod3IyEEE10hipError_tPvRmT1_T2_T3_mT4_P12ihipStream_tbEUlT_E1_NS1_11comp_targetILNS1_3genE5ELNS1_11target_archE942ELNS1_3gpuE9ELNS1_3repE0EEENS1_30default_config_static_selectorELNS0_4arch9wavefront6targetE1EEEvSD_
	.p2align	8
	.type	_ZN7rocprim17ROCPRIM_400000_NS6detail17trampoline_kernelINS0_14default_configENS1_22reduce_config_selectorIyEEZNS1_11reduce_implILb1ES3_PyS7_y9plus_mod3IyEEE10hipError_tPvRmT1_T2_T3_mT4_P12ihipStream_tbEUlT_E1_NS1_11comp_targetILNS1_3genE5ELNS1_11target_archE942ELNS1_3gpuE9ELNS1_3repE0EEENS1_30default_config_static_selectorELNS0_4arch9wavefront6targetE1EEEvSD_,@function
_ZN7rocprim17ROCPRIM_400000_NS6detail17trampoline_kernelINS0_14default_configENS1_22reduce_config_selectorIyEEZNS1_11reduce_implILb1ES3_PyS7_y9plus_mod3IyEEE10hipError_tPvRmT1_T2_T3_mT4_P12ihipStream_tbEUlT_E1_NS1_11comp_targetILNS1_3genE5ELNS1_11target_archE942ELNS1_3gpuE9ELNS1_3repE0EEENS1_30default_config_static_selectorELNS0_4arch9wavefront6targetE1EEEvSD_: ; @_ZN7rocprim17ROCPRIM_400000_NS6detail17trampoline_kernelINS0_14default_configENS1_22reduce_config_selectorIyEEZNS1_11reduce_implILb1ES3_PyS7_y9plus_mod3IyEEE10hipError_tPvRmT1_T2_T3_mT4_P12ihipStream_tbEUlT_E1_NS1_11comp_targetILNS1_3genE5ELNS1_11target_archE942ELNS1_3gpuE9ELNS1_3repE0EEENS1_30default_config_static_selectorELNS0_4arch9wavefront6targetE1EEEvSD_
; %bb.0:
	.section	.rodata,"a",@progbits
	.p2align	6, 0x0
	.amdhsa_kernel _ZN7rocprim17ROCPRIM_400000_NS6detail17trampoline_kernelINS0_14default_configENS1_22reduce_config_selectorIyEEZNS1_11reduce_implILb1ES3_PyS7_y9plus_mod3IyEEE10hipError_tPvRmT1_T2_T3_mT4_P12ihipStream_tbEUlT_E1_NS1_11comp_targetILNS1_3genE5ELNS1_11target_archE942ELNS1_3gpuE9ELNS1_3repE0EEENS1_30default_config_static_selectorELNS0_4arch9wavefront6targetE1EEEvSD_
		.amdhsa_group_segment_fixed_size 0
		.amdhsa_private_segment_fixed_size 0
		.amdhsa_kernarg_size 48
		.amdhsa_user_sgpr_count 2
		.amdhsa_user_sgpr_dispatch_ptr 0
		.amdhsa_user_sgpr_queue_ptr 0
		.amdhsa_user_sgpr_kernarg_segment_ptr 1
		.amdhsa_user_sgpr_dispatch_id 0
		.amdhsa_user_sgpr_kernarg_preload_length 0
		.amdhsa_user_sgpr_kernarg_preload_offset 0
		.amdhsa_user_sgpr_private_segment_size 0
		.amdhsa_uses_dynamic_stack 0
		.amdhsa_enable_private_segment 0
		.amdhsa_system_sgpr_workgroup_id_x 1
		.amdhsa_system_sgpr_workgroup_id_y 0
		.amdhsa_system_sgpr_workgroup_id_z 0
		.amdhsa_system_sgpr_workgroup_info 0
		.amdhsa_system_vgpr_workitem_id 0
		.amdhsa_next_free_vgpr 1
		.amdhsa_next_free_sgpr 0
		.amdhsa_accum_offset 4
		.amdhsa_reserve_vcc 0
		.amdhsa_float_round_mode_32 0
		.amdhsa_float_round_mode_16_64 0
		.amdhsa_float_denorm_mode_32 3
		.amdhsa_float_denorm_mode_16_64 3
		.amdhsa_dx10_clamp 1
		.amdhsa_ieee_mode 1
		.amdhsa_fp16_overflow 0
		.amdhsa_tg_split 0
		.amdhsa_exception_fp_ieee_invalid_op 0
		.amdhsa_exception_fp_denorm_src 0
		.amdhsa_exception_fp_ieee_div_zero 0
		.amdhsa_exception_fp_ieee_overflow 0
		.amdhsa_exception_fp_ieee_underflow 0
		.amdhsa_exception_fp_ieee_inexact 0
		.amdhsa_exception_int_div_zero 0
	.end_amdhsa_kernel
	.section	.text._ZN7rocprim17ROCPRIM_400000_NS6detail17trampoline_kernelINS0_14default_configENS1_22reduce_config_selectorIyEEZNS1_11reduce_implILb1ES3_PyS7_y9plus_mod3IyEEE10hipError_tPvRmT1_T2_T3_mT4_P12ihipStream_tbEUlT_E1_NS1_11comp_targetILNS1_3genE5ELNS1_11target_archE942ELNS1_3gpuE9ELNS1_3repE0EEENS1_30default_config_static_selectorELNS0_4arch9wavefront6targetE1EEEvSD_,"axG",@progbits,_ZN7rocprim17ROCPRIM_400000_NS6detail17trampoline_kernelINS0_14default_configENS1_22reduce_config_selectorIyEEZNS1_11reduce_implILb1ES3_PyS7_y9plus_mod3IyEEE10hipError_tPvRmT1_T2_T3_mT4_P12ihipStream_tbEUlT_E1_NS1_11comp_targetILNS1_3genE5ELNS1_11target_archE942ELNS1_3gpuE9ELNS1_3repE0EEENS1_30default_config_static_selectorELNS0_4arch9wavefront6targetE1EEEvSD_,comdat
.Lfunc_end777:
	.size	_ZN7rocprim17ROCPRIM_400000_NS6detail17trampoline_kernelINS0_14default_configENS1_22reduce_config_selectorIyEEZNS1_11reduce_implILb1ES3_PyS7_y9plus_mod3IyEEE10hipError_tPvRmT1_T2_T3_mT4_P12ihipStream_tbEUlT_E1_NS1_11comp_targetILNS1_3genE5ELNS1_11target_archE942ELNS1_3gpuE9ELNS1_3repE0EEENS1_30default_config_static_selectorELNS0_4arch9wavefront6targetE1EEEvSD_, .Lfunc_end777-_ZN7rocprim17ROCPRIM_400000_NS6detail17trampoline_kernelINS0_14default_configENS1_22reduce_config_selectorIyEEZNS1_11reduce_implILb1ES3_PyS7_y9plus_mod3IyEEE10hipError_tPvRmT1_T2_T3_mT4_P12ihipStream_tbEUlT_E1_NS1_11comp_targetILNS1_3genE5ELNS1_11target_archE942ELNS1_3gpuE9ELNS1_3repE0EEENS1_30default_config_static_selectorELNS0_4arch9wavefront6targetE1EEEvSD_
                                        ; -- End function
	.set _ZN7rocprim17ROCPRIM_400000_NS6detail17trampoline_kernelINS0_14default_configENS1_22reduce_config_selectorIyEEZNS1_11reduce_implILb1ES3_PyS7_y9plus_mod3IyEEE10hipError_tPvRmT1_T2_T3_mT4_P12ihipStream_tbEUlT_E1_NS1_11comp_targetILNS1_3genE5ELNS1_11target_archE942ELNS1_3gpuE9ELNS1_3repE0EEENS1_30default_config_static_selectorELNS0_4arch9wavefront6targetE1EEEvSD_.num_vgpr, 0
	.set _ZN7rocprim17ROCPRIM_400000_NS6detail17trampoline_kernelINS0_14default_configENS1_22reduce_config_selectorIyEEZNS1_11reduce_implILb1ES3_PyS7_y9plus_mod3IyEEE10hipError_tPvRmT1_T2_T3_mT4_P12ihipStream_tbEUlT_E1_NS1_11comp_targetILNS1_3genE5ELNS1_11target_archE942ELNS1_3gpuE9ELNS1_3repE0EEENS1_30default_config_static_selectorELNS0_4arch9wavefront6targetE1EEEvSD_.num_agpr, 0
	.set _ZN7rocprim17ROCPRIM_400000_NS6detail17trampoline_kernelINS0_14default_configENS1_22reduce_config_selectorIyEEZNS1_11reduce_implILb1ES3_PyS7_y9plus_mod3IyEEE10hipError_tPvRmT1_T2_T3_mT4_P12ihipStream_tbEUlT_E1_NS1_11comp_targetILNS1_3genE5ELNS1_11target_archE942ELNS1_3gpuE9ELNS1_3repE0EEENS1_30default_config_static_selectorELNS0_4arch9wavefront6targetE1EEEvSD_.numbered_sgpr, 0
	.set _ZN7rocprim17ROCPRIM_400000_NS6detail17trampoline_kernelINS0_14default_configENS1_22reduce_config_selectorIyEEZNS1_11reduce_implILb1ES3_PyS7_y9plus_mod3IyEEE10hipError_tPvRmT1_T2_T3_mT4_P12ihipStream_tbEUlT_E1_NS1_11comp_targetILNS1_3genE5ELNS1_11target_archE942ELNS1_3gpuE9ELNS1_3repE0EEENS1_30default_config_static_selectorELNS0_4arch9wavefront6targetE1EEEvSD_.num_named_barrier, 0
	.set _ZN7rocprim17ROCPRIM_400000_NS6detail17trampoline_kernelINS0_14default_configENS1_22reduce_config_selectorIyEEZNS1_11reduce_implILb1ES3_PyS7_y9plus_mod3IyEEE10hipError_tPvRmT1_T2_T3_mT4_P12ihipStream_tbEUlT_E1_NS1_11comp_targetILNS1_3genE5ELNS1_11target_archE942ELNS1_3gpuE9ELNS1_3repE0EEENS1_30default_config_static_selectorELNS0_4arch9wavefront6targetE1EEEvSD_.private_seg_size, 0
	.set _ZN7rocprim17ROCPRIM_400000_NS6detail17trampoline_kernelINS0_14default_configENS1_22reduce_config_selectorIyEEZNS1_11reduce_implILb1ES3_PyS7_y9plus_mod3IyEEE10hipError_tPvRmT1_T2_T3_mT4_P12ihipStream_tbEUlT_E1_NS1_11comp_targetILNS1_3genE5ELNS1_11target_archE942ELNS1_3gpuE9ELNS1_3repE0EEENS1_30default_config_static_selectorELNS0_4arch9wavefront6targetE1EEEvSD_.uses_vcc, 0
	.set _ZN7rocprim17ROCPRIM_400000_NS6detail17trampoline_kernelINS0_14default_configENS1_22reduce_config_selectorIyEEZNS1_11reduce_implILb1ES3_PyS7_y9plus_mod3IyEEE10hipError_tPvRmT1_T2_T3_mT4_P12ihipStream_tbEUlT_E1_NS1_11comp_targetILNS1_3genE5ELNS1_11target_archE942ELNS1_3gpuE9ELNS1_3repE0EEENS1_30default_config_static_selectorELNS0_4arch9wavefront6targetE1EEEvSD_.uses_flat_scratch, 0
	.set _ZN7rocprim17ROCPRIM_400000_NS6detail17trampoline_kernelINS0_14default_configENS1_22reduce_config_selectorIyEEZNS1_11reduce_implILb1ES3_PyS7_y9plus_mod3IyEEE10hipError_tPvRmT1_T2_T3_mT4_P12ihipStream_tbEUlT_E1_NS1_11comp_targetILNS1_3genE5ELNS1_11target_archE942ELNS1_3gpuE9ELNS1_3repE0EEENS1_30default_config_static_selectorELNS0_4arch9wavefront6targetE1EEEvSD_.has_dyn_sized_stack, 0
	.set _ZN7rocprim17ROCPRIM_400000_NS6detail17trampoline_kernelINS0_14default_configENS1_22reduce_config_selectorIyEEZNS1_11reduce_implILb1ES3_PyS7_y9plus_mod3IyEEE10hipError_tPvRmT1_T2_T3_mT4_P12ihipStream_tbEUlT_E1_NS1_11comp_targetILNS1_3genE5ELNS1_11target_archE942ELNS1_3gpuE9ELNS1_3repE0EEENS1_30default_config_static_selectorELNS0_4arch9wavefront6targetE1EEEvSD_.has_recursion, 0
	.set _ZN7rocprim17ROCPRIM_400000_NS6detail17trampoline_kernelINS0_14default_configENS1_22reduce_config_selectorIyEEZNS1_11reduce_implILb1ES3_PyS7_y9plus_mod3IyEEE10hipError_tPvRmT1_T2_T3_mT4_P12ihipStream_tbEUlT_E1_NS1_11comp_targetILNS1_3genE5ELNS1_11target_archE942ELNS1_3gpuE9ELNS1_3repE0EEENS1_30default_config_static_selectorELNS0_4arch9wavefront6targetE1EEEvSD_.has_indirect_call, 0
	.section	.AMDGPU.csdata,"",@progbits
; Kernel info:
; codeLenInByte = 0
; TotalNumSgprs: 6
; NumVgprs: 0
; NumAgprs: 0
; TotalNumVgprs: 0
; ScratchSize: 0
; MemoryBound: 0
; FloatMode: 240
; IeeeMode: 1
; LDSByteSize: 0 bytes/workgroup (compile time only)
; SGPRBlocks: 0
; VGPRBlocks: 0
; NumSGPRsForWavesPerEU: 6
; NumVGPRsForWavesPerEU: 1
; AccumOffset: 4
; Occupancy: 8
; WaveLimiterHint : 0
; COMPUTE_PGM_RSRC2:SCRATCH_EN: 0
; COMPUTE_PGM_RSRC2:USER_SGPR: 2
; COMPUTE_PGM_RSRC2:TRAP_HANDLER: 0
; COMPUTE_PGM_RSRC2:TGID_X_EN: 1
; COMPUTE_PGM_RSRC2:TGID_Y_EN: 0
; COMPUTE_PGM_RSRC2:TGID_Z_EN: 0
; COMPUTE_PGM_RSRC2:TIDIG_COMP_CNT: 0
; COMPUTE_PGM_RSRC3_GFX90A:ACCUM_OFFSET: 0
; COMPUTE_PGM_RSRC3_GFX90A:TG_SPLIT: 0
	.section	.text._ZN7rocprim17ROCPRIM_400000_NS6detail17trampoline_kernelINS0_14default_configENS1_22reduce_config_selectorIyEEZNS1_11reduce_implILb1ES3_PyS7_y9plus_mod3IyEEE10hipError_tPvRmT1_T2_T3_mT4_P12ihipStream_tbEUlT_E1_NS1_11comp_targetILNS1_3genE4ELNS1_11target_archE910ELNS1_3gpuE8ELNS1_3repE0EEENS1_30default_config_static_selectorELNS0_4arch9wavefront6targetE1EEEvSD_,"axG",@progbits,_ZN7rocprim17ROCPRIM_400000_NS6detail17trampoline_kernelINS0_14default_configENS1_22reduce_config_selectorIyEEZNS1_11reduce_implILb1ES3_PyS7_y9plus_mod3IyEEE10hipError_tPvRmT1_T2_T3_mT4_P12ihipStream_tbEUlT_E1_NS1_11comp_targetILNS1_3genE4ELNS1_11target_archE910ELNS1_3gpuE8ELNS1_3repE0EEENS1_30default_config_static_selectorELNS0_4arch9wavefront6targetE1EEEvSD_,comdat
	.protected	_ZN7rocprim17ROCPRIM_400000_NS6detail17trampoline_kernelINS0_14default_configENS1_22reduce_config_selectorIyEEZNS1_11reduce_implILb1ES3_PyS7_y9plus_mod3IyEEE10hipError_tPvRmT1_T2_T3_mT4_P12ihipStream_tbEUlT_E1_NS1_11comp_targetILNS1_3genE4ELNS1_11target_archE910ELNS1_3gpuE8ELNS1_3repE0EEENS1_30default_config_static_selectorELNS0_4arch9wavefront6targetE1EEEvSD_ ; -- Begin function _ZN7rocprim17ROCPRIM_400000_NS6detail17trampoline_kernelINS0_14default_configENS1_22reduce_config_selectorIyEEZNS1_11reduce_implILb1ES3_PyS7_y9plus_mod3IyEEE10hipError_tPvRmT1_T2_T3_mT4_P12ihipStream_tbEUlT_E1_NS1_11comp_targetILNS1_3genE4ELNS1_11target_archE910ELNS1_3gpuE8ELNS1_3repE0EEENS1_30default_config_static_selectorELNS0_4arch9wavefront6targetE1EEEvSD_
	.globl	_ZN7rocprim17ROCPRIM_400000_NS6detail17trampoline_kernelINS0_14default_configENS1_22reduce_config_selectorIyEEZNS1_11reduce_implILb1ES3_PyS7_y9plus_mod3IyEEE10hipError_tPvRmT1_T2_T3_mT4_P12ihipStream_tbEUlT_E1_NS1_11comp_targetILNS1_3genE4ELNS1_11target_archE910ELNS1_3gpuE8ELNS1_3repE0EEENS1_30default_config_static_selectorELNS0_4arch9wavefront6targetE1EEEvSD_
	.p2align	8
	.type	_ZN7rocprim17ROCPRIM_400000_NS6detail17trampoline_kernelINS0_14default_configENS1_22reduce_config_selectorIyEEZNS1_11reduce_implILb1ES3_PyS7_y9plus_mod3IyEEE10hipError_tPvRmT1_T2_T3_mT4_P12ihipStream_tbEUlT_E1_NS1_11comp_targetILNS1_3genE4ELNS1_11target_archE910ELNS1_3gpuE8ELNS1_3repE0EEENS1_30default_config_static_selectorELNS0_4arch9wavefront6targetE1EEEvSD_,@function
_ZN7rocprim17ROCPRIM_400000_NS6detail17trampoline_kernelINS0_14default_configENS1_22reduce_config_selectorIyEEZNS1_11reduce_implILb1ES3_PyS7_y9plus_mod3IyEEE10hipError_tPvRmT1_T2_T3_mT4_P12ihipStream_tbEUlT_E1_NS1_11comp_targetILNS1_3genE4ELNS1_11target_archE910ELNS1_3gpuE8ELNS1_3repE0EEENS1_30default_config_static_selectorELNS0_4arch9wavefront6targetE1EEEvSD_: ; @_ZN7rocprim17ROCPRIM_400000_NS6detail17trampoline_kernelINS0_14default_configENS1_22reduce_config_selectorIyEEZNS1_11reduce_implILb1ES3_PyS7_y9plus_mod3IyEEE10hipError_tPvRmT1_T2_T3_mT4_P12ihipStream_tbEUlT_E1_NS1_11comp_targetILNS1_3genE4ELNS1_11target_archE910ELNS1_3gpuE8ELNS1_3repE0EEENS1_30default_config_static_selectorELNS0_4arch9wavefront6targetE1EEEvSD_
; %bb.0:
	.section	.rodata,"a",@progbits
	.p2align	6, 0x0
	.amdhsa_kernel _ZN7rocprim17ROCPRIM_400000_NS6detail17trampoline_kernelINS0_14default_configENS1_22reduce_config_selectorIyEEZNS1_11reduce_implILb1ES3_PyS7_y9plus_mod3IyEEE10hipError_tPvRmT1_T2_T3_mT4_P12ihipStream_tbEUlT_E1_NS1_11comp_targetILNS1_3genE4ELNS1_11target_archE910ELNS1_3gpuE8ELNS1_3repE0EEENS1_30default_config_static_selectorELNS0_4arch9wavefront6targetE1EEEvSD_
		.amdhsa_group_segment_fixed_size 0
		.amdhsa_private_segment_fixed_size 0
		.amdhsa_kernarg_size 48
		.amdhsa_user_sgpr_count 2
		.amdhsa_user_sgpr_dispatch_ptr 0
		.amdhsa_user_sgpr_queue_ptr 0
		.amdhsa_user_sgpr_kernarg_segment_ptr 1
		.amdhsa_user_sgpr_dispatch_id 0
		.amdhsa_user_sgpr_kernarg_preload_length 0
		.amdhsa_user_sgpr_kernarg_preload_offset 0
		.amdhsa_user_sgpr_private_segment_size 0
		.amdhsa_uses_dynamic_stack 0
		.amdhsa_enable_private_segment 0
		.amdhsa_system_sgpr_workgroup_id_x 1
		.amdhsa_system_sgpr_workgroup_id_y 0
		.amdhsa_system_sgpr_workgroup_id_z 0
		.amdhsa_system_sgpr_workgroup_info 0
		.amdhsa_system_vgpr_workitem_id 0
		.amdhsa_next_free_vgpr 1
		.amdhsa_next_free_sgpr 0
		.amdhsa_accum_offset 4
		.amdhsa_reserve_vcc 0
		.amdhsa_float_round_mode_32 0
		.amdhsa_float_round_mode_16_64 0
		.amdhsa_float_denorm_mode_32 3
		.amdhsa_float_denorm_mode_16_64 3
		.amdhsa_dx10_clamp 1
		.amdhsa_ieee_mode 1
		.amdhsa_fp16_overflow 0
		.amdhsa_tg_split 0
		.amdhsa_exception_fp_ieee_invalid_op 0
		.amdhsa_exception_fp_denorm_src 0
		.amdhsa_exception_fp_ieee_div_zero 0
		.amdhsa_exception_fp_ieee_overflow 0
		.amdhsa_exception_fp_ieee_underflow 0
		.amdhsa_exception_fp_ieee_inexact 0
		.amdhsa_exception_int_div_zero 0
	.end_amdhsa_kernel
	.section	.text._ZN7rocprim17ROCPRIM_400000_NS6detail17trampoline_kernelINS0_14default_configENS1_22reduce_config_selectorIyEEZNS1_11reduce_implILb1ES3_PyS7_y9plus_mod3IyEEE10hipError_tPvRmT1_T2_T3_mT4_P12ihipStream_tbEUlT_E1_NS1_11comp_targetILNS1_3genE4ELNS1_11target_archE910ELNS1_3gpuE8ELNS1_3repE0EEENS1_30default_config_static_selectorELNS0_4arch9wavefront6targetE1EEEvSD_,"axG",@progbits,_ZN7rocprim17ROCPRIM_400000_NS6detail17trampoline_kernelINS0_14default_configENS1_22reduce_config_selectorIyEEZNS1_11reduce_implILb1ES3_PyS7_y9plus_mod3IyEEE10hipError_tPvRmT1_T2_T3_mT4_P12ihipStream_tbEUlT_E1_NS1_11comp_targetILNS1_3genE4ELNS1_11target_archE910ELNS1_3gpuE8ELNS1_3repE0EEENS1_30default_config_static_selectorELNS0_4arch9wavefront6targetE1EEEvSD_,comdat
.Lfunc_end778:
	.size	_ZN7rocprim17ROCPRIM_400000_NS6detail17trampoline_kernelINS0_14default_configENS1_22reduce_config_selectorIyEEZNS1_11reduce_implILb1ES3_PyS7_y9plus_mod3IyEEE10hipError_tPvRmT1_T2_T3_mT4_P12ihipStream_tbEUlT_E1_NS1_11comp_targetILNS1_3genE4ELNS1_11target_archE910ELNS1_3gpuE8ELNS1_3repE0EEENS1_30default_config_static_selectorELNS0_4arch9wavefront6targetE1EEEvSD_, .Lfunc_end778-_ZN7rocprim17ROCPRIM_400000_NS6detail17trampoline_kernelINS0_14default_configENS1_22reduce_config_selectorIyEEZNS1_11reduce_implILb1ES3_PyS7_y9plus_mod3IyEEE10hipError_tPvRmT1_T2_T3_mT4_P12ihipStream_tbEUlT_E1_NS1_11comp_targetILNS1_3genE4ELNS1_11target_archE910ELNS1_3gpuE8ELNS1_3repE0EEENS1_30default_config_static_selectorELNS0_4arch9wavefront6targetE1EEEvSD_
                                        ; -- End function
	.set _ZN7rocprim17ROCPRIM_400000_NS6detail17trampoline_kernelINS0_14default_configENS1_22reduce_config_selectorIyEEZNS1_11reduce_implILb1ES3_PyS7_y9plus_mod3IyEEE10hipError_tPvRmT1_T2_T3_mT4_P12ihipStream_tbEUlT_E1_NS1_11comp_targetILNS1_3genE4ELNS1_11target_archE910ELNS1_3gpuE8ELNS1_3repE0EEENS1_30default_config_static_selectorELNS0_4arch9wavefront6targetE1EEEvSD_.num_vgpr, 0
	.set _ZN7rocprim17ROCPRIM_400000_NS6detail17trampoline_kernelINS0_14default_configENS1_22reduce_config_selectorIyEEZNS1_11reduce_implILb1ES3_PyS7_y9plus_mod3IyEEE10hipError_tPvRmT1_T2_T3_mT4_P12ihipStream_tbEUlT_E1_NS1_11comp_targetILNS1_3genE4ELNS1_11target_archE910ELNS1_3gpuE8ELNS1_3repE0EEENS1_30default_config_static_selectorELNS0_4arch9wavefront6targetE1EEEvSD_.num_agpr, 0
	.set _ZN7rocprim17ROCPRIM_400000_NS6detail17trampoline_kernelINS0_14default_configENS1_22reduce_config_selectorIyEEZNS1_11reduce_implILb1ES3_PyS7_y9plus_mod3IyEEE10hipError_tPvRmT1_T2_T3_mT4_P12ihipStream_tbEUlT_E1_NS1_11comp_targetILNS1_3genE4ELNS1_11target_archE910ELNS1_3gpuE8ELNS1_3repE0EEENS1_30default_config_static_selectorELNS0_4arch9wavefront6targetE1EEEvSD_.numbered_sgpr, 0
	.set _ZN7rocprim17ROCPRIM_400000_NS6detail17trampoline_kernelINS0_14default_configENS1_22reduce_config_selectorIyEEZNS1_11reduce_implILb1ES3_PyS7_y9plus_mod3IyEEE10hipError_tPvRmT1_T2_T3_mT4_P12ihipStream_tbEUlT_E1_NS1_11comp_targetILNS1_3genE4ELNS1_11target_archE910ELNS1_3gpuE8ELNS1_3repE0EEENS1_30default_config_static_selectorELNS0_4arch9wavefront6targetE1EEEvSD_.num_named_barrier, 0
	.set _ZN7rocprim17ROCPRIM_400000_NS6detail17trampoline_kernelINS0_14default_configENS1_22reduce_config_selectorIyEEZNS1_11reduce_implILb1ES3_PyS7_y9plus_mod3IyEEE10hipError_tPvRmT1_T2_T3_mT4_P12ihipStream_tbEUlT_E1_NS1_11comp_targetILNS1_3genE4ELNS1_11target_archE910ELNS1_3gpuE8ELNS1_3repE0EEENS1_30default_config_static_selectorELNS0_4arch9wavefront6targetE1EEEvSD_.private_seg_size, 0
	.set _ZN7rocprim17ROCPRIM_400000_NS6detail17trampoline_kernelINS0_14default_configENS1_22reduce_config_selectorIyEEZNS1_11reduce_implILb1ES3_PyS7_y9plus_mod3IyEEE10hipError_tPvRmT1_T2_T3_mT4_P12ihipStream_tbEUlT_E1_NS1_11comp_targetILNS1_3genE4ELNS1_11target_archE910ELNS1_3gpuE8ELNS1_3repE0EEENS1_30default_config_static_selectorELNS0_4arch9wavefront6targetE1EEEvSD_.uses_vcc, 0
	.set _ZN7rocprim17ROCPRIM_400000_NS6detail17trampoline_kernelINS0_14default_configENS1_22reduce_config_selectorIyEEZNS1_11reduce_implILb1ES3_PyS7_y9plus_mod3IyEEE10hipError_tPvRmT1_T2_T3_mT4_P12ihipStream_tbEUlT_E1_NS1_11comp_targetILNS1_3genE4ELNS1_11target_archE910ELNS1_3gpuE8ELNS1_3repE0EEENS1_30default_config_static_selectorELNS0_4arch9wavefront6targetE1EEEvSD_.uses_flat_scratch, 0
	.set _ZN7rocprim17ROCPRIM_400000_NS6detail17trampoline_kernelINS0_14default_configENS1_22reduce_config_selectorIyEEZNS1_11reduce_implILb1ES3_PyS7_y9plus_mod3IyEEE10hipError_tPvRmT1_T2_T3_mT4_P12ihipStream_tbEUlT_E1_NS1_11comp_targetILNS1_3genE4ELNS1_11target_archE910ELNS1_3gpuE8ELNS1_3repE0EEENS1_30default_config_static_selectorELNS0_4arch9wavefront6targetE1EEEvSD_.has_dyn_sized_stack, 0
	.set _ZN7rocprim17ROCPRIM_400000_NS6detail17trampoline_kernelINS0_14default_configENS1_22reduce_config_selectorIyEEZNS1_11reduce_implILb1ES3_PyS7_y9plus_mod3IyEEE10hipError_tPvRmT1_T2_T3_mT4_P12ihipStream_tbEUlT_E1_NS1_11comp_targetILNS1_3genE4ELNS1_11target_archE910ELNS1_3gpuE8ELNS1_3repE0EEENS1_30default_config_static_selectorELNS0_4arch9wavefront6targetE1EEEvSD_.has_recursion, 0
	.set _ZN7rocprim17ROCPRIM_400000_NS6detail17trampoline_kernelINS0_14default_configENS1_22reduce_config_selectorIyEEZNS1_11reduce_implILb1ES3_PyS7_y9plus_mod3IyEEE10hipError_tPvRmT1_T2_T3_mT4_P12ihipStream_tbEUlT_E1_NS1_11comp_targetILNS1_3genE4ELNS1_11target_archE910ELNS1_3gpuE8ELNS1_3repE0EEENS1_30default_config_static_selectorELNS0_4arch9wavefront6targetE1EEEvSD_.has_indirect_call, 0
	.section	.AMDGPU.csdata,"",@progbits
; Kernel info:
; codeLenInByte = 0
; TotalNumSgprs: 6
; NumVgprs: 0
; NumAgprs: 0
; TotalNumVgprs: 0
; ScratchSize: 0
; MemoryBound: 0
; FloatMode: 240
; IeeeMode: 1
; LDSByteSize: 0 bytes/workgroup (compile time only)
; SGPRBlocks: 0
; VGPRBlocks: 0
; NumSGPRsForWavesPerEU: 6
; NumVGPRsForWavesPerEU: 1
; AccumOffset: 4
; Occupancy: 8
; WaveLimiterHint : 0
; COMPUTE_PGM_RSRC2:SCRATCH_EN: 0
; COMPUTE_PGM_RSRC2:USER_SGPR: 2
; COMPUTE_PGM_RSRC2:TRAP_HANDLER: 0
; COMPUTE_PGM_RSRC2:TGID_X_EN: 1
; COMPUTE_PGM_RSRC2:TGID_Y_EN: 0
; COMPUTE_PGM_RSRC2:TGID_Z_EN: 0
; COMPUTE_PGM_RSRC2:TIDIG_COMP_CNT: 0
; COMPUTE_PGM_RSRC3_GFX90A:ACCUM_OFFSET: 0
; COMPUTE_PGM_RSRC3_GFX90A:TG_SPLIT: 0
	.section	.text._ZN7rocprim17ROCPRIM_400000_NS6detail17trampoline_kernelINS0_14default_configENS1_22reduce_config_selectorIyEEZNS1_11reduce_implILb1ES3_PyS7_y9plus_mod3IyEEE10hipError_tPvRmT1_T2_T3_mT4_P12ihipStream_tbEUlT_E1_NS1_11comp_targetILNS1_3genE3ELNS1_11target_archE908ELNS1_3gpuE7ELNS1_3repE0EEENS1_30default_config_static_selectorELNS0_4arch9wavefront6targetE1EEEvSD_,"axG",@progbits,_ZN7rocprim17ROCPRIM_400000_NS6detail17trampoline_kernelINS0_14default_configENS1_22reduce_config_selectorIyEEZNS1_11reduce_implILb1ES3_PyS7_y9plus_mod3IyEEE10hipError_tPvRmT1_T2_T3_mT4_P12ihipStream_tbEUlT_E1_NS1_11comp_targetILNS1_3genE3ELNS1_11target_archE908ELNS1_3gpuE7ELNS1_3repE0EEENS1_30default_config_static_selectorELNS0_4arch9wavefront6targetE1EEEvSD_,comdat
	.protected	_ZN7rocprim17ROCPRIM_400000_NS6detail17trampoline_kernelINS0_14default_configENS1_22reduce_config_selectorIyEEZNS1_11reduce_implILb1ES3_PyS7_y9plus_mod3IyEEE10hipError_tPvRmT1_T2_T3_mT4_P12ihipStream_tbEUlT_E1_NS1_11comp_targetILNS1_3genE3ELNS1_11target_archE908ELNS1_3gpuE7ELNS1_3repE0EEENS1_30default_config_static_selectorELNS0_4arch9wavefront6targetE1EEEvSD_ ; -- Begin function _ZN7rocprim17ROCPRIM_400000_NS6detail17trampoline_kernelINS0_14default_configENS1_22reduce_config_selectorIyEEZNS1_11reduce_implILb1ES3_PyS7_y9plus_mod3IyEEE10hipError_tPvRmT1_T2_T3_mT4_P12ihipStream_tbEUlT_E1_NS1_11comp_targetILNS1_3genE3ELNS1_11target_archE908ELNS1_3gpuE7ELNS1_3repE0EEENS1_30default_config_static_selectorELNS0_4arch9wavefront6targetE1EEEvSD_
	.globl	_ZN7rocprim17ROCPRIM_400000_NS6detail17trampoline_kernelINS0_14default_configENS1_22reduce_config_selectorIyEEZNS1_11reduce_implILb1ES3_PyS7_y9plus_mod3IyEEE10hipError_tPvRmT1_T2_T3_mT4_P12ihipStream_tbEUlT_E1_NS1_11comp_targetILNS1_3genE3ELNS1_11target_archE908ELNS1_3gpuE7ELNS1_3repE0EEENS1_30default_config_static_selectorELNS0_4arch9wavefront6targetE1EEEvSD_
	.p2align	8
	.type	_ZN7rocprim17ROCPRIM_400000_NS6detail17trampoline_kernelINS0_14default_configENS1_22reduce_config_selectorIyEEZNS1_11reduce_implILb1ES3_PyS7_y9plus_mod3IyEEE10hipError_tPvRmT1_T2_T3_mT4_P12ihipStream_tbEUlT_E1_NS1_11comp_targetILNS1_3genE3ELNS1_11target_archE908ELNS1_3gpuE7ELNS1_3repE0EEENS1_30default_config_static_selectorELNS0_4arch9wavefront6targetE1EEEvSD_,@function
_ZN7rocprim17ROCPRIM_400000_NS6detail17trampoline_kernelINS0_14default_configENS1_22reduce_config_selectorIyEEZNS1_11reduce_implILb1ES3_PyS7_y9plus_mod3IyEEE10hipError_tPvRmT1_T2_T3_mT4_P12ihipStream_tbEUlT_E1_NS1_11comp_targetILNS1_3genE3ELNS1_11target_archE908ELNS1_3gpuE7ELNS1_3repE0EEENS1_30default_config_static_selectorELNS0_4arch9wavefront6targetE1EEEvSD_: ; @_ZN7rocprim17ROCPRIM_400000_NS6detail17trampoline_kernelINS0_14default_configENS1_22reduce_config_selectorIyEEZNS1_11reduce_implILb1ES3_PyS7_y9plus_mod3IyEEE10hipError_tPvRmT1_T2_T3_mT4_P12ihipStream_tbEUlT_E1_NS1_11comp_targetILNS1_3genE3ELNS1_11target_archE908ELNS1_3gpuE7ELNS1_3repE0EEENS1_30default_config_static_selectorELNS0_4arch9wavefront6targetE1EEEvSD_
; %bb.0:
	.section	.rodata,"a",@progbits
	.p2align	6, 0x0
	.amdhsa_kernel _ZN7rocprim17ROCPRIM_400000_NS6detail17trampoline_kernelINS0_14default_configENS1_22reduce_config_selectorIyEEZNS1_11reduce_implILb1ES3_PyS7_y9plus_mod3IyEEE10hipError_tPvRmT1_T2_T3_mT4_P12ihipStream_tbEUlT_E1_NS1_11comp_targetILNS1_3genE3ELNS1_11target_archE908ELNS1_3gpuE7ELNS1_3repE0EEENS1_30default_config_static_selectorELNS0_4arch9wavefront6targetE1EEEvSD_
		.amdhsa_group_segment_fixed_size 0
		.amdhsa_private_segment_fixed_size 0
		.amdhsa_kernarg_size 48
		.amdhsa_user_sgpr_count 2
		.amdhsa_user_sgpr_dispatch_ptr 0
		.amdhsa_user_sgpr_queue_ptr 0
		.amdhsa_user_sgpr_kernarg_segment_ptr 1
		.amdhsa_user_sgpr_dispatch_id 0
		.amdhsa_user_sgpr_kernarg_preload_length 0
		.amdhsa_user_sgpr_kernarg_preload_offset 0
		.amdhsa_user_sgpr_private_segment_size 0
		.amdhsa_uses_dynamic_stack 0
		.amdhsa_enable_private_segment 0
		.amdhsa_system_sgpr_workgroup_id_x 1
		.amdhsa_system_sgpr_workgroup_id_y 0
		.amdhsa_system_sgpr_workgroup_id_z 0
		.amdhsa_system_sgpr_workgroup_info 0
		.amdhsa_system_vgpr_workitem_id 0
		.amdhsa_next_free_vgpr 1
		.amdhsa_next_free_sgpr 0
		.amdhsa_accum_offset 4
		.amdhsa_reserve_vcc 0
		.amdhsa_float_round_mode_32 0
		.amdhsa_float_round_mode_16_64 0
		.amdhsa_float_denorm_mode_32 3
		.amdhsa_float_denorm_mode_16_64 3
		.amdhsa_dx10_clamp 1
		.amdhsa_ieee_mode 1
		.amdhsa_fp16_overflow 0
		.amdhsa_tg_split 0
		.amdhsa_exception_fp_ieee_invalid_op 0
		.amdhsa_exception_fp_denorm_src 0
		.amdhsa_exception_fp_ieee_div_zero 0
		.amdhsa_exception_fp_ieee_overflow 0
		.amdhsa_exception_fp_ieee_underflow 0
		.amdhsa_exception_fp_ieee_inexact 0
		.amdhsa_exception_int_div_zero 0
	.end_amdhsa_kernel
	.section	.text._ZN7rocprim17ROCPRIM_400000_NS6detail17trampoline_kernelINS0_14default_configENS1_22reduce_config_selectorIyEEZNS1_11reduce_implILb1ES3_PyS7_y9plus_mod3IyEEE10hipError_tPvRmT1_T2_T3_mT4_P12ihipStream_tbEUlT_E1_NS1_11comp_targetILNS1_3genE3ELNS1_11target_archE908ELNS1_3gpuE7ELNS1_3repE0EEENS1_30default_config_static_selectorELNS0_4arch9wavefront6targetE1EEEvSD_,"axG",@progbits,_ZN7rocprim17ROCPRIM_400000_NS6detail17trampoline_kernelINS0_14default_configENS1_22reduce_config_selectorIyEEZNS1_11reduce_implILb1ES3_PyS7_y9plus_mod3IyEEE10hipError_tPvRmT1_T2_T3_mT4_P12ihipStream_tbEUlT_E1_NS1_11comp_targetILNS1_3genE3ELNS1_11target_archE908ELNS1_3gpuE7ELNS1_3repE0EEENS1_30default_config_static_selectorELNS0_4arch9wavefront6targetE1EEEvSD_,comdat
.Lfunc_end779:
	.size	_ZN7rocprim17ROCPRIM_400000_NS6detail17trampoline_kernelINS0_14default_configENS1_22reduce_config_selectorIyEEZNS1_11reduce_implILb1ES3_PyS7_y9plus_mod3IyEEE10hipError_tPvRmT1_T2_T3_mT4_P12ihipStream_tbEUlT_E1_NS1_11comp_targetILNS1_3genE3ELNS1_11target_archE908ELNS1_3gpuE7ELNS1_3repE0EEENS1_30default_config_static_selectorELNS0_4arch9wavefront6targetE1EEEvSD_, .Lfunc_end779-_ZN7rocprim17ROCPRIM_400000_NS6detail17trampoline_kernelINS0_14default_configENS1_22reduce_config_selectorIyEEZNS1_11reduce_implILb1ES3_PyS7_y9plus_mod3IyEEE10hipError_tPvRmT1_T2_T3_mT4_P12ihipStream_tbEUlT_E1_NS1_11comp_targetILNS1_3genE3ELNS1_11target_archE908ELNS1_3gpuE7ELNS1_3repE0EEENS1_30default_config_static_selectorELNS0_4arch9wavefront6targetE1EEEvSD_
                                        ; -- End function
	.set _ZN7rocprim17ROCPRIM_400000_NS6detail17trampoline_kernelINS0_14default_configENS1_22reduce_config_selectorIyEEZNS1_11reduce_implILb1ES3_PyS7_y9plus_mod3IyEEE10hipError_tPvRmT1_T2_T3_mT4_P12ihipStream_tbEUlT_E1_NS1_11comp_targetILNS1_3genE3ELNS1_11target_archE908ELNS1_3gpuE7ELNS1_3repE0EEENS1_30default_config_static_selectorELNS0_4arch9wavefront6targetE1EEEvSD_.num_vgpr, 0
	.set _ZN7rocprim17ROCPRIM_400000_NS6detail17trampoline_kernelINS0_14default_configENS1_22reduce_config_selectorIyEEZNS1_11reduce_implILb1ES3_PyS7_y9plus_mod3IyEEE10hipError_tPvRmT1_T2_T3_mT4_P12ihipStream_tbEUlT_E1_NS1_11comp_targetILNS1_3genE3ELNS1_11target_archE908ELNS1_3gpuE7ELNS1_3repE0EEENS1_30default_config_static_selectorELNS0_4arch9wavefront6targetE1EEEvSD_.num_agpr, 0
	.set _ZN7rocprim17ROCPRIM_400000_NS6detail17trampoline_kernelINS0_14default_configENS1_22reduce_config_selectorIyEEZNS1_11reduce_implILb1ES3_PyS7_y9plus_mod3IyEEE10hipError_tPvRmT1_T2_T3_mT4_P12ihipStream_tbEUlT_E1_NS1_11comp_targetILNS1_3genE3ELNS1_11target_archE908ELNS1_3gpuE7ELNS1_3repE0EEENS1_30default_config_static_selectorELNS0_4arch9wavefront6targetE1EEEvSD_.numbered_sgpr, 0
	.set _ZN7rocprim17ROCPRIM_400000_NS6detail17trampoline_kernelINS0_14default_configENS1_22reduce_config_selectorIyEEZNS1_11reduce_implILb1ES3_PyS7_y9plus_mod3IyEEE10hipError_tPvRmT1_T2_T3_mT4_P12ihipStream_tbEUlT_E1_NS1_11comp_targetILNS1_3genE3ELNS1_11target_archE908ELNS1_3gpuE7ELNS1_3repE0EEENS1_30default_config_static_selectorELNS0_4arch9wavefront6targetE1EEEvSD_.num_named_barrier, 0
	.set _ZN7rocprim17ROCPRIM_400000_NS6detail17trampoline_kernelINS0_14default_configENS1_22reduce_config_selectorIyEEZNS1_11reduce_implILb1ES3_PyS7_y9plus_mod3IyEEE10hipError_tPvRmT1_T2_T3_mT4_P12ihipStream_tbEUlT_E1_NS1_11comp_targetILNS1_3genE3ELNS1_11target_archE908ELNS1_3gpuE7ELNS1_3repE0EEENS1_30default_config_static_selectorELNS0_4arch9wavefront6targetE1EEEvSD_.private_seg_size, 0
	.set _ZN7rocprim17ROCPRIM_400000_NS6detail17trampoline_kernelINS0_14default_configENS1_22reduce_config_selectorIyEEZNS1_11reduce_implILb1ES3_PyS7_y9plus_mod3IyEEE10hipError_tPvRmT1_T2_T3_mT4_P12ihipStream_tbEUlT_E1_NS1_11comp_targetILNS1_3genE3ELNS1_11target_archE908ELNS1_3gpuE7ELNS1_3repE0EEENS1_30default_config_static_selectorELNS0_4arch9wavefront6targetE1EEEvSD_.uses_vcc, 0
	.set _ZN7rocprim17ROCPRIM_400000_NS6detail17trampoline_kernelINS0_14default_configENS1_22reduce_config_selectorIyEEZNS1_11reduce_implILb1ES3_PyS7_y9plus_mod3IyEEE10hipError_tPvRmT1_T2_T3_mT4_P12ihipStream_tbEUlT_E1_NS1_11comp_targetILNS1_3genE3ELNS1_11target_archE908ELNS1_3gpuE7ELNS1_3repE0EEENS1_30default_config_static_selectorELNS0_4arch9wavefront6targetE1EEEvSD_.uses_flat_scratch, 0
	.set _ZN7rocprim17ROCPRIM_400000_NS6detail17trampoline_kernelINS0_14default_configENS1_22reduce_config_selectorIyEEZNS1_11reduce_implILb1ES3_PyS7_y9plus_mod3IyEEE10hipError_tPvRmT1_T2_T3_mT4_P12ihipStream_tbEUlT_E1_NS1_11comp_targetILNS1_3genE3ELNS1_11target_archE908ELNS1_3gpuE7ELNS1_3repE0EEENS1_30default_config_static_selectorELNS0_4arch9wavefront6targetE1EEEvSD_.has_dyn_sized_stack, 0
	.set _ZN7rocprim17ROCPRIM_400000_NS6detail17trampoline_kernelINS0_14default_configENS1_22reduce_config_selectorIyEEZNS1_11reduce_implILb1ES3_PyS7_y9plus_mod3IyEEE10hipError_tPvRmT1_T2_T3_mT4_P12ihipStream_tbEUlT_E1_NS1_11comp_targetILNS1_3genE3ELNS1_11target_archE908ELNS1_3gpuE7ELNS1_3repE0EEENS1_30default_config_static_selectorELNS0_4arch9wavefront6targetE1EEEvSD_.has_recursion, 0
	.set _ZN7rocprim17ROCPRIM_400000_NS6detail17trampoline_kernelINS0_14default_configENS1_22reduce_config_selectorIyEEZNS1_11reduce_implILb1ES3_PyS7_y9plus_mod3IyEEE10hipError_tPvRmT1_T2_T3_mT4_P12ihipStream_tbEUlT_E1_NS1_11comp_targetILNS1_3genE3ELNS1_11target_archE908ELNS1_3gpuE7ELNS1_3repE0EEENS1_30default_config_static_selectorELNS0_4arch9wavefront6targetE1EEEvSD_.has_indirect_call, 0
	.section	.AMDGPU.csdata,"",@progbits
; Kernel info:
; codeLenInByte = 0
; TotalNumSgprs: 6
; NumVgprs: 0
; NumAgprs: 0
; TotalNumVgprs: 0
; ScratchSize: 0
; MemoryBound: 0
; FloatMode: 240
; IeeeMode: 1
; LDSByteSize: 0 bytes/workgroup (compile time only)
; SGPRBlocks: 0
; VGPRBlocks: 0
; NumSGPRsForWavesPerEU: 6
; NumVGPRsForWavesPerEU: 1
; AccumOffset: 4
; Occupancy: 8
; WaveLimiterHint : 0
; COMPUTE_PGM_RSRC2:SCRATCH_EN: 0
; COMPUTE_PGM_RSRC2:USER_SGPR: 2
; COMPUTE_PGM_RSRC2:TRAP_HANDLER: 0
; COMPUTE_PGM_RSRC2:TGID_X_EN: 1
; COMPUTE_PGM_RSRC2:TGID_Y_EN: 0
; COMPUTE_PGM_RSRC2:TGID_Z_EN: 0
; COMPUTE_PGM_RSRC2:TIDIG_COMP_CNT: 0
; COMPUTE_PGM_RSRC3_GFX90A:ACCUM_OFFSET: 0
; COMPUTE_PGM_RSRC3_GFX90A:TG_SPLIT: 0
	.section	.text._ZN7rocprim17ROCPRIM_400000_NS6detail17trampoline_kernelINS0_14default_configENS1_22reduce_config_selectorIyEEZNS1_11reduce_implILb1ES3_PyS7_y9plus_mod3IyEEE10hipError_tPvRmT1_T2_T3_mT4_P12ihipStream_tbEUlT_E1_NS1_11comp_targetILNS1_3genE2ELNS1_11target_archE906ELNS1_3gpuE6ELNS1_3repE0EEENS1_30default_config_static_selectorELNS0_4arch9wavefront6targetE1EEEvSD_,"axG",@progbits,_ZN7rocprim17ROCPRIM_400000_NS6detail17trampoline_kernelINS0_14default_configENS1_22reduce_config_selectorIyEEZNS1_11reduce_implILb1ES3_PyS7_y9plus_mod3IyEEE10hipError_tPvRmT1_T2_T3_mT4_P12ihipStream_tbEUlT_E1_NS1_11comp_targetILNS1_3genE2ELNS1_11target_archE906ELNS1_3gpuE6ELNS1_3repE0EEENS1_30default_config_static_selectorELNS0_4arch9wavefront6targetE1EEEvSD_,comdat
	.protected	_ZN7rocprim17ROCPRIM_400000_NS6detail17trampoline_kernelINS0_14default_configENS1_22reduce_config_selectorIyEEZNS1_11reduce_implILb1ES3_PyS7_y9plus_mod3IyEEE10hipError_tPvRmT1_T2_T3_mT4_P12ihipStream_tbEUlT_E1_NS1_11comp_targetILNS1_3genE2ELNS1_11target_archE906ELNS1_3gpuE6ELNS1_3repE0EEENS1_30default_config_static_selectorELNS0_4arch9wavefront6targetE1EEEvSD_ ; -- Begin function _ZN7rocprim17ROCPRIM_400000_NS6detail17trampoline_kernelINS0_14default_configENS1_22reduce_config_selectorIyEEZNS1_11reduce_implILb1ES3_PyS7_y9plus_mod3IyEEE10hipError_tPvRmT1_T2_T3_mT4_P12ihipStream_tbEUlT_E1_NS1_11comp_targetILNS1_3genE2ELNS1_11target_archE906ELNS1_3gpuE6ELNS1_3repE0EEENS1_30default_config_static_selectorELNS0_4arch9wavefront6targetE1EEEvSD_
	.globl	_ZN7rocprim17ROCPRIM_400000_NS6detail17trampoline_kernelINS0_14default_configENS1_22reduce_config_selectorIyEEZNS1_11reduce_implILb1ES3_PyS7_y9plus_mod3IyEEE10hipError_tPvRmT1_T2_T3_mT4_P12ihipStream_tbEUlT_E1_NS1_11comp_targetILNS1_3genE2ELNS1_11target_archE906ELNS1_3gpuE6ELNS1_3repE0EEENS1_30default_config_static_selectorELNS0_4arch9wavefront6targetE1EEEvSD_
	.p2align	8
	.type	_ZN7rocprim17ROCPRIM_400000_NS6detail17trampoline_kernelINS0_14default_configENS1_22reduce_config_selectorIyEEZNS1_11reduce_implILb1ES3_PyS7_y9plus_mod3IyEEE10hipError_tPvRmT1_T2_T3_mT4_P12ihipStream_tbEUlT_E1_NS1_11comp_targetILNS1_3genE2ELNS1_11target_archE906ELNS1_3gpuE6ELNS1_3repE0EEENS1_30default_config_static_selectorELNS0_4arch9wavefront6targetE1EEEvSD_,@function
_ZN7rocprim17ROCPRIM_400000_NS6detail17trampoline_kernelINS0_14default_configENS1_22reduce_config_selectorIyEEZNS1_11reduce_implILb1ES3_PyS7_y9plus_mod3IyEEE10hipError_tPvRmT1_T2_T3_mT4_P12ihipStream_tbEUlT_E1_NS1_11comp_targetILNS1_3genE2ELNS1_11target_archE906ELNS1_3gpuE6ELNS1_3repE0EEENS1_30default_config_static_selectorELNS0_4arch9wavefront6targetE1EEEvSD_: ; @_ZN7rocprim17ROCPRIM_400000_NS6detail17trampoline_kernelINS0_14default_configENS1_22reduce_config_selectorIyEEZNS1_11reduce_implILb1ES3_PyS7_y9plus_mod3IyEEE10hipError_tPvRmT1_T2_T3_mT4_P12ihipStream_tbEUlT_E1_NS1_11comp_targetILNS1_3genE2ELNS1_11target_archE906ELNS1_3gpuE6ELNS1_3repE0EEENS1_30default_config_static_selectorELNS0_4arch9wavefront6targetE1EEEvSD_
; %bb.0:
	.section	.rodata,"a",@progbits
	.p2align	6, 0x0
	.amdhsa_kernel _ZN7rocprim17ROCPRIM_400000_NS6detail17trampoline_kernelINS0_14default_configENS1_22reduce_config_selectorIyEEZNS1_11reduce_implILb1ES3_PyS7_y9plus_mod3IyEEE10hipError_tPvRmT1_T2_T3_mT4_P12ihipStream_tbEUlT_E1_NS1_11comp_targetILNS1_3genE2ELNS1_11target_archE906ELNS1_3gpuE6ELNS1_3repE0EEENS1_30default_config_static_selectorELNS0_4arch9wavefront6targetE1EEEvSD_
		.amdhsa_group_segment_fixed_size 0
		.amdhsa_private_segment_fixed_size 0
		.amdhsa_kernarg_size 48
		.amdhsa_user_sgpr_count 2
		.amdhsa_user_sgpr_dispatch_ptr 0
		.amdhsa_user_sgpr_queue_ptr 0
		.amdhsa_user_sgpr_kernarg_segment_ptr 1
		.amdhsa_user_sgpr_dispatch_id 0
		.amdhsa_user_sgpr_kernarg_preload_length 0
		.amdhsa_user_sgpr_kernarg_preload_offset 0
		.amdhsa_user_sgpr_private_segment_size 0
		.amdhsa_uses_dynamic_stack 0
		.amdhsa_enable_private_segment 0
		.amdhsa_system_sgpr_workgroup_id_x 1
		.amdhsa_system_sgpr_workgroup_id_y 0
		.amdhsa_system_sgpr_workgroup_id_z 0
		.amdhsa_system_sgpr_workgroup_info 0
		.amdhsa_system_vgpr_workitem_id 0
		.amdhsa_next_free_vgpr 1
		.amdhsa_next_free_sgpr 0
		.amdhsa_accum_offset 4
		.amdhsa_reserve_vcc 0
		.amdhsa_float_round_mode_32 0
		.amdhsa_float_round_mode_16_64 0
		.amdhsa_float_denorm_mode_32 3
		.amdhsa_float_denorm_mode_16_64 3
		.amdhsa_dx10_clamp 1
		.amdhsa_ieee_mode 1
		.amdhsa_fp16_overflow 0
		.amdhsa_tg_split 0
		.amdhsa_exception_fp_ieee_invalid_op 0
		.amdhsa_exception_fp_denorm_src 0
		.amdhsa_exception_fp_ieee_div_zero 0
		.amdhsa_exception_fp_ieee_overflow 0
		.amdhsa_exception_fp_ieee_underflow 0
		.amdhsa_exception_fp_ieee_inexact 0
		.amdhsa_exception_int_div_zero 0
	.end_amdhsa_kernel
	.section	.text._ZN7rocprim17ROCPRIM_400000_NS6detail17trampoline_kernelINS0_14default_configENS1_22reduce_config_selectorIyEEZNS1_11reduce_implILb1ES3_PyS7_y9plus_mod3IyEEE10hipError_tPvRmT1_T2_T3_mT4_P12ihipStream_tbEUlT_E1_NS1_11comp_targetILNS1_3genE2ELNS1_11target_archE906ELNS1_3gpuE6ELNS1_3repE0EEENS1_30default_config_static_selectorELNS0_4arch9wavefront6targetE1EEEvSD_,"axG",@progbits,_ZN7rocprim17ROCPRIM_400000_NS6detail17trampoline_kernelINS0_14default_configENS1_22reduce_config_selectorIyEEZNS1_11reduce_implILb1ES3_PyS7_y9plus_mod3IyEEE10hipError_tPvRmT1_T2_T3_mT4_P12ihipStream_tbEUlT_E1_NS1_11comp_targetILNS1_3genE2ELNS1_11target_archE906ELNS1_3gpuE6ELNS1_3repE0EEENS1_30default_config_static_selectorELNS0_4arch9wavefront6targetE1EEEvSD_,comdat
.Lfunc_end780:
	.size	_ZN7rocprim17ROCPRIM_400000_NS6detail17trampoline_kernelINS0_14default_configENS1_22reduce_config_selectorIyEEZNS1_11reduce_implILb1ES3_PyS7_y9plus_mod3IyEEE10hipError_tPvRmT1_T2_T3_mT4_P12ihipStream_tbEUlT_E1_NS1_11comp_targetILNS1_3genE2ELNS1_11target_archE906ELNS1_3gpuE6ELNS1_3repE0EEENS1_30default_config_static_selectorELNS0_4arch9wavefront6targetE1EEEvSD_, .Lfunc_end780-_ZN7rocprim17ROCPRIM_400000_NS6detail17trampoline_kernelINS0_14default_configENS1_22reduce_config_selectorIyEEZNS1_11reduce_implILb1ES3_PyS7_y9plus_mod3IyEEE10hipError_tPvRmT1_T2_T3_mT4_P12ihipStream_tbEUlT_E1_NS1_11comp_targetILNS1_3genE2ELNS1_11target_archE906ELNS1_3gpuE6ELNS1_3repE0EEENS1_30default_config_static_selectorELNS0_4arch9wavefront6targetE1EEEvSD_
                                        ; -- End function
	.set _ZN7rocprim17ROCPRIM_400000_NS6detail17trampoline_kernelINS0_14default_configENS1_22reduce_config_selectorIyEEZNS1_11reduce_implILb1ES3_PyS7_y9plus_mod3IyEEE10hipError_tPvRmT1_T2_T3_mT4_P12ihipStream_tbEUlT_E1_NS1_11comp_targetILNS1_3genE2ELNS1_11target_archE906ELNS1_3gpuE6ELNS1_3repE0EEENS1_30default_config_static_selectorELNS0_4arch9wavefront6targetE1EEEvSD_.num_vgpr, 0
	.set _ZN7rocprim17ROCPRIM_400000_NS6detail17trampoline_kernelINS0_14default_configENS1_22reduce_config_selectorIyEEZNS1_11reduce_implILb1ES3_PyS7_y9plus_mod3IyEEE10hipError_tPvRmT1_T2_T3_mT4_P12ihipStream_tbEUlT_E1_NS1_11comp_targetILNS1_3genE2ELNS1_11target_archE906ELNS1_3gpuE6ELNS1_3repE0EEENS1_30default_config_static_selectorELNS0_4arch9wavefront6targetE1EEEvSD_.num_agpr, 0
	.set _ZN7rocprim17ROCPRIM_400000_NS6detail17trampoline_kernelINS0_14default_configENS1_22reduce_config_selectorIyEEZNS1_11reduce_implILb1ES3_PyS7_y9plus_mod3IyEEE10hipError_tPvRmT1_T2_T3_mT4_P12ihipStream_tbEUlT_E1_NS1_11comp_targetILNS1_3genE2ELNS1_11target_archE906ELNS1_3gpuE6ELNS1_3repE0EEENS1_30default_config_static_selectorELNS0_4arch9wavefront6targetE1EEEvSD_.numbered_sgpr, 0
	.set _ZN7rocprim17ROCPRIM_400000_NS6detail17trampoline_kernelINS0_14default_configENS1_22reduce_config_selectorIyEEZNS1_11reduce_implILb1ES3_PyS7_y9plus_mod3IyEEE10hipError_tPvRmT1_T2_T3_mT4_P12ihipStream_tbEUlT_E1_NS1_11comp_targetILNS1_3genE2ELNS1_11target_archE906ELNS1_3gpuE6ELNS1_3repE0EEENS1_30default_config_static_selectorELNS0_4arch9wavefront6targetE1EEEvSD_.num_named_barrier, 0
	.set _ZN7rocprim17ROCPRIM_400000_NS6detail17trampoline_kernelINS0_14default_configENS1_22reduce_config_selectorIyEEZNS1_11reduce_implILb1ES3_PyS7_y9plus_mod3IyEEE10hipError_tPvRmT1_T2_T3_mT4_P12ihipStream_tbEUlT_E1_NS1_11comp_targetILNS1_3genE2ELNS1_11target_archE906ELNS1_3gpuE6ELNS1_3repE0EEENS1_30default_config_static_selectorELNS0_4arch9wavefront6targetE1EEEvSD_.private_seg_size, 0
	.set _ZN7rocprim17ROCPRIM_400000_NS6detail17trampoline_kernelINS0_14default_configENS1_22reduce_config_selectorIyEEZNS1_11reduce_implILb1ES3_PyS7_y9plus_mod3IyEEE10hipError_tPvRmT1_T2_T3_mT4_P12ihipStream_tbEUlT_E1_NS1_11comp_targetILNS1_3genE2ELNS1_11target_archE906ELNS1_3gpuE6ELNS1_3repE0EEENS1_30default_config_static_selectorELNS0_4arch9wavefront6targetE1EEEvSD_.uses_vcc, 0
	.set _ZN7rocprim17ROCPRIM_400000_NS6detail17trampoline_kernelINS0_14default_configENS1_22reduce_config_selectorIyEEZNS1_11reduce_implILb1ES3_PyS7_y9plus_mod3IyEEE10hipError_tPvRmT1_T2_T3_mT4_P12ihipStream_tbEUlT_E1_NS1_11comp_targetILNS1_3genE2ELNS1_11target_archE906ELNS1_3gpuE6ELNS1_3repE0EEENS1_30default_config_static_selectorELNS0_4arch9wavefront6targetE1EEEvSD_.uses_flat_scratch, 0
	.set _ZN7rocprim17ROCPRIM_400000_NS6detail17trampoline_kernelINS0_14default_configENS1_22reduce_config_selectorIyEEZNS1_11reduce_implILb1ES3_PyS7_y9plus_mod3IyEEE10hipError_tPvRmT1_T2_T3_mT4_P12ihipStream_tbEUlT_E1_NS1_11comp_targetILNS1_3genE2ELNS1_11target_archE906ELNS1_3gpuE6ELNS1_3repE0EEENS1_30default_config_static_selectorELNS0_4arch9wavefront6targetE1EEEvSD_.has_dyn_sized_stack, 0
	.set _ZN7rocprim17ROCPRIM_400000_NS6detail17trampoline_kernelINS0_14default_configENS1_22reduce_config_selectorIyEEZNS1_11reduce_implILb1ES3_PyS7_y9plus_mod3IyEEE10hipError_tPvRmT1_T2_T3_mT4_P12ihipStream_tbEUlT_E1_NS1_11comp_targetILNS1_3genE2ELNS1_11target_archE906ELNS1_3gpuE6ELNS1_3repE0EEENS1_30default_config_static_selectorELNS0_4arch9wavefront6targetE1EEEvSD_.has_recursion, 0
	.set _ZN7rocprim17ROCPRIM_400000_NS6detail17trampoline_kernelINS0_14default_configENS1_22reduce_config_selectorIyEEZNS1_11reduce_implILb1ES3_PyS7_y9plus_mod3IyEEE10hipError_tPvRmT1_T2_T3_mT4_P12ihipStream_tbEUlT_E1_NS1_11comp_targetILNS1_3genE2ELNS1_11target_archE906ELNS1_3gpuE6ELNS1_3repE0EEENS1_30default_config_static_selectorELNS0_4arch9wavefront6targetE1EEEvSD_.has_indirect_call, 0
	.section	.AMDGPU.csdata,"",@progbits
; Kernel info:
; codeLenInByte = 0
; TotalNumSgprs: 6
; NumVgprs: 0
; NumAgprs: 0
; TotalNumVgprs: 0
; ScratchSize: 0
; MemoryBound: 0
; FloatMode: 240
; IeeeMode: 1
; LDSByteSize: 0 bytes/workgroup (compile time only)
; SGPRBlocks: 0
; VGPRBlocks: 0
; NumSGPRsForWavesPerEU: 6
; NumVGPRsForWavesPerEU: 1
; AccumOffset: 4
; Occupancy: 8
; WaveLimiterHint : 0
; COMPUTE_PGM_RSRC2:SCRATCH_EN: 0
; COMPUTE_PGM_RSRC2:USER_SGPR: 2
; COMPUTE_PGM_RSRC2:TRAP_HANDLER: 0
; COMPUTE_PGM_RSRC2:TGID_X_EN: 1
; COMPUTE_PGM_RSRC2:TGID_Y_EN: 0
; COMPUTE_PGM_RSRC2:TGID_Z_EN: 0
; COMPUTE_PGM_RSRC2:TIDIG_COMP_CNT: 0
; COMPUTE_PGM_RSRC3_GFX90A:ACCUM_OFFSET: 0
; COMPUTE_PGM_RSRC3_GFX90A:TG_SPLIT: 0
	.section	.text._ZN7rocprim17ROCPRIM_400000_NS6detail17trampoline_kernelINS0_14default_configENS1_22reduce_config_selectorIyEEZNS1_11reduce_implILb1ES3_PyS7_y9plus_mod3IyEEE10hipError_tPvRmT1_T2_T3_mT4_P12ihipStream_tbEUlT_E1_NS1_11comp_targetILNS1_3genE10ELNS1_11target_archE1201ELNS1_3gpuE5ELNS1_3repE0EEENS1_30default_config_static_selectorELNS0_4arch9wavefront6targetE1EEEvSD_,"axG",@progbits,_ZN7rocprim17ROCPRIM_400000_NS6detail17trampoline_kernelINS0_14default_configENS1_22reduce_config_selectorIyEEZNS1_11reduce_implILb1ES3_PyS7_y9plus_mod3IyEEE10hipError_tPvRmT1_T2_T3_mT4_P12ihipStream_tbEUlT_E1_NS1_11comp_targetILNS1_3genE10ELNS1_11target_archE1201ELNS1_3gpuE5ELNS1_3repE0EEENS1_30default_config_static_selectorELNS0_4arch9wavefront6targetE1EEEvSD_,comdat
	.protected	_ZN7rocprim17ROCPRIM_400000_NS6detail17trampoline_kernelINS0_14default_configENS1_22reduce_config_selectorIyEEZNS1_11reduce_implILb1ES3_PyS7_y9plus_mod3IyEEE10hipError_tPvRmT1_T2_T3_mT4_P12ihipStream_tbEUlT_E1_NS1_11comp_targetILNS1_3genE10ELNS1_11target_archE1201ELNS1_3gpuE5ELNS1_3repE0EEENS1_30default_config_static_selectorELNS0_4arch9wavefront6targetE1EEEvSD_ ; -- Begin function _ZN7rocprim17ROCPRIM_400000_NS6detail17trampoline_kernelINS0_14default_configENS1_22reduce_config_selectorIyEEZNS1_11reduce_implILb1ES3_PyS7_y9plus_mod3IyEEE10hipError_tPvRmT1_T2_T3_mT4_P12ihipStream_tbEUlT_E1_NS1_11comp_targetILNS1_3genE10ELNS1_11target_archE1201ELNS1_3gpuE5ELNS1_3repE0EEENS1_30default_config_static_selectorELNS0_4arch9wavefront6targetE1EEEvSD_
	.globl	_ZN7rocprim17ROCPRIM_400000_NS6detail17trampoline_kernelINS0_14default_configENS1_22reduce_config_selectorIyEEZNS1_11reduce_implILb1ES3_PyS7_y9plus_mod3IyEEE10hipError_tPvRmT1_T2_T3_mT4_P12ihipStream_tbEUlT_E1_NS1_11comp_targetILNS1_3genE10ELNS1_11target_archE1201ELNS1_3gpuE5ELNS1_3repE0EEENS1_30default_config_static_selectorELNS0_4arch9wavefront6targetE1EEEvSD_
	.p2align	8
	.type	_ZN7rocprim17ROCPRIM_400000_NS6detail17trampoline_kernelINS0_14default_configENS1_22reduce_config_selectorIyEEZNS1_11reduce_implILb1ES3_PyS7_y9plus_mod3IyEEE10hipError_tPvRmT1_T2_T3_mT4_P12ihipStream_tbEUlT_E1_NS1_11comp_targetILNS1_3genE10ELNS1_11target_archE1201ELNS1_3gpuE5ELNS1_3repE0EEENS1_30default_config_static_selectorELNS0_4arch9wavefront6targetE1EEEvSD_,@function
_ZN7rocprim17ROCPRIM_400000_NS6detail17trampoline_kernelINS0_14default_configENS1_22reduce_config_selectorIyEEZNS1_11reduce_implILb1ES3_PyS7_y9plus_mod3IyEEE10hipError_tPvRmT1_T2_T3_mT4_P12ihipStream_tbEUlT_E1_NS1_11comp_targetILNS1_3genE10ELNS1_11target_archE1201ELNS1_3gpuE5ELNS1_3repE0EEENS1_30default_config_static_selectorELNS0_4arch9wavefront6targetE1EEEvSD_: ; @_ZN7rocprim17ROCPRIM_400000_NS6detail17trampoline_kernelINS0_14default_configENS1_22reduce_config_selectorIyEEZNS1_11reduce_implILb1ES3_PyS7_y9plus_mod3IyEEE10hipError_tPvRmT1_T2_T3_mT4_P12ihipStream_tbEUlT_E1_NS1_11comp_targetILNS1_3genE10ELNS1_11target_archE1201ELNS1_3gpuE5ELNS1_3repE0EEENS1_30default_config_static_selectorELNS0_4arch9wavefront6targetE1EEEvSD_
; %bb.0:
	.section	.rodata,"a",@progbits
	.p2align	6, 0x0
	.amdhsa_kernel _ZN7rocprim17ROCPRIM_400000_NS6detail17trampoline_kernelINS0_14default_configENS1_22reduce_config_selectorIyEEZNS1_11reduce_implILb1ES3_PyS7_y9plus_mod3IyEEE10hipError_tPvRmT1_T2_T3_mT4_P12ihipStream_tbEUlT_E1_NS1_11comp_targetILNS1_3genE10ELNS1_11target_archE1201ELNS1_3gpuE5ELNS1_3repE0EEENS1_30default_config_static_selectorELNS0_4arch9wavefront6targetE1EEEvSD_
		.amdhsa_group_segment_fixed_size 0
		.amdhsa_private_segment_fixed_size 0
		.amdhsa_kernarg_size 48
		.amdhsa_user_sgpr_count 2
		.amdhsa_user_sgpr_dispatch_ptr 0
		.amdhsa_user_sgpr_queue_ptr 0
		.amdhsa_user_sgpr_kernarg_segment_ptr 1
		.amdhsa_user_sgpr_dispatch_id 0
		.amdhsa_user_sgpr_kernarg_preload_length 0
		.amdhsa_user_sgpr_kernarg_preload_offset 0
		.amdhsa_user_sgpr_private_segment_size 0
		.amdhsa_uses_dynamic_stack 0
		.amdhsa_enable_private_segment 0
		.amdhsa_system_sgpr_workgroup_id_x 1
		.amdhsa_system_sgpr_workgroup_id_y 0
		.amdhsa_system_sgpr_workgroup_id_z 0
		.amdhsa_system_sgpr_workgroup_info 0
		.amdhsa_system_vgpr_workitem_id 0
		.amdhsa_next_free_vgpr 1
		.amdhsa_next_free_sgpr 0
		.amdhsa_accum_offset 4
		.amdhsa_reserve_vcc 0
		.amdhsa_float_round_mode_32 0
		.amdhsa_float_round_mode_16_64 0
		.amdhsa_float_denorm_mode_32 3
		.amdhsa_float_denorm_mode_16_64 3
		.amdhsa_dx10_clamp 1
		.amdhsa_ieee_mode 1
		.amdhsa_fp16_overflow 0
		.amdhsa_tg_split 0
		.amdhsa_exception_fp_ieee_invalid_op 0
		.amdhsa_exception_fp_denorm_src 0
		.amdhsa_exception_fp_ieee_div_zero 0
		.amdhsa_exception_fp_ieee_overflow 0
		.amdhsa_exception_fp_ieee_underflow 0
		.amdhsa_exception_fp_ieee_inexact 0
		.amdhsa_exception_int_div_zero 0
	.end_amdhsa_kernel
	.section	.text._ZN7rocprim17ROCPRIM_400000_NS6detail17trampoline_kernelINS0_14default_configENS1_22reduce_config_selectorIyEEZNS1_11reduce_implILb1ES3_PyS7_y9plus_mod3IyEEE10hipError_tPvRmT1_T2_T3_mT4_P12ihipStream_tbEUlT_E1_NS1_11comp_targetILNS1_3genE10ELNS1_11target_archE1201ELNS1_3gpuE5ELNS1_3repE0EEENS1_30default_config_static_selectorELNS0_4arch9wavefront6targetE1EEEvSD_,"axG",@progbits,_ZN7rocprim17ROCPRIM_400000_NS6detail17trampoline_kernelINS0_14default_configENS1_22reduce_config_selectorIyEEZNS1_11reduce_implILb1ES3_PyS7_y9plus_mod3IyEEE10hipError_tPvRmT1_T2_T3_mT4_P12ihipStream_tbEUlT_E1_NS1_11comp_targetILNS1_3genE10ELNS1_11target_archE1201ELNS1_3gpuE5ELNS1_3repE0EEENS1_30default_config_static_selectorELNS0_4arch9wavefront6targetE1EEEvSD_,comdat
.Lfunc_end781:
	.size	_ZN7rocprim17ROCPRIM_400000_NS6detail17trampoline_kernelINS0_14default_configENS1_22reduce_config_selectorIyEEZNS1_11reduce_implILb1ES3_PyS7_y9plus_mod3IyEEE10hipError_tPvRmT1_T2_T3_mT4_P12ihipStream_tbEUlT_E1_NS1_11comp_targetILNS1_3genE10ELNS1_11target_archE1201ELNS1_3gpuE5ELNS1_3repE0EEENS1_30default_config_static_selectorELNS0_4arch9wavefront6targetE1EEEvSD_, .Lfunc_end781-_ZN7rocprim17ROCPRIM_400000_NS6detail17trampoline_kernelINS0_14default_configENS1_22reduce_config_selectorIyEEZNS1_11reduce_implILb1ES3_PyS7_y9plus_mod3IyEEE10hipError_tPvRmT1_T2_T3_mT4_P12ihipStream_tbEUlT_E1_NS1_11comp_targetILNS1_3genE10ELNS1_11target_archE1201ELNS1_3gpuE5ELNS1_3repE0EEENS1_30default_config_static_selectorELNS0_4arch9wavefront6targetE1EEEvSD_
                                        ; -- End function
	.set _ZN7rocprim17ROCPRIM_400000_NS6detail17trampoline_kernelINS0_14default_configENS1_22reduce_config_selectorIyEEZNS1_11reduce_implILb1ES3_PyS7_y9plus_mod3IyEEE10hipError_tPvRmT1_T2_T3_mT4_P12ihipStream_tbEUlT_E1_NS1_11comp_targetILNS1_3genE10ELNS1_11target_archE1201ELNS1_3gpuE5ELNS1_3repE0EEENS1_30default_config_static_selectorELNS0_4arch9wavefront6targetE1EEEvSD_.num_vgpr, 0
	.set _ZN7rocprim17ROCPRIM_400000_NS6detail17trampoline_kernelINS0_14default_configENS1_22reduce_config_selectorIyEEZNS1_11reduce_implILb1ES3_PyS7_y9plus_mod3IyEEE10hipError_tPvRmT1_T2_T3_mT4_P12ihipStream_tbEUlT_E1_NS1_11comp_targetILNS1_3genE10ELNS1_11target_archE1201ELNS1_3gpuE5ELNS1_3repE0EEENS1_30default_config_static_selectorELNS0_4arch9wavefront6targetE1EEEvSD_.num_agpr, 0
	.set _ZN7rocprim17ROCPRIM_400000_NS6detail17trampoline_kernelINS0_14default_configENS1_22reduce_config_selectorIyEEZNS1_11reduce_implILb1ES3_PyS7_y9plus_mod3IyEEE10hipError_tPvRmT1_T2_T3_mT4_P12ihipStream_tbEUlT_E1_NS1_11comp_targetILNS1_3genE10ELNS1_11target_archE1201ELNS1_3gpuE5ELNS1_3repE0EEENS1_30default_config_static_selectorELNS0_4arch9wavefront6targetE1EEEvSD_.numbered_sgpr, 0
	.set _ZN7rocprim17ROCPRIM_400000_NS6detail17trampoline_kernelINS0_14default_configENS1_22reduce_config_selectorIyEEZNS1_11reduce_implILb1ES3_PyS7_y9plus_mod3IyEEE10hipError_tPvRmT1_T2_T3_mT4_P12ihipStream_tbEUlT_E1_NS1_11comp_targetILNS1_3genE10ELNS1_11target_archE1201ELNS1_3gpuE5ELNS1_3repE0EEENS1_30default_config_static_selectorELNS0_4arch9wavefront6targetE1EEEvSD_.num_named_barrier, 0
	.set _ZN7rocprim17ROCPRIM_400000_NS6detail17trampoline_kernelINS0_14default_configENS1_22reduce_config_selectorIyEEZNS1_11reduce_implILb1ES3_PyS7_y9plus_mod3IyEEE10hipError_tPvRmT1_T2_T3_mT4_P12ihipStream_tbEUlT_E1_NS1_11comp_targetILNS1_3genE10ELNS1_11target_archE1201ELNS1_3gpuE5ELNS1_3repE0EEENS1_30default_config_static_selectorELNS0_4arch9wavefront6targetE1EEEvSD_.private_seg_size, 0
	.set _ZN7rocprim17ROCPRIM_400000_NS6detail17trampoline_kernelINS0_14default_configENS1_22reduce_config_selectorIyEEZNS1_11reduce_implILb1ES3_PyS7_y9plus_mod3IyEEE10hipError_tPvRmT1_T2_T3_mT4_P12ihipStream_tbEUlT_E1_NS1_11comp_targetILNS1_3genE10ELNS1_11target_archE1201ELNS1_3gpuE5ELNS1_3repE0EEENS1_30default_config_static_selectorELNS0_4arch9wavefront6targetE1EEEvSD_.uses_vcc, 0
	.set _ZN7rocprim17ROCPRIM_400000_NS6detail17trampoline_kernelINS0_14default_configENS1_22reduce_config_selectorIyEEZNS1_11reduce_implILb1ES3_PyS7_y9plus_mod3IyEEE10hipError_tPvRmT1_T2_T3_mT4_P12ihipStream_tbEUlT_E1_NS1_11comp_targetILNS1_3genE10ELNS1_11target_archE1201ELNS1_3gpuE5ELNS1_3repE0EEENS1_30default_config_static_selectorELNS0_4arch9wavefront6targetE1EEEvSD_.uses_flat_scratch, 0
	.set _ZN7rocprim17ROCPRIM_400000_NS6detail17trampoline_kernelINS0_14default_configENS1_22reduce_config_selectorIyEEZNS1_11reduce_implILb1ES3_PyS7_y9plus_mod3IyEEE10hipError_tPvRmT1_T2_T3_mT4_P12ihipStream_tbEUlT_E1_NS1_11comp_targetILNS1_3genE10ELNS1_11target_archE1201ELNS1_3gpuE5ELNS1_3repE0EEENS1_30default_config_static_selectorELNS0_4arch9wavefront6targetE1EEEvSD_.has_dyn_sized_stack, 0
	.set _ZN7rocprim17ROCPRIM_400000_NS6detail17trampoline_kernelINS0_14default_configENS1_22reduce_config_selectorIyEEZNS1_11reduce_implILb1ES3_PyS7_y9plus_mod3IyEEE10hipError_tPvRmT1_T2_T3_mT4_P12ihipStream_tbEUlT_E1_NS1_11comp_targetILNS1_3genE10ELNS1_11target_archE1201ELNS1_3gpuE5ELNS1_3repE0EEENS1_30default_config_static_selectorELNS0_4arch9wavefront6targetE1EEEvSD_.has_recursion, 0
	.set _ZN7rocprim17ROCPRIM_400000_NS6detail17trampoline_kernelINS0_14default_configENS1_22reduce_config_selectorIyEEZNS1_11reduce_implILb1ES3_PyS7_y9plus_mod3IyEEE10hipError_tPvRmT1_T2_T3_mT4_P12ihipStream_tbEUlT_E1_NS1_11comp_targetILNS1_3genE10ELNS1_11target_archE1201ELNS1_3gpuE5ELNS1_3repE0EEENS1_30default_config_static_selectorELNS0_4arch9wavefront6targetE1EEEvSD_.has_indirect_call, 0
	.section	.AMDGPU.csdata,"",@progbits
; Kernel info:
; codeLenInByte = 0
; TotalNumSgprs: 6
; NumVgprs: 0
; NumAgprs: 0
; TotalNumVgprs: 0
; ScratchSize: 0
; MemoryBound: 0
; FloatMode: 240
; IeeeMode: 1
; LDSByteSize: 0 bytes/workgroup (compile time only)
; SGPRBlocks: 0
; VGPRBlocks: 0
; NumSGPRsForWavesPerEU: 6
; NumVGPRsForWavesPerEU: 1
; AccumOffset: 4
; Occupancy: 8
; WaveLimiterHint : 0
; COMPUTE_PGM_RSRC2:SCRATCH_EN: 0
; COMPUTE_PGM_RSRC2:USER_SGPR: 2
; COMPUTE_PGM_RSRC2:TRAP_HANDLER: 0
; COMPUTE_PGM_RSRC2:TGID_X_EN: 1
; COMPUTE_PGM_RSRC2:TGID_Y_EN: 0
; COMPUTE_PGM_RSRC2:TGID_Z_EN: 0
; COMPUTE_PGM_RSRC2:TIDIG_COMP_CNT: 0
; COMPUTE_PGM_RSRC3_GFX90A:ACCUM_OFFSET: 0
; COMPUTE_PGM_RSRC3_GFX90A:TG_SPLIT: 0
	.section	.text._ZN7rocprim17ROCPRIM_400000_NS6detail17trampoline_kernelINS0_14default_configENS1_22reduce_config_selectorIyEEZNS1_11reduce_implILb1ES3_PyS7_y9plus_mod3IyEEE10hipError_tPvRmT1_T2_T3_mT4_P12ihipStream_tbEUlT_E1_NS1_11comp_targetILNS1_3genE10ELNS1_11target_archE1200ELNS1_3gpuE4ELNS1_3repE0EEENS1_30default_config_static_selectorELNS0_4arch9wavefront6targetE1EEEvSD_,"axG",@progbits,_ZN7rocprim17ROCPRIM_400000_NS6detail17trampoline_kernelINS0_14default_configENS1_22reduce_config_selectorIyEEZNS1_11reduce_implILb1ES3_PyS7_y9plus_mod3IyEEE10hipError_tPvRmT1_T2_T3_mT4_P12ihipStream_tbEUlT_E1_NS1_11comp_targetILNS1_3genE10ELNS1_11target_archE1200ELNS1_3gpuE4ELNS1_3repE0EEENS1_30default_config_static_selectorELNS0_4arch9wavefront6targetE1EEEvSD_,comdat
	.protected	_ZN7rocprim17ROCPRIM_400000_NS6detail17trampoline_kernelINS0_14default_configENS1_22reduce_config_selectorIyEEZNS1_11reduce_implILb1ES3_PyS7_y9plus_mod3IyEEE10hipError_tPvRmT1_T2_T3_mT4_P12ihipStream_tbEUlT_E1_NS1_11comp_targetILNS1_3genE10ELNS1_11target_archE1200ELNS1_3gpuE4ELNS1_3repE0EEENS1_30default_config_static_selectorELNS0_4arch9wavefront6targetE1EEEvSD_ ; -- Begin function _ZN7rocprim17ROCPRIM_400000_NS6detail17trampoline_kernelINS0_14default_configENS1_22reduce_config_selectorIyEEZNS1_11reduce_implILb1ES3_PyS7_y9plus_mod3IyEEE10hipError_tPvRmT1_T2_T3_mT4_P12ihipStream_tbEUlT_E1_NS1_11comp_targetILNS1_3genE10ELNS1_11target_archE1200ELNS1_3gpuE4ELNS1_3repE0EEENS1_30default_config_static_selectorELNS0_4arch9wavefront6targetE1EEEvSD_
	.globl	_ZN7rocprim17ROCPRIM_400000_NS6detail17trampoline_kernelINS0_14default_configENS1_22reduce_config_selectorIyEEZNS1_11reduce_implILb1ES3_PyS7_y9plus_mod3IyEEE10hipError_tPvRmT1_T2_T3_mT4_P12ihipStream_tbEUlT_E1_NS1_11comp_targetILNS1_3genE10ELNS1_11target_archE1200ELNS1_3gpuE4ELNS1_3repE0EEENS1_30default_config_static_selectorELNS0_4arch9wavefront6targetE1EEEvSD_
	.p2align	8
	.type	_ZN7rocprim17ROCPRIM_400000_NS6detail17trampoline_kernelINS0_14default_configENS1_22reduce_config_selectorIyEEZNS1_11reduce_implILb1ES3_PyS7_y9plus_mod3IyEEE10hipError_tPvRmT1_T2_T3_mT4_P12ihipStream_tbEUlT_E1_NS1_11comp_targetILNS1_3genE10ELNS1_11target_archE1200ELNS1_3gpuE4ELNS1_3repE0EEENS1_30default_config_static_selectorELNS0_4arch9wavefront6targetE1EEEvSD_,@function
_ZN7rocprim17ROCPRIM_400000_NS6detail17trampoline_kernelINS0_14default_configENS1_22reduce_config_selectorIyEEZNS1_11reduce_implILb1ES3_PyS7_y9plus_mod3IyEEE10hipError_tPvRmT1_T2_T3_mT4_P12ihipStream_tbEUlT_E1_NS1_11comp_targetILNS1_3genE10ELNS1_11target_archE1200ELNS1_3gpuE4ELNS1_3repE0EEENS1_30default_config_static_selectorELNS0_4arch9wavefront6targetE1EEEvSD_: ; @_ZN7rocprim17ROCPRIM_400000_NS6detail17trampoline_kernelINS0_14default_configENS1_22reduce_config_selectorIyEEZNS1_11reduce_implILb1ES3_PyS7_y9plus_mod3IyEEE10hipError_tPvRmT1_T2_T3_mT4_P12ihipStream_tbEUlT_E1_NS1_11comp_targetILNS1_3genE10ELNS1_11target_archE1200ELNS1_3gpuE4ELNS1_3repE0EEENS1_30default_config_static_selectorELNS0_4arch9wavefront6targetE1EEEvSD_
; %bb.0:
	.section	.rodata,"a",@progbits
	.p2align	6, 0x0
	.amdhsa_kernel _ZN7rocprim17ROCPRIM_400000_NS6detail17trampoline_kernelINS0_14default_configENS1_22reduce_config_selectorIyEEZNS1_11reduce_implILb1ES3_PyS7_y9plus_mod3IyEEE10hipError_tPvRmT1_T2_T3_mT4_P12ihipStream_tbEUlT_E1_NS1_11comp_targetILNS1_3genE10ELNS1_11target_archE1200ELNS1_3gpuE4ELNS1_3repE0EEENS1_30default_config_static_selectorELNS0_4arch9wavefront6targetE1EEEvSD_
		.amdhsa_group_segment_fixed_size 0
		.amdhsa_private_segment_fixed_size 0
		.amdhsa_kernarg_size 48
		.amdhsa_user_sgpr_count 2
		.amdhsa_user_sgpr_dispatch_ptr 0
		.amdhsa_user_sgpr_queue_ptr 0
		.amdhsa_user_sgpr_kernarg_segment_ptr 1
		.amdhsa_user_sgpr_dispatch_id 0
		.amdhsa_user_sgpr_kernarg_preload_length 0
		.amdhsa_user_sgpr_kernarg_preload_offset 0
		.amdhsa_user_sgpr_private_segment_size 0
		.amdhsa_uses_dynamic_stack 0
		.amdhsa_enable_private_segment 0
		.amdhsa_system_sgpr_workgroup_id_x 1
		.amdhsa_system_sgpr_workgroup_id_y 0
		.amdhsa_system_sgpr_workgroup_id_z 0
		.amdhsa_system_sgpr_workgroup_info 0
		.amdhsa_system_vgpr_workitem_id 0
		.amdhsa_next_free_vgpr 1
		.amdhsa_next_free_sgpr 0
		.amdhsa_accum_offset 4
		.amdhsa_reserve_vcc 0
		.amdhsa_float_round_mode_32 0
		.amdhsa_float_round_mode_16_64 0
		.amdhsa_float_denorm_mode_32 3
		.amdhsa_float_denorm_mode_16_64 3
		.amdhsa_dx10_clamp 1
		.amdhsa_ieee_mode 1
		.amdhsa_fp16_overflow 0
		.amdhsa_tg_split 0
		.amdhsa_exception_fp_ieee_invalid_op 0
		.amdhsa_exception_fp_denorm_src 0
		.amdhsa_exception_fp_ieee_div_zero 0
		.amdhsa_exception_fp_ieee_overflow 0
		.amdhsa_exception_fp_ieee_underflow 0
		.amdhsa_exception_fp_ieee_inexact 0
		.amdhsa_exception_int_div_zero 0
	.end_amdhsa_kernel
	.section	.text._ZN7rocprim17ROCPRIM_400000_NS6detail17trampoline_kernelINS0_14default_configENS1_22reduce_config_selectorIyEEZNS1_11reduce_implILb1ES3_PyS7_y9plus_mod3IyEEE10hipError_tPvRmT1_T2_T3_mT4_P12ihipStream_tbEUlT_E1_NS1_11comp_targetILNS1_3genE10ELNS1_11target_archE1200ELNS1_3gpuE4ELNS1_3repE0EEENS1_30default_config_static_selectorELNS0_4arch9wavefront6targetE1EEEvSD_,"axG",@progbits,_ZN7rocprim17ROCPRIM_400000_NS6detail17trampoline_kernelINS0_14default_configENS1_22reduce_config_selectorIyEEZNS1_11reduce_implILb1ES3_PyS7_y9plus_mod3IyEEE10hipError_tPvRmT1_T2_T3_mT4_P12ihipStream_tbEUlT_E1_NS1_11comp_targetILNS1_3genE10ELNS1_11target_archE1200ELNS1_3gpuE4ELNS1_3repE0EEENS1_30default_config_static_selectorELNS0_4arch9wavefront6targetE1EEEvSD_,comdat
.Lfunc_end782:
	.size	_ZN7rocprim17ROCPRIM_400000_NS6detail17trampoline_kernelINS0_14default_configENS1_22reduce_config_selectorIyEEZNS1_11reduce_implILb1ES3_PyS7_y9plus_mod3IyEEE10hipError_tPvRmT1_T2_T3_mT4_P12ihipStream_tbEUlT_E1_NS1_11comp_targetILNS1_3genE10ELNS1_11target_archE1200ELNS1_3gpuE4ELNS1_3repE0EEENS1_30default_config_static_selectorELNS0_4arch9wavefront6targetE1EEEvSD_, .Lfunc_end782-_ZN7rocprim17ROCPRIM_400000_NS6detail17trampoline_kernelINS0_14default_configENS1_22reduce_config_selectorIyEEZNS1_11reduce_implILb1ES3_PyS7_y9plus_mod3IyEEE10hipError_tPvRmT1_T2_T3_mT4_P12ihipStream_tbEUlT_E1_NS1_11comp_targetILNS1_3genE10ELNS1_11target_archE1200ELNS1_3gpuE4ELNS1_3repE0EEENS1_30default_config_static_selectorELNS0_4arch9wavefront6targetE1EEEvSD_
                                        ; -- End function
	.set _ZN7rocprim17ROCPRIM_400000_NS6detail17trampoline_kernelINS0_14default_configENS1_22reduce_config_selectorIyEEZNS1_11reduce_implILb1ES3_PyS7_y9plus_mod3IyEEE10hipError_tPvRmT1_T2_T3_mT4_P12ihipStream_tbEUlT_E1_NS1_11comp_targetILNS1_3genE10ELNS1_11target_archE1200ELNS1_3gpuE4ELNS1_3repE0EEENS1_30default_config_static_selectorELNS0_4arch9wavefront6targetE1EEEvSD_.num_vgpr, 0
	.set _ZN7rocprim17ROCPRIM_400000_NS6detail17trampoline_kernelINS0_14default_configENS1_22reduce_config_selectorIyEEZNS1_11reduce_implILb1ES3_PyS7_y9plus_mod3IyEEE10hipError_tPvRmT1_T2_T3_mT4_P12ihipStream_tbEUlT_E1_NS1_11comp_targetILNS1_3genE10ELNS1_11target_archE1200ELNS1_3gpuE4ELNS1_3repE0EEENS1_30default_config_static_selectorELNS0_4arch9wavefront6targetE1EEEvSD_.num_agpr, 0
	.set _ZN7rocprim17ROCPRIM_400000_NS6detail17trampoline_kernelINS0_14default_configENS1_22reduce_config_selectorIyEEZNS1_11reduce_implILb1ES3_PyS7_y9plus_mod3IyEEE10hipError_tPvRmT1_T2_T3_mT4_P12ihipStream_tbEUlT_E1_NS1_11comp_targetILNS1_3genE10ELNS1_11target_archE1200ELNS1_3gpuE4ELNS1_3repE0EEENS1_30default_config_static_selectorELNS0_4arch9wavefront6targetE1EEEvSD_.numbered_sgpr, 0
	.set _ZN7rocprim17ROCPRIM_400000_NS6detail17trampoline_kernelINS0_14default_configENS1_22reduce_config_selectorIyEEZNS1_11reduce_implILb1ES3_PyS7_y9plus_mod3IyEEE10hipError_tPvRmT1_T2_T3_mT4_P12ihipStream_tbEUlT_E1_NS1_11comp_targetILNS1_3genE10ELNS1_11target_archE1200ELNS1_3gpuE4ELNS1_3repE0EEENS1_30default_config_static_selectorELNS0_4arch9wavefront6targetE1EEEvSD_.num_named_barrier, 0
	.set _ZN7rocprim17ROCPRIM_400000_NS6detail17trampoline_kernelINS0_14default_configENS1_22reduce_config_selectorIyEEZNS1_11reduce_implILb1ES3_PyS7_y9plus_mod3IyEEE10hipError_tPvRmT1_T2_T3_mT4_P12ihipStream_tbEUlT_E1_NS1_11comp_targetILNS1_3genE10ELNS1_11target_archE1200ELNS1_3gpuE4ELNS1_3repE0EEENS1_30default_config_static_selectorELNS0_4arch9wavefront6targetE1EEEvSD_.private_seg_size, 0
	.set _ZN7rocprim17ROCPRIM_400000_NS6detail17trampoline_kernelINS0_14default_configENS1_22reduce_config_selectorIyEEZNS1_11reduce_implILb1ES3_PyS7_y9plus_mod3IyEEE10hipError_tPvRmT1_T2_T3_mT4_P12ihipStream_tbEUlT_E1_NS1_11comp_targetILNS1_3genE10ELNS1_11target_archE1200ELNS1_3gpuE4ELNS1_3repE0EEENS1_30default_config_static_selectorELNS0_4arch9wavefront6targetE1EEEvSD_.uses_vcc, 0
	.set _ZN7rocprim17ROCPRIM_400000_NS6detail17trampoline_kernelINS0_14default_configENS1_22reduce_config_selectorIyEEZNS1_11reduce_implILb1ES3_PyS7_y9plus_mod3IyEEE10hipError_tPvRmT1_T2_T3_mT4_P12ihipStream_tbEUlT_E1_NS1_11comp_targetILNS1_3genE10ELNS1_11target_archE1200ELNS1_3gpuE4ELNS1_3repE0EEENS1_30default_config_static_selectorELNS0_4arch9wavefront6targetE1EEEvSD_.uses_flat_scratch, 0
	.set _ZN7rocprim17ROCPRIM_400000_NS6detail17trampoline_kernelINS0_14default_configENS1_22reduce_config_selectorIyEEZNS1_11reduce_implILb1ES3_PyS7_y9plus_mod3IyEEE10hipError_tPvRmT1_T2_T3_mT4_P12ihipStream_tbEUlT_E1_NS1_11comp_targetILNS1_3genE10ELNS1_11target_archE1200ELNS1_3gpuE4ELNS1_3repE0EEENS1_30default_config_static_selectorELNS0_4arch9wavefront6targetE1EEEvSD_.has_dyn_sized_stack, 0
	.set _ZN7rocprim17ROCPRIM_400000_NS6detail17trampoline_kernelINS0_14default_configENS1_22reduce_config_selectorIyEEZNS1_11reduce_implILb1ES3_PyS7_y9plus_mod3IyEEE10hipError_tPvRmT1_T2_T3_mT4_P12ihipStream_tbEUlT_E1_NS1_11comp_targetILNS1_3genE10ELNS1_11target_archE1200ELNS1_3gpuE4ELNS1_3repE0EEENS1_30default_config_static_selectorELNS0_4arch9wavefront6targetE1EEEvSD_.has_recursion, 0
	.set _ZN7rocprim17ROCPRIM_400000_NS6detail17trampoline_kernelINS0_14default_configENS1_22reduce_config_selectorIyEEZNS1_11reduce_implILb1ES3_PyS7_y9plus_mod3IyEEE10hipError_tPvRmT1_T2_T3_mT4_P12ihipStream_tbEUlT_E1_NS1_11comp_targetILNS1_3genE10ELNS1_11target_archE1200ELNS1_3gpuE4ELNS1_3repE0EEENS1_30default_config_static_selectorELNS0_4arch9wavefront6targetE1EEEvSD_.has_indirect_call, 0
	.section	.AMDGPU.csdata,"",@progbits
; Kernel info:
; codeLenInByte = 0
; TotalNumSgprs: 6
; NumVgprs: 0
; NumAgprs: 0
; TotalNumVgprs: 0
; ScratchSize: 0
; MemoryBound: 0
; FloatMode: 240
; IeeeMode: 1
; LDSByteSize: 0 bytes/workgroup (compile time only)
; SGPRBlocks: 0
; VGPRBlocks: 0
; NumSGPRsForWavesPerEU: 6
; NumVGPRsForWavesPerEU: 1
; AccumOffset: 4
; Occupancy: 8
; WaveLimiterHint : 0
; COMPUTE_PGM_RSRC2:SCRATCH_EN: 0
; COMPUTE_PGM_RSRC2:USER_SGPR: 2
; COMPUTE_PGM_RSRC2:TRAP_HANDLER: 0
; COMPUTE_PGM_RSRC2:TGID_X_EN: 1
; COMPUTE_PGM_RSRC2:TGID_Y_EN: 0
; COMPUTE_PGM_RSRC2:TGID_Z_EN: 0
; COMPUTE_PGM_RSRC2:TIDIG_COMP_CNT: 0
; COMPUTE_PGM_RSRC3_GFX90A:ACCUM_OFFSET: 0
; COMPUTE_PGM_RSRC3_GFX90A:TG_SPLIT: 0
	.section	.text._ZN7rocprim17ROCPRIM_400000_NS6detail17trampoline_kernelINS0_14default_configENS1_22reduce_config_selectorIyEEZNS1_11reduce_implILb1ES3_PyS7_y9plus_mod3IyEEE10hipError_tPvRmT1_T2_T3_mT4_P12ihipStream_tbEUlT_E1_NS1_11comp_targetILNS1_3genE9ELNS1_11target_archE1100ELNS1_3gpuE3ELNS1_3repE0EEENS1_30default_config_static_selectorELNS0_4arch9wavefront6targetE1EEEvSD_,"axG",@progbits,_ZN7rocprim17ROCPRIM_400000_NS6detail17trampoline_kernelINS0_14default_configENS1_22reduce_config_selectorIyEEZNS1_11reduce_implILb1ES3_PyS7_y9plus_mod3IyEEE10hipError_tPvRmT1_T2_T3_mT4_P12ihipStream_tbEUlT_E1_NS1_11comp_targetILNS1_3genE9ELNS1_11target_archE1100ELNS1_3gpuE3ELNS1_3repE0EEENS1_30default_config_static_selectorELNS0_4arch9wavefront6targetE1EEEvSD_,comdat
	.protected	_ZN7rocprim17ROCPRIM_400000_NS6detail17trampoline_kernelINS0_14default_configENS1_22reduce_config_selectorIyEEZNS1_11reduce_implILb1ES3_PyS7_y9plus_mod3IyEEE10hipError_tPvRmT1_T2_T3_mT4_P12ihipStream_tbEUlT_E1_NS1_11comp_targetILNS1_3genE9ELNS1_11target_archE1100ELNS1_3gpuE3ELNS1_3repE0EEENS1_30default_config_static_selectorELNS0_4arch9wavefront6targetE1EEEvSD_ ; -- Begin function _ZN7rocprim17ROCPRIM_400000_NS6detail17trampoline_kernelINS0_14default_configENS1_22reduce_config_selectorIyEEZNS1_11reduce_implILb1ES3_PyS7_y9plus_mod3IyEEE10hipError_tPvRmT1_T2_T3_mT4_P12ihipStream_tbEUlT_E1_NS1_11comp_targetILNS1_3genE9ELNS1_11target_archE1100ELNS1_3gpuE3ELNS1_3repE0EEENS1_30default_config_static_selectorELNS0_4arch9wavefront6targetE1EEEvSD_
	.globl	_ZN7rocprim17ROCPRIM_400000_NS6detail17trampoline_kernelINS0_14default_configENS1_22reduce_config_selectorIyEEZNS1_11reduce_implILb1ES3_PyS7_y9plus_mod3IyEEE10hipError_tPvRmT1_T2_T3_mT4_P12ihipStream_tbEUlT_E1_NS1_11comp_targetILNS1_3genE9ELNS1_11target_archE1100ELNS1_3gpuE3ELNS1_3repE0EEENS1_30default_config_static_selectorELNS0_4arch9wavefront6targetE1EEEvSD_
	.p2align	8
	.type	_ZN7rocprim17ROCPRIM_400000_NS6detail17trampoline_kernelINS0_14default_configENS1_22reduce_config_selectorIyEEZNS1_11reduce_implILb1ES3_PyS7_y9plus_mod3IyEEE10hipError_tPvRmT1_T2_T3_mT4_P12ihipStream_tbEUlT_E1_NS1_11comp_targetILNS1_3genE9ELNS1_11target_archE1100ELNS1_3gpuE3ELNS1_3repE0EEENS1_30default_config_static_selectorELNS0_4arch9wavefront6targetE1EEEvSD_,@function
_ZN7rocprim17ROCPRIM_400000_NS6detail17trampoline_kernelINS0_14default_configENS1_22reduce_config_selectorIyEEZNS1_11reduce_implILb1ES3_PyS7_y9plus_mod3IyEEE10hipError_tPvRmT1_T2_T3_mT4_P12ihipStream_tbEUlT_E1_NS1_11comp_targetILNS1_3genE9ELNS1_11target_archE1100ELNS1_3gpuE3ELNS1_3repE0EEENS1_30default_config_static_selectorELNS0_4arch9wavefront6targetE1EEEvSD_: ; @_ZN7rocprim17ROCPRIM_400000_NS6detail17trampoline_kernelINS0_14default_configENS1_22reduce_config_selectorIyEEZNS1_11reduce_implILb1ES3_PyS7_y9plus_mod3IyEEE10hipError_tPvRmT1_T2_T3_mT4_P12ihipStream_tbEUlT_E1_NS1_11comp_targetILNS1_3genE9ELNS1_11target_archE1100ELNS1_3gpuE3ELNS1_3repE0EEENS1_30default_config_static_selectorELNS0_4arch9wavefront6targetE1EEEvSD_
; %bb.0:
	.section	.rodata,"a",@progbits
	.p2align	6, 0x0
	.amdhsa_kernel _ZN7rocprim17ROCPRIM_400000_NS6detail17trampoline_kernelINS0_14default_configENS1_22reduce_config_selectorIyEEZNS1_11reduce_implILb1ES3_PyS7_y9plus_mod3IyEEE10hipError_tPvRmT1_T2_T3_mT4_P12ihipStream_tbEUlT_E1_NS1_11comp_targetILNS1_3genE9ELNS1_11target_archE1100ELNS1_3gpuE3ELNS1_3repE0EEENS1_30default_config_static_selectorELNS0_4arch9wavefront6targetE1EEEvSD_
		.amdhsa_group_segment_fixed_size 0
		.amdhsa_private_segment_fixed_size 0
		.amdhsa_kernarg_size 48
		.amdhsa_user_sgpr_count 2
		.amdhsa_user_sgpr_dispatch_ptr 0
		.amdhsa_user_sgpr_queue_ptr 0
		.amdhsa_user_sgpr_kernarg_segment_ptr 1
		.amdhsa_user_sgpr_dispatch_id 0
		.amdhsa_user_sgpr_kernarg_preload_length 0
		.amdhsa_user_sgpr_kernarg_preload_offset 0
		.amdhsa_user_sgpr_private_segment_size 0
		.amdhsa_uses_dynamic_stack 0
		.amdhsa_enable_private_segment 0
		.amdhsa_system_sgpr_workgroup_id_x 1
		.amdhsa_system_sgpr_workgroup_id_y 0
		.amdhsa_system_sgpr_workgroup_id_z 0
		.amdhsa_system_sgpr_workgroup_info 0
		.amdhsa_system_vgpr_workitem_id 0
		.amdhsa_next_free_vgpr 1
		.amdhsa_next_free_sgpr 0
		.amdhsa_accum_offset 4
		.amdhsa_reserve_vcc 0
		.amdhsa_float_round_mode_32 0
		.amdhsa_float_round_mode_16_64 0
		.amdhsa_float_denorm_mode_32 3
		.amdhsa_float_denorm_mode_16_64 3
		.amdhsa_dx10_clamp 1
		.amdhsa_ieee_mode 1
		.amdhsa_fp16_overflow 0
		.amdhsa_tg_split 0
		.amdhsa_exception_fp_ieee_invalid_op 0
		.amdhsa_exception_fp_denorm_src 0
		.amdhsa_exception_fp_ieee_div_zero 0
		.amdhsa_exception_fp_ieee_overflow 0
		.amdhsa_exception_fp_ieee_underflow 0
		.amdhsa_exception_fp_ieee_inexact 0
		.amdhsa_exception_int_div_zero 0
	.end_amdhsa_kernel
	.section	.text._ZN7rocprim17ROCPRIM_400000_NS6detail17trampoline_kernelINS0_14default_configENS1_22reduce_config_selectorIyEEZNS1_11reduce_implILb1ES3_PyS7_y9plus_mod3IyEEE10hipError_tPvRmT1_T2_T3_mT4_P12ihipStream_tbEUlT_E1_NS1_11comp_targetILNS1_3genE9ELNS1_11target_archE1100ELNS1_3gpuE3ELNS1_3repE0EEENS1_30default_config_static_selectorELNS0_4arch9wavefront6targetE1EEEvSD_,"axG",@progbits,_ZN7rocprim17ROCPRIM_400000_NS6detail17trampoline_kernelINS0_14default_configENS1_22reduce_config_selectorIyEEZNS1_11reduce_implILb1ES3_PyS7_y9plus_mod3IyEEE10hipError_tPvRmT1_T2_T3_mT4_P12ihipStream_tbEUlT_E1_NS1_11comp_targetILNS1_3genE9ELNS1_11target_archE1100ELNS1_3gpuE3ELNS1_3repE0EEENS1_30default_config_static_selectorELNS0_4arch9wavefront6targetE1EEEvSD_,comdat
.Lfunc_end783:
	.size	_ZN7rocprim17ROCPRIM_400000_NS6detail17trampoline_kernelINS0_14default_configENS1_22reduce_config_selectorIyEEZNS1_11reduce_implILb1ES3_PyS7_y9plus_mod3IyEEE10hipError_tPvRmT1_T2_T3_mT4_P12ihipStream_tbEUlT_E1_NS1_11comp_targetILNS1_3genE9ELNS1_11target_archE1100ELNS1_3gpuE3ELNS1_3repE0EEENS1_30default_config_static_selectorELNS0_4arch9wavefront6targetE1EEEvSD_, .Lfunc_end783-_ZN7rocprim17ROCPRIM_400000_NS6detail17trampoline_kernelINS0_14default_configENS1_22reduce_config_selectorIyEEZNS1_11reduce_implILb1ES3_PyS7_y9plus_mod3IyEEE10hipError_tPvRmT1_T2_T3_mT4_P12ihipStream_tbEUlT_E1_NS1_11comp_targetILNS1_3genE9ELNS1_11target_archE1100ELNS1_3gpuE3ELNS1_3repE0EEENS1_30default_config_static_selectorELNS0_4arch9wavefront6targetE1EEEvSD_
                                        ; -- End function
	.set _ZN7rocprim17ROCPRIM_400000_NS6detail17trampoline_kernelINS0_14default_configENS1_22reduce_config_selectorIyEEZNS1_11reduce_implILb1ES3_PyS7_y9plus_mod3IyEEE10hipError_tPvRmT1_T2_T3_mT4_P12ihipStream_tbEUlT_E1_NS1_11comp_targetILNS1_3genE9ELNS1_11target_archE1100ELNS1_3gpuE3ELNS1_3repE0EEENS1_30default_config_static_selectorELNS0_4arch9wavefront6targetE1EEEvSD_.num_vgpr, 0
	.set _ZN7rocprim17ROCPRIM_400000_NS6detail17trampoline_kernelINS0_14default_configENS1_22reduce_config_selectorIyEEZNS1_11reduce_implILb1ES3_PyS7_y9plus_mod3IyEEE10hipError_tPvRmT1_T2_T3_mT4_P12ihipStream_tbEUlT_E1_NS1_11comp_targetILNS1_3genE9ELNS1_11target_archE1100ELNS1_3gpuE3ELNS1_3repE0EEENS1_30default_config_static_selectorELNS0_4arch9wavefront6targetE1EEEvSD_.num_agpr, 0
	.set _ZN7rocprim17ROCPRIM_400000_NS6detail17trampoline_kernelINS0_14default_configENS1_22reduce_config_selectorIyEEZNS1_11reduce_implILb1ES3_PyS7_y9plus_mod3IyEEE10hipError_tPvRmT1_T2_T3_mT4_P12ihipStream_tbEUlT_E1_NS1_11comp_targetILNS1_3genE9ELNS1_11target_archE1100ELNS1_3gpuE3ELNS1_3repE0EEENS1_30default_config_static_selectorELNS0_4arch9wavefront6targetE1EEEvSD_.numbered_sgpr, 0
	.set _ZN7rocprim17ROCPRIM_400000_NS6detail17trampoline_kernelINS0_14default_configENS1_22reduce_config_selectorIyEEZNS1_11reduce_implILb1ES3_PyS7_y9plus_mod3IyEEE10hipError_tPvRmT1_T2_T3_mT4_P12ihipStream_tbEUlT_E1_NS1_11comp_targetILNS1_3genE9ELNS1_11target_archE1100ELNS1_3gpuE3ELNS1_3repE0EEENS1_30default_config_static_selectorELNS0_4arch9wavefront6targetE1EEEvSD_.num_named_barrier, 0
	.set _ZN7rocprim17ROCPRIM_400000_NS6detail17trampoline_kernelINS0_14default_configENS1_22reduce_config_selectorIyEEZNS1_11reduce_implILb1ES3_PyS7_y9plus_mod3IyEEE10hipError_tPvRmT1_T2_T3_mT4_P12ihipStream_tbEUlT_E1_NS1_11comp_targetILNS1_3genE9ELNS1_11target_archE1100ELNS1_3gpuE3ELNS1_3repE0EEENS1_30default_config_static_selectorELNS0_4arch9wavefront6targetE1EEEvSD_.private_seg_size, 0
	.set _ZN7rocprim17ROCPRIM_400000_NS6detail17trampoline_kernelINS0_14default_configENS1_22reduce_config_selectorIyEEZNS1_11reduce_implILb1ES3_PyS7_y9plus_mod3IyEEE10hipError_tPvRmT1_T2_T3_mT4_P12ihipStream_tbEUlT_E1_NS1_11comp_targetILNS1_3genE9ELNS1_11target_archE1100ELNS1_3gpuE3ELNS1_3repE0EEENS1_30default_config_static_selectorELNS0_4arch9wavefront6targetE1EEEvSD_.uses_vcc, 0
	.set _ZN7rocprim17ROCPRIM_400000_NS6detail17trampoline_kernelINS0_14default_configENS1_22reduce_config_selectorIyEEZNS1_11reduce_implILb1ES3_PyS7_y9plus_mod3IyEEE10hipError_tPvRmT1_T2_T3_mT4_P12ihipStream_tbEUlT_E1_NS1_11comp_targetILNS1_3genE9ELNS1_11target_archE1100ELNS1_3gpuE3ELNS1_3repE0EEENS1_30default_config_static_selectorELNS0_4arch9wavefront6targetE1EEEvSD_.uses_flat_scratch, 0
	.set _ZN7rocprim17ROCPRIM_400000_NS6detail17trampoline_kernelINS0_14default_configENS1_22reduce_config_selectorIyEEZNS1_11reduce_implILb1ES3_PyS7_y9plus_mod3IyEEE10hipError_tPvRmT1_T2_T3_mT4_P12ihipStream_tbEUlT_E1_NS1_11comp_targetILNS1_3genE9ELNS1_11target_archE1100ELNS1_3gpuE3ELNS1_3repE0EEENS1_30default_config_static_selectorELNS0_4arch9wavefront6targetE1EEEvSD_.has_dyn_sized_stack, 0
	.set _ZN7rocprim17ROCPRIM_400000_NS6detail17trampoline_kernelINS0_14default_configENS1_22reduce_config_selectorIyEEZNS1_11reduce_implILb1ES3_PyS7_y9plus_mod3IyEEE10hipError_tPvRmT1_T2_T3_mT4_P12ihipStream_tbEUlT_E1_NS1_11comp_targetILNS1_3genE9ELNS1_11target_archE1100ELNS1_3gpuE3ELNS1_3repE0EEENS1_30default_config_static_selectorELNS0_4arch9wavefront6targetE1EEEvSD_.has_recursion, 0
	.set _ZN7rocprim17ROCPRIM_400000_NS6detail17trampoline_kernelINS0_14default_configENS1_22reduce_config_selectorIyEEZNS1_11reduce_implILb1ES3_PyS7_y9plus_mod3IyEEE10hipError_tPvRmT1_T2_T3_mT4_P12ihipStream_tbEUlT_E1_NS1_11comp_targetILNS1_3genE9ELNS1_11target_archE1100ELNS1_3gpuE3ELNS1_3repE0EEENS1_30default_config_static_selectorELNS0_4arch9wavefront6targetE1EEEvSD_.has_indirect_call, 0
	.section	.AMDGPU.csdata,"",@progbits
; Kernel info:
; codeLenInByte = 0
; TotalNumSgprs: 6
; NumVgprs: 0
; NumAgprs: 0
; TotalNumVgprs: 0
; ScratchSize: 0
; MemoryBound: 0
; FloatMode: 240
; IeeeMode: 1
; LDSByteSize: 0 bytes/workgroup (compile time only)
; SGPRBlocks: 0
; VGPRBlocks: 0
; NumSGPRsForWavesPerEU: 6
; NumVGPRsForWavesPerEU: 1
; AccumOffset: 4
; Occupancy: 8
; WaveLimiterHint : 0
; COMPUTE_PGM_RSRC2:SCRATCH_EN: 0
; COMPUTE_PGM_RSRC2:USER_SGPR: 2
; COMPUTE_PGM_RSRC2:TRAP_HANDLER: 0
; COMPUTE_PGM_RSRC2:TGID_X_EN: 1
; COMPUTE_PGM_RSRC2:TGID_Y_EN: 0
; COMPUTE_PGM_RSRC2:TGID_Z_EN: 0
; COMPUTE_PGM_RSRC2:TIDIG_COMP_CNT: 0
; COMPUTE_PGM_RSRC3_GFX90A:ACCUM_OFFSET: 0
; COMPUTE_PGM_RSRC3_GFX90A:TG_SPLIT: 0
	.section	.text._ZN7rocprim17ROCPRIM_400000_NS6detail17trampoline_kernelINS0_14default_configENS1_22reduce_config_selectorIyEEZNS1_11reduce_implILb1ES3_PyS7_y9plus_mod3IyEEE10hipError_tPvRmT1_T2_T3_mT4_P12ihipStream_tbEUlT_E1_NS1_11comp_targetILNS1_3genE8ELNS1_11target_archE1030ELNS1_3gpuE2ELNS1_3repE0EEENS1_30default_config_static_selectorELNS0_4arch9wavefront6targetE1EEEvSD_,"axG",@progbits,_ZN7rocprim17ROCPRIM_400000_NS6detail17trampoline_kernelINS0_14default_configENS1_22reduce_config_selectorIyEEZNS1_11reduce_implILb1ES3_PyS7_y9plus_mod3IyEEE10hipError_tPvRmT1_T2_T3_mT4_P12ihipStream_tbEUlT_E1_NS1_11comp_targetILNS1_3genE8ELNS1_11target_archE1030ELNS1_3gpuE2ELNS1_3repE0EEENS1_30default_config_static_selectorELNS0_4arch9wavefront6targetE1EEEvSD_,comdat
	.protected	_ZN7rocprim17ROCPRIM_400000_NS6detail17trampoline_kernelINS0_14default_configENS1_22reduce_config_selectorIyEEZNS1_11reduce_implILb1ES3_PyS7_y9plus_mod3IyEEE10hipError_tPvRmT1_T2_T3_mT4_P12ihipStream_tbEUlT_E1_NS1_11comp_targetILNS1_3genE8ELNS1_11target_archE1030ELNS1_3gpuE2ELNS1_3repE0EEENS1_30default_config_static_selectorELNS0_4arch9wavefront6targetE1EEEvSD_ ; -- Begin function _ZN7rocprim17ROCPRIM_400000_NS6detail17trampoline_kernelINS0_14default_configENS1_22reduce_config_selectorIyEEZNS1_11reduce_implILb1ES3_PyS7_y9plus_mod3IyEEE10hipError_tPvRmT1_T2_T3_mT4_P12ihipStream_tbEUlT_E1_NS1_11comp_targetILNS1_3genE8ELNS1_11target_archE1030ELNS1_3gpuE2ELNS1_3repE0EEENS1_30default_config_static_selectorELNS0_4arch9wavefront6targetE1EEEvSD_
	.globl	_ZN7rocprim17ROCPRIM_400000_NS6detail17trampoline_kernelINS0_14default_configENS1_22reduce_config_selectorIyEEZNS1_11reduce_implILb1ES3_PyS7_y9plus_mod3IyEEE10hipError_tPvRmT1_T2_T3_mT4_P12ihipStream_tbEUlT_E1_NS1_11comp_targetILNS1_3genE8ELNS1_11target_archE1030ELNS1_3gpuE2ELNS1_3repE0EEENS1_30default_config_static_selectorELNS0_4arch9wavefront6targetE1EEEvSD_
	.p2align	8
	.type	_ZN7rocprim17ROCPRIM_400000_NS6detail17trampoline_kernelINS0_14default_configENS1_22reduce_config_selectorIyEEZNS1_11reduce_implILb1ES3_PyS7_y9plus_mod3IyEEE10hipError_tPvRmT1_T2_T3_mT4_P12ihipStream_tbEUlT_E1_NS1_11comp_targetILNS1_3genE8ELNS1_11target_archE1030ELNS1_3gpuE2ELNS1_3repE0EEENS1_30default_config_static_selectorELNS0_4arch9wavefront6targetE1EEEvSD_,@function
_ZN7rocprim17ROCPRIM_400000_NS6detail17trampoline_kernelINS0_14default_configENS1_22reduce_config_selectorIyEEZNS1_11reduce_implILb1ES3_PyS7_y9plus_mod3IyEEE10hipError_tPvRmT1_T2_T3_mT4_P12ihipStream_tbEUlT_E1_NS1_11comp_targetILNS1_3genE8ELNS1_11target_archE1030ELNS1_3gpuE2ELNS1_3repE0EEENS1_30default_config_static_selectorELNS0_4arch9wavefront6targetE1EEEvSD_: ; @_ZN7rocprim17ROCPRIM_400000_NS6detail17trampoline_kernelINS0_14default_configENS1_22reduce_config_selectorIyEEZNS1_11reduce_implILb1ES3_PyS7_y9plus_mod3IyEEE10hipError_tPvRmT1_T2_T3_mT4_P12ihipStream_tbEUlT_E1_NS1_11comp_targetILNS1_3genE8ELNS1_11target_archE1030ELNS1_3gpuE2ELNS1_3repE0EEENS1_30default_config_static_selectorELNS0_4arch9wavefront6targetE1EEEvSD_
; %bb.0:
	.section	.rodata,"a",@progbits
	.p2align	6, 0x0
	.amdhsa_kernel _ZN7rocprim17ROCPRIM_400000_NS6detail17trampoline_kernelINS0_14default_configENS1_22reduce_config_selectorIyEEZNS1_11reduce_implILb1ES3_PyS7_y9plus_mod3IyEEE10hipError_tPvRmT1_T2_T3_mT4_P12ihipStream_tbEUlT_E1_NS1_11comp_targetILNS1_3genE8ELNS1_11target_archE1030ELNS1_3gpuE2ELNS1_3repE0EEENS1_30default_config_static_selectorELNS0_4arch9wavefront6targetE1EEEvSD_
		.amdhsa_group_segment_fixed_size 0
		.amdhsa_private_segment_fixed_size 0
		.amdhsa_kernarg_size 48
		.amdhsa_user_sgpr_count 2
		.amdhsa_user_sgpr_dispatch_ptr 0
		.amdhsa_user_sgpr_queue_ptr 0
		.amdhsa_user_sgpr_kernarg_segment_ptr 1
		.amdhsa_user_sgpr_dispatch_id 0
		.amdhsa_user_sgpr_kernarg_preload_length 0
		.amdhsa_user_sgpr_kernarg_preload_offset 0
		.amdhsa_user_sgpr_private_segment_size 0
		.amdhsa_uses_dynamic_stack 0
		.amdhsa_enable_private_segment 0
		.amdhsa_system_sgpr_workgroup_id_x 1
		.amdhsa_system_sgpr_workgroup_id_y 0
		.amdhsa_system_sgpr_workgroup_id_z 0
		.amdhsa_system_sgpr_workgroup_info 0
		.amdhsa_system_vgpr_workitem_id 0
		.amdhsa_next_free_vgpr 1
		.amdhsa_next_free_sgpr 0
		.amdhsa_accum_offset 4
		.amdhsa_reserve_vcc 0
		.amdhsa_float_round_mode_32 0
		.amdhsa_float_round_mode_16_64 0
		.amdhsa_float_denorm_mode_32 3
		.amdhsa_float_denorm_mode_16_64 3
		.amdhsa_dx10_clamp 1
		.amdhsa_ieee_mode 1
		.amdhsa_fp16_overflow 0
		.amdhsa_tg_split 0
		.amdhsa_exception_fp_ieee_invalid_op 0
		.amdhsa_exception_fp_denorm_src 0
		.amdhsa_exception_fp_ieee_div_zero 0
		.amdhsa_exception_fp_ieee_overflow 0
		.amdhsa_exception_fp_ieee_underflow 0
		.amdhsa_exception_fp_ieee_inexact 0
		.amdhsa_exception_int_div_zero 0
	.end_amdhsa_kernel
	.section	.text._ZN7rocprim17ROCPRIM_400000_NS6detail17trampoline_kernelINS0_14default_configENS1_22reduce_config_selectorIyEEZNS1_11reduce_implILb1ES3_PyS7_y9plus_mod3IyEEE10hipError_tPvRmT1_T2_T3_mT4_P12ihipStream_tbEUlT_E1_NS1_11comp_targetILNS1_3genE8ELNS1_11target_archE1030ELNS1_3gpuE2ELNS1_3repE0EEENS1_30default_config_static_selectorELNS0_4arch9wavefront6targetE1EEEvSD_,"axG",@progbits,_ZN7rocprim17ROCPRIM_400000_NS6detail17trampoline_kernelINS0_14default_configENS1_22reduce_config_selectorIyEEZNS1_11reduce_implILb1ES3_PyS7_y9plus_mod3IyEEE10hipError_tPvRmT1_T2_T3_mT4_P12ihipStream_tbEUlT_E1_NS1_11comp_targetILNS1_3genE8ELNS1_11target_archE1030ELNS1_3gpuE2ELNS1_3repE0EEENS1_30default_config_static_selectorELNS0_4arch9wavefront6targetE1EEEvSD_,comdat
.Lfunc_end784:
	.size	_ZN7rocprim17ROCPRIM_400000_NS6detail17trampoline_kernelINS0_14default_configENS1_22reduce_config_selectorIyEEZNS1_11reduce_implILb1ES3_PyS7_y9plus_mod3IyEEE10hipError_tPvRmT1_T2_T3_mT4_P12ihipStream_tbEUlT_E1_NS1_11comp_targetILNS1_3genE8ELNS1_11target_archE1030ELNS1_3gpuE2ELNS1_3repE0EEENS1_30default_config_static_selectorELNS0_4arch9wavefront6targetE1EEEvSD_, .Lfunc_end784-_ZN7rocprim17ROCPRIM_400000_NS6detail17trampoline_kernelINS0_14default_configENS1_22reduce_config_selectorIyEEZNS1_11reduce_implILb1ES3_PyS7_y9plus_mod3IyEEE10hipError_tPvRmT1_T2_T3_mT4_P12ihipStream_tbEUlT_E1_NS1_11comp_targetILNS1_3genE8ELNS1_11target_archE1030ELNS1_3gpuE2ELNS1_3repE0EEENS1_30default_config_static_selectorELNS0_4arch9wavefront6targetE1EEEvSD_
                                        ; -- End function
	.set _ZN7rocprim17ROCPRIM_400000_NS6detail17trampoline_kernelINS0_14default_configENS1_22reduce_config_selectorIyEEZNS1_11reduce_implILb1ES3_PyS7_y9plus_mod3IyEEE10hipError_tPvRmT1_T2_T3_mT4_P12ihipStream_tbEUlT_E1_NS1_11comp_targetILNS1_3genE8ELNS1_11target_archE1030ELNS1_3gpuE2ELNS1_3repE0EEENS1_30default_config_static_selectorELNS0_4arch9wavefront6targetE1EEEvSD_.num_vgpr, 0
	.set _ZN7rocprim17ROCPRIM_400000_NS6detail17trampoline_kernelINS0_14default_configENS1_22reduce_config_selectorIyEEZNS1_11reduce_implILb1ES3_PyS7_y9plus_mod3IyEEE10hipError_tPvRmT1_T2_T3_mT4_P12ihipStream_tbEUlT_E1_NS1_11comp_targetILNS1_3genE8ELNS1_11target_archE1030ELNS1_3gpuE2ELNS1_3repE0EEENS1_30default_config_static_selectorELNS0_4arch9wavefront6targetE1EEEvSD_.num_agpr, 0
	.set _ZN7rocprim17ROCPRIM_400000_NS6detail17trampoline_kernelINS0_14default_configENS1_22reduce_config_selectorIyEEZNS1_11reduce_implILb1ES3_PyS7_y9plus_mod3IyEEE10hipError_tPvRmT1_T2_T3_mT4_P12ihipStream_tbEUlT_E1_NS1_11comp_targetILNS1_3genE8ELNS1_11target_archE1030ELNS1_3gpuE2ELNS1_3repE0EEENS1_30default_config_static_selectorELNS0_4arch9wavefront6targetE1EEEvSD_.numbered_sgpr, 0
	.set _ZN7rocprim17ROCPRIM_400000_NS6detail17trampoline_kernelINS0_14default_configENS1_22reduce_config_selectorIyEEZNS1_11reduce_implILb1ES3_PyS7_y9plus_mod3IyEEE10hipError_tPvRmT1_T2_T3_mT4_P12ihipStream_tbEUlT_E1_NS1_11comp_targetILNS1_3genE8ELNS1_11target_archE1030ELNS1_3gpuE2ELNS1_3repE0EEENS1_30default_config_static_selectorELNS0_4arch9wavefront6targetE1EEEvSD_.num_named_barrier, 0
	.set _ZN7rocprim17ROCPRIM_400000_NS6detail17trampoline_kernelINS0_14default_configENS1_22reduce_config_selectorIyEEZNS1_11reduce_implILb1ES3_PyS7_y9plus_mod3IyEEE10hipError_tPvRmT1_T2_T3_mT4_P12ihipStream_tbEUlT_E1_NS1_11comp_targetILNS1_3genE8ELNS1_11target_archE1030ELNS1_3gpuE2ELNS1_3repE0EEENS1_30default_config_static_selectorELNS0_4arch9wavefront6targetE1EEEvSD_.private_seg_size, 0
	.set _ZN7rocprim17ROCPRIM_400000_NS6detail17trampoline_kernelINS0_14default_configENS1_22reduce_config_selectorIyEEZNS1_11reduce_implILb1ES3_PyS7_y9plus_mod3IyEEE10hipError_tPvRmT1_T2_T3_mT4_P12ihipStream_tbEUlT_E1_NS1_11comp_targetILNS1_3genE8ELNS1_11target_archE1030ELNS1_3gpuE2ELNS1_3repE0EEENS1_30default_config_static_selectorELNS0_4arch9wavefront6targetE1EEEvSD_.uses_vcc, 0
	.set _ZN7rocprim17ROCPRIM_400000_NS6detail17trampoline_kernelINS0_14default_configENS1_22reduce_config_selectorIyEEZNS1_11reduce_implILb1ES3_PyS7_y9plus_mod3IyEEE10hipError_tPvRmT1_T2_T3_mT4_P12ihipStream_tbEUlT_E1_NS1_11comp_targetILNS1_3genE8ELNS1_11target_archE1030ELNS1_3gpuE2ELNS1_3repE0EEENS1_30default_config_static_selectorELNS0_4arch9wavefront6targetE1EEEvSD_.uses_flat_scratch, 0
	.set _ZN7rocprim17ROCPRIM_400000_NS6detail17trampoline_kernelINS0_14default_configENS1_22reduce_config_selectorIyEEZNS1_11reduce_implILb1ES3_PyS7_y9plus_mod3IyEEE10hipError_tPvRmT1_T2_T3_mT4_P12ihipStream_tbEUlT_E1_NS1_11comp_targetILNS1_3genE8ELNS1_11target_archE1030ELNS1_3gpuE2ELNS1_3repE0EEENS1_30default_config_static_selectorELNS0_4arch9wavefront6targetE1EEEvSD_.has_dyn_sized_stack, 0
	.set _ZN7rocprim17ROCPRIM_400000_NS6detail17trampoline_kernelINS0_14default_configENS1_22reduce_config_selectorIyEEZNS1_11reduce_implILb1ES3_PyS7_y9plus_mod3IyEEE10hipError_tPvRmT1_T2_T3_mT4_P12ihipStream_tbEUlT_E1_NS1_11comp_targetILNS1_3genE8ELNS1_11target_archE1030ELNS1_3gpuE2ELNS1_3repE0EEENS1_30default_config_static_selectorELNS0_4arch9wavefront6targetE1EEEvSD_.has_recursion, 0
	.set _ZN7rocprim17ROCPRIM_400000_NS6detail17trampoline_kernelINS0_14default_configENS1_22reduce_config_selectorIyEEZNS1_11reduce_implILb1ES3_PyS7_y9plus_mod3IyEEE10hipError_tPvRmT1_T2_T3_mT4_P12ihipStream_tbEUlT_E1_NS1_11comp_targetILNS1_3genE8ELNS1_11target_archE1030ELNS1_3gpuE2ELNS1_3repE0EEENS1_30default_config_static_selectorELNS0_4arch9wavefront6targetE1EEEvSD_.has_indirect_call, 0
	.section	.AMDGPU.csdata,"",@progbits
; Kernel info:
; codeLenInByte = 0
; TotalNumSgprs: 6
; NumVgprs: 0
; NumAgprs: 0
; TotalNumVgprs: 0
; ScratchSize: 0
; MemoryBound: 0
; FloatMode: 240
; IeeeMode: 1
; LDSByteSize: 0 bytes/workgroup (compile time only)
; SGPRBlocks: 0
; VGPRBlocks: 0
; NumSGPRsForWavesPerEU: 6
; NumVGPRsForWavesPerEU: 1
; AccumOffset: 4
; Occupancy: 8
; WaveLimiterHint : 0
; COMPUTE_PGM_RSRC2:SCRATCH_EN: 0
; COMPUTE_PGM_RSRC2:USER_SGPR: 2
; COMPUTE_PGM_RSRC2:TRAP_HANDLER: 0
; COMPUTE_PGM_RSRC2:TGID_X_EN: 1
; COMPUTE_PGM_RSRC2:TGID_Y_EN: 0
; COMPUTE_PGM_RSRC2:TGID_Z_EN: 0
; COMPUTE_PGM_RSRC2:TIDIG_COMP_CNT: 0
; COMPUTE_PGM_RSRC3_GFX90A:ACCUM_OFFSET: 0
; COMPUTE_PGM_RSRC3_GFX90A:TG_SPLIT: 0
	.section	.text._ZN7rocprim17ROCPRIM_400000_NS6detail17trampoline_kernelINS0_14default_configENS1_22reduce_config_selectorIyEEZNS1_11reduce_implILb1ES3_N6thrust23THRUST_200600_302600_NS6detail15normal_iteratorINS8_10device_ptrIyEEEEPyy9plus_mod3IyEEE10hipError_tPvRmT1_T2_T3_mT4_P12ihipStream_tbEUlT_E0_NS1_11comp_targetILNS1_3genE0ELNS1_11target_archE4294967295ELNS1_3gpuE0ELNS1_3repE0EEENS1_30default_config_static_selectorELNS0_4arch9wavefront6targetE1EEEvSK_,"axG",@progbits,_ZN7rocprim17ROCPRIM_400000_NS6detail17trampoline_kernelINS0_14default_configENS1_22reduce_config_selectorIyEEZNS1_11reduce_implILb1ES3_N6thrust23THRUST_200600_302600_NS6detail15normal_iteratorINS8_10device_ptrIyEEEEPyy9plus_mod3IyEEE10hipError_tPvRmT1_T2_T3_mT4_P12ihipStream_tbEUlT_E0_NS1_11comp_targetILNS1_3genE0ELNS1_11target_archE4294967295ELNS1_3gpuE0ELNS1_3repE0EEENS1_30default_config_static_selectorELNS0_4arch9wavefront6targetE1EEEvSK_,comdat
	.protected	_ZN7rocprim17ROCPRIM_400000_NS6detail17trampoline_kernelINS0_14default_configENS1_22reduce_config_selectorIyEEZNS1_11reduce_implILb1ES3_N6thrust23THRUST_200600_302600_NS6detail15normal_iteratorINS8_10device_ptrIyEEEEPyy9plus_mod3IyEEE10hipError_tPvRmT1_T2_T3_mT4_P12ihipStream_tbEUlT_E0_NS1_11comp_targetILNS1_3genE0ELNS1_11target_archE4294967295ELNS1_3gpuE0ELNS1_3repE0EEENS1_30default_config_static_selectorELNS0_4arch9wavefront6targetE1EEEvSK_ ; -- Begin function _ZN7rocprim17ROCPRIM_400000_NS6detail17trampoline_kernelINS0_14default_configENS1_22reduce_config_selectorIyEEZNS1_11reduce_implILb1ES3_N6thrust23THRUST_200600_302600_NS6detail15normal_iteratorINS8_10device_ptrIyEEEEPyy9plus_mod3IyEEE10hipError_tPvRmT1_T2_T3_mT4_P12ihipStream_tbEUlT_E0_NS1_11comp_targetILNS1_3genE0ELNS1_11target_archE4294967295ELNS1_3gpuE0ELNS1_3repE0EEENS1_30default_config_static_selectorELNS0_4arch9wavefront6targetE1EEEvSK_
	.globl	_ZN7rocprim17ROCPRIM_400000_NS6detail17trampoline_kernelINS0_14default_configENS1_22reduce_config_selectorIyEEZNS1_11reduce_implILb1ES3_N6thrust23THRUST_200600_302600_NS6detail15normal_iteratorINS8_10device_ptrIyEEEEPyy9plus_mod3IyEEE10hipError_tPvRmT1_T2_T3_mT4_P12ihipStream_tbEUlT_E0_NS1_11comp_targetILNS1_3genE0ELNS1_11target_archE4294967295ELNS1_3gpuE0ELNS1_3repE0EEENS1_30default_config_static_selectorELNS0_4arch9wavefront6targetE1EEEvSK_
	.p2align	8
	.type	_ZN7rocprim17ROCPRIM_400000_NS6detail17trampoline_kernelINS0_14default_configENS1_22reduce_config_selectorIyEEZNS1_11reduce_implILb1ES3_N6thrust23THRUST_200600_302600_NS6detail15normal_iteratorINS8_10device_ptrIyEEEEPyy9plus_mod3IyEEE10hipError_tPvRmT1_T2_T3_mT4_P12ihipStream_tbEUlT_E0_NS1_11comp_targetILNS1_3genE0ELNS1_11target_archE4294967295ELNS1_3gpuE0ELNS1_3repE0EEENS1_30default_config_static_selectorELNS0_4arch9wavefront6targetE1EEEvSK_,@function
_ZN7rocprim17ROCPRIM_400000_NS6detail17trampoline_kernelINS0_14default_configENS1_22reduce_config_selectorIyEEZNS1_11reduce_implILb1ES3_N6thrust23THRUST_200600_302600_NS6detail15normal_iteratorINS8_10device_ptrIyEEEEPyy9plus_mod3IyEEE10hipError_tPvRmT1_T2_T3_mT4_P12ihipStream_tbEUlT_E0_NS1_11comp_targetILNS1_3genE0ELNS1_11target_archE4294967295ELNS1_3gpuE0ELNS1_3repE0EEENS1_30default_config_static_selectorELNS0_4arch9wavefront6targetE1EEEvSK_: ; @_ZN7rocprim17ROCPRIM_400000_NS6detail17trampoline_kernelINS0_14default_configENS1_22reduce_config_selectorIyEEZNS1_11reduce_implILb1ES3_N6thrust23THRUST_200600_302600_NS6detail15normal_iteratorINS8_10device_ptrIyEEEEPyy9plus_mod3IyEEE10hipError_tPvRmT1_T2_T3_mT4_P12ihipStream_tbEUlT_E0_NS1_11comp_targetILNS1_3genE0ELNS1_11target_archE4294967295ELNS1_3gpuE0ELNS1_3repE0EEENS1_30default_config_static_selectorELNS0_4arch9wavefront6targetE1EEEvSK_
; %bb.0:
	s_load_dwordx16 s[36:51], s[0:1], 0x0
	s_mov_b32 s1, 0
	s_mov_b32 s3, s1
	v_lshlrev_b32_e32 v34, 3, v0
	v_mbcnt_lo_u32_b32 v1, -1, 0
	s_waitcnt lgkmcnt(0)
	s_lshl_b64 s[4:5], s[38:39], 3
	s_add_u32 s8, s36, s4
	s_addc_u32 s9, s37, s5
	s_lshl_b32 s0, s2, 12
	s_lshr_b64 s[4:5], s[40:41], 12
	s_lshl_b64 s[6:7], s[0:1], 3
	s_add_u32 s34, s8, s6
	s_addc_u32 s35, s9, s7
	s_cmp_lg_u64 s[4:5], s[2:3]
	s_cbranch_scc0 .LBB785_6
; %bb.1:
	v_mov_b32_e32 v35, 0
	v_lshl_add_u64 v[2:3], s[34:35], 0, v[34:35]
	flat_load_dword v5, v[2:3]
	flat_load_dword v12, v[2:3] offset:2048
	v_add_co_u32_e32 v6, vcc, 0x1000, v2
	v_mov_b32_e32 v4, v35
	s_nop 0
	v_addc_co_u32_e32 v7, vcc, 0, v3, vcc
	v_add_co_u32_e32 v8, vcc, 0x2000, v2
	s_waitcnt vmcnt(0) lgkmcnt(0)
	v_add_u32_e32 v5, v12, v5
	v_addc_co_u32_e32 v9, vcc, 0, v3, vcc
	v_ashrrev_i64 v[4:5], 29, v[4:5]
	v_add_co_u32_e32 v10, vcc, 0x3000, v2
	v_lshl_add_u64 v[4:5], s[50:51], 0, v[4:5]
	s_nop 0
	v_addc_co_u32_e32 v11, vcc, 0, v3, vcc
	flat_load_dword v13, v[6:7]
	flat_load_dword v14, v[6:7] offset:2048
	flat_load_dword v15, v[8:9]
	flat_load_dword v16, v[8:9] offset:2048
	;; [unrolled: 2-line block ×3, first 2 shown]
	v_add_co_u32_e32 v6, vcc, 0x4000, v2
	global_load_dword v5, v[4:5], off
	v_mov_b32_e32 v4, v35
	v_addc_co_u32_e32 v7, vcc, 0, v3, vcc
	flat_load_dword v12, v[6:7]
	v_add_co_u32_e32 v8, vcc, 0x5000, v2
	s_waitcnt vmcnt(0) lgkmcnt(0)
	v_add_u32_e32 v5, v5, v13
	v_ashrrev_i64 v[4:5], 29, v[4:5]
	v_lshl_add_u64 v[4:5], s[50:51], 0, v[4:5]
	global_load_dword v5, v[4:5], off
	v_mov_b32_e32 v4, v35
	v_addc_co_u32_e32 v9, vcc, 0, v3, vcc
	v_add_co_u32_e32 v10, vcc, 0x6000, v2
	s_waitcnt vmcnt(0)
	v_add_u32_e32 v5, v5, v14
	v_ashrrev_i64 v[4:5], 29, v[4:5]
	v_lshl_add_u64 v[4:5], s[50:51], 0, v[4:5]
	global_load_dword v5, v[4:5], off
	v_mov_b32_e32 v4, v35
	v_addc_co_u32_e32 v11, vcc, 0, v3, vcc
	v_add_co_u32_e32 v2, vcc, 0x7000, v2
	s_waitcnt vmcnt(0)
	v_add_u32_e32 v5, v5, v15
	v_ashrrev_i64 v[4:5], 29, v[4:5]
	v_lshl_add_u64 v[4:5], s[50:51], 0, v[4:5]
	global_load_dword v5, v[4:5], off
	v_mov_b32_e32 v4, v35
	v_addc_co_u32_e32 v3, vcc, 0, v3, vcc
	s_waitcnt vmcnt(0)
	v_add_u32_e32 v5, v5, v16
	v_ashrrev_i64 v[4:5], 29, v[4:5]
	v_lshl_add_u64 v[4:5], s[50:51], 0, v[4:5]
	global_load_dword v5, v[4:5], off
	v_mov_b32_e32 v4, v35
	s_waitcnt vmcnt(0)
	v_add_u32_e32 v5, v5, v17
	v_ashrrev_i64 v[4:5], 29, v[4:5]
	v_lshl_add_u64 v[4:5], s[50:51], 0, v[4:5]
	global_load_dword v5, v[4:5], off
	v_mov_b32_e32 v4, v35
	;; [unrolled: 6-line block ×3, first 2 shown]
	flat_load_dword v13, v[6:7] offset:2048
	flat_load_dword v14, v[8:9]
	flat_load_dword v15, v[8:9] offset:2048
	flat_load_dword v16, v[10:11]
	;; [unrolled: 2-line block ×3, first 2 shown]
	flat_load_dword v19, v[2:3] offset:2048
	v_mbcnt_hi_u32_b32 v6, -1, v1
	v_cmp_eq_u32_e32 vcc, 0, v6
	s_waitcnt vmcnt(0)
	v_add_u32_e32 v5, v5, v12
	v_ashrrev_i64 v[2:3], 29, v[4:5]
	v_lshl_add_u64 v[2:3], s[50:51], 0, v[2:3]
	global_load_dword v3, v[2:3], off
	v_mov_b32_e32 v2, v35
	v_lshlrev_b32_e32 v5, 2, v6
	v_or_b32_e32 v4, 0xfc, v5
	s_waitcnt vmcnt(0) lgkmcnt(0)
	v_add_u32_e32 v3, v3, v13
	v_ashrrev_i64 v[2:3], 29, v[2:3]
	v_lshl_add_u64 v[2:3], s[50:51], 0, v[2:3]
	global_load_dword v3, v[2:3], off
	v_mov_b32_e32 v2, v35
	s_waitcnt vmcnt(0)
	v_add_u32_e32 v3, v3, v14
	v_ashrrev_i64 v[2:3], 29, v[2:3]
	v_lshl_add_u64 v[2:3], s[50:51], 0, v[2:3]
	global_load_dword v3, v[2:3], off
	v_mov_b32_e32 v2, v35
	s_waitcnt vmcnt(0)
	;; [unrolled: 6-line block ×7, first 2 shown]
	v_add_u32_dpp v3, v3, v3 quad_perm:[1,0,3,2] row_mask:0xf bank_mask:0xf bound_ctrl:1
	v_ashrrev_i64 v[2:3], 29, v[2:3]
	v_lshl_add_u64 v[2:3], s[50:51], 0, v[2:3]
	global_load_dword v3, v[2:3], off
	v_mov_b32_e32 v2, v35
	s_waitcnt vmcnt(0)
	v_add_u32_dpp v3, v3, v3 quad_perm:[2,3,0,1] row_mask:0xf bank_mask:0xf bound_ctrl:1
	v_ashrrev_i64 v[2:3], 29, v[2:3]
	v_lshl_add_u64 v[2:3], s[50:51], 0, v[2:3]
	global_load_dword v3, v[2:3], off
	v_mov_b32_e32 v2, v35
	s_waitcnt vmcnt(0)
	v_add_u32_dpp v3, v3, v3 row_ror:4 row_mask:0xf bank_mask:0xf bound_ctrl:1
	v_ashrrev_i64 v[2:3], 29, v[2:3]
	v_lshl_add_u64 v[2:3], s[50:51], 0, v[2:3]
	global_load_dword v3, v[2:3], off
	v_mov_b32_e32 v2, v35
	s_waitcnt vmcnt(0)
	v_add_u32_dpp v3, v3, v3 row_ror:8 row_mask:0xf bank_mask:0xf bound_ctrl:1
	v_ashrrev_i64 v[2:3], 29, v[2:3]
	v_lshl_add_u64 v[2:3], s[50:51], 0, v[2:3]
	global_load_dword v3, v[2:3], off
	v_mov_b32_e32 v2, v35
	s_waitcnt vmcnt(0)
	v_add_u32_dpp v3, v3, v3 row_bcast:15 row_mask:0xf bank_mask:0xf bound_ctrl:1
	v_ashrrev_i64 v[2:3], 29, v[2:3]
	v_lshl_add_u64 v[2:3], s[50:51], 0, v[2:3]
	global_load_dword v3, v[2:3], off
	v_mov_b32_e32 v2, v35
	s_waitcnt vmcnt(0)
	v_add_u32_dpp v3, v3, v3 row_bcast:31 row_mask:0xf bank_mask:0xf bound_ctrl:1
	v_ashrrev_i64 v[2:3], 29, v[2:3]
	v_lshl_add_u64 v[2:3], s[50:51], 0, v[2:3]
	global_load_dwordx2 v[2:3], v[2:3], off
	s_waitcnt vmcnt(0)
	ds_bpermute_b32 v2, v4, v2
	ds_bpermute_b32 v3, v4, v3
	s_and_saveexec_b64 s[4:5], vcc
	s_cbranch_execz .LBB785_3
; %bb.2:
	v_lshrrev_b32_e32 v4, 3, v0
	v_and_b32_e32 v4, 24, v4
	s_waitcnt lgkmcnt(0)
	ds_write_b64 v4, v[2:3] offset:32
.LBB785_3:
	s_or_b64 exec, exec, s[4:5]
	v_cmp_gt_u32_e32 vcc, 64, v0
	s_mov_b64 s[4:5], 0
	s_mov_b64 s[30:31], 0
	s_waitcnt lgkmcnt(0)
	s_barrier
                                        ; implicit-def: $vgpr4
	s_and_saveexec_b64 s[6:7], vcc
	s_xor_b64 s[6:7], exec, s[6:7]
	s_cbranch_execz .LBB785_5
; %bb.4:
	v_and_b32_e32 v2, 3, v6
	v_lshlrev_b32_e32 v3, 3, v2
	ds_read_b32 v3, v3 offset:32
	v_cmp_ne_u32_e32 vcc, 3, v2
	v_or_b32_e32 v4, 8, v5
	s_mov_b64 s[30:31], exec
	v_addc_co_u32_e32 v2, vcc, 0, v6, vcc
	v_lshlrev_b32_e32 v2, 2, v2
	s_waitcnt lgkmcnt(0)
	ds_bpermute_b32 v2, v2, v3
	s_waitcnt lgkmcnt(0)
	v_add_u32_e32 v3, v3, v2
	v_mov_b32_e32 v2, 0
	v_ashrrev_i64 v[2:3], 29, v[2:3]
	v_lshl_add_u64 v[2:3], s[50:51], 0, v[2:3]
	global_load_dwordx2 v[2:3], v[2:3], off
	s_waitcnt vmcnt(0)
	ds_bpermute_b32 v4, v4, v2
.LBB785_5:
	s_or_b64 exec, exec, s[6:7]
	s_and_b64 vcc, exec, s[4:5]
	s_cbranch_vccnz .LBB785_7
	s_branch .LBB785_73
.LBB785_6:
	s_mov_b64 s[30:31], 0
                                        ; implicit-def: $vgpr4
                                        ; implicit-def: $vgpr2_vgpr3
	s_cbranch_execz .LBB785_73
.LBB785_7:
	s_sub_i32 s33, s40, s0
	v_mov_b32_e32 v2, 0
	v_cmp_gt_u32_e32 vcc, s33, v0
	v_mov_b32_e32 v3, v2
	s_waitcnt lgkmcnt(0)
	v_mov_b32_e32 v4, v2
	v_mov_b32_e32 v6, v2
	;; [unrolled: 1-line block ×15, first 2 shown]
	s_and_saveexec_b64 s[0:1], vcc
	s_cbranch_execz .LBB785_9
; %bb.8:
	v_mov_b32_e32 v35, v2
	v_lshl_add_u64 v[4:5], s[34:35], 0, v[34:35]
	flat_load_dwordx2 v[36:37], v[4:5]
	v_mov_b32_e32 v38, v2
	v_mov_b32_e32 v40, v2
	;; [unrolled: 1-line block ×15, first 2 shown]
	s_waitcnt vmcnt(0) lgkmcnt(0)
	v_mov_b64_e32 v[2:3], v[36:37]
	v_mov_b64_e32 v[4:5], v[38:39]
	;; [unrolled: 1-line block ×16, first 2 shown]
.LBB785_9:
	s_or_b64 exec, exec, s[0:1]
	v_or_b32_e32 v5, 0x100, v0
	v_cmp_gt_u32_e32 vcc, s33, v5
	s_and_saveexec_b64 s[0:1], vcc
	s_cbranch_execz .LBB785_11
; %bb.10:
	v_mov_b32_e32 v35, 0
	v_lshl_add_u64 v[4:5], s[34:35], 0, v[34:35]
	flat_load_dwordx2 v[4:5], v[4:5] offset:2048
.LBB785_11:
	s_or_b64 exec, exec, s[0:1]
	s_waitcnt vmcnt(0) lgkmcnt(0)
	v_or_b32_e32 v5, 0x200, v0
	v_cmp_gt_u32_e64 s[0:1], s33, v5
	s_and_saveexec_b64 s[4:5], s[0:1]
	s_cbranch_execz .LBB785_13
; %bb.12:
	v_lshlrev_b32_e32 v6, 3, v5
	v_mov_b32_e32 v7, 0
	v_lshl_add_u64 v[6:7], s[34:35], 0, v[6:7]
	flat_load_dwordx2 v[6:7], v[6:7]
.LBB785_13:
	s_or_b64 exec, exec, s[4:5]
	v_or_b32_e32 v5, 0x300, v0
	v_cmp_gt_u32_e64 s[4:5], s33, v5
	s_and_saveexec_b64 s[6:7], s[4:5]
	s_cbranch_execz .LBB785_15
; %bb.14:
	v_lshlrev_b32_e32 v8, 3, v5
	v_mov_b32_e32 v9, 0
	v_lshl_add_u64 v[8:9], s[34:35], 0, v[8:9]
	flat_load_dwordx2 v[8:9], v[8:9]
.LBB785_15:
	s_or_b64 exec, exec, s[6:7]
	;; [unrolled: 11-line block ×13, first 2 shown]
	v_or_b32_e32 v5, 0xf00, v0
	v_cmp_gt_u32_e64 s[28:29], s33, v5
	s_and_saveexec_b64 s[36:37], s[28:29]
	s_cbranch_execnz .LBB785_78
; %bb.38:
	s_or_b64 exec, exec, s[36:37]
	s_and_saveexec_b64 s[34:35], vcc
	s_cbranch_execnz .LBB785_79
.LBB785_39:
	s_or_b64 exec, exec, s[34:35]
	s_and_saveexec_b64 s[34:35], s[0:1]
	s_cbranch_execnz .LBB785_80
.LBB785_40:
	s_or_b64 exec, exec, s[34:35]
	s_and_saveexec_b64 s[0:1], s[4:5]
	s_cbranch_execnz .LBB785_81
.LBB785_41:
	s_or_b64 exec, exec, s[0:1]
	s_and_saveexec_b64 s[0:1], s[6:7]
	s_cbranch_execnz .LBB785_82
.LBB785_42:
	s_or_b64 exec, exec, s[0:1]
	s_and_saveexec_b64 s[0:1], s[8:9]
	s_cbranch_execnz .LBB785_83
.LBB785_43:
	s_or_b64 exec, exec, s[0:1]
	s_and_saveexec_b64 s[0:1], s[10:11]
	s_cbranch_execnz .LBB785_84
.LBB785_44:
	s_or_b64 exec, exec, s[0:1]
	s_and_saveexec_b64 s[0:1], s[12:13]
	s_cbranch_execnz .LBB785_85
.LBB785_45:
	s_or_b64 exec, exec, s[0:1]
	s_and_saveexec_b64 s[0:1], s[14:15]
	s_cbranch_execnz .LBB785_86
.LBB785_46:
	s_or_b64 exec, exec, s[0:1]
	s_and_saveexec_b64 s[0:1], s[16:17]
	s_cbranch_execnz .LBB785_87
.LBB785_47:
	s_or_b64 exec, exec, s[0:1]
	s_and_saveexec_b64 s[0:1], s[18:19]
	s_cbranch_execnz .LBB785_88
.LBB785_48:
	s_or_b64 exec, exec, s[0:1]
	s_and_saveexec_b64 s[0:1], s[20:21]
	s_cbranch_execnz .LBB785_89
.LBB785_49:
	s_or_b64 exec, exec, s[0:1]
	s_and_saveexec_b64 s[0:1], s[22:23]
	s_cbranch_execnz .LBB785_90
.LBB785_50:
	s_or_b64 exec, exec, s[0:1]
	s_and_saveexec_b64 s[0:1], s[24:25]
	s_cbranch_execnz .LBB785_91
.LBB785_51:
	s_or_b64 exec, exec, s[0:1]
	s_and_saveexec_b64 s[0:1], s[26:27]
	s_cbranch_execnz .LBB785_92
.LBB785_52:
	s_or_b64 exec, exec, s[0:1]
	s_and_saveexec_b64 s[0:1], s[28:29]
	s_cbranch_execz .LBB785_54
.LBB785_53:
	s_waitcnt vmcnt(0) lgkmcnt(0)
	v_add_u32_e32 v3, v2, v32
	v_mov_b32_e32 v2, 0
	v_ashrrev_i64 v[2:3], 29, v[2:3]
	v_lshl_add_u64 v[2:3], s[50:51], 0, v[2:3]
	global_load_dwordx2 v[2:3], v[2:3], off
.LBB785_54:
	s_or_b64 exec, exec, s[0:1]
	v_mbcnt_hi_u32_b32 v1, -1, v1
	v_and_b32_e32 v4, 63, v1
	v_cmp_ne_u32_e32 vcc, 63, v4
	s_min_u32 s4, s33, 0x100
	s_waitcnt vmcnt(0) lgkmcnt(0)
	v_add_u32_e32 v7, 1, v4
	v_addc_co_u32_e32 v5, vcc, 0, v1, vcc
	v_lshlrev_b32_e32 v5, 2, v5
	ds_bpermute_b32 v6, v5, v2
	v_and_b32_e32 v5, 0xc0, v0
	v_sub_u32_e64 v5, s4, v5 clamp
	v_cmp_lt_u32_e32 vcc, v7, v5
	s_and_saveexec_b64 s[0:1], vcc
	s_xor_b64 s[0:1], exec, s[0:1]
	s_cbranch_execz .LBB785_56
; %bb.55:
	s_waitcnt lgkmcnt(0)
	v_add_u32_e32 v3, v2, v6
	v_mov_b32_e32 v2, 0
	v_ashrrev_i64 v[2:3], 29, v[2:3]
	v_lshl_add_u64 v[2:3], s[50:51], 0, v[2:3]
	global_load_dwordx2 v[2:3], v[2:3], off
.LBB785_56:
	s_or_b64 exec, exec, s[0:1]
	v_cmp_gt_u32_e32 vcc, 62, v4
	v_add_u32_e32 v7, 2, v4
	s_waitcnt lgkmcnt(0)
	v_cndmask_b32_e64 v6, 0, 2, vcc
	v_add_lshl_u32 v6, v6, v1, 2
	s_waitcnt vmcnt(0)
	ds_bpermute_b32 v6, v6, v2
	v_cmp_lt_u32_e32 vcc, v7, v5
	s_and_saveexec_b64 s[0:1], vcc
	s_cbranch_execz .LBB785_58
; %bb.57:
	s_waitcnt lgkmcnt(0)
	v_add_u32_e32 v3, v2, v6
	v_mov_b32_e32 v2, 0
	v_ashrrev_i64 v[2:3], 29, v[2:3]
	v_lshl_add_u64 v[2:3], s[50:51], 0, v[2:3]
	global_load_dwordx2 v[2:3], v[2:3], off
.LBB785_58:
	s_or_b64 exec, exec, s[0:1]
	v_cmp_gt_u32_e32 vcc, 60, v4
	v_add_u32_e32 v7, 4, v4
	s_waitcnt lgkmcnt(0)
	v_cndmask_b32_e64 v6, 0, 4, vcc
	v_add_lshl_u32 v6, v6, v1, 2
	s_waitcnt vmcnt(0)
	ds_bpermute_b32 v6, v6, v2
	v_cmp_lt_u32_e32 vcc, v7, v5
	s_and_saveexec_b64 s[0:1], vcc
	;; [unrolled: 19-line block ×4, first 2 shown]
	s_cbranch_execz .LBB785_64
; %bb.63:
	s_waitcnt lgkmcnt(0)
	v_add_u32_e32 v3, v2, v6
	v_mov_b32_e32 v2, 0
	v_ashrrev_i64 v[2:3], 29, v[2:3]
	v_lshl_add_u64 v[2:3], s[50:51], 0, v[2:3]
	global_load_dwordx2 v[2:3], v[2:3], off
.LBB785_64:
	s_or_b64 exec, exec, s[0:1]
	s_waitcnt lgkmcnt(0)
	v_lshlrev_b32_e32 v6, 2, v1
	v_or_b32_e32 v7, 0x80, v6
	s_waitcnt vmcnt(0)
	ds_bpermute_b32 v7, v7, v2
	v_add_u32_e32 v4, 32, v4
	v_cmp_lt_u32_e32 vcc, v4, v5
	s_and_saveexec_b64 s[0:1], vcc
	s_cbranch_execz .LBB785_66
; %bb.65:
	s_waitcnt lgkmcnt(0)
	v_add_u32_e32 v3, v2, v7
	v_mov_b32_e32 v2, 0
	v_ashrrev_i64 v[2:3], 29, v[2:3]
	v_lshl_add_u64 v[2:3], s[50:51], 0, v[2:3]
	global_load_dwordx2 v[2:3], v[2:3], off
.LBB785_66:
	s_or_b64 exec, exec, s[0:1]
	v_cmp_eq_u32_e32 vcc, 0, v1
	s_and_saveexec_b64 s[0:1], vcc
	s_cbranch_execz .LBB785_68
; %bb.67:
	v_lshrrev_b32_e32 v4, 3, v0
	v_and_b32_e32 v4, 24, v4
	s_waitcnt vmcnt(0)
	ds_write_b64 v4, v[2:3]
.LBB785_68:
	s_or_b64 exec, exec, s[0:1]
	v_cmp_gt_u32_e32 vcc, 4, v0
	s_waitcnt lgkmcnt(0)
	s_barrier
                                        ; implicit-def: $vgpr4
	s_and_saveexec_b64 s[0:1], vcc
	s_cbranch_execz .LBB785_72
; %bb.69:
	s_waitcnt vmcnt(0)
	v_lshlrev_b32_e32 v2, 3, v1
	ds_read_b64 v[2:3], v2
	v_and_b32_e32 v4, 3, v1
	v_cmp_ne_u32_e32 vcc, 3, v4
	s_add_i32 s4, s4, 63
	s_lshr_b32 s6, s4, 6
	v_addc_co_u32_e32 v1, vcc, 0, v1, vcc
	v_lshlrev_b32_e32 v1, 2, v1
	s_waitcnt lgkmcnt(0)
	ds_bpermute_b32 v1, v1, v2
	v_add_u32_e32 v5, 1, v4
	v_cmp_gt_u32_e32 vcc, s6, v5
	s_and_saveexec_b64 s[4:5], vcc
	s_cbranch_execz .LBB785_71
; %bb.70:
	s_waitcnt lgkmcnt(0)
	v_add_u32_e32 v3, v2, v1
	v_mov_b32_e32 v2, 0
	v_ashrrev_i64 v[2:3], 29, v[2:3]
	v_lshl_add_u64 v[2:3], s[50:51], 0, v[2:3]
	global_load_dwordx2 v[2:3], v[2:3], off
.LBB785_71:
	s_or_b64 exec, exec, s[4:5]
	s_waitcnt lgkmcnt(0)
	v_add_u32_e32 v1, 2, v4
	v_or_b32_e32 v4, 8, v6
	s_waitcnt vmcnt(0)
	ds_bpermute_b32 v4, v4, v2
	v_cmp_gt_u32_e32 vcc, s6, v1
	s_andn2_b64 s[4:5], s[30:31], exec
	s_and_b64 s[6:7], vcc, exec
	s_or_b64 s[30:31], s[4:5], s[6:7]
.LBB785_72:
	s_or_b64 exec, exec, s[0:1]
.LBB785_73:
	s_and_saveexec_b64 s[0:1], s[30:31]
	s_cbranch_execnz .LBB785_76
; %bb.74:
	s_or_b64 exec, exec, s[0:1]
	v_cmp_eq_u32_e32 vcc, 0, v0
	s_and_saveexec_b64 s[0:1], vcc
	s_cbranch_execnz .LBB785_77
.LBB785_75:
	s_endpgm
.LBB785_76:
	s_waitcnt vmcnt(0) lgkmcnt(0)
	v_add_u32_e32 v3, v2, v4
	v_mov_b32_e32 v2, 0
	v_ashrrev_i64 v[2:3], 29, v[2:3]
	v_lshl_add_u64 v[2:3], s[50:51], 0, v[2:3]
	global_load_dwordx2 v[2:3], v[2:3], off
	s_or_b64 exec, exec, s[0:1]
	v_cmp_eq_u32_e32 vcc, 0, v0
	s_and_saveexec_b64 s[0:1], vcc
	s_cbranch_execz .LBB785_75
.LBB785_77:
	s_mul_i32 s0, s46, s45
	s_mul_hi_u32 s1, s46, s44
	s_add_i32 s0, s1, s0
	s_mul_i32 s1, s47, s44
	s_add_i32 s1, s0, s1
	s_mul_i32 s0, s46, s44
	s_lshl_b64 s[0:1], s[0:1], 3
	s_add_u32 s4, s42, s0
	s_addc_u32 s5, s43, s1
	s_cmp_eq_u64 s[40:41], 0
	v_mov_b32_e32 v0, s49
	s_cselect_b64 vcc, -1, 0
	s_lshl_b64 s[0:1], s[2:3], 3
	s_waitcnt vmcnt(0)
	v_cndmask_b32_e32 v1, v3, v0, vcc
	v_mov_b32_e32 v0, s48
	s_add_u32 s0, s4, s0
	v_cndmask_b32_e32 v0, v2, v0, vcc
	s_addc_u32 s1, s5, s1
	v_mov_b32_e32 v2, 0
	global_store_dwordx2 v2, v[0:1], s[0:1]
	s_endpgm
.LBB785_78:
	v_lshlrev_b32_e32 v32, 3, v5
	v_mov_b32_e32 v33, 0
	v_lshl_add_u64 v[32:33], s[34:35], 0, v[32:33]
	flat_load_dwordx2 v[32:33], v[32:33]
	s_or_b64 exec, exec, s[36:37]
	s_and_saveexec_b64 s[34:35], vcc
	s_cbranch_execz .LBB785_39
.LBB785_79:
	v_add_u32_e32 v3, v4, v2
	v_mov_b32_e32 v2, 0
	v_ashrrev_i64 v[2:3], 29, v[2:3]
	v_lshl_add_u64 v[2:3], s[50:51], 0, v[2:3]
	global_load_dwordx2 v[2:3], v[2:3], off
	s_or_b64 exec, exec, s[34:35]
	s_and_saveexec_b64 s[34:35], s[0:1]
	s_cbranch_execz .LBB785_40
.LBB785_80:
	s_waitcnt vmcnt(0) lgkmcnt(0)
	v_add_u32_e32 v3, v2, v6
	v_mov_b32_e32 v2, 0
	v_ashrrev_i64 v[2:3], 29, v[2:3]
	v_lshl_add_u64 v[2:3], s[50:51], 0, v[2:3]
	global_load_dwordx2 v[2:3], v[2:3], off
	s_or_b64 exec, exec, s[34:35]
	s_and_saveexec_b64 s[0:1], s[4:5]
	s_cbranch_execz .LBB785_41
.LBB785_81:
	s_waitcnt vmcnt(0) lgkmcnt(0)
	v_add_u32_e32 v3, v2, v8
	v_mov_b32_e32 v2, 0
	v_ashrrev_i64 v[2:3], 29, v[2:3]
	v_lshl_add_u64 v[2:3], s[50:51], 0, v[2:3]
	global_load_dwordx2 v[2:3], v[2:3], off
	s_or_b64 exec, exec, s[0:1]
	s_and_saveexec_b64 s[0:1], s[6:7]
	s_cbranch_execz .LBB785_42
.LBB785_82:
	s_waitcnt vmcnt(0) lgkmcnt(0)
	v_add_u32_e32 v3, v2, v10
	v_mov_b32_e32 v2, 0
	v_ashrrev_i64 v[2:3], 29, v[2:3]
	v_lshl_add_u64 v[2:3], s[50:51], 0, v[2:3]
	global_load_dwordx2 v[2:3], v[2:3], off
	s_or_b64 exec, exec, s[0:1]
	s_and_saveexec_b64 s[0:1], s[8:9]
	s_cbranch_execz .LBB785_43
.LBB785_83:
	s_waitcnt vmcnt(0) lgkmcnt(0)
	v_add_u32_e32 v3, v2, v12
	v_mov_b32_e32 v2, 0
	v_ashrrev_i64 v[2:3], 29, v[2:3]
	v_lshl_add_u64 v[2:3], s[50:51], 0, v[2:3]
	global_load_dwordx2 v[2:3], v[2:3], off
	s_or_b64 exec, exec, s[0:1]
	s_and_saveexec_b64 s[0:1], s[10:11]
	s_cbranch_execz .LBB785_44
.LBB785_84:
	s_waitcnt vmcnt(0) lgkmcnt(0)
	v_add_u32_e32 v3, v2, v14
	v_mov_b32_e32 v2, 0
	v_ashrrev_i64 v[2:3], 29, v[2:3]
	v_lshl_add_u64 v[2:3], s[50:51], 0, v[2:3]
	global_load_dwordx2 v[2:3], v[2:3], off
	s_or_b64 exec, exec, s[0:1]
	s_and_saveexec_b64 s[0:1], s[12:13]
	s_cbranch_execz .LBB785_45
.LBB785_85:
	s_waitcnt vmcnt(0) lgkmcnt(0)
	v_add_u32_e32 v3, v2, v16
	v_mov_b32_e32 v2, 0
	v_ashrrev_i64 v[2:3], 29, v[2:3]
	v_lshl_add_u64 v[2:3], s[50:51], 0, v[2:3]
	global_load_dwordx2 v[2:3], v[2:3], off
	s_or_b64 exec, exec, s[0:1]
	s_and_saveexec_b64 s[0:1], s[14:15]
	s_cbranch_execz .LBB785_46
.LBB785_86:
	s_waitcnt vmcnt(0) lgkmcnt(0)
	v_add_u32_e32 v3, v2, v18
	v_mov_b32_e32 v2, 0
	v_ashrrev_i64 v[2:3], 29, v[2:3]
	v_lshl_add_u64 v[2:3], s[50:51], 0, v[2:3]
	global_load_dwordx2 v[2:3], v[2:3], off
	s_or_b64 exec, exec, s[0:1]
	s_and_saveexec_b64 s[0:1], s[16:17]
	s_cbranch_execz .LBB785_47
.LBB785_87:
	s_waitcnt vmcnt(0) lgkmcnt(0)
	v_add_u32_e32 v3, v2, v20
	v_mov_b32_e32 v2, 0
	v_ashrrev_i64 v[2:3], 29, v[2:3]
	v_lshl_add_u64 v[2:3], s[50:51], 0, v[2:3]
	global_load_dwordx2 v[2:3], v[2:3], off
	s_or_b64 exec, exec, s[0:1]
	s_and_saveexec_b64 s[0:1], s[18:19]
	s_cbranch_execz .LBB785_48
.LBB785_88:
	s_waitcnt vmcnt(0) lgkmcnt(0)
	v_add_u32_e32 v3, v2, v22
	v_mov_b32_e32 v2, 0
	v_ashrrev_i64 v[2:3], 29, v[2:3]
	v_lshl_add_u64 v[2:3], s[50:51], 0, v[2:3]
	global_load_dwordx2 v[2:3], v[2:3], off
	s_or_b64 exec, exec, s[0:1]
	s_and_saveexec_b64 s[0:1], s[20:21]
	s_cbranch_execz .LBB785_49
.LBB785_89:
	s_waitcnt vmcnt(0) lgkmcnt(0)
	v_add_u32_e32 v3, v2, v24
	v_mov_b32_e32 v2, 0
	v_ashrrev_i64 v[2:3], 29, v[2:3]
	v_lshl_add_u64 v[2:3], s[50:51], 0, v[2:3]
	global_load_dwordx2 v[2:3], v[2:3], off
	s_or_b64 exec, exec, s[0:1]
	s_and_saveexec_b64 s[0:1], s[22:23]
	s_cbranch_execz .LBB785_50
.LBB785_90:
	s_waitcnt vmcnt(0) lgkmcnt(0)
	v_add_u32_e32 v3, v2, v26
	v_mov_b32_e32 v2, 0
	v_ashrrev_i64 v[2:3], 29, v[2:3]
	v_lshl_add_u64 v[2:3], s[50:51], 0, v[2:3]
	global_load_dwordx2 v[2:3], v[2:3], off
	s_or_b64 exec, exec, s[0:1]
	s_and_saveexec_b64 s[0:1], s[24:25]
	s_cbranch_execz .LBB785_51
.LBB785_91:
	s_waitcnt vmcnt(0) lgkmcnt(0)
	v_add_u32_e32 v3, v2, v28
	v_mov_b32_e32 v2, 0
	v_ashrrev_i64 v[2:3], 29, v[2:3]
	v_lshl_add_u64 v[2:3], s[50:51], 0, v[2:3]
	global_load_dwordx2 v[2:3], v[2:3], off
	s_or_b64 exec, exec, s[0:1]
	s_and_saveexec_b64 s[0:1], s[26:27]
	s_cbranch_execz .LBB785_52
.LBB785_92:
	s_waitcnt vmcnt(0) lgkmcnt(0)
	v_add_u32_e32 v3, v2, v30
	v_mov_b32_e32 v2, 0
	v_ashrrev_i64 v[2:3], 29, v[2:3]
	v_lshl_add_u64 v[2:3], s[50:51], 0, v[2:3]
	global_load_dwordx2 v[2:3], v[2:3], off
	s_or_b64 exec, exec, s[0:1]
	s_and_saveexec_b64 s[0:1], s[28:29]
	s_cbranch_execnz .LBB785_53
	s_branch .LBB785_54
	.section	.rodata,"a",@progbits
	.p2align	6, 0x0
	.amdhsa_kernel _ZN7rocprim17ROCPRIM_400000_NS6detail17trampoline_kernelINS0_14default_configENS1_22reduce_config_selectorIyEEZNS1_11reduce_implILb1ES3_N6thrust23THRUST_200600_302600_NS6detail15normal_iteratorINS8_10device_ptrIyEEEEPyy9plus_mod3IyEEE10hipError_tPvRmT1_T2_T3_mT4_P12ihipStream_tbEUlT_E0_NS1_11comp_targetILNS1_3genE0ELNS1_11target_archE4294967295ELNS1_3gpuE0ELNS1_3repE0EEENS1_30default_config_static_selectorELNS0_4arch9wavefront6targetE1EEEvSK_
		.amdhsa_group_segment_fixed_size 64
		.amdhsa_private_segment_fixed_size 0
		.amdhsa_kernarg_size 64
		.amdhsa_user_sgpr_count 2
		.amdhsa_user_sgpr_dispatch_ptr 0
		.amdhsa_user_sgpr_queue_ptr 0
		.amdhsa_user_sgpr_kernarg_segment_ptr 1
		.amdhsa_user_sgpr_dispatch_id 0
		.amdhsa_user_sgpr_kernarg_preload_length 0
		.amdhsa_user_sgpr_kernarg_preload_offset 0
		.amdhsa_user_sgpr_private_segment_size 0
		.amdhsa_uses_dynamic_stack 0
		.amdhsa_enable_private_segment 0
		.amdhsa_system_sgpr_workgroup_id_x 1
		.amdhsa_system_sgpr_workgroup_id_y 0
		.amdhsa_system_sgpr_workgroup_id_z 0
		.amdhsa_system_sgpr_workgroup_info 0
		.amdhsa_system_vgpr_workitem_id 0
		.amdhsa_next_free_vgpr 68
		.amdhsa_next_free_sgpr 52
		.amdhsa_accum_offset 68
		.amdhsa_reserve_vcc 1
		.amdhsa_float_round_mode_32 0
		.amdhsa_float_round_mode_16_64 0
		.amdhsa_float_denorm_mode_32 3
		.amdhsa_float_denorm_mode_16_64 3
		.amdhsa_dx10_clamp 1
		.amdhsa_ieee_mode 1
		.amdhsa_fp16_overflow 0
		.amdhsa_tg_split 0
		.amdhsa_exception_fp_ieee_invalid_op 0
		.amdhsa_exception_fp_denorm_src 0
		.amdhsa_exception_fp_ieee_div_zero 0
		.amdhsa_exception_fp_ieee_overflow 0
		.amdhsa_exception_fp_ieee_underflow 0
		.amdhsa_exception_fp_ieee_inexact 0
		.amdhsa_exception_int_div_zero 0
	.end_amdhsa_kernel
	.section	.text._ZN7rocprim17ROCPRIM_400000_NS6detail17trampoline_kernelINS0_14default_configENS1_22reduce_config_selectorIyEEZNS1_11reduce_implILb1ES3_N6thrust23THRUST_200600_302600_NS6detail15normal_iteratorINS8_10device_ptrIyEEEEPyy9plus_mod3IyEEE10hipError_tPvRmT1_T2_T3_mT4_P12ihipStream_tbEUlT_E0_NS1_11comp_targetILNS1_3genE0ELNS1_11target_archE4294967295ELNS1_3gpuE0ELNS1_3repE0EEENS1_30default_config_static_selectorELNS0_4arch9wavefront6targetE1EEEvSK_,"axG",@progbits,_ZN7rocprim17ROCPRIM_400000_NS6detail17trampoline_kernelINS0_14default_configENS1_22reduce_config_selectorIyEEZNS1_11reduce_implILb1ES3_N6thrust23THRUST_200600_302600_NS6detail15normal_iteratorINS8_10device_ptrIyEEEEPyy9plus_mod3IyEEE10hipError_tPvRmT1_T2_T3_mT4_P12ihipStream_tbEUlT_E0_NS1_11comp_targetILNS1_3genE0ELNS1_11target_archE4294967295ELNS1_3gpuE0ELNS1_3repE0EEENS1_30default_config_static_selectorELNS0_4arch9wavefront6targetE1EEEvSK_,comdat
.Lfunc_end785:
	.size	_ZN7rocprim17ROCPRIM_400000_NS6detail17trampoline_kernelINS0_14default_configENS1_22reduce_config_selectorIyEEZNS1_11reduce_implILb1ES3_N6thrust23THRUST_200600_302600_NS6detail15normal_iteratorINS8_10device_ptrIyEEEEPyy9plus_mod3IyEEE10hipError_tPvRmT1_T2_T3_mT4_P12ihipStream_tbEUlT_E0_NS1_11comp_targetILNS1_3genE0ELNS1_11target_archE4294967295ELNS1_3gpuE0ELNS1_3repE0EEENS1_30default_config_static_selectorELNS0_4arch9wavefront6targetE1EEEvSK_, .Lfunc_end785-_ZN7rocprim17ROCPRIM_400000_NS6detail17trampoline_kernelINS0_14default_configENS1_22reduce_config_selectorIyEEZNS1_11reduce_implILb1ES3_N6thrust23THRUST_200600_302600_NS6detail15normal_iteratorINS8_10device_ptrIyEEEEPyy9plus_mod3IyEEE10hipError_tPvRmT1_T2_T3_mT4_P12ihipStream_tbEUlT_E0_NS1_11comp_targetILNS1_3genE0ELNS1_11target_archE4294967295ELNS1_3gpuE0ELNS1_3repE0EEENS1_30default_config_static_selectorELNS0_4arch9wavefront6targetE1EEEvSK_
                                        ; -- End function
	.set _ZN7rocprim17ROCPRIM_400000_NS6detail17trampoline_kernelINS0_14default_configENS1_22reduce_config_selectorIyEEZNS1_11reduce_implILb1ES3_N6thrust23THRUST_200600_302600_NS6detail15normal_iteratorINS8_10device_ptrIyEEEEPyy9plus_mod3IyEEE10hipError_tPvRmT1_T2_T3_mT4_P12ihipStream_tbEUlT_E0_NS1_11comp_targetILNS1_3genE0ELNS1_11target_archE4294967295ELNS1_3gpuE0ELNS1_3repE0EEENS1_30default_config_static_selectorELNS0_4arch9wavefront6targetE1EEEvSK_.num_vgpr, 68
	.set _ZN7rocprim17ROCPRIM_400000_NS6detail17trampoline_kernelINS0_14default_configENS1_22reduce_config_selectorIyEEZNS1_11reduce_implILb1ES3_N6thrust23THRUST_200600_302600_NS6detail15normal_iteratorINS8_10device_ptrIyEEEEPyy9plus_mod3IyEEE10hipError_tPvRmT1_T2_T3_mT4_P12ihipStream_tbEUlT_E0_NS1_11comp_targetILNS1_3genE0ELNS1_11target_archE4294967295ELNS1_3gpuE0ELNS1_3repE0EEENS1_30default_config_static_selectorELNS0_4arch9wavefront6targetE1EEEvSK_.num_agpr, 0
	.set _ZN7rocprim17ROCPRIM_400000_NS6detail17trampoline_kernelINS0_14default_configENS1_22reduce_config_selectorIyEEZNS1_11reduce_implILb1ES3_N6thrust23THRUST_200600_302600_NS6detail15normal_iteratorINS8_10device_ptrIyEEEEPyy9plus_mod3IyEEE10hipError_tPvRmT1_T2_T3_mT4_P12ihipStream_tbEUlT_E0_NS1_11comp_targetILNS1_3genE0ELNS1_11target_archE4294967295ELNS1_3gpuE0ELNS1_3repE0EEENS1_30default_config_static_selectorELNS0_4arch9wavefront6targetE1EEEvSK_.numbered_sgpr, 52
	.set _ZN7rocprim17ROCPRIM_400000_NS6detail17trampoline_kernelINS0_14default_configENS1_22reduce_config_selectorIyEEZNS1_11reduce_implILb1ES3_N6thrust23THRUST_200600_302600_NS6detail15normal_iteratorINS8_10device_ptrIyEEEEPyy9plus_mod3IyEEE10hipError_tPvRmT1_T2_T3_mT4_P12ihipStream_tbEUlT_E0_NS1_11comp_targetILNS1_3genE0ELNS1_11target_archE4294967295ELNS1_3gpuE0ELNS1_3repE0EEENS1_30default_config_static_selectorELNS0_4arch9wavefront6targetE1EEEvSK_.num_named_barrier, 0
	.set _ZN7rocprim17ROCPRIM_400000_NS6detail17trampoline_kernelINS0_14default_configENS1_22reduce_config_selectorIyEEZNS1_11reduce_implILb1ES3_N6thrust23THRUST_200600_302600_NS6detail15normal_iteratorINS8_10device_ptrIyEEEEPyy9plus_mod3IyEEE10hipError_tPvRmT1_T2_T3_mT4_P12ihipStream_tbEUlT_E0_NS1_11comp_targetILNS1_3genE0ELNS1_11target_archE4294967295ELNS1_3gpuE0ELNS1_3repE0EEENS1_30default_config_static_selectorELNS0_4arch9wavefront6targetE1EEEvSK_.private_seg_size, 0
	.set _ZN7rocprim17ROCPRIM_400000_NS6detail17trampoline_kernelINS0_14default_configENS1_22reduce_config_selectorIyEEZNS1_11reduce_implILb1ES3_N6thrust23THRUST_200600_302600_NS6detail15normal_iteratorINS8_10device_ptrIyEEEEPyy9plus_mod3IyEEE10hipError_tPvRmT1_T2_T3_mT4_P12ihipStream_tbEUlT_E0_NS1_11comp_targetILNS1_3genE0ELNS1_11target_archE4294967295ELNS1_3gpuE0ELNS1_3repE0EEENS1_30default_config_static_selectorELNS0_4arch9wavefront6targetE1EEEvSK_.uses_vcc, 1
	.set _ZN7rocprim17ROCPRIM_400000_NS6detail17trampoline_kernelINS0_14default_configENS1_22reduce_config_selectorIyEEZNS1_11reduce_implILb1ES3_N6thrust23THRUST_200600_302600_NS6detail15normal_iteratorINS8_10device_ptrIyEEEEPyy9plus_mod3IyEEE10hipError_tPvRmT1_T2_T3_mT4_P12ihipStream_tbEUlT_E0_NS1_11comp_targetILNS1_3genE0ELNS1_11target_archE4294967295ELNS1_3gpuE0ELNS1_3repE0EEENS1_30default_config_static_selectorELNS0_4arch9wavefront6targetE1EEEvSK_.uses_flat_scratch, 0
	.set _ZN7rocprim17ROCPRIM_400000_NS6detail17trampoline_kernelINS0_14default_configENS1_22reduce_config_selectorIyEEZNS1_11reduce_implILb1ES3_N6thrust23THRUST_200600_302600_NS6detail15normal_iteratorINS8_10device_ptrIyEEEEPyy9plus_mod3IyEEE10hipError_tPvRmT1_T2_T3_mT4_P12ihipStream_tbEUlT_E0_NS1_11comp_targetILNS1_3genE0ELNS1_11target_archE4294967295ELNS1_3gpuE0ELNS1_3repE0EEENS1_30default_config_static_selectorELNS0_4arch9wavefront6targetE1EEEvSK_.has_dyn_sized_stack, 0
	.set _ZN7rocprim17ROCPRIM_400000_NS6detail17trampoline_kernelINS0_14default_configENS1_22reduce_config_selectorIyEEZNS1_11reduce_implILb1ES3_N6thrust23THRUST_200600_302600_NS6detail15normal_iteratorINS8_10device_ptrIyEEEEPyy9plus_mod3IyEEE10hipError_tPvRmT1_T2_T3_mT4_P12ihipStream_tbEUlT_E0_NS1_11comp_targetILNS1_3genE0ELNS1_11target_archE4294967295ELNS1_3gpuE0ELNS1_3repE0EEENS1_30default_config_static_selectorELNS0_4arch9wavefront6targetE1EEEvSK_.has_recursion, 0
	.set _ZN7rocprim17ROCPRIM_400000_NS6detail17trampoline_kernelINS0_14default_configENS1_22reduce_config_selectorIyEEZNS1_11reduce_implILb1ES3_N6thrust23THRUST_200600_302600_NS6detail15normal_iteratorINS8_10device_ptrIyEEEEPyy9plus_mod3IyEEE10hipError_tPvRmT1_T2_T3_mT4_P12ihipStream_tbEUlT_E0_NS1_11comp_targetILNS1_3genE0ELNS1_11target_archE4294967295ELNS1_3gpuE0ELNS1_3repE0EEENS1_30default_config_static_selectorELNS0_4arch9wavefront6targetE1EEEvSK_.has_indirect_call, 0
	.section	.AMDGPU.csdata,"",@progbits
; Kernel info:
; codeLenInByte = 4180
; TotalNumSgprs: 58
; NumVgprs: 68
; NumAgprs: 0
; TotalNumVgprs: 68
; ScratchSize: 0
; MemoryBound: 0
; FloatMode: 240
; IeeeMode: 1
; LDSByteSize: 64 bytes/workgroup (compile time only)
; SGPRBlocks: 7
; VGPRBlocks: 8
; NumSGPRsForWavesPerEU: 58
; NumVGPRsForWavesPerEU: 68
; AccumOffset: 68
; Occupancy: 7
; WaveLimiterHint : 1
; COMPUTE_PGM_RSRC2:SCRATCH_EN: 0
; COMPUTE_PGM_RSRC2:USER_SGPR: 2
; COMPUTE_PGM_RSRC2:TRAP_HANDLER: 0
; COMPUTE_PGM_RSRC2:TGID_X_EN: 1
; COMPUTE_PGM_RSRC2:TGID_Y_EN: 0
; COMPUTE_PGM_RSRC2:TGID_Z_EN: 0
; COMPUTE_PGM_RSRC2:TIDIG_COMP_CNT: 0
; COMPUTE_PGM_RSRC3_GFX90A:ACCUM_OFFSET: 16
; COMPUTE_PGM_RSRC3_GFX90A:TG_SPLIT: 0
	.section	.text._ZN7rocprim17ROCPRIM_400000_NS6detail17trampoline_kernelINS0_14default_configENS1_22reduce_config_selectorIyEEZNS1_11reduce_implILb1ES3_N6thrust23THRUST_200600_302600_NS6detail15normal_iteratorINS8_10device_ptrIyEEEEPyy9plus_mod3IyEEE10hipError_tPvRmT1_T2_T3_mT4_P12ihipStream_tbEUlT_E0_NS1_11comp_targetILNS1_3genE5ELNS1_11target_archE942ELNS1_3gpuE9ELNS1_3repE0EEENS1_30default_config_static_selectorELNS0_4arch9wavefront6targetE1EEEvSK_,"axG",@progbits,_ZN7rocprim17ROCPRIM_400000_NS6detail17trampoline_kernelINS0_14default_configENS1_22reduce_config_selectorIyEEZNS1_11reduce_implILb1ES3_N6thrust23THRUST_200600_302600_NS6detail15normal_iteratorINS8_10device_ptrIyEEEEPyy9plus_mod3IyEEE10hipError_tPvRmT1_T2_T3_mT4_P12ihipStream_tbEUlT_E0_NS1_11comp_targetILNS1_3genE5ELNS1_11target_archE942ELNS1_3gpuE9ELNS1_3repE0EEENS1_30default_config_static_selectorELNS0_4arch9wavefront6targetE1EEEvSK_,comdat
	.protected	_ZN7rocprim17ROCPRIM_400000_NS6detail17trampoline_kernelINS0_14default_configENS1_22reduce_config_selectorIyEEZNS1_11reduce_implILb1ES3_N6thrust23THRUST_200600_302600_NS6detail15normal_iteratorINS8_10device_ptrIyEEEEPyy9plus_mod3IyEEE10hipError_tPvRmT1_T2_T3_mT4_P12ihipStream_tbEUlT_E0_NS1_11comp_targetILNS1_3genE5ELNS1_11target_archE942ELNS1_3gpuE9ELNS1_3repE0EEENS1_30default_config_static_selectorELNS0_4arch9wavefront6targetE1EEEvSK_ ; -- Begin function _ZN7rocprim17ROCPRIM_400000_NS6detail17trampoline_kernelINS0_14default_configENS1_22reduce_config_selectorIyEEZNS1_11reduce_implILb1ES3_N6thrust23THRUST_200600_302600_NS6detail15normal_iteratorINS8_10device_ptrIyEEEEPyy9plus_mod3IyEEE10hipError_tPvRmT1_T2_T3_mT4_P12ihipStream_tbEUlT_E0_NS1_11comp_targetILNS1_3genE5ELNS1_11target_archE942ELNS1_3gpuE9ELNS1_3repE0EEENS1_30default_config_static_selectorELNS0_4arch9wavefront6targetE1EEEvSK_
	.globl	_ZN7rocprim17ROCPRIM_400000_NS6detail17trampoline_kernelINS0_14default_configENS1_22reduce_config_selectorIyEEZNS1_11reduce_implILb1ES3_N6thrust23THRUST_200600_302600_NS6detail15normal_iteratorINS8_10device_ptrIyEEEEPyy9plus_mod3IyEEE10hipError_tPvRmT1_T2_T3_mT4_P12ihipStream_tbEUlT_E0_NS1_11comp_targetILNS1_3genE5ELNS1_11target_archE942ELNS1_3gpuE9ELNS1_3repE0EEENS1_30default_config_static_selectorELNS0_4arch9wavefront6targetE1EEEvSK_
	.p2align	8
	.type	_ZN7rocprim17ROCPRIM_400000_NS6detail17trampoline_kernelINS0_14default_configENS1_22reduce_config_selectorIyEEZNS1_11reduce_implILb1ES3_N6thrust23THRUST_200600_302600_NS6detail15normal_iteratorINS8_10device_ptrIyEEEEPyy9plus_mod3IyEEE10hipError_tPvRmT1_T2_T3_mT4_P12ihipStream_tbEUlT_E0_NS1_11comp_targetILNS1_3genE5ELNS1_11target_archE942ELNS1_3gpuE9ELNS1_3repE0EEENS1_30default_config_static_selectorELNS0_4arch9wavefront6targetE1EEEvSK_,@function
_ZN7rocprim17ROCPRIM_400000_NS6detail17trampoline_kernelINS0_14default_configENS1_22reduce_config_selectorIyEEZNS1_11reduce_implILb1ES3_N6thrust23THRUST_200600_302600_NS6detail15normal_iteratorINS8_10device_ptrIyEEEEPyy9plus_mod3IyEEE10hipError_tPvRmT1_T2_T3_mT4_P12ihipStream_tbEUlT_E0_NS1_11comp_targetILNS1_3genE5ELNS1_11target_archE942ELNS1_3gpuE9ELNS1_3repE0EEENS1_30default_config_static_selectorELNS0_4arch9wavefront6targetE1EEEvSK_: ; @_ZN7rocprim17ROCPRIM_400000_NS6detail17trampoline_kernelINS0_14default_configENS1_22reduce_config_selectorIyEEZNS1_11reduce_implILb1ES3_N6thrust23THRUST_200600_302600_NS6detail15normal_iteratorINS8_10device_ptrIyEEEEPyy9plus_mod3IyEEE10hipError_tPvRmT1_T2_T3_mT4_P12ihipStream_tbEUlT_E0_NS1_11comp_targetILNS1_3genE5ELNS1_11target_archE942ELNS1_3gpuE9ELNS1_3repE0EEENS1_30default_config_static_selectorELNS0_4arch9wavefront6targetE1EEEvSK_
; %bb.0:
	.section	.rodata,"a",@progbits
	.p2align	6, 0x0
	.amdhsa_kernel _ZN7rocprim17ROCPRIM_400000_NS6detail17trampoline_kernelINS0_14default_configENS1_22reduce_config_selectorIyEEZNS1_11reduce_implILb1ES3_N6thrust23THRUST_200600_302600_NS6detail15normal_iteratorINS8_10device_ptrIyEEEEPyy9plus_mod3IyEEE10hipError_tPvRmT1_T2_T3_mT4_P12ihipStream_tbEUlT_E0_NS1_11comp_targetILNS1_3genE5ELNS1_11target_archE942ELNS1_3gpuE9ELNS1_3repE0EEENS1_30default_config_static_selectorELNS0_4arch9wavefront6targetE1EEEvSK_
		.amdhsa_group_segment_fixed_size 0
		.amdhsa_private_segment_fixed_size 0
		.amdhsa_kernarg_size 64
		.amdhsa_user_sgpr_count 2
		.amdhsa_user_sgpr_dispatch_ptr 0
		.amdhsa_user_sgpr_queue_ptr 0
		.amdhsa_user_sgpr_kernarg_segment_ptr 1
		.amdhsa_user_sgpr_dispatch_id 0
		.amdhsa_user_sgpr_kernarg_preload_length 0
		.amdhsa_user_sgpr_kernarg_preload_offset 0
		.amdhsa_user_sgpr_private_segment_size 0
		.amdhsa_uses_dynamic_stack 0
		.amdhsa_enable_private_segment 0
		.amdhsa_system_sgpr_workgroup_id_x 1
		.amdhsa_system_sgpr_workgroup_id_y 0
		.amdhsa_system_sgpr_workgroup_id_z 0
		.amdhsa_system_sgpr_workgroup_info 0
		.amdhsa_system_vgpr_workitem_id 0
		.amdhsa_next_free_vgpr 1
		.amdhsa_next_free_sgpr 0
		.amdhsa_accum_offset 4
		.amdhsa_reserve_vcc 0
		.amdhsa_float_round_mode_32 0
		.amdhsa_float_round_mode_16_64 0
		.amdhsa_float_denorm_mode_32 3
		.amdhsa_float_denorm_mode_16_64 3
		.amdhsa_dx10_clamp 1
		.amdhsa_ieee_mode 1
		.amdhsa_fp16_overflow 0
		.amdhsa_tg_split 0
		.amdhsa_exception_fp_ieee_invalid_op 0
		.amdhsa_exception_fp_denorm_src 0
		.amdhsa_exception_fp_ieee_div_zero 0
		.amdhsa_exception_fp_ieee_overflow 0
		.amdhsa_exception_fp_ieee_underflow 0
		.amdhsa_exception_fp_ieee_inexact 0
		.amdhsa_exception_int_div_zero 0
	.end_amdhsa_kernel
	.section	.text._ZN7rocprim17ROCPRIM_400000_NS6detail17trampoline_kernelINS0_14default_configENS1_22reduce_config_selectorIyEEZNS1_11reduce_implILb1ES3_N6thrust23THRUST_200600_302600_NS6detail15normal_iteratorINS8_10device_ptrIyEEEEPyy9plus_mod3IyEEE10hipError_tPvRmT1_T2_T3_mT4_P12ihipStream_tbEUlT_E0_NS1_11comp_targetILNS1_3genE5ELNS1_11target_archE942ELNS1_3gpuE9ELNS1_3repE0EEENS1_30default_config_static_selectorELNS0_4arch9wavefront6targetE1EEEvSK_,"axG",@progbits,_ZN7rocprim17ROCPRIM_400000_NS6detail17trampoline_kernelINS0_14default_configENS1_22reduce_config_selectorIyEEZNS1_11reduce_implILb1ES3_N6thrust23THRUST_200600_302600_NS6detail15normal_iteratorINS8_10device_ptrIyEEEEPyy9plus_mod3IyEEE10hipError_tPvRmT1_T2_T3_mT4_P12ihipStream_tbEUlT_E0_NS1_11comp_targetILNS1_3genE5ELNS1_11target_archE942ELNS1_3gpuE9ELNS1_3repE0EEENS1_30default_config_static_selectorELNS0_4arch9wavefront6targetE1EEEvSK_,comdat
.Lfunc_end786:
	.size	_ZN7rocprim17ROCPRIM_400000_NS6detail17trampoline_kernelINS0_14default_configENS1_22reduce_config_selectorIyEEZNS1_11reduce_implILb1ES3_N6thrust23THRUST_200600_302600_NS6detail15normal_iteratorINS8_10device_ptrIyEEEEPyy9plus_mod3IyEEE10hipError_tPvRmT1_T2_T3_mT4_P12ihipStream_tbEUlT_E0_NS1_11comp_targetILNS1_3genE5ELNS1_11target_archE942ELNS1_3gpuE9ELNS1_3repE0EEENS1_30default_config_static_selectorELNS0_4arch9wavefront6targetE1EEEvSK_, .Lfunc_end786-_ZN7rocprim17ROCPRIM_400000_NS6detail17trampoline_kernelINS0_14default_configENS1_22reduce_config_selectorIyEEZNS1_11reduce_implILb1ES3_N6thrust23THRUST_200600_302600_NS6detail15normal_iteratorINS8_10device_ptrIyEEEEPyy9plus_mod3IyEEE10hipError_tPvRmT1_T2_T3_mT4_P12ihipStream_tbEUlT_E0_NS1_11comp_targetILNS1_3genE5ELNS1_11target_archE942ELNS1_3gpuE9ELNS1_3repE0EEENS1_30default_config_static_selectorELNS0_4arch9wavefront6targetE1EEEvSK_
                                        ; -- End function
	.set _ZN7rocprim17ROCPRIM_400000_NS6detail17trampoline_kernelINS0_14default_configENS1_22reduce_config_selectorIyEEZNS1_11reduce_implILb1ES3_N6thrust23THRUST_200600_302600_NS6detail15normal_iteratorINS8_10device_ptrIyEEEEPyy9plus_mod3IyEEE10hipError_tPvRmT1_T2_T3_mT4_P12ihipStream_tbEUlT_E0_NS1_11comp_targetILNS1_3genE5ELNS1_11target_archE942ELNS1_3gpuE9ELNS1_3repE0EEENS1_30default_config_static_selectorELNS0_4arch9wavefront6targetE1EEEvSK_.num_vgpr, 0
	.set _ZN7rocprim17ROCPRIM_400000_NS6detail17trampoline_kernelINS0_14default_configENS1_22reduce_config_selectorIyEEZNS1_11reduce_implILb1ES3_N6thrust23THRUST_200600_302600_NS6detail15normal_iteratorINS8_10device_ptrIyEEEEPyy9plus_mod3IyEEE10hipError_tPvRmT1_T2_T3_mT4_P12ihipStream_tbEUlT_E0_NS1_11comp_targetILNS1_3genE5ELNS1_11target_archE942ELNS1_3gpuE9ELNS1_3repE0EEENS1_30default_config_static_selectorELNS0_4arch9wavefront6targetE1EEEvSK_.num_agpr, 0
	.set _ZN7rocprim17ROCPRIM_400000_NS6detail17trampoline_kernelINS0_14default_configENS1_22reduce_config_selectorIyEEZNS1_11reduce_implILb1ES3_N6thrust23THRUST_200600_302600_NS6detail15normal_iteratorINS8_10device_ptrIyEEEEPyy9plus_mod3IyEEE10hipError_tPvRmT1_T2_T3_mT4_P12ihipStream_tbEUlT_E0_NS1_11comp_targetILNS1_3genE5ELNS1_11target_archE942ELNS1_3gpuE9ELNS1_3repE0EEENS1_30default_config_static_selectorELNS0_4arch9wavefront6targetE1EEEvSK_.numbered_sgpr, 0
	.set _ZN7rocprim17ROCPRIM_400000_NS6detail17trampoline_kernelINS0_14default_configENS1_22reduce_config_selectorIyEEZNS1_11reduce_implILb1ES3_N6thrust23THRUST_200600_302600_NS6detail15normal_iteratorINS8_10device_ptrIyEEEEPyy9plus_mod3IyEEE10hipError_tPvRmT1_T2_T3_mT4_P12ihipStream_tbEUlT_E0_NS1_11comp_targetILNS1_3genE5ELNS1_11target_archE942ELNS1_3gpuE9ELNS1_3repE0EEENS1_30default_config_static_selectorELNS0_4arch9wavefront6targetE1EEEvSK_.num_named_barrier, 0
	.set _ZN7rocprim17ROCPRIM_400000_NS6detail17trampoline_kernelINS0_14default_configENS1_22reduce_config_selectorIyEEZNS1_11reduce_implILb1ES3_N6thrust23THRUST_200600_302600_NS6detail15normal_iteratorINS8_10device_ptrIyEEEEPyy9plus_mod3IyEEE10hipError_tPvRmT1_T2_T3_mT4_P12ihipStream_tbEUlT_E0_NS1_11comp_targetILNS1_3genE5ELNS1_11target_archE942ELNS1_3gpuE9ELNS1_3repE0EEENS1_30default_config_static_selectorELNS0_4arch9wavefront6targetE1EEEvSK_.private_seg_size, 0
	.set _ZN7rocprim17ROCPRIM_400000_NS6detail17trampoline_kernelINS0_14default_configENS1_22reduce_config_selectorIyEEZNS1_11reduce_implILb1ES3_N6thrust23THRUST_200600_302600_NS6detail15normal_iteratorINS8_10device_ptrIyEEEEPyy9plus_mod3IyEEE10hipError_tPvRmT1_T2_T3_mT4_P12ihipStream_tbEUlT_E0_NS1_11comp_targetILNS1_3genE5ELNS1_11target_archE942ELNS1_3gpuE9ELNS1_3repE0EEENS1_30default_config_static_selectorELNS0_4arch9wavefront6targetE1EEEvSK_.uses_vcc, 0
	.set _ZN7rocprim17ROCPRIM_400000_NS6detail17trampoline_kernelINS0_14default_configENS1_22reduce_config_selectorIyEEZNS1_11reduce_implILb1ES3_N6thrust23THRUST_200600_302600_NS6detail15normal_iteratorINS8_10device_ptrIyEEEEPyy9plus_mod3IyEEE10hipError_tPvRmT1_T2_T3_mT4_P12ihipStream_tbEUlT_E0_NS1_11comp_targetILNS1_3genE5ELNS1_11target_archE942ELNS1_3gpuE9ELNS1_3repE0EEENS1_30default_config_static_selectorELNS0_4arch9wavefront6targetE1EEEvSK_.uses_flat_scratch, 0
	.set _ZN7rocprim17ROCPRIM_400000_NS6detail17trampoline_kernelINS0_14default_configENS1_22reduce_config_selectorIyEEZNS1_11reduce_implILb1ES3_N6thrust23THRUST_200600_302600_NS6detail15normal_iteratorINS8_10device_ptrIyEEEEPyy9plus_mod3IyEEE10hipError_tPvRmT1_T2_T3_mT4_P12ihipStream_tbEUlT_E0_NS1_11comp_targetILNS1_3genE5ELNS1_11target_archE942ELNS1_3gpuE9ELNS1_3repE0EEENS1_30default_config_static_selectorELNS0_4arch9wavefront6targetE1EEEvSK_.has_dyn_sized_stack, 0
	.set _ZN7rocprim17ROCPRIM_400000_NS6detail17trampoline_kernelINS0_14default_configENS1_22reduce_config_selectorIyEEZNS1_11reduce_implILb1ES3_N6thrust23THRUST_200600_302600_NS6detail15normal_iteratorINS8_10device_ptrIyEEEEPyy9plus_mod3IyEEE10hipError_tPvRmT1_T2_T3_mT4_P12ihipStream_tbEUlT_E0_NS1_11comp_targetILNS1_3genE5ELNS1_11target_archE942ELNS1_3gpuE9ELNS1_3repE0EEENS1_30default_config_static_selectorELNS0_4arch9wavefront6targetE1EEEvSK_.has_recursion, 0
	.set _ZN7rocprim17ROCPRIM_400000_NS6detail17trampoline_kernelINS0_14default_configENS1_22reduce_config_selectorIyEEZNS1_11reduce_implILb1ES3_N6thrust23THRUST_200600_302600_NS6detail15normal_iteratorINS8_10device_ptrIyEEEEPyy9plus_mod3IyEEE10hipError_tPvRmT1_T2_T3_mT4_P12ihipStream_tbEUlT_E0_NS1_11comp_targetILNS1_3genE5ELNS1_11target_archE942ELNS1_3gpuE9ELNS1_3repE0EEENS1_30default_config_static_selectorELNS0_4arch9wavefront6targetE1EEEvSK_.has_indirect_call, 0
	.section	.AMDGPU.csdata,"",@progbits
; Kernel info:
; codeLenInByte = 0
; TotalNumSgprs: 6
; NumVgprs: 0
; NumAgprs: 0
; TotalNumVgprs: 0
; ScratchSize: 0
; MemoryBound: 0
; FloatMode: 240
; IeeeMode: 1
; LDSByteSize: 0 bytes/workgroup (compile time only)
; SGPRBlocks: 0
; VGPRBlocks: 0
; NumSGPRsForWavesPerEU: 6
; NumVGPRsForWavesPerEU: 1
; AccumOffset: 4
; Occupancy: 8
; WaveLimiterHint : 0
; COMPUTE_PGM_RSRC2:SCRATCH_EN: 0
; COMPUTE_PGM_RSRC2:USER_SGPR: 2
; COMPUTE_PGM_RSRC2:TRAP_HANDLER: 0
; COMPUTE_PGM_RSRC2:TGID_X_EN: 1
; COMPUTE_PGM_RSRC2:TGID_Y_EN: 0
; COMPUTE_PGM_RSRC2:TGID_Z_EN: 0
; COMPUTE_PGM_RSRC2:TIDIG_COMP_CNT: 0
; COMPUTE_PGM_RSRC3_GFX90A:ACCUM_OFFSET: 0
; COMPUTE_PGM_RSRC3_GFX90A:TG_SPLIT: 0
	.section	.text._ZN7rocprim17ROCPRIM_400000_NS6detail17trampoline_kernelINS0_14default_configENS1_22reduce_config_selectorIyEEZNS1_11reduce_implILb1ES3_N6thrust23THRUST_200600_302600_NS6detail15normal_iteratorINS8_10device_ptrIyEEEEPyy9plus_mod3IyEEE10hipError_tPvRmT1_T2_T3_mT4_P12ihipStream_tbEUlT_E0_NS1_11comp_targetILNS1_3genE4ELNS1_11target_archE910ELNS1_3gpuE8ELNS1_3repE0EEENS1_30default_config_static_selectorELNS0_4arch9wavefront6targetE1EEEvSK_,"axG",@progbits,_ZN7rocprim17ROCPRIM_400000_NS6detail17trampoline_kernelINS0_14default_configENS1_22reduce_config_selectorIyEEZNS1_11reduce_implILb1ES3_N6thrust23THRUST_200600_302600_NS6detail15normal_iteratorINS8_10device_ptrIyEEEEPyy9plus_mod3IyEEE10hipError_tPvRmT1_T2_T3_mT4_P12ihipStream_tbEUlT_E0_NS1_11comp_targetILNS1_3genE4ELNS1_11target_archE910ELNS1_3gpuE8ELNS1_3repE0EEENS1_30default_config_static_selectorELNS0_4arch9wavefront6targetE1EEEvSK_,comdat
	.protected	_ZN7rocprim17ROCPRIM_400000_NS6detail17trampoline_kernelINS0_14default_configENS1_22reduce_config_selectorIyEEZNS1_11reduce_implILb1ES3_N6thrust23THRUST_200600_302600_NS6detail15normal_iteratorINS8_10device_ptrIyEEEEPyy9plus_mod3IyEEE10hipError_tPvRmT1_T2_T3_mT4_P12ihipStream_tbEUlT_E0_NS1_11comp_targetILNS1_3genE4ELNS1_11target_archE910ELNS1_3gpuE8ELNS1_3repE0EEENS1_30default_config_static_selectorELNS0_4arch9wavefront6targetE1EEEvSK_ ; -- Begin function _ZN7rocprim17ROCPRIM_400000_NS6detail17trampoline_kernelINS0_14default_configENS1_22reduce_config_selectorIyEEZNS1_11reduce_implILb1ES3_N6thrust23THRUST_200600_302600_NS6detail15normal_iteratorINS8_10device_ptrIyEEEEPyy9plus_mod3IyEEE10hipError_tPvRmT1_T2_T3_mT4_P12ihipStream_tbEUlT_E0_NS1_11comp_targetILNS1_3genE4ELNS1_11target_archE910ELNS1_3gpuE8ELNS1_3repE0EEENS1_30default_config_static_selectorELNS0_4arch9wavefront6targetE1EEEvSK_
	.globl	_ZN7rocprim17ROCPRIM_400000_NS6detail17trampoline_kernelINS0_14default_configENS1_22reduce_config_selectorIyEEZNS1_11reduce_implILb1ES3_N6thrust23THRUST_200600_302600_NS6detail15normal_iteratorINS8_10device_ptrIyEEEEPyy9plus_mod3IyEEE10hipError_tPvRmT1_T2_T3_mT4_P12ihipStream_tbEUlT_E0_NS1_11comp_targetILNS1_3genE4ELNS1_11target_archE910ELNS1_3gpuE8ELNS1_3repE0EEENS1_30default_config_static_selectorELNS0_4arch9wavefront6targetE1EEEvSK_
	.p2align	8
	.type	_ZN7rocprim17ROCPRIM_400000_NS6detail17trampoline_kernelINS0_14default_configENS1_22reduce_config_selectorIyEEZNS1_11reduce_implILb1ES3_N6thrust23THRUST_200600_302600_NS6detail15normal_iteratorINS8_10device_ptrIyEEEEPyy9plus_mod3IyEEE10hipError_tPvRmT1_T2_T3_mT4_P12ihipStream_tbEUlT_E0_NS1_11comp_targetILNS1_3genE4ELNS1_11target_archE910ELNS1_3gpuE8ELNS1_3repE0EEENS1_30default_config_static_selectorELNS0_4arch9wavefront6targetE1EEEvSK_,@function
_ZN7rocprim17ROCPRIM_400000_NS6detail17trampoline_kernelINS0_14default_configENS1_22reduce_config_selectorIyEEZNS1_11reduce_implILb1ES3_N6thrust23THRUST_200600_302600_NS6detail15normal_iteratorINS8_10device_ptrIyEEEEPyy9plus_mod3IyEEE10hipError_tPvRmT1_T2_T3_mT4_P12ihipStream_tbEUlT_E0_NS1_11comp_targetILNS1_3genE4ELNS1_11target_archE910ELNS1_3gpuE8ELNS1_3repE0EEENS1_30default_config_static_selectorELNS0_4arch9wavefront6targetE1EEEvSK_: ; @_ZN7rocprim17ROCPRIM_400000_NS6detail17trampoline_kernelINS0_14default_configENS1_22reduce_config_selectorIyEEZNS1_11reduce_implILb1ES3_N6thrust23THRUST_200600_302600_NS6detail15normal_iteratorINS8_10device_ptrIyEEEEPyy9plus_mod3IyEEE10hipError_tPvRmT1_T2_T3_mT4_P12ihipStream_tbEUlT_E0_NS1_11comp_targetILNS1_3genE4ELNS1_11target_archE910ELNS1_3gpuE8ELNS1_3repE0EEENS1_30default_config_static_selectorELNS0_4arch9wavefront6targetE1EEEvSK_
; %bb.0:
	.section	.rodata,"a",@progbits
	.p2align	6, 0x0
	.amdhsa_kernel _ZN7rocprim17ROCPRIM_400000_NS6detail17trampoline_kernelINS0_14default_configENS1_22reduce_config_selectorIyEEZNS1_11reduce_implILb1ES3_N6thrust23THRUST_200600_302600_NS6detail15normal_iteratorINS8_10device_ptrIyEEEEPyy9plus_mod3IyEEE10hipError_tPvRmT1_T2_T3_mT4_P12ihipStream_tbEUlT_E0_NS1_11comp_targetILNS1_3genE4ELNS1_11target_archE910ELNS1_3gpuE8ELNS1_3repE0EEENS1_30default_config_static_selectorELNS0_4arch9wavefront6targetE1EEEvSK_
		.amdhsa_group_segment_fixed_size 0
		.amdhsa_private_segment_fixed_size 0
		.amdhsa_kernarg_size 64
		.amdhsa_user_sgpr_count 2
		.amdhsa_user_sgpr_dispatch_ptr 0
		.amdhsa_user_sgpr_queue_ptr 0
		.amdhsa_user_sgpr_kernarg_segment_ptr 1
		.amdhsa_user_sgpr_dispatch_id 0
		.amdhsa_user_sgpr_kernarg_preload_length 0
		.amdhsa_user_sgpr_kernarg_preload_offset 0
		.amdhsa_user_sgpr_private_segment_size 0
		.amdhsa_uses_dynamic_stack 0
		.amdhsa_enable_private_segment 0
		.amdhsa_system_sgpr_workgroup_id_x 1
		.amdhsa_system_sgpr_workgroup_id_y 0
		.amdhsa_system_sgpr_workgroup_id_z 0
		.amdhsa_system_sgpr_workgroup_info 0
		.amdhsa_system_vgpr_workitem_id 0
		.amdhsa_next_free_vgpr 1
		.amdhsa_next_free_sgpr 0
		.amdhsa_accum_offset 4
		.amdhsa_reserve_vcc 0
		.amdhsa_float_round_mode_32 0
		.amdhsa_float_round_mode_16_64 0
		.amdhsa_float_denorm_mode_32 3
		.amdhsa_float_denorm_mode_16_64 3
		.amdhsa_dx10_clamp 1
		.amdhsa_ieee_mode 1
		.amdhsa_fp16_overflow 0
		.amdhsa_tg_split 0
		.amdhsa_exception_fp_ieee_invalid_op 0
		.amdhsa_exception_fp_denorm_src 0
		.amdhsa_exception_fp_ieee_div_zero 0
		.amdhsa_exception_fp_ieee_overflow 0
		.amdhsa_exception_fp_ieee_underflow 0
		.amdhsa_exception_fp_ieee_inexact 0
		.amdhsa_exception_int_div_zero 0
	.end_amdhsa_kernel
	.section	.text._ZN7rocprim17ROCPRIM_400000_NS6detail17trampoline_kernelINS0_14default_configENS1_22reduce_config_selectorIyEEZNS1_11reduce_implILb1ES3_N6thrust23THRUST_200600_302600_NS6detail15normal_iteratorINS8_10device_ptrIyEEEEPyy9plus_mod3IyEEE10hipError_tPvRmT1_T2_T3_mT4_P12ihipStream_tbEUlT_E0_NS1_11comp_targetILNS1_3genE4ELNS1_11target_archE910ELNS1_3gpuE8ELNS1_3repE0EEENS1_30default_config_static_selectorELNS0_4arch9wavefront6targetE1EEEvSK_,"axG",@progbits,_ZN7rocprim17ROCPRIM_400000_NS6detail17trampoline_kernelINS0_14default_configENS1_22reduce_config_selectorIyEEZNS1_11reduce_implILb1ES3_N6thrust23THRUST_200600_302600_NS6detail15normal_iteratorINS8_10device_ptrIyEEEEPyy9plus_mod3IyEEE10hipError_tPvRmT1_T2_T3_mT4_P12ihipStream_tbEUlT_E0_NS1_11comp_targetILNS1_3genE4ELNS1_11target_archE910ELNS1_3gpuE8ELNS1_3repE0EEENS1_30default_config_static_selectorELNS0_4arch9wavefront6targetE1EEEvSK_,comdat
.Lfunc_end787:
	.size	_ZN7rocprim17ROCPRIM_400000_NS6detail17trampoline_kernelINS0_14default_configENS1_22reduce_config_selectorIyEEZNS1_11reduce_implILb1ES3_N6thrust23THRUST_200600_302600_NS6detail15normal_iteratorINS8_10device_ptrIyEEEEPyy9plus_mod3IyEEE10hipError_tPvRmT1_T2_T3_mT4_P12ihipStream_tbEUlT_E0_NS1_11comp_targetILNS1_3genE4ELNS1_11target_archE910ELNS1_3gpuE8ELNS1_3repE0EEENS1_30default_config_static_selectorELNS0_4arch9wavefront6targetE1EEEvSK_, .Lfunc_end787-_ZN7rocprim17ROCPRIM_400000_NS6detail17trampoline_kernelINS0_14default_configENS1_22reduce_config_selectorIyEEZNS1_11reduce_implILb1ES3_N6thrust23THRUST_200600_302600_NS6detail15normal_iteratorINS8_10device_ptrIyEEEEPyy9plus_mod3IyEEE10hipError_tPvRmT1_T2_T3_mT4_P12ihipStream_tbEUlT_E0_NS1_11comp_targetILNS1_3genE4ELNS1_11target_archE910ELNS1_3gpuE8ELNS1_3repE0EEENS1_30default_config_static_selectorELNS0_4arch9wavefront6targetE1EEEvSK_
                                        ; -- End function
	.set _ZN7rocprim17ROCPRIM_400000_NS6detail17trampoline_kernelINS0_14default_configENS1_22reduce_config_selectorIyEEZNS1_11reduce_implILb1ES3_N6thrust23THRUST_200600_302600_NS6detail15normal_iteratorINS8_10device_ptrIyEEEEPyy9plus_mod3IyEEE10hipError_tPvRmT1_T2_T3_mT4_P12ihipStream_tbEUlT_E0_NS1_11comp_targetILNS1_3genE4ELNS1_11target_archE910ELNS1_3gpuE8ELNS1_3repE0EEENS1_30default_config_static_selectorELNS0_4arch9wavefront6targetE1EEEvSK_.num_vgpr, 0
	.set _ZN7rocprim17ROCPRIM_400000_NS6detail17trampoline_kernelINS0_14default_configENS1_22reduce_config_selectorIyEEZNS1_11reduce_implILb1ES3_N6thrust23THRUST_200600_302600_NS6detail15normal_iteratorINS8_10device_ptrIyEEEEPyy9plus_mod3IyEEE10hipError_tPvRmT1_T2_T3_mT4_P12ihipStream_tbEUlT_E0_NS1_11comp_targetILNS1_3genE4ELNS1_11target_archE910ELNS1_3gpuE8ELNS1_3repE0EEENS1_30default_config_static_selectorELNS0_4arch9wavefront6targetE1EEEvSK_.num_agpr, 0
	.set _ZN7rocprim17ROCPRIM_400000_NS6detail17trampoline_kernelINS0_14default_configENS1_22reduce_config_selectorIyEEZNS1_11reduce_implILb1ES3_N6thrust23THRUST_200600_302600_NS6detail15normal_iteratorINS8_10device_ptrIyEEEEPyy9plus_mod3IyEEE10hipError_tPvRmT1_T2_T3_mT4_P12ihipStream_tbEUlT_E0_NS1_11comp_targetILNS1_3genE4ELNS1_11target_archE910ELNS1_3gpuE8ELNS1_3repE0EEENS1_30default_config_static_selectorELNS0_4arch9wavefront6targetE1EEEvSK_.numbered_sgpr, 0
	.set _ZN7rocprim17ROCPRIM_400000_NS6detail17trampoline_kernelINS0_14default_configENS1_22reduce_config_selectorIyEEZNS1_11reduce_implILb1ES3_N6thrust23THRUST_200600_302600_NS6detail15normal_iteratorINS8_10device_ptrIyEEEEPyy9plus_mod3IyEEE10hipError_tPvRmT1_T2_T3_mT4_P12ihipStream_tbEUlT_E0_NS1_11comp_targetILNS1_3genE4ELNS1_11target_archE910ELNS1_3gpuE8ELNS1_3repE0EEENS1_30default_config_static_selectorELNS0_4arch9wavefront6targetE1EEEvSK_.num_named_barrier, 0
	.set _ZN7rocprim17ROCPRIM_400000_NS6detail17trampoline_kernelINS0_14default_configENS1_22reduce_config_selectorIyEEZNS1_11reduce_implILb1ES3_N6thrust23THRUST_200600_302600_NS6detail15normal_iteratorINS8_10device_ptrIyEEEEPyy9plus_mod3IyEEE10hipError_tPvRmT1_T2_T3_mT4_P12ihipStream_tbEUlT_E0_NS1_11comp_targetILNS1_3genE4ELNS1_11target_archE910ELNS1_3gpuE8ELNS1_3repE0EEENS1_30default_config_static_selectorELNS0_4arch9wavefront6targetE1EEEvSK_.private_seg_size, 0
	.set _ZN7rocprim17ROCPRIM_400000_NS6detail17trampoline_kernelINS0_14default_configENS1_22reduce_config_selectorIyEEZNS1_11reduce_implILb1ES3_N6thrust23THRUST_200600_302600_NS6detail15normal_iteratorINS8_10device_ptrIyEEEEPyy9plus_mod3IyEEE10hipError_tPvRmT1_T2_T3_mT4_P12ihipStream_tbEUlT_E0_NS1_11comp_targetILNS1_3genE4ELNS1_11target_archE910ELNS1_3gpuE8ELNS1_3repE0EEENS1_30default_config_static_selectorELNS0_4arch9wavefront6targetE1EEEvSK_.uses_vcc, 0
	.set _ZN7rocprim17ROCPRIM_400000_NS6detail17trampoline_kernelINS0_14default_configENS1_22reduce_config_selectorIyEEZNS1_11reduce_implILb1ES3_N6thrust23THRUST_200600_302600_NS6detail15normal_iteratorINS8_10device_ptrIyEEEEPyy9plus_mod3IyEEE10hipError_tPvRmT1_T2_T3_mT4_P12ihipStream_tbEUlT_E0_NS1_11comp_targetILNS1_3genE4ELNS1_11target_archE910ELNS1_3gpuE8ELNS1_3repE0EEENS1_30default_config_static_selectorELNS0_4arch9wavefront6targetE1EEEvSK_.uses_flat_scratch, 0
	.set _ZN7rocprim17ROCPRIM_400000_NS6detail17trampoline_kernelINS0_14default_configENS1_22reduce_config_selectorIyEEZNS1_11reduce_implILb1ES3_N6thrust23THRUST_200600_302600_NS6detail15normal_iteratorINS8_10device_ptrIyEEEEPyy9plus_mod3IyEEE10hipError_tPvRmT1_T2_T3_mT4_P12ihipStream_tbEUlT_E0_NS1_11comp_targetILNS1_3genE4ELNS1_11target_archE910ELNS1_3gpuE8ELNS1_3repE0EEENS1_30default_config_static_selectorELNS0_4arch9wavefront6targetE1EEEvSK_.has_dyn_sized_stack, 0
	.set _ZN7rocprim17ROCPRIM_400000_NS6detail17trampoline_kernelINS0_14default_configENS1_22reduce_config_selectorIyEEZNS1_11reduce_implILb1ES3_N6thrust23THRUST_200600_302600_NS6detail15normal_iteratorINS8_10device_ptrIyEEEEPyy9plus_mod3IyEEE10hipError_tPvRmT1_T2_T3_mT4_P12ihipStream_tbEUlT_E0_NS1_11comp_targetILNS1_3genE4ELNS1_11target_archE910ELNS1_3gpuE8ELNS1_3repE0EEENS1_30default_config_static_selectorELNS0_4arch9wavefront6targetE1EEEvSK_.has_recursion, 0
	.set _ZN7rocprim17ROCPRIM_400000_NS6detail17trampoline_kernelINS0_14default_configENS1_22reduce_config_selectorIyEEZNS1_11reduce_implILb1ES3_N6thrust23THRUST_200600_302600_NS6detail15normal_iteratorINS8_10device_ptrIyEEEEPyy9plus_mod3IyEEE10hipError_tPvRmT1_T2_T3_mT4_P12ihipStream_tbEUlT_E0_NS1_11comp_targetILNS1_3genE4ELNS1_11target_archE910ELNS1_3gpuE8ELNS1_3repE0EEENS1_30default_config_static_selectorELNS0_4arch9wavefront6targetE1EEEvSK_.has_indirect_call, 0
	.section	.AMDGPU.csdata,"",@progbits
; Kernel info:
; codeLenInByte = 0
; TotalNumSgprs: 6
; NumVgprs: 0
; NumAgprs: 0
; TotalNumVgprs: 0
; ScratchSize: 0
; MemoryBound: 0
; FloatMode: 240
; IeeeMode: 1
; LDSByteSize: 0 bytes/workgroup (compile time only)
; SGPRBlocks: 0
; VGPRBlocks: 0
; NumSGPRsForWavesPerEU: 6
; NumVGPRsForWavesPerEU: 1
; AccumOffset: 4
; Occupancy: 8
; WaveLimiterHint : 0
; COMPUTE_PGM_RSRC2:SCRATCH_EN: 0
; COMPUTE_PGM_RSRC2:USER_SGPR: 2
; COMPUTE_PGM_RSRC2:TRAP_HANDLER: 0
; COMPUTE_PGM_RSRC2:TGID_X_EN: 1
; COMPUTE_PGM_RSRC2:TGID_Y_EN: 0
; COMPUTE_PGM_RSRC2:TGID_Z_EN: 0
; COMPUTE_PGM_RSRC2:TIDIG_COMP_CNT: 0
; COMPUTE_PGM_RSRC3_GFX90A:ACCUM_OFFSET: 0
; COMPUTE_PGM_RSRC3_GFX90A:TG_SPLIT: 0
	.section	.text._ZN7rocprim17ROCPRIM_400000_NS6detail17trampoline_kernelINS0_14default_configENS1_22reduce_config_selectorIyEEZNS1_11reduce_implILb1ES3_N6thrust23THRUST_200600_302600_NS6detail15normal_iteratorINS8_10device_ptrIyEEEEPyy9plus_mod3IyEEE10hipError_tPvRmT1_T2_T3_mT4_P12ihipStream_tbEUlT_E0_NS1_11comp_targetILNS1_3genE3ELNS1_11target_archE908ELNS1_3gpuE7ELNS1_3repE0EEENS1_30default_config_static_selectorELNS0_4arch9wavefront6targetE1EEEvSK_,"axG",@progbits,_ZN7rocprim17ROCPRIM_400000_NS6detail17trampoline_kernelINS0_14default_configENS1_22reduce_config_selectorIyEEZNS1_11reduce_implILb1ES3_N6thrust23THRUST_200600_302600_NS6detail15normal_iteratorINS8_10device_ptrIyEEEEPyy9plus_mod3IyEEE10hipError_tPvRmT1_T2_T3_mT4_P12ihipStream_tbEUlT_E0_NS1_11comp_targetILNS1_3genE3ELNS1_11target_archE908ELNS1_3gpuE7ELNS1_3repE0EEENS1_30default_config_static_selectorELNS0_4arch9wavefront6targetE1EEEvSK_,comdat
	.protected	_ZN7rocprim17ROCPRIM_400000_NS6detail17trampoline_kernelINS0_14default_configENS1_22reduce_config_selectorIyEEZNS1_11reduce_implILb1ES3_N6thrust23THRUST_200600_302600_NS6detail15normal_iteratorINS8_10device_ptrIyEEEEPyy9plus_mod3IyEEE10hipError_tPvRmT1_T2_T3_mT4_P12ihipStream_tbEUlT_E0_NS1_11comp_targetILNS1_3genE3ELNS1_11target_archE908ELNS1_3gpuE7ELNS1_3repE0EEENS1_30default_config_static_selectorELNS0_4arch9wavefront6targetE1EEEvSK_ ; -- Begin function _ZN7rocprim17ROCPRIM_400000_NS6detail17trampoline_kernelINS0_14default_configENS1_22reduce_config_selectorIyEEZNS1_11reduce_implILb1ES3_N6thrust23THRUST_200600_302600_NS6detail15normal_iteratorINS8_10device_ptrIyEEEEPyy9plus_mod3IyEEE10hipError_tPvRmT1_T2_T3_mT4_P12ihipStream_tbEUlT_E0_NS1_11comp_targetILNS1_3genE3ELNS1_11target_archE908ELNS1_3gpuE7ELNS1_3repE0EEENS1_30default_config_static_selectorELNS0_4arch9wavefront6targetE1EEEvSK_
	.globl	_ZN7rocprim17ROCPRIM_400000_NS6detail17trampoline_kernelINS0_14default_configENS1_22reduce_config_selectorIyEEZNS1_11reduce_implILb1ES3_N6thrust23THRUST_200600_302600_NS6detail15normal_iteratorINS8_10device_ptrIyEEEEPyy9plus_mod3IyEEE10hipError_tPvRmT1_T2_T3_mT4_P12ihipStream_tbEUlT_E0_NS1_11comp_targetILNS1_3genE3ELNS1_11target_archE908ELNS1_3gpuE7ELNS1_3repE0EEENS1_30default_config_static_selectorELNS0_4arch9wavefront6targetE1EEEvSK_
	.p2align	8
	.type	_ZN7rocprim17ROCPRIM_400000_NS6detail17trampoline_kernelINS0_14default_configENS1_22reduce_config_selectorIyEEZNS1_11reduce_implILb1ES3_N6thrust23THRUST_200600_302600_NS6detail15normal_iteratorINS8_10device_ptrIyEEEEPyy9plus_mod3IyEEE10hipError_tPvRmT1_T2_T3_mT4_P12ihipStream_tbEUlT_E0_NS1_11comp_targetILNS1_3genE3ELNS1_11target_archE908ELNS1_3gpuE7ELNS1_3repE0EEENS1_30default_config_static_selectorELNS0_4arch9wavefront6targetE1EEEvSK_,@function
_ZN7rocprim17ROCPRIM_400000_NS6detail17trampoline_kernelINS0_14default_configENS1_22reduce_config_selectorIyEEZNS1_11reduce_implILb1ES3_N6thrust23THRUST_200600_302600_NS6detail15normal_iteratorINS8_10device_ptrIyEEEEPyy9plus_mod3IyEEE10hipError_tPvRmT1_T2_T3_mT4_P12ihipStream_tbEUlT_E0_NS1_11comp_targetILNS1_3genE3ELNS1_11target_archE908ELNS1_3gpuE7ELNS1_3repE0EEENS1_30default_config_static_selectorELNS0_4arch9wavefront6targetE1EEEvSK_: ; @_ZN7rocprim17ROCPRIM_400000_NS6detail17trampoline_kernelINS0_14default_configENS1_22reduce_config_selectorIyEEZNS1_11reduce_implILb1ES3_N6thrust23THRUST_200600_302600_NS6detail15normal_iteratorINS8_10device_ptrIyEEEEPyy9plus_mod3IyEEE10hipError_tPvRmT1_T2_T3_mT4_P12ihipStream_tbEUlT_E0_NS1_11comp_targetILNS1_3genE3ELNS1_11target_archE908ELNS1_3gpuE7ELNS1_3repE0EEENS1_30default_config_static_selectorELNS0_4arch9wavefront6targetE1EEEvSK_
; %bb.0:
	.section	.rodata,"a",@progbits
	.p2align	6, 0x0
	.amdhsa_kernel _ZN7rocprim17ROCPRIM_400000_NS6detail17trampoline_kernelINS0_14default_configENS1_22reduce_config_selectorIyEEZNS1_11reduce_implILb1ES3_N6thrust23THRUST_200600_302600_NS6detail15normal_iteratorINS8_10device_ptrIyEEEEPyy9plus_mod3IyEEE10hipError_tPvRmT1_T2_T3_mT4_P12ihipStream_tbEUlT_E0_NS1_11comp_targetILNS1_3genE3ELNS1_11target_archE908ELNS1_3gpuE7ELNS1_3repE0EEENS1_30default_config_static_selectorELNS0_4arch9wavefront6targetE1EEEvSK_
		.amdhsa_group_segment_fixed_size 0
		.amdhsa_private_segment_fixed_size 0
		.amdhsa_kernarg_size 64
		.amdhsa_user_sgpr_count 2
		.amdhsa_user_sgpr_dispatch_ptr 0
		.amdhsa_user_sgpr_queue_ptr 0
		.amdhsa_user_sgpr_kernarg_segment_ptr 1
		.amdhsa_user_sgpr_dispatch_id 0
		.amdhsa_user_sgpr_kernarg_preload_length 0
		.amdhsa_user_sgpr_kernarg_preload_offset 0
		.amdhsa_user_sgpr_private_segment_size 0
		.amdhsa_uses_dynamic_stack 0
		.amdhsa_enable_private_segment 0
		.amdhsa_system_sgpr_workgroup_id_x 1
		.amdhsa_system_sgpr_workgroup_id_y 0
		.amdhsa_system_sgpr_workgroup_id_z 0
		.amdhsa_system_sgpr_workgroup_info 0
		.amdhsa_system_vgpr_workitem_id 0
		.amdhsa_next_free_vgpr 1
		.amdhsa_next_free_sgpr 0
		.amdhsa_accum_offset 4
		.amdhsa_reserve_vcc 0
		.amdhsa_float_round_mode_32 0
		.amdhsa_float_round_mode_16_64 0
		.amdhsa_float_denorm_mode_32 3
		.amdhsa_float_denorm_mode_16_64 3
		.amdhsa_dx10_clamp 1
		.amdhsa_ieee_mode 1
		.amdhsa_fp16_overflow 0
		.amdhsa_tg_split 0
		.amdhsa_exception_fp_ieee_invalid_op 0
		.amdhsa_exception_fp_denorm_src 0
		.amdhsa_exception_fp_ieee_div_zero 0
		.amdhsa_exception_fp_ieee_overflow 0
		.amdhsa_exception_fp_ieee_underflow 0
		.amdhsa_exception_fp_ieee_inexact 0
		.amdhsa_exception_int_div_zero 0
	.end_amdhsa_kernel
	.section	.text._ZN7rocprim17ROCPRIM_400000_NS6detail17trampoline_kernelINS0_14default_configENS1_22reduce_config_selectorIyEEZNS1_11reduce_implILb1ES3_N6thrust23THRUST_200600_302600_NS6detail15normal_iteratorINS8_10device_ptrIyEEEEPyy9plus_mod3IyEEE10hipError_tPvRmT1_T2_T3_mT4_P12ihipStream_tbEUlT_E0_NS1_11comp_targetILNS1_3genE3ELNS1_11target_archE908ELNS1_3gpuE7ELNS1_3repE0EEENS1_30default_config_static_selectorELNS0_4arch9wavefront6targetE1EEEvSK_,"axG",@progbits,_ZN7rocprim17ROCPRIM_400000_NS6detail17trampoline_kernelINS0_14default_configENS1_22reduce_config_selectorIyEEZNS1_11reduce_implILb1ES3_N6thrust23THRUST_200600_302600_NS6detail15normal_iteratorINS8_10device_ptrIyEEEEPyy9plus_mod3IyEEE10hipError_tPvRmT1_T2_T3_mT4_P12ihipStream_tbEUlT_E0_NS1_11comp_targetILNS1_3genE3ELNS1_11target_archE908ELNS1_3gpuE7ELNS1_3repE0EEENS1_30default_config_static_selectorELNS0_4arch9wavefront6targetE1EEEvSK_,comdat
.Lfunc_end788:
	.size	_ZN7rocprim17ROCPRIM_400000_NS6detail17trampoline_kernelINS0_14default_configENS1_22reduce_config_selectorIyEEZNS1_11reduce_implILb1ES3_N6thrust23THRUST_200600_302600_NS6detail15normal_iteratorINS8_10device_ptrIyEEEEPyy9plus_mod3IyEEE10hipError_tPvRmT1_T2_T3_mT4_P12ihipStream_tbEUlT_E0_NS1_11comp_targetILNS1_3genE3ELNS1_11target_archE908ELNS1_3gpuE7ELNS1_3repE0EEENS1_30default_config_static_selectorELNS0_4arch9wavefront6targetE1EEEvSK_, .Lfunc_end788-_ZN7rocprim17ROCPRIM_400000_NS6detail17trampoline_kernelINS0_14default_configENS1_22reduce_config_selectorIyEEZNS1_11reduce_implILb1ES3_N6thrust23THRUST_200600_302600_NS6detail15normal_iteratorINS8_10device_ptrIyEEEEPyy9plus_mod3IyEEE10hipError_tPvRmT1_T2_T3_mT4_P12ihipStream_tbEUlT_E0_NS1_11comp_targetILNS1_3genE3ELNS1_11target_archE908ELNS1_3gpuE7ELNS1_3repE0EEENS1_30default_config_static_selectorELNS0_4arch9wavefront6targetE1EEEvSK_
                                        ; -- End function
	.set _ZN7rocprim17ROCPRIM_400000_NS6detail17trampoline_kernelINS0_14default_configENS1_22reduce_config_selectorIyEEZNS1_11reduce_implILb1ES3_N6thrust23THRUST_200600_302600_NS6detail15normal_iteratorINS8_10device_ptrIyEEEEPyy9plus_mod3IyEEE10hipError_tPvRmT1_T2_T3_mT4_P12ihipStream_tbEUlT_E0_NS1_11comp_targetILNS1_3genE3ELNS1_11target_archE908ELNS1_3gpuE7ELNS1_3repE0EEENS1_30default_config_static_selectorELNS0_4arch9wavefront6targetE1EEEvSK_.num_vgpr, 0
	.set _ZN7rocprim17ROCPRIM_400000_NS6detail17trampoline_kernelINS0_14default_configENS1_22reduce_config_selectorIyEEZNS1_11reduce_implILb1ES3_N6thrust23THRUST_200600_302600_NS6detail15normal_iteratorINS8_10device_ptrIyEEEEPyy9plus_mod3IyEEE10hipError_tPvRmT1_T2_T3_mT4_P12ihipStream_tbEUlT_E0_NS1_11comp_targetILNS1_3genE3ELNS1_11target_archE908ELNS1_3gpuE7ELNS1_3repE0EEENS1_30default_config_static_selectorELNS0_4arch9wavefront6targetE1EEEvSK_.num_agpr, 0
	.set _ZN7rocprim17ROCPRIM_400000_NS6detail17trampoline_kernelINS0_14default_configENS1_22reduce_config_selectorIyEEZNS1_11reduce_implILb1ES3_N6thrust23THRUST_200600_302600_NS6detail15normal_iteratorINS8_10device_ptrIyEEEEPyy9plus_mod3IyEEE10hipError_tPvRmT1_T2_T3_mT4_P12ihipStream_tbEUlT_E0_NS1_11comp_targetILNS1_3genE3ELNS1_11target_archE908ELNS1_3gpuE7ELNS1_3repE0EEENS1_30default_config_static_selectorELNS0_4arch9wavefront6targetE1EEEvSK_.numbered_sgpr, 0
	.set _ZN7rocprim17ROCPRIM_400000_NS6detail17trampoline_kernelINS0_14default_configENS1_22reduce_config_selectorIyEEZNS1_11reduce_implILb1ES3_N6thrust23THRUST_200600_302600_NS6detail15normal_iteratorINS8_10device_ptrIyEEEEPyy9plus_mod3IyEEE10hipError_tPvRmT1_T2_T3_mT4_P12ihipStream_tbEUlT_E0_NS1_11comp_targetILNS1_3genE3ELNS1_11target_archE908ELNS1_3gpuE7ELNS1_3repE0EEENS1_30default_config_static_selectorELNS0_4arch9wavefront6targetE1EEEvSK_.num_named_barrier, 0
	.set _ZN7rocprim17ROCPRIM_400000_NS6detail17trampoline_kernelINS0_14default_configENS1_22reduce_config_selectorIyEEZNS1_11reduce_implILb1ES3_N6thrust23THRUST_200600_302600_NS6detail15normal_iteratorINS8_10device_ptrIyEEEEPyy9plus_mod3IyEEE10hipError_tPvRmT1_T2_T3_mT4_P12ihipStream_tbEUlT_E0_NS1_11comp_targetILNS1_3genE3ELNS1_11target_archE908ELNS1_3gpuE7ELNS1_3repE0EEENS1_30default_config_static_selectorELNS0_4arch9wavefront6targetE1EEEvSK_.private_seg_size, 0
	.set _ZN7rocprim17ROCPRIM_400000_NS6detail17trampoline_kernelINS0_14default_configENS1_22reduce_config_selectorIyEEZNS1_11reduce_implILb1ES3_N6thrust23THRUST_200600_302600_NS6detail15normal_iteratorINS8_10device_ptrIyEEEEPyy9plus_mod3IyEEE10hipError_tPvRmT1_T2_T3_mT4_P12ihipStream_tbEUlT_E0_NS1_11comp_targetILNS1_3genE3ELNS1_11target_archE908ELNS1_3gpuE7ELNS1_3repE0EEENS1_30default_config_static_selectorELNS0_4arch9wavefront6targetE1EEEvSK_.uses_vcc, 0
	.set _ZN7rocprim17ROCPRIM_400000_NS6detail17trampoline_kernelINS0_14default_configENS1_22reduce_config_selectorIyEEZNS1_11reduce_implILb1ES3_N6thrust23THRUST_200600_302600_NS6detail15normal_iteratorINS8_10device_ptrIyEEEEPyy9plus_mod3IyEEE10hipError_tPvRmT1_T2_T3_mT4_P12ihipStream_tbEUlT_E0_NS1_11comp_targetILNS1_3genE3ELNS1_11target_archE908ELNS1_3gpuE7ELNS1_3repE0EEENS1_30default_config_static_selectorELNS0_4arch9wavefront6targetE1EEEvSK_.uses_flat_scratch, 0
	.set _ZN7rocprim17ROCPRIM_400000_NS6detail17trampoline_kernelINS0_14default_configENS1_22reduce_config_selectorIyEEZNS1_11reduce_implILb1ES3_N6thrust23THRUST_200600_302600_NS6detail15normal_iteratorINS8_10device_ptrIyEEEEPyy9plus_mod3IyEEE10hipError_tPvRmT1_T2_T3_mT4_P12ihipStream_tbEUlT_E0_NS1_11comp_targetILNS1_3genE3ELNS1_11target_archE908ELNS1_3gpuE7ELNS1_3repE0EEENS1_30default_config_static_selectorELNS0_4arch9wavefront6targetE1EEEvSK_.has_dyn_sized_stack, 0
	.set _ZN7rocprim17ROCPRIM_400000_NS6detail17trampoline_kernelINS0_14default_configENS1_22reduce_config_selectorIyEEZNS1_11reduce_implILb1ES3_N6thrust23THRUST_200600_302600_NS6detail15normal_iteratorINS8_10device_ptrIyEEEEPyy9plus_mod3IyEEE10hipError_tPvRmT1_T2_T3_mT4_P12ihipStream_tbEUlT_E0_NS1_11comp_targetILNS1_3genE3ELNS1_11target_archE908ELNS1_3gpuE7ELNS1_3repE0EEENS1_30default_config_static_selectorELNS0_4arch9wavefront6targetE1EEEvSK_.has_recursion, 0
	.set _ZN7rocprim17ROCPRIM_400000_NS6detail17trampoline_kernelINS0_14default_configENS1_22reduce_config_selectorIyEEZNS1_11reduce_implILb1ES3_N6thrust23THRUST_200600_302600_NS6detail15normal_iteratorINS8_10device_ptrIyEEEEPyy9plus_mod3IyEEE10hipError_tPvRmT1_T2_T3_mT4_P12ihipStream_tbEUlT_E0_NS1_11comp_targetILNS1_3genE3ELNS1_11target_archE908ELNS1_3gpuE7ELNS1_3repE0EEENS1_30default_config_static_selectorELNS0_4arch9wavefront6targetE1EEEvSK_.has_indirect_call, 0
	.section	.AMDGPU.csdata,"",@progbits
; Kernel info:
; codeLenInByte = 0
; TotalNumSgprs: 6
; NumVgprs: 0
; NumAgprs: 0
; TotalNumVgprs: 0
; ScratchSize: 0
; MemoryBound: 0
; FloatMode: 240
; IeeeMode: 1
; LDSByteSize: 0 bytes/workgroup (compile time only)
; SGPRBlocks: 0
; VGPRBlocks: 0
; NumSGPRsForWavesPerEU: 6
; NumVGPRsForWavesPerEU: 1
; AccumOffset: 4
; Occupancy: 8
; WaveLimiterHint : 0
; COMPUTE_PGM_RSRC2:SCRATCH_EN: 0
; COMPUTE_PGM_RSRC2:USER_SGPR: 2
; COMPUTE_PGM_RSRC2:TRAP_HANDLER: 0
; COMPUTE_PGM_RSRC2:TGID_X_EN: 1
; COMPUTE_PGM_RSRC2:TGID_Y_EN: 0
; COMPUTE_PGM_RSRC2:TGID_Z_EN: 0
; COMPUTE_PGM_RSRC2:TIDIG_COMP_CNT: 0
; COMPUTE_PGM_RSRC3_GFX90A:ACCUM_OFFSET: 0
; COMPUTE_PGM_RSRC3_GFX90A:TG_SPLIT: 0
	.section	.text._ZN7rocprim17ROCPRIM_400000_NS6detail17trampoline_kernelINS0_14default_configENS1_22reduce_config_selectorIyEEZNS1_11reduce_implILb1ES3_N6thrust23THRUST_200600_302600_NS6detail15normal_iteratorINS8_10device_ptrIyEEEEPyy9plus_mod3IyEEE10hipError_tPvRmT1_T2_T3_mT4_P12ihipStream_tbEUlT_E0_NS1_11comp_targetILNS1_3genE2ELNS1_11target_archE906ELNS1_3gpuE6ELNS1_3repE0EEENS1_30default_config_static_selectorELNS0_4arch9wavefront6targetE1EEEvSK_,"axG",@progbits,_ZN7rocprim17ROCPRIM_400000_NS6detail17trampoline_kernelINS0_14default_configENS1_22reduce_config_selectorIyEEZNS1_11reduce_implILb1ES3_N6thrust23THRUST_200600_302600_NS6detail15normal_iteratorINS8_10device_ptrIyEEEEPyy9plus_mod3IyEEE10hipError_tPvRmT1_T2_T3_mT4_P12ihipStream_tbEUlT_E0_NS1_11comp_targetILNS1_3genE2ELNS1_11target_archE906ELNS1_3gpuE6ELNS1_3repE0EEENS1_30default_config_static_selectorELNS0_4arch9wavefront6targetE1EEEvSK_,comdat
	.protected	_ZN7rocprim17ROCPRIM_400000_NS6detail17trampoline_kernelINS0_14default_configENS1_22reduce_config_selectorIyEEZNS1_11reduce_implILb1ES3_N6thrust23THRUST_200600_302600_NS6detail15normal_iteratorINS8_10device_ptrIyEEEEPyy9plus_mod3IyEEE10hipError_tPvRmT1_T2_T3_mT4_P12ihipStream_tbEUlT_E0_NS1_11comp_targetILNS1_3genE2ELNS1_11target_archE906ELNS1_3gpuE6ELNS1_3repE0EEENS1_30default_config_static_selectorELNS0_4arch9wavefront6targetE1EEEvSK_ ; -- Begin function _ZN7rocprim17ROCPRIM_400000_NS6detail17trampoline_kernelINS0_14default_configENS1_22reduce_config_selectorIyEEZNS1_11reduce_implILb1ES3_N6thrust23THRUST_200600_302600_NS6detail15normal_iteratorINS8_10device_ptrIyEEEEPyy9plus_mod3IyEEE10hipError_tPvRmT1_T2_T3_mT4_P12ihipStream_tbEUlT_E0_NS1_11comp_targetILNS1_3genE2ELNS1_11target_archE906ELNS1_3gpuE6ELNS1_3repE0EEENS1_30default_config_static_selectorELNS0_4arch9wavefront6targetE1EEEvSK_
	.globl	_ZN7rocprim17ROCPRIM_400000_NS6detail17trampoline_kernelINS0_14default_configENS1_22reduce_config_selectorIyEEZNS1_11reduce_implILb1ES3_N6thrust23THRUST_200600_302600_NS6detail15normal_iteratorINS8_10device_ptrIyEEEEPyy9plus_mod3IyEEE10hipError_tPvRmT1_T2_T3_mT4_P12ihipStream_tbEUlT_E0_NS1_11comp_targetILNS1_3genE2ELNS1_11target_archE906ELNS1_3gpuE6ELNS1_3repE0EEENS1_30default_config_static_selectorELNS0_4arch9wavefront6targetE1EEEvSK_
	.p2align	8
	.type	_ZN7rocprim17ROCPRIM_400000_NS6detail17trampoline_kernelINS0_14default_configENS1_22reduce_config_selectorIyEEZNS1_11reduce_implILb1ES3_N6thrust23THRUST_200600_302600_NS6detail15normal_iteratorINS8_10device_ptrIyEEEEPyy9plus_mod3IyEEE10hipError_tPvRmT1_T2_T3_mT4_P12ihipStream_tbEUlT_E0_NS1_11comp_targetILNS1_3genE2ELNS1_11target_archE906ELNS1_3gpuE6ELNS1_3repE0EEENS1_30default_config_static_selectorELNS0_4arch9wavefront6targetE1EEEvSK_,@function
_ZN7rocprim17ROCPRIM_400000_NS6detail17trampoline_kernelINS0_14default_configENS1_22reduce_config_selectorIyEEZNS1_11reduce_implILb1ES3_N6thrust23THRUST_200600_302600_NS6detail15normal_iteratorINS8_10device_ptrIyEEEEPyy9plus_mod3IyEEE10hipError_tPvRmT1_T2_T3_mT4_P12ihipStream_tbEUlT_E0_NS1_11comp_targetILNS1_3genE2ELNS1_11target_archE906ELNS1_3gpuE6ELNS1_3repE0EEENS1_30default_config_static_selectorELNS0_4arch9wavefront6targetE1EEEvSK_: ; @_ZN7rocprim17ROCPRIM_400000_NS6detail17trampoline_kernelINS0_14default_configENS1_22reduce_config_selectorIyEEZNS1_11reduce_implILb1ES3_N6thrust23THRUST_200600_302600_NS6detail15normal_iteratorINS8_10device_ptrIyEEEEPyy9plus_mod3IyEEE10hipError_tPvRmT1_T2_T3_mT4_P12ihipStream_tbEUlT_E0_NS1_11comp_targetILNS1_3genE2ELNS1_11target_archE906ELNS1_3gpuE6ELNS1_3repE0EEENS1_30default_config_static_selectorELNS0_4arch9wavefront6targetE1EEEvSK_
; %bb.0:
	.section	.rodata,"a",@progbits
	.p2align	6, 0x0
	.amdhsa_kernel _ZN7rocprim17ROCPRIM_400000_NS6detail17trampoline_kernelINS0_14default_configENS1_22reduce_config_selectorIyEEZNS1_11reduce_implILb1ES3_N6thrust23THRUST_200600_302600_NS6detail15normal_iteratorINS8_10device_ptrIyEEEEPyy9plus_mod3IyEEE10hipError_tPvRmT1_T2_T3_mT4_P12ihipStream_tbEUlT_E0_NS1_11comp_targetILNS1_3genE2ELNS1_11target_archE906ELNS1_3gpuE6ELNS1_3repE0EEENS1_30default_config_static_selectorELNS0_4arch9wavefront6targetE1EEEvSK_
		.amdhsa_group_segment_fixed_size 0
		.amdhsa_private_segment_fixed_size 0
		.amdhsa_kernarg_size 64
		.amdhsa_user_sgpr_count 2
		.amdhsa_user_sgpr_dispatch_ptr 0
		.amdhsa_user_sgpr_queue_ptr 0
		.amdhsa_user_sgpr_kernarg_segment_ptr 1
		.amdhsa_user_sgpr_dispatch_id 0
		.amdhsa_user_sgpr_kernarg_preload_length 0
		.amdhsa_user_sgpr_kernarg_preload_offset 0
		.amdhsa_user_sgpr_private_segment_size 0
		.amdhsa_uses_dynamic_stack 0
		.amdhsa_enable_private_segment 0
		.amdhsa_system_sgpr_workgroup_id_x 1
		.amdhsa_system_sgpr_workgroup_id_y 0
		.amdhsa_system_sgpr_workgroup_id_z 0
		.amdhsa_system_sgpr_workgroup_info 0
		.amdhsa_system_vgpr_workitem_id 0
		.amdhsa_next_free_vgpr 1
		.amdhsa_next_free_sgpr 0
		.amdhsa_accum_offset 4
		.amdhsa_reserve_vcc 0
		.amdhsa_float_round_mode_32 0
		.amdhsa_float_round_mode_16_64 0
		.amdhsa_float_denorm_mode_32 3
		.amdhsa_float_denorm_mode_16_64 3
		.amdhsa_dx10_clamp 1
		.amdhsa_ieee_mode 1
		.amdhsa_fp16_overflow 0
		.amdhsa_tg_split 0
		.amdhsa_exception_fp_ieee_invalid_op 0
		.amdhsa_exception_fp_denorm_src 0
		.amdhsa_exception_fp_ieee_div_zero 0
		.amdhsa_exception_fp_ieee_overflow 0
		.amdhsa_exception_fp_ieee_underflow 0
		.amdhsa_exception_fp_ieee_inexact 0
		.amdhsa_exception_int_div_zero 0
	.end_amdhsa_kernel
	.section	.text._ZN7rocprim17ROCPRIM_400000_NS6detail17trampoline_kernelINS0_14default_configENS1_22reduce_config_selectorIyEEZNS1_11reduce_implILb1ES3_N6thrust23THRUST_200600_302600_NS6detail15normal_iteratorINS8_10device_ptrIyEEEEPyy9plus_mod3IyEEE10hipError_tPvRmT1_T2_T3_mT4_P12ihipStream_tbEUlT_E0_NS1_11comp_targetILNS1_3genE2ELNS1_11target_archE906ELNS1_3gpuE6ELNS1_3repE0EEENS1_30default_config_static_selectorELNS0_4arch9wavefront6targetE1EEEvSK_,"axG",@progbits,_ZN7rocprim17ROCPRIM_400000_NS6detail17trampoline_kernelINS0_14default_configENS1_22reduce_config_selectorIyEEZNS1_11reduce_implILb1ES3_N6thrust23THRUST_200600_302600_NS6detail15normal_iteratorINS8_10device_ptrIyEEEEPyy9plus_mod3IyEEE10hipError_tPvRmT1_T2_T3_mT4_P12ihipStream_tbEUlT_E0_NS1_11comp_targetILNS1_3genE2ELNS1_11target_archE906ELNS1_3gpuE6ELNS1_3repE0EEENS1_30default_config_static_selectorELNS0_4arch9wavefront6targetE1EEEvSK_,comdat
.Lfunc_end789:
	.size	_ZN7rocprim17ROCPRIM_400000_NS6detail17trampoline_kernelINS0_14default_configENS1_22reduce_config_selectorIyEEZNS1_11reduce_implILb1ES3_N6thrust23THRUST_200600_302600_NS6detail15normal_iteratorINS8_10device_ptrIyEEEEPyy9plus_mod3IyEEE10hipError_tPvRmT1_T2_T3_mT4_P12ihipStream_tbEUlT_E0_NS1_11comp_targetILNS1_3genE2ELNS1_11target_archE906ELNS1_3gpuE6ELNS1_3repE0EEENS1_30default_config_static_selectorELNS0_4arch9wavefront6targetE1EEEvSK_, .Lfunc_end789-_ZN7rocprim17ROCPRIM_400000_NS6detail17trampoline_kernelINS0_14default_configENS1_22reduce_config_selectorIyEEZNS1_11reduce_implILb1ES3_N6thrust23THRUST_200600_302600_NS6detail15normal_iteratorINS8_10device_ptrIyEEEEPyy9plus_mod3IyEEE10hipError_tPvRmT1_T2_T3_mT4_P12ihipStream_tbEUlT_E0_NS1_11comp_targetILNS1_3genE2ELNS1_11target_archE906ELNS1_3gpuE6ELNS1_3repE0EEENS1_30default_config_static_selectorELNS0_4arch9wavefront6targetE1EEEvSK_
                                        ; -- End function
	.set _ZN7rocprim17ROCPRIM_400000_NS6detail17trampoline_kernelINS0_14default_configENS1_22reduce_config_selectorIyEEZNS1_11reduce_implILb1ES3_N6thrust23THRUST_200600_302600_NS6detail15normal_iteratorINS8_10device_ptrIyEEEEPyy9plus_mod3IyEEE10hipError_tPvRmT1_T2_T3_mT4_P12ihipStream_tbEUlT_E0_NS1_11comp_targetILNS1_3genE2ELNS1_11target_archE906ELNS1_3gpuE6ELNS1_3repE0EEENS1_30default_config_static_selectorELNS0_4arch9wavefront6targetE1EEEvSK_.num_vgpr, 0
	.set _ZN7rocprim17ROCPRIM_400000_NS6detail17trampoline_kernelINS0_14default_configENS1_22reduce_config_selectorIyEEZNS1_11reduce_implILb1ES3_N6thrust23THRUST_200600_302600_NS6detail15normal_iteratorINS8_10device_ptrIyEEEEPyy9plus_mod3IyEEE10hipError_tPvRmT1_T2_T3_mT4_P12ihipStream_tbEUlT_E0_NS1_11comp_targetILNS1_3genE2ELNS1_11target_archE906ELNS1_3gpuE6ELNS1_3repE0EEENS1_30default_config_static_selectorELNS0_4arch9wavefront6targetE1EEEvSK_.num_agpr, 0
	.set _ZN7rocprim17ROCPRIM_400000_NS6detail17trampoline_kernelINS0_14default_configENS1_22reduce_config_selectorIyEEZNS1_11reduce_implILb1ES3_N6thrust23THRUST_200600_302600_NS6detail15normal_iteratorINS8_10device_ptrIyEEEEPyy9plus_mod3IyEEE10hipError_tPvRmT1_T2_T3_mT4_P12ihipStream_tbEUlT_E0_NS1_11comp_targetILNS1_3genE2ELNS1_11target_archE906ELNS1_3gpuE6ELNS1_3repE0EEENS1_30default_config_static_selectorELNS0_4arch9wavefront6targetE1EEEvSK_.numbered_sgpr, 0
	.set _ZN7rocprim17ROCPRIM_400000_NS6detail17trampoline_kernelINS0_14default_configENS1_22reduce_config_selectorIyEEZNS1_11reduce_implILb1ES3_N6thrust23THRUST_200600_302600_NS6detail15normal_iteratorINS8_10device_ptrIyEEEEPyy9plus_mod3IyEEE10hipError_tPvRmT1_T2_T3_mT4_P12ihipStream_tbEUlT_E0_NS1_11comp_targetILNS1_3genE2ELNS1_11target_archE906ELNS1_3gpuE6ELNS1_3repE0EEENS1_30default_config_static_selectorELNS0_4arch9wavefront6targetE1EEEvSK_.num_named_barrier, 0
	.set _ZN7rocprim17ROCPRIM_400000_NS6detail17trampoline_kernelINS0_14default_configENS1_22reduce_config_selectorIyEEZNS1_11reduce_implILb1ES3_N6thrust23THRUST_200600_302600_NS6detail15normal_iteratorINS8_10device_ptrIyEEEEPyy9plus_mod3IyEEE10hipError_tPvRmT1_T2_T3_mT4_P12ihipStream_tbEUlT_E0_NS1_11comp_targetILNS1_3genE2ELNS1_11target_archE906ELNS1_3gpuE6ELNS1_3repE0EEENS1_30default_config_static_selectorELNS0_4arch9wavefront6targetE1EEEvSK_.private_seg_size, 0
	.set _ZN7rocprim17ROCPRIM_400000_NS6detail17trampoline_kernelINS0_14default_configENS1_22reduce_config_selectorIyEEZNS1_11reduce_implILb1ES3_N6thrust23THRUST_200600_302600_NS6detail15normal_iteratorINS8_10device_ptrIyEEEEPyy9plus_mod3IyEEE10hipError_tPvRmT1_T2_T3_mT4_P12ihipStream_tbEUlT_E0_NS1_11comp_targetILNS1_3genE2ELNS1_11target_archE906ELNS1_3gpuE6ELNS1_3repE0EEENS1_30default_config_static_selectorELNS0_4arch9wavefront6targetE1EEEvSK_.uses_vcc, 0
	.set _ZN7rocprim17ROCPRIM_400000_NS6detail17trampoline_kernelINS0_14default_configENS1_22reduce_config_selectorIyEEZNS1_11reduce_implILb1ES3_N6thrust23THRUST_200600_302600_NS6detail15normal_iteratorINS8_10device_ptrIyEEEEPyy9plus_mod3IyEEE10hipError_tPvRmT1_T2_T3_mT4_P12ihipStream_tbEUlT_E0_NS1_11comp_targetILNS1_3genE2ELNS1_11target_archE906ELNS1_3gpuE6ELNS1_3repE0EEENS1_30default_config_static_selectorELNS0_4arch9wavefront6targetE1EEEvSK_.uses_flat_scratch, 0
	.set _ZN7rocprim17ROCPRIM_400000_NS6detail17trampoline_kernelINS0_14default_configENS1_22reduce_config_selectorIyEEZNS1_11reduce_implILb1ES3_N6thrust23THRUST_200600_302600_NS6detail15normal_iteratorINS8_10device_ptrIyEEEEPyy9plus_mod3IyEEE10hipError_tPvRmT1_T2_T3_mT4_P12ihipStream_tbEUlT_E0_NS1_11comp_targetILNS1_3genE2ELNS1_11target_archE906ELNS1_3gpuE6ELNS1_3repE0EEENS1_30default_config_static_selectorELNS0_4arch9wavefront6targetE1EEEvSK_.has_dyn_sized_stack, 0
	.set _ZN7rocprim17ROCPRIM_400000_NS6detail17trampoline_kernelINS0_14default_configENS1_22reduce_config_selectorIyEEZNS1_11reduce_implILb1ES3_N6thrust23THRUST_200600_302600_NS6detail15normal_iteratorINS8_10device_ptrIyEEEEPyy9plus_mod3IyEEE10hipError_tPvRmT1_T2_T3_mT4_P12ihipStream_tbEUlT_E0_NS1_11comp_targetILNS1_3genE2ELNS1_11target_archE906ELNS1_3gpuE6ELNS1_3repE0EEENS1_30default_config_static_selectorELNS0_4arch9wavefront6targetE1EEEvSK_.has_recursion, 0
	.set _ZN7rocprim17ROCPRIM_400000_NS6detail17trampoline_kernelINS0_14default_configENS1_22reduce_config_selectorIyEEZNS1_11reduce_implILb1ES3_N6thrust23THRUST_200600_302600_NS6detail15normal_iteratorINS8_10device_ptrIyEEEEPyy9plus_mod3IyEEE10hipError_tPvRmT1_T2_T3_mT4_P12ihipStream_tbEUlT_E0_NS1_11comp_targetILNS1_3genE2ELNS1_11target_archE906ELNS1_3gpuE6ELNS1_3repE0EEENS1_30default_config_static_selectorELNS0_4arch9wavefront6targetE1EEEvSK_.has_indirect_call, 0
	.section	.AMDGPU.csdata,"",@progbits
; Kernel info:
; codeLenInByte = 0
; TotalNumSgprs: 6
; NumVgprs: 0
; NumAgprs: 0
; TotalNumVgprs: 0
; ScratchSize: 0
; MemoryBound: 0
; FloatMode: 240
; IeeeMode: 1
; LDSByteSize: 0 bytes/workgroup (compile time only)
; SGPRBlocks: 0
; VGPRBlocks: 0
; NumSGPRsForWavesPerEU: 6
; NumVGPRsForWavesPerEU: 1
; AccumOffset: 4
; Occupancy: 8
; WaveLimiterHint : 0
; COMPUTE_PGM_RSRC2:SCRATCH_EN: 0
; COMPUTE_PGM_RSRC2:USER_SGPR: 2
; COMPUTE_PGM_RSRC2:TRAP_HANDLER: 0
; COMPUTE_PGM_RSRC2:TGID_X_EN: 1
; COMPUTE_PGM_RSRC2:TGID_Y_EN: 0
; COMPUTE_PGM_RSRC2:TGID_Z_EN: 0
; COMPUTE_PGM_RSRC2:TIDIG_COMP_CNT: 0
; COMPUTE_PGM_RSRC3_GFX90A:ACCUM_OFFSET: 0
; COMPUTE_PGM_RSRC3_GFX90A:TG_SPLIT: 0
	.section	.text._ZN7rocprim17ROCPRIM_400000_NS6detail17trampoline_kernelINS0_14default_configENS1_22reduce_config_selectorIyEEZNS1_11reduce_implILb1ES3_N6thrust23THRUST_200600_302600_NS6detail15normal_iteratorINS8_10device_ptrIyEEEEPyy9plus_mod3IyEEE10hipError_tPvRmT1_T2_T3_mT4_P12ihipStream_tbEUlT_E0_NS1_11comp_targetILNS1_3genE10ELNS1_11target_archE1201ELNS1_3gpuE5ELNS1_3repE0EEENS1_30default_config_static_selectorELNS0_4arch9wavefront6targetE1EEEvSK_,"axG",@progbits,_ZN7rocprim17ROCPRIM_400000_NS6detail17trampoline_kernelINS0_14default_configENS1_22reduce_config_selectorIyEEZNS1_11reduce_implILb1ES3_N6thrust23THRUST_200600_302600_NS6detail15normal_iteratorINS8_10device_ptrIyEEEEPyy9plus_mod3IyEEE10hipError_tPvRmT1_T2_T3_mT4_P12ihipStream_tbEUlT_E0_NS1_11comp_targetILNS1_3genE10ELNS1_11target_archE1201ELNS1_3gpuE5ELNS1_3repE0EEENS1_30default_config_static_selectorELNS0_4arch9wavefront6targetE1EEEvSK_,comdat
	.protected	_ZN7rocprim17ROCPRIM_400000_NS6detail17trampoline_kernelINS0_14default_configENS1_22reduce_config_selectorIyEEZNS1_11reduce_implILb1ES3_N6thrust23THRUST_200600_302600_NS6detail15normal_iteratorINS8_10device_ptrIyEEEEPyy9plus_mod3IyEEE10hipError_tPvRmT1_T2_T3_mT4_P12ihipStream_tbEUlT_E0_NS1_11comp_targetILNS1_3genE10ELNS1_11target_archE1201ELNS1_3gpuE5ELNS1_3repE0EEENS1_30default_config_static_selectorELNS0_4arch9wavefront6targetE1EEEvSK_ ; -- Begin function _ZN7rocprim17ROCPRIM_400000_NS6detail17trampoline_kernelINS0_14default_configENS1_22reduce_config_selectorIyEEZNS1_11reduce_implILb1ES3_N6thrust23THRUST_200600_302600_NS6detail15normal_iteratorINS8_10device_ptrIyEEEEPyy9plus_mod3IyEEE10hipError_tPvRmT1_T2_T3_mT4_P12ihipStream_tbEUlT_E0_NS1_11comp_targetILNS1_3genE10ELNS1_11target_archE1201ELNS1_3gpuE5ELNS1_3repE0EEENS1_30default_config_static_selectorELNS0_4arch9wavefront6targetE1EEEvSK_
	.globl	_ZN7rocprim17ROCPRIM_400000_NS6detail17trampoline_kernelINS0_14default_configENS1_22reduce_config_selectorIyEEZNS1_11reduce_implILb1ES3_N6thrust23THRUST_200600_302600_NS6detail15normal_iteratorINS8_10device_ptrIyEEEEPyy9plus_mod3IyEEE10hipError_tPvRmT1_T2_T3_mT4_P12ihipStream_tbEUlT_E0_NS1_11comp_targetILNS1_3genE10ELNS1_11target_archE1201ELNS1_3gpuE5ELNS1_3repE0EEENS1_30default_config_static_selectorELNS0_4arch9wavefront6targetE1EEEvSK_
	.p2align	8
	.type	_ZN7rocprim17ROCPRIM_400000_NS6detail17trampoline_kernelINS0_14default_configENS1_22reduce_config_selectorIyEEZNS1_11reduce_implILb1ES3_N6thrust23THRUST_200600_302600_NS6detail15normal_iteratorINS8_10device_ptrIyEEEEPyy9plus_mod3IyEEE10hipError_tPvRmT1_T2_T3_mT4_P12ihipStream_tbEUlT_E0_NS1_11comp_targetILNS1_3genE10ELNS1_11target_archE1201ELNS1_3gpuE5ELNS1_3repE0EEENS1_30default_config_static_selectorELNS0_4arch9wavefront6targetE1EEEvSK_,@function
_ZN7rocprim17ROCPRIM_400000_NS6detail17trampoline_kernelINS0_14default_configENS1_22reduce_config_selectorIyEEZNS1_11reduce_implILb1ES3_N6thrust23THRUST_200600_302600_NS6detail15normal_iteratorINS8_10device_ptrIyEEEEPyy9plus_mod3IyEEE10hipError_tPvRmT1_T2_T3_mT4_P12ihipStream_tbEUlT_E0_NS1_11comp_targetILNS1_3genE10ELNS1_11target_archE1201ELNS1_3gpuE5ELNS1_3repE0EEENS1_30default_config_static_selectorELNS0_4arch9wavefront6targetE1EEEvSK_: ; @_ZN7rocprim17ROCPRIM_400000_NS6detail17trampoline_kernelINS0_14default_configENS1_22reduce_config_selectorIyEEZNS1_11reduce_implILb1ES3_N6thrust23THRUST_200600_302600_NS6detail15normal_iteratorINS8_10device_ptrIyEEEEPyy9plus_mod3IyEEE10hipError_tPvRmT1_T2_T3_mT4_P12ihipStream_tbEUlT_E0_NS1_11comp_targetILNS1_3genE10ELNS1_11target_archE1201ELNS1_3gpuE5ELNS1_3repE0EEENS1_30default_config_static_selectorELNS0_4arch9wavefront6targetE1EEEvSK_
; %bb.0:
	.section	.rodata,"a",@progbits
	.p2align	6, 0x0
	.amdhsa_kernel _ZN7rocprim17ROCPRIM_400000_NS6detail17trampoline_kernelINS0_14default_configENS1_22reduce_config_selectorIyEEZNS1_11reduce_implILb1ES3_N6thrust23THRUST_200600_302600_NS6detail15normal_iteratorINS8_10device_ptrIyEEEEPyy9plus_mod3IyEEE10hipError_tPvRmT1_T2_T3_mT4_P12ihipStream_tbEUlT_E0_NS1_11comp_targetILNS1_3genE10ELNS1_11target_archE1201ELNS1_3gpuE5ELNS1_3repE0EEENS1_30default_config_static_selectorELNS0_4arch9wavefront6targetE1EEEvSK_
		.amdhsa_group_segment_fixed_size 0
		.amdhsa_private_segment_fixed_size 0
		.amdhsa_kernarg_size 64
		.amdhsa_user_sgpr_count 2
		.amdhsa_user_sgpr_dispatch_ptr 0
		.amdhsa_user_sgpr_queue_ptr 0
		.amdhsa_user_sgpr_kernarg_segment_ptr 1
		.amdhsa_user_sgpr_dispatch_id 0
		.amdhsa_user_sgpr_kernarg_preload_length 0
		.amdhsa_user_sgpr_kernarg_preload_offset 0
		.amdhsa_user_sgpr_private_segment_size 0
		.amdhsa_uses_dynamic_stack 0
		.amdhsa_enable_private_segment 0
		.amdhsa_system_sgpr_workgroup_id_x 1
		.amdhsa_system_sgpr_workgroup_id_y 0
		.amdhsa_system_sgpr_workgroup_id_z 0
		.amdhsa_system_sgpr_workgroup_info 0
		.amdhsa_system_vgpr_workitem_id 0
		.amdhsa_next_free_vgpr 1
		.amdhsa_next_free_sgpr 0
		.amdhsa_accum_offset 4
		.amdhsa_reserve_vcc 0
		.amdhsa_float_round_mode_32 0
		.amdhsa_float_round_mode_16_64 0
		.amdhsa_float_denorm_mode_32 3
		.amdhsa_float_denorm_mode_16_64 3
		.amdhsa_dx10_clamp 1
		.amdhsa_ieee_mode 1
		.amdhsa_fp16_overflow 0
		.amdhsa_tg_split 0
		.amdhsa_exception_fp_ieee_invalid_op 0
		.amdhsa_exception_fp_denorm_src 0
		.amdhsa_exception_fp_ieee_div_zero 0
		.amdhsa_exception_fp_ieee_overflow 0
		.amdhsa_exception_fp_ieee_underflow 0
		.amdhsa_exception_fp_ieee_inexact 0
		.amdhsa_exception_int_div_zero 0
	.end_amdhsa_kernel
	.section	.text._ZN7rocprim17ROCPRIM_400000_NS6detail17trampoline_kernelINS0_14default_configENS1_22reduce_config_selectorIyEEZNS1_11reduce_implILb1ES3_N6thrust23THRUST_200600_302600_NS6detail15normal_iteratorINS8_10device_ptrIyEEEEPyy9plus_mod3IyEEE10hipError_tPvRmT1_T2_T3_mT4_P12ihipStream_tbEUlT_E0_NS1_11comp_targetILNS1_3genE10ELNS1_11target_archE1201ELNS1_3gpuE5ELNS1_3repE0EEENS1_30default_config_static_selectorELNS0_4arch9wavefront6targetE1EEEvSK_,"axG",@progbits,_ZN7rocprim17ROCPRIM_400000_NS6detail17trampoline_kernelINS0_14default_configENS1_22reduce_config_selectorIyEEZNS1_11reduce_implILb1ES3_N6thrust23THRUST_200600_302600_NS6detail15normal_iteratorINS8_10device_ptrIyEEEEPyy9plus_mod3IyEEE10hipError_tPvRmT1_T2_T3_mT4_P12ihipStream_tbEUlT_E0_NS1_11comp_targetILNS1_3genE10ELNS1_11target_archE1201ELNS1_3gpuE5ELNS1_3repE0EEENS1_30default_config_static_selectorELNS0_4arch9wavefront6targetE1EEEvSK_,comdat
.Lfunc_end790:
	.size	_ZN7rocprim17ROCPRIM_400000_NS6detail17trampoline_kernelINS0_14default_configENS1_22reduce_config_selectorIyEEZNS1_11reduce_implILb1ES3_N6thrust23THRUST_200600_302600_NS6detail15normal_iteratorINS8_10device_ptrIyEEEEPyy9plus_mod3IyEEE10hipError_tPvRmT1_T2_T3_mT4_P12ihipStream_tbEUlT_E0_NS1_11comp_targetILNS1_3genE10ELNS1_11target_archE1201ELNS1_3gpuE5ELNS1_3repE0EEENS1_30default_config_static_selectorELNS0_4arch9wavefront6targetE1EEEvSK_, .Lfunc_end790-_ZN7rocprim17ROCPRIM_400000_NS6detail17trampoline_kernelINS0_14default_configENS1_22reduce_config_selectorIyEEZNS1_11reduce_implILb1ES3_N6thrust23THRUST_200600_302600_NS6detail15normal_iteratorINS8_10device_ptrIyEEEEPyy9plus_mod3IyEEE10hipError_tPvRmT1_T2_T3_mT4_P12ihipStream_tbEUlT_E0_NS1_11comp_targetILNS1_3genE10ELNS1_11target_archE1201ELNS1_3gpuE5ELNS1_3repE0EEENS1_30default_config_static_selectorELNS0_4arch9wavefront6targetE1EEEvSK_
                                        ; -- End function
	.set _ZN7rocprim17ROCPRIM_400000_NS6detail17trampoline_kernelINS0_14default_configENS1_22reduce_config_selectorIyEEZNS1_11reduce_implILb1ES3_N6thrust23THRUST_200600_302600_NS6detail15normal_iteratorINS8_10device_ptrIyEEEEPyy9plus_mod3IyEEE10hipError_tPvRmT1_T2_T3_mT4_P12ihipStream_tbEUlT_E0_NS1_11comp_targetILNS1_3genE10ELNS1_11target_archE1201ELNS1_3gpuE5ELNS1_3repE0EEENS1_30default_config_static_selectorELNS0_4arch9wavefront6targetE1EEEvSK_.num_vgpr, 0
	.set _ZN7rocprim17ROCPRIM_400000_NS6detail17trampoline_kernelINS0_14default_configENS1_22reduce_config_selectorIyEEZNS1_11reduce_implILb1ES3_N6thrust23THRUST_200600_302600_NS6detail15normal_iteratorINS8_10device_ptrIyEEEEPyy9plus_mod3IyEEE10hipError_tPvRmT1_T2_T3_mT4_P12ihipStream_tbEUlT_E0_NS1_11comp_targetILNS1_3genE10ELNS1_11target_archE1201ELNS1_3gpuE5ELNS1_3repE0EEENS1_30default_config_static_selectorELNS0_4arch9wavefront6targetE1EEEvSK_.num_agpr, 0
	.set _ZN7rocprim17ROCPRIM_400000_NS6detail17trampoline_kernelINS0_14default_configENS1_22reduce_config_selectorIyEEZNS1_11reduce_implILb1ES3_N6thrust23THRUST_200600_302600_NS6detail15normal_iteratorINS8_10device_ptrIyEEEEPyy9plus_mod3IyEEE10hipError_tPvRmT1_T2_T3_mT4_P12ihipStream_tbEUlT_E0_NS1_11comp_targetILNS1_3genE10ELNS1_11target_archE1201ELNS1_3gpuE5ELNS1_3repE0EEENS1_30default_config_static_selectorELNS0_4arch9wavefront6targetE1EEEvSK_.numbered_sgpr, 0
	.set _ZN7rocprim17ROCPRIM_400000_NS6detail17trampoline_kernelINS0_14default_configENS1_22reduce_config_selectorIyEEZNS1_11reduce_implILb1ES3_N6thrust23THRUST_200600_302600_NS6detail15normal_iteratorINS8_10device_ptrIyEEEEPyy9plus_mod3IyEEE10hipError_tPvRmT1_T2_T3_mT4_P12ihipStream_tbEUlT_E0_NS1_11comp_targetILNS1_3genE10ELNS1_11target_archE1201ELNS1_3gpuE5ELNS1_3repE0EEENS1_30default_config_static_selectorELNS0_4arch9wavefront6targetE1EEEvSK_.num_named_barrier, 0
	.set _ZN7rocprim17ROCPRIM_400000_NS6detail17trampoline_kernelINS0_14default_configENS1_22reduce_config_selectorIyEEZNS1_11reduce_implILb1ES3_N6thrust23THRUST_200600_302600_NS6detail15normal_iteratorINS8_10device_ptrIyEEEEPyy9plus_mod3IyEEE10hipError_tPvRmT1_T2_T3_mT4_P12ihipStream_tbEUlT_E0_NS1_11comp_targetILNS1_3genE10ELNS1_11target_archE1201ELNS1_3gpuE5ELNS1_3repE0EEENS1_30default_config_static_selectorELNS0_4arch9wavefront6targetE1EEEvSK_.private_seg_size, 0
	.set _ZN7rocprim17ROCPRIM_400000_NS6detail17trampoline_kernelINS0_14default_configENS1_22reduce_config_selectorIyEEZNS1_11reduce_implILb1ES3_N6thrust23THRUST_200600_302600_NS6detail15normal_iteratorINS8_10device_ptrIyEEEEPyy9plus_mod3IyEEE10hipError_tPvRmT1_T2_T3_mT4_P12ihipStream_tbEUlT_E0_NS1_11comp_targetILNS1_3genE10ELNS1_11target_archE1201ELNS1_3gpuE5ELNS1_3repE0EEENS1_30default_config_static_selectorELNS0_4arch9wavefront6targetE1EEEvSK_.uses_vcc, 0
	.set _ZN7rocprim17ROCPRIM_400000_NS6detail17trampoline_kernelINS0_14default_configENS1_22reduce_config_selectorIyEEZNS1_11reduce_implILb1ES3_N6thrust23THRUST_200600_302600_NS6detail15normal_iteratorINS8_10device_ptrIyEEEEPyy9plus_mod3IyEEE10hipError_tPvRmT1_T2_T3_mT4_P12ihipStream_tbEUlT_E0_NS1_11comp_targetILNS1_3genE10ELNS1_11target_archE1201ELNS1_3gpuE5ELNS1_3repE0EEENS1_30default_config_static_selectorELNS0_4arch9wavefront6targetE1EEEvSK_.uses_flat_scratch, 0
	.set _ZN7rocprim17ROCPRIM_400000_NS6detail17trampoline_kernelINS0_14default_configENS1_22reduce_config_selectorIyEEZNS1_11reduce_implILb1ES3_N6thrust23THRUST_200600_302600_NS6detail15normal_iteratorINS8_10device_ptrIyEEEEPyy9plus_mod3IyEEE10hipError_tPvRmT1_T2_T3_mT4_P12ihipStream_tbEUlT_E0_NS1_11comp_targetILNS1_3genE10ELNS1_11target_archE1201ELNS1_3gpuE5ELNS1_3repE0EEENS1_30default_config_static_selectorELNS0_4arch9wavefront6targetE1EEEvSK_.has_dyn_sized_stack, 0
	.set _ZN7rocprim17ROCPRIM_400000_NS6detail17trampoline_kernelINS0_14default_configENS1_22reduce_config_selectorIyEEZNS1_11reduce_implILb1ES3_N6thrust23THRUST_200600_302600_NS6detail15normal_iteratorINS8_10device_ptrIyEEEEPyy9plus_mod3IyEEE10hipError_tPvRmT1_T2_T3_mT4_P12ihipStream_tbEUlT_E0_NS1_11comp_targetILNS1_3genE10ELNS1_11target_archE1201ELNS1_3gpuE5ELNS1_3repE0EEENS1_30default_config_static_selectorELNS0_4arch9wavefront6targetE1EEEvSK_.has_recursion, 0
	.set _ZN7rocprim17ROCPRIM_400000_NS6detail17trampoline_kernelINS0_14default_configENS1_22reduce_config_selectorIyEEZNS1_11reduce_implILb1ES3_N6thrust23THRUST_200600_302600_NS6detail15normal_iteratorINS8_10device_ptrIyEEEEPyy9plus_mod3IyEEE10hipError_tPvRmT1_T2_T3_mT4_P12ihipStream_tbEUlT_E0_NS1_11comp_targetILNS1_3genE10ELNS1_11target_archE1201ELNS1_3gpuE5ELNS1_3repE0EEENS1_30default_config_static_selectorELNS0_4arch9wavefront6targetE1EEEvSK_.has_indirect_call, 0
	.section	.AMDGPU.csdata,"",@progbits
; Kernel info:
; codeLenInByte = 0
; TotalNumSgprs: 6
; NumVgprs: 0
; NumAgprs: 0
; TotalNumVgprs: 0
; ScratchSize: 0
; MemoryBound: 0
; FloatMode: 240
; IeeeMode: 1
; LDSByteSize: 0 bytes/workgroup (compile time only)
; SGPRBlocks: 0
; VGPRBlocks: 0
; NumSGPRsForWavesPerEU: 6
; NumVGPRsForWavesPerEU: 1
; AccumOffset: 4
; Occupancy: 8
; WaveLimiterHint : 0
; COMPUTE_PGM_RSRC2:SCRATCH_EN: 0
; COMPUTE_PGM_RSRC2:USER_SGPR: 2
; COMPUTE_PGM_RSRC2:TRAP_HANDLER: 0
; COMPUTE_PGM_RSRC2:TGID_X_EN: 1
; COMPUTE_PGM_RSRC2:TGID_Y_EN: 0
; COMPUTE_PGM_RSRC2:TGID_Z_EN: 0
; COMPUTE_PGM_RSRC2:TIDIG_COMP_CNT: 0
; COMPUTE_PGM_RSRC3_GFX90A:ACCUM_OFFSET: 0
; COMPUTE_PGM_RSRC3_GFX90A:TG_SPLIT: 0
	.section	.text._ZN7rocprim17ROCPRIM_400000_NS6detail17trampoline_kernelINS0_14default_configENS1_22reduce_config_selectorIyEEZNS1_11reduce_implILb1ES3_N6thrust23THRUST_200600_302600_NS6detail15normal_iteratorINS8_10device_ptrIyEEEEPyy9plus_mod3IyEEE10hipError_tPvRmT1_T2_T3_mT4_P12ihipStream_tbEUlT_E0_NS1_11comp_targetILNS1_3genE10ELNS1_11target_archE1200ELNS1_3gpuE4ELNS1_3repE0EEENS1_30default_config_static_selectorELNS0_4arch9wavefront6targetE1EEEvSK_,"axG",@progbits,_ZN7rocprim17ROCPRIM_400000_NS6detail17trampoline_kernelINS0_14default_configENS1_22reduce_config_selectorIyEEZNS1_11reduce_implILb1ES3_N6thrust23THRUST_200600_302600_NS6detail15normal_iteratorINS8_10device_ptrIyEEEEPyy9plus_mod3IyEEE10hipError_tPvRmT1_T2_T3_mT4_P12ihipStream_tbEUlT_E0_NS1_11comp_targetILNS1_3genE10ELNS1_11target_archE1200ELNS1_3gpuE4ELNS1_3repE0EEENS1_30default_config_static_selectorELNS0_4arch9wavefront6targetE1EEEvSK_,comdat
	.protected	_ZN7rocprim17ROCPRIM_400000_NS6detail17trampoline_kernelINS0_14default_configENS1_22reduce_config_selectorIyEEZNS1_11reduce_implILb1ES3_N6thrust23THRUST_200600_302600_NS6detail15normal_iteratorINS8_10device_ptrIyEEEEPyy9plus_mod3IyEEE10hipError_tPvRmT1_T2_T3_mT4_P12ihipStream_tbEUlT_E0_NS1_11comp_targetILNS1_3genE10ELNS1_11target_archE1200ELNS1_3gpuE4ELNS1_3repE0EEENS1_30default_config_static_selectorELNS0_4arch9wavefront6targetE1EEEvSK_ ; -- Begin function _ZN7rocprim17ROCPRIM_400000_NS6detail17trampoline_kernelINS0_14default_configENS1_22reduce_config_selectorIyEEZNS1_11reduce_implILb1ES3_N6thrust23THRUST_200600_302600_NS6detail15normal_iteratorINS8_10device_ptrIyEEEEPyy9plus_mod3IyEEE10hipError_tPvRmT1_T2_T3_mT4_P12ihipStream_tbEUlT_E0_NS1_11comp_targetILNS1_3genE10ELNS1_11target_archE1200ELNS1_3gpuE4ELNS1_3repE0EEENS1_30default_config_static_selectorELNS0_4arch9wavefront6targetE1EEEvSK_
	.globl	_ZN7rocprim17ROCPRIM_400000_NS6detail17trampoline_kernelINS0_14default_configENS1_22reduce_config_selectorIyEEZNS1_11reduce_implILb1ES3_N6thrust23THRUST_200600_302600_NS6detail15normal_iteratorINS8_10device_ptrIyEEEEPyy9plus_mod3IyEEE10hipError_tPvRmT1_T2_T3_mT4_P12ihipStream_tbEUlT_E0_NS1_11comp_targetILNS1_3genE10ELNS1_11target_archE1200ELNS1_3gpuE4ELNS1_3repE0EEENS1_30default_config_static_selectorELNS0_4arch9wavefront6targetE1EEEvSK_
	.p2align	8
	.type	_ZN7rocprim17ROCPRIM_400000_NS6detail17trampoline_kernelINS0_14default_configENS1_22reduce_config_selectorIyEEZNS1_11reduce_implILb1ES3_N6thrust23THRUST_200600_302600_NS6detail15normal_iteratorINS8_10device_ptrIyEEEEPyy9plus_mod3IyEEE10hipError_tPvRmT1_T2_T3_mT4_P12ihipStream_tbEUlT_E0_NS1_11comp_targetILNS1_3genE10ELNS1_11target_archE1200ELNS1_3gpuE4ELNS1_3repE0EEENS1_30default_config_static_selectorELNS0_4arch9wavefront6targetE1EEEvSK_,@function
_ZN7rocprim17ROCPRIM_400000_NS6detail17trampoline_kernelINS0_14default_configENS1_22reduce_config_selectorIyEEZNS1_11reduce_implILb1ES3_N6thrust23THRUST_200600_302600_NS6detail15normal_iteratorINS8_10device_ptrIyEEEEPyy9plus_mod3IyEEE10hipError_tPvRmT1_T2_T3_mT4_P12ihipStream_tbEUlT_E0_NS1_11comp_targetILNS1_3genE10ELNS1_11target_archE1200ELNS1_3gpuE4ELNS1_3repE0EEENS1_30default_config_static_selectorELNS0_4arch9wavefront6targetE1EEEvSK_: ; @_ZN7rocprim17ROCPRIM_400000_NS6detail17trampoline_kernelINS0_14default_configENS1_22reduce_config_selectorIyEEZNS1_11reduce_implILb1ES3_N6thrust23THRUST_200600_302600_NS6detail15normal_iteratorINS8_10device_ptrIyEEEEPyy9plus_mod3IyEEE10hipError_tPvRmT1_T2_T3_mT4_P12ihipStream_tbEUlT_E0_NS1_11comp_targetILNS1_3genE10ELNS1_11target_archE1200ELNS1_3gpuE4ELNS1_3repE0EEENS1_30default_config_static_selectorELNS0_4arch9wavefront6targetE1EEEvSK_
; %bb.0:
	.section	.rodata,"a",@progbits
	.p2align	6, 0x0
	.amdhsa_kernel _ZN7rocprim17ROCPRIM_400000_NS6detail17trampoline_kernelINS0_14default_configENS1_22reduce_config_selectorIyEEZNS1_11reduce_implILb1ES3_N6thrust23THRUST_200600_302600_NS6detail15normal_iteratorINS8_10device_ptrIyEEEEPyy9plus_mod3IyEEE10hipError_tPvRmT1_T2_T3_mT4_P12ihipStream_tbEUlT_E0_NS1_11comp_targetILNS1_3genE10ELNS1_11target_archE1200ELNS1_3gpuE4ELNS1_3repE0EEENS1_30default_config_static_selectorELNS0_4arch9wavefront6targetE1EEEvSK_
		.amdhsa_group_segment_fixed_size 0
		.amdhsa_private_segment_fixed_size 0
		.amdhsa_kernarg_size 64
		.amdhsa_user_sgpr_count 2
		.amdhsa_user_sgpr_dispatch_ptr 0
		.amdhsa_user_sgpr_queue_ptr 0
		.amdhsa_user_sgpr_kernarg_segment_ptr 1
		.amdhsa_user_sgpr_dispatch_id 0
		.amdhsa_user_sgpr_kernarg_preload_length 0
		.amdhsa_user_sgpr_kernarg_preload_offset 0
		.amdhsa_user_sgpr_private_segment_size 0
		.amdhsa_uses_dynamic_stack 0
		.amdhsa_enable_private_segment 0
		.amdhsa_system_sgpr_workgroup_id_x 1
		.amdhsa_system_sgpr_workgroup_id_y 0
		.amdhsa_system_sgpr_workgroup_id_z 0
		.amdhsa_system_sgpr_workgroup_info 0
		.amdhsa_system_vgpr_workitem_id 0
		.amdhsa_next_free_vgpr 1
		.amdhsa_next_free_sgpr 0
		.amdhsa_accum_offset 4
		.amdhsa_reserve_vcc 0
		.amdhsa_float_round_mode_32 0
		.amdhsa_float_round_mode_16_64 0
		.amdhsa_float_denorm_mode_32 3
		.amdhsa_float_denorm_mode_16_64 3
		.amdhsa_dx10_clamp 1
		.amdhsa_ieee_mode 1
		.amdhsa_fp16_overflow 0
		.amdhsa_tg_split 0
		.amdhsa_exception_fp_ieee_invalid_op 0
		.amdhsa_exception_fp_denorm_src 0
		.amdhsa_exception_fp_ieee_div_zero 0
		.amdhsa_exception_fp_ieee_overflow 0
		.amdhsa_exception_fp_ieee_underflow 0
		.amdhsa_exception_fp_ieee_inexact 0
		.amdhsa_exception_int_div_zero 0
	.end_amdhsa_kernel
	.section	.text._ZN7rocprim17ROCPRIM_400000_NS6detail17trampoline_kernelINS0_14default_configENS1_22reduce_config_selectorIyEEZNS1_11reduce_implILb1ES3_N6thrust23THRUST_200600_302600_NS6detail15normal_iteratorINS8_10device_ptrIyEEEEPyy9plus_mod3IyEEE10hipError_tPvRmT1_T2_T3_mT4_P12ihipStream_tbEUlT_E0_NS1_11comp_targetILNS1_3genE10ELNS1_11target_archE1200ELNS1_3gpuE4ELNS1_3repE0EEENS1_30default_config_static_selectorELNS0_4arch9wavefront6targetE1EEEvSK_,"axG",@progbits,_ZN7rocprim17ROCPRIM_400000_NS6detail17trampoline_kernelINS0_14default_configENS1_22reduce_config_selectorIyEEZNS1_11reduce_implILb1ES3_N6thrust23THRUST_200600_302600_NS6detail15normal_iteratorINS8_10device_ptrIyEEEEPyy9plus_mod3IyEEE10hipError_tPvRmT1_T2_T3_mT4_P12ihipStream_tbEUlT_E0_NS1_11comp_targetILNS1_3genE10ELNS1_11target_archE1200ELNS1_3gpuE4ELNS1_3repE0EEENS1_30default_config_static_selectorELNS0_4arch9wavefront6targetE1EEEvSK_,comdat
.Lfunc_end791:
	.size	_ZN7rocprim17ROCPRIM_400000_NS6detail17trampoline_kernelINS0_14default_configENS1_22reduce_config_selectorIyEEZNS1_11reduce_implILb1ES3_N6thrust23THRUST_200600_302600_NS6detail15normal_iteratorINS8_10device_ptrIyEEEEPyy9plus_mod3IyEEE10hipError_tPvRmT1_T2_T3_mT4_P12ihipStream_tbEUlT_E0_NS1_11comp_targetILNS1_3genE10ELNS1_11target_archE1200ELNS1_3gpuE4ELNS1_3repE0EEENS1_30default_config_static_selectorELNS0_4arch9wavefront6targetE1EEEvSK_, .Lfunc_end791-_ZN7rocprim17ROCPRIM_400000_NS6detail17trampoline_kernelINS0_14default_configENS1_22reduce_config_selectorIyEEZNS1_11reduce_implILb1ES3_N6thrust23THRUST_200600_302600_NS6detail15normal_iteratorINS8_10device_ptrIyEEEEPyy9plus_mod3IyEEE10hipError_tPvRmT1_T2_T3_mT4_P12ihipStream_tbEUlT_E0_NS1_11comp_targetILNS1_3genE10ELNS1_11target_archE1200ELNS1_3gpuE4ELNS1_3repE0EEENS1_30default_config_static_selectorELNS0_4arch9wavefront6targetE1EEEvSK_
                                        ; -- End function
	.set _ZN7rocprim17ROCPRIM_400000_NS6detail17trampoline_kernelINS0_14default_configENS1_22reduce_config_selectorIyEEZNS1_11reduce_implILb1ES3_N6thrust23THRUST_200600_302600_NS6detail15normal_iteratorINS8_10device_ptrIyEEEEPyy9plus_mod3IyEEE10hipError_tPvRmT1_T2_T3_mT4_P12ihipStream_tbEUlT_E0_NS1_11comp_targetILNS1_3genE10ELNS1_11target_archE1200ELNS1_3gpuE4ELNS1_3repE0EEENS1_30default_config_static_selectorELNS0_4arch9wavefront6targetE1EEEvSK_.num_vgpr, 0
	.set _ZN7rocprim17ROCPRIM_400000_NS6detail17trampoline_kernelINS0_14default_configENS1_22reduce_config_selectorIyEEZNS1_11reduce_implILb1ES3_N6thrust23THRUST_200600_302600_NS6detail15normal_iteratorINS8_10device_ptrIyEEEEPyy9plus_mod3IyEEE10hipError_tPvRmT1_T2_T3_mT4_P12ihipStream_tbEUlT_E0_NS1_11comp_targetILNS1_3genE10ELNS1_11target_archE1200ELNS1_3gpuE4ELNS1_3repE0EEENS1_30default_config_static_selectorELNS0_4arch9wavefront6targetE1EEEvSK_.num_agpr, 0
	.set _ZN7rocprim17ROCPRIM_400000_NS6detail17trampoline_kernelINS0_14default_configENS1_22reduce_config_selectorIyEEZNS1_11reduce_implILb1ES3_N6thrust23THRUST_200600_302600_NS6detail15normal_iteratorINS8_10device_ptrIyEEEEPyy9plus_mod3IyEEE10hipError_tPvRmT1_T2_T3_mT4_P12ihipStream_tbEUlT_E0_NS1_11comp_targetILNS1_3genE10ELNS1_11target_archE1200ELNS1_3gpuE4ELNS1_3repE0EEENS1_30default_config_static_selectorELNS0_4arch9wavefront6targetE1EEEvSK_.numbered_sgpr, 0
	.set _ZN7rocprim17ROCPRIM_400000_NS6detail17trampoline_kernelINS0_14default_configENS1_22reduce_config_selectorIyEEZNS1_11reduce_implILb1ES3_N6thrust23THRUST_200600_302600_NS6detail15normal_iteratorINS8_10device_ptrIyEEEEPyy9plus_mod3IyEEE10hipError_tPvRmT1_T2_T3_mT4_P12ihipStream_tbEUlT_E0_NS1_11comp_targetILNS1_3genE10ELNS1_11target_archE1200ELNS1_3gpuE4ELNS1_3repE0EEENS1_30default_config_static_selectorELNS0_4arch9wavefront6targetE1EEEvSK_.num_named_barrier, 0
	.set _ZN7rocprim17ROCPRIM_400000_NS6detail17trampoline_kernelINS0_14default_configENS1_22reduce_config_selectorIyEEZNS1_11reduce_implILb1ES3_N6thrust23THRUST_200600_302600_NS6detail15normal_iteratorINS8_10device_ptrIyEEEEPyy9plus_mod3IyEEE10hipError_tPvRmT1_T2_T3_mT4_P12ihipStream_tbEUlT_E0_NS1_11comp_targetILNS1_3genE10ELNS1_11target_archE1200ELNS1_3gpuE4ELNS1_3repE0EEENS1_30default_config_static_selectorELNS0_4arch9wavefront6targetE1EEEvSK_.private_seg_size, 0
	.set _ZN7rocprim17ROCPRIM_400000_NS6detail17trampoline_kernelINS0_14default_configENS1_22reduce_config_selectorIyEEZNS1_11reduce_implILb1ES3_N6thrust23THRUST_200600_302600_NS6detail15normal_iteratorINS8_10device_ptrIyEEEEPyy9plus_mod3IyEEE10hipError_tPvRmT1_T2_T3_mT4_P12ihipStream_tbEUlT_E0_NS1_11comp_targetILNS1_3genE10ELNS1_11target_archE1200ELNS1_3gpuE4ELNS1_3repE0EEENS1_30default_config_static_selectorELNS0_4arch9wavefront6targetE1EEEvSK_.uses_vcc, 0
	.set _ZN7rocprim17ROCPRIM_400000_NS6detail17trampoline_kernelINS0_14default_configENS1_22reduce_config_selectorIyEEZNS1_11reduce_implILb1ES3_N6thrust23THRUST_200600_302600_NS6detail15normal_iteratorINS8_10device_ptrIyEEEEPyy9plus_mod3IyEEE10hipError_tPvRmT1_T2_T3_mT4_P12ihipStream_tbEUlT_E0_NS1_11comp_targetILNS1_3genE10ELNS1_11target_archE1200ELNS1_3gpuE4ELNS1_3repE0EEENS1_30default_config_static_selectorELNS0_4arch9wavefront6targetE1EEEvSK_.uses_flat_scratch, 0
	.set _ZN7rocprim17ROCPRIM_400000_NS6detail17trampoline_kernelINS0_14default_configENS1_22reduce_config_selectorIyEEZNS1_11reduce_implILb1ES3_N6thrust23THRUST_200600_302600_NS6detail15normal_iteratorINS8_10device_ptrIyEEEEPyy9plus_mod3IyEEE10hipError_tPvRmT1_T2_T3_mT4_P12ihipStream_tbEUlT_E0_NS1_11comp_targetILNS1_3genE10ELNS1_11target_archE1200ELNS1_3gpuE4ELNS1_3repE0EEENS1_30default_config_static_selectorELNS0_4arch9wavefront6targetE1EEEvSK_.has_dyn_sized_stack, 0
	.set _ZN7rocprim17ROCPRIM_400000_NS6detail17trampoline_kernelINS0_14default_configENS1_22reduce_config_selectorIyEEZNS1_11reduce_implILb1ES3_N6thrust23THRUST_200600_302600_NS6detail15normal_iteratorINS8_10device_ptrIyEEEEPyy9plus_mod3IyEEE10hipError_tPvRmT1_T2_T3_mT4_P12ihipStream_tbEUlT_E0_NS1_11comp_targetILNS1_3genE10ELNS1_11target_archE1200ELNS1_3gpuE4ELNS1_3repE0EEENS1_30default_config_static_selectorELNS0_4arch9wavefront6targetE1EEEvSK_.has_recursion, 0
	.set _ZN7rocprim17ROCPRIM_400000_NS6detail17trampoline_kernelINS0_14default_configENS1_22reduce_config_selectorIyEEZNS1_11reduce_implILb1ES3_N6thrust23THRUST_200600_302600_NS6detail15normal_iteratorINS8_10device_ptrIyEEEEPyy9plus_mod3IyEEE10hipError_tPvRmT1_T2_T3_mT4_P12ihipStream_tbEUlT_E0_NS1_11comp_targetILNS1_3genE10ELNS1_11target_archE1200ELNS1_3gpuE4ELNS1_3repE0EEENS1_30default_config_static_selectorELNS0_4arch9wavefront6targetE1EEEvSK_.has_indirect_call, 0
	.section	.AMDGPU.csdata,"",@progbits
; Kernel info:
; codeLenInByte = 0
; TotalNumSgprs: 6
; NumVgprs: 0
; NumAgprs: 0
; TotalNumVgprs: 0
; ScratchSize: 0
; MemoryBound: 0
; FloatMode: 240
; IeeeMode: 1
; LDSByteSize: 0 bytes/workgroup (compile time only)
; SGPRBlocks: 0
; VGPRBlocks: 0
; NumSGPRsForWavesPerEU: 6
; NumVGPRsForWavesPerEU: 1
; AccumOffset: 4
; Occupancy: 8
; WaveLimiterHint : 0
; COMPUTE_PGM_RSRC2:SCRATCH_EN: 0
; COMPUTE_PGM_RSRC2:USER_SGPR: 2
; COMPUTE_PGM_RSRC2:TRAP_HANDLER: 0
; COMPUTE_PGM_RSRC2:TGID_X_EN: 1
; COMPUTE_PGM_RSRC2:TGID_Y_EN: 0
; COMPUTE_PGM_RSRC2:TGID_Z_EN: 0
; COMPUTE_PGM_RSRC2:TIDIG_COMP_CNT: 0
; COMPUTE_PGM_RSRC3_GFX90A:ACCUM_OFFSET: 0
; COMPUTE_PGM_RSRC3_GFX90A:TG_SPLIT: 0
	.section	.text._ZN7rocprim17ROCPRIM_400000_NS6detail17trampoline_kernelINS0_14default_configENS1_22reduce_config_selectorIyEEZNS1_11reduce_implILb1ES3_N6thrust23THRUST_200600_302600_NS6detail15normal_iteratorINS8_10device_ptrIyEEEEPyy9plus_mod3IyEEE10hipError_tPvRmT1_T2_T3_mT4_P12ihipStream_tbEUlT_E0_NS1_11comp_targetILNS1_3genE9ELNS1_11target_archE1100ELNS1_3gpuE3ELNS1_3repE0EEENS1_30default_config_static_selectorELNS0_4arch9wavefront6targetE1EEEvSK_,"axG",@progbits,_ZN7rocprim17ROCPRIM_400000_NS6detail17trampoline_kernelINS0_14default_configENS1_22reduce_config_selectorIyEEZNS1_11reduce_implILb1ES3_N6thrust23THRUST_200600_302600_NS6detail15normal_iteratorINS8_10device_ptrIyEEEEPyy9plus_mod3IyEEE10hipError_tPvRmT1_T2_T3_mT4_P12ihipStream_tbEUlT_E0_NS1_11comp_targetILNS1_3genE9ELNS1_11target_archE1100ELNS1_3gpuE3ELNS1_3repE0EEENS1_30default_config_static_selectorELNS0_4arch9wavefront6targetE1EEEvSK_,comdat
	.protected	_ZN7rocprim17ROCPRIM_400000_NS6detail17trampoline_kernelINS0_14default_configENS1_22reduce_config_selectorIyEEZNS1_11reduce_implILb1ES3_N6thrust23THRUST_200600_302600_NS6detail15normal_iteratorINS8_10device_ptrIyEEEEPyy9plus_mod3IyEEE10hipError_tPvRmT1_T2_T3_mT4_P12ihipStream_tbEUlT_E0_NS1_11comp_targetILNS1_3genE9ELNS1_11target_archE1100ELNS1_3gpuE3ELNS1_3repE0EEENS1_30default_config_static_selectorELNS0_4arch9wavefront6targetE1EEEvSK_ ; -- Begin function _ZN7rocprim17ROCPRIM_400000_NS6detail17trampoline_kernelINS0_14default_configENS1_22reduce_config_selectorIyEEZNS1_11reduce_implILb1ES3_N6thrust23THRUST_200600_302600_NS6detail15normal_iteratorINS8_10device_ptrIyEEEEPyy9plus_mod3IyEEE10hipError_tPvRmT1_T2_T3_mT4_P12ihipStream_tbEUlT_E0_NS1_11comp_targetILNS1_3genE9ELNS1_11target_archE1100ELNS1_3gpuE3ELNS1_3repE0EEENS1_30default_config_static_selectorELNS0_4arch9wavefront6targetE1EEEvSK_
	.globl	_ZN7rocprim17ROCPRIM_400000_NS6detail17trampoline_kernelINS0_14default_configENS1_22reduce_config_selectorIyEEZNS1_11reduce_implILb1ES3_N6thrust23THRUST_200600_302600_NS6detail15normal_iteratorINS8_10device_ptrIyEEEEPyy9plus_mod3IyEEE10hipError_tPvRmT1_T2_T3_mT4_P12ihipStream_tbEUlT_E0_NS1_11comp_targetILNS1_3genE9ELNS1_11target_archE1100ELNS1_3gpuE3ELNS1_3repE0EEENS1_30default_config_static_selectorELNS0_4arch9wavefront6targetE1EEEvSK_
	.p2align	8
	.type	_ZN7rocprim17ROCPRIM_400000_NS6detail17trampoline_kernelINS0_14default_configENS1_22reduce_config_selectorIyEEZNS1_11reduce_implILb1ES3_N6thrust23THRUST_200600_302600_NS6detail15normal_iteratorINS8_10device_ptrIyEEEEPyy9plus_mod3IyEEE10hipError_tPvRmT1_T2_T3_mT4_P12ihipStream_tbEUlT_E0_NS1_11comp_targetILNS1_3genE9ELNS1_11target_archE1100ELNS1_3gpuE3ELNS1_3repE0EEENS1_30default_config_static_selectorELNS0_4arch9wavefront6targetE1EEEvSK_,@function
_ZN7rocprim17ROCPRIM_400000_NS6detail17trampoline_kernelINS0_14default_configENS1_22reduce_config_selectorIyEEZNS1_11reduce_implILb1ES3_N6thrust23THRUST_200600_302600_NS6detail15normal_iteratorINS8_10device_ptrIyEEEEPyy9plus_mod3IyEEE10hipError_tPvRmT1_T2_T3_mT4_P12ihipStream_tbEUlT_E0_NS1_11comp_targetILNS1_3genE9ELNS1_11target_archE1100ELNS1_3gpuE3ELNS1_3repE0EEENS1_30default_config_static_selectorELNS0_4arch9wavefront6targetE1EEEvSK_: ; @_ZN7rocprim17ROCPRIM_400000_NS6detail17trampoline_kernelINS0_14default_configENS1_22reduce_config_selectorIyEEZNS1_11reduce_implILb1ES3_N6thrust23THRUST_200600_302600_NS6detail15normal_iteratorINS8_10device_ptrIyEEEEPyy9plus_mod3IyEEE10hipError_tPvRmT1_T2_T3_mT4_P12ihipStream_tbEUlT_E0_NS1_11comp_targetILNS1_3genE9ELNS1_11target_archE1100ELNS1_3gpuE3ELNS1_3repE0EEENS1_30default_config_static_selectorELNS0_4arch9wavefront6targetE1EEEvSK_
; %bb.0:
	.section	.rodata,"a",@progbits
	.p2align	6, 0x0
	.amdhsa_kernel _ZN7rocprim17ROCPRIM_400000_NS6detail17trampoline_kernelINS0_14default_configENS1_22reduce_config_selectorIyEEZNS1_11reduce_implILb1ES3_N6thrust23THRUST_200600_302600_NS6detail15normal_iteratorINS8_10device_ptrIyEEEEPyy9plus_mod3IyEEE10hipError_tPvRmT1_T2_T3_mT4_P12ihipStream_tbEUlT_E0_NS1_11comp_targetILNS1_3genE9ELNS1_11target_archE1100ELNS1_3gpuE3ELNS1_3repE0EEENS1_30default_config_static_selectorELNS0_4arch9wavefront6targetE1EEEvSK_
		.amdhsa_group_segment_fixed_size 0
		.amdhsa_private_segment_fixed_size 0
		.amdhsa_kernarg_size 64
		.amdhsa_user_sgpr_count 2
		.amdhsa_user_sgpr_dispatch_ptr 0
		.amdhsa_user_sgpr_queue_ptr 0
		.amdhsa_user_sgpr_kernarg_segment_ptr 1
		.amdhsa_user_sgpr_dispatch_id 0
		.amdhsa_user_sgpr_kernarg_preload_length 0
		.amdhsa_user_sgpr_kernarg_preload_offset 0
		.amdhsa_user_sgpr_private_segment_size 0
		.amdhsa_uses_dynamic_stack 0
		.amdhsa_enable_private_segment 0
		.amdhsa_system_sgpr_workgroup_id_x 1
		.amdhsa_system_sgpr_workgroup_id_y 0
		.amdhsa_system_sgpr_workgroup_id_z 0
		.amdhsa_system_sgpr_workgroup_info 0
		.amdhsa_system_vgpr_workitem_id 0
		.amdhsa_next_free_vgpr 1
		.amdhsa_next_free_sgpr 0
		.amdhsa_accum_offset 4
		.amdhsa_reserve_vcc 0
		.amdhsa_float_round_mode_32 0
		.amdhsa_float_round_mode_16_64 0
		.amdhsa_float_denorm_mode_32 3
		.amdhsa_float_denorm_mode_16_64 3
		.amdhsa_dx10_clamp 1
		.amdhsa_ieee_mode 1
		.amdhsa_fp16_overflow 0
		.amdhsa_tg_split 0
		.amdhsa_exception_fp_ieee_invalid_op 0
		.amdhsa_exception_fp_denorm_src 0
		.amdhsa_exception_fp_ieee_div_zero 0
		.amdhsa_exception_fp_ieee_overflow 0
		.amdhsa_exception_fp_ieee_underflow 0
		.amdhsa_exception_fp_ieee_inexact 0
		.amdhsa_exception_int_div_zero 0
	.end_amdhsa_kernel
	.section	.text._ZN7rocprim17ROCPRIM_400000_NS6detail17trampoline_kernelINS0_14default_configENS1_22reduce_config_selectorIyEEZNS1_11reduce_implILb1ES3_N6thrust23THRUST_200600_302600_NS6detail15normal_iteratorINS8_10device_ptrIyEEEEPyy9plus_mod3IyEEE10hipError_tPvRmT1_T2_T3_mT4_P12ihipStream_tbEUlT_E0_NS1_11comp_targetILNS1_3genE9ELNS1_11target_archE1100ELNS1_3gpuE3ELNS1_3repE0EEENS1_30default_config_static_selectorELNS0_4arch9wavefront6targetE1EEEvSK_,"axG",@progbits,_ZN7rocprim17ROCPRIM_400000_NS6detail17trampoline_kernelINS0_14default_configENS1_22reduce_config_selectorIyEEZNS1_11reduce_implILb1ES3_N6thrust23THRUST_200600_302600_NS6detail15normal_iteratorINS8_10device_ptrIyEEEEPyy9plus_mod3IyEEE10hipError_tPvRmT1_T2_T3_mT4_P12ihipStream_tbEUlT_E0_NS1_11comp_targetILNS1_3genE9ELNS1_11target_archE1100ELNS1_3gpuE3ELNS1_3repE0EEENS1_30default_config_static_selectorELNS0_4arch9wavefront6targetE1EEEvSK_,comdat
.Lfunc_end792:
	.size	_ZN7rocprim17ROCPRIM_400000_NS6detail17trampoline_kernelINS0_14default_configENS1_22reduce_config_selectorIyEEZNS1_11reduce_implILb1ES3_N6thrust23THRUST_200600_302600_NS6detail15normal_iteratorINS8_10device_ptrIyEEEEPyy9plus_mod3IyEEE10hipError_tPvRmT1_T2_T3_mT4_P12ihipStream_tbEUlT_E0_NS1_11comp_targetILNS1_3genE9ELNS1_11target_archE1100ELNS1_3gpuE3ELNS1_3repE0EEENS1_30default_config_static_selectorELNS0_4arch9wavefront6targetE1EEEvSK_, .Lfunc_end792-_ZN7rocprim17ROCPRIM_400000_NS6detail17trampoline_kernelINS0_14default_configENS1_22reduce_config_selectorIyEEZNS1_11reduce_implILb1ES3_N6thrust23THRUST_200600_302600_NS6detail15normal_iteratorINS8_10device_ptrIyEEEEPyy9plus_mod3IyEEE10hipError_tPvRmT1_T2_T3_mT4_P12ihipStream_tbEUlT_E0_NS1_11comp_targetILNS1_3genE9ELNS1_11target_archE1100ELNS1_3gpuE3ELNS1_3repE0EEENS1_30default_config_static_selectorELNS0_4arch9wavefront6targetE1EEEvSK_
                                        ; -- End function
	.set _ZN7rocprim17ROCPRIM_400000_NS6detail17trampoline_kernelINS0_14default_configENS1_22reduce_config_selectorIyEEZNS1_11reduce_implILb1ES3_N6thrust23THRUST_200600_302600_NS6detail15normal_iteratorINS8_10device_ptrIyEEEEPyy9plus_mod3IyEEE10hipError_tPvRmT1_T2_T3_mT4_P12ihipStream_tbEUlT_E0_NS1_11comp_targetILNS1_3genE9ELNS1_11target_archE1100ELNS1_3gpuE3ELNS1_3repE0EEENS1_30default_config_static_selectorELNS0_4arch9wavefront6targetE1EEEvSK_.num_vgpr, 0
	.set _ZN7rocprim17ROCPRIM_400000_NS6detail17trampoline_kernelINS0_14default_configENS1_22reduce_config_selectorIyEEZNS1_11reduce_implILb1ES3_N6thrust23THRUST_200600_302600_NS6detail15normal_iteratorINS8_10device_ptrIyEEEEPyy9plus_mod3IyEEE10hipError_tPvRmT1_T2_T3_mT4_P12ihipStream_tbEUlT_E0_NS1_11comp_targetILNS1_3genE9ELNS1_11target_archE1100ELNS1_3gpuE3ELNS1_3repE0EEENS1_30default_config_static_selectorELNS0_4arch9wavefront6targetE1EEEvSK_.num_agpr, 0
	.set _ZN7rocprim17ROCPRIM_400000_NS6detail17trampoline_kernelINS0_14default_configENS1_22reduce_config_selectorIyEEZNS1_11reduce_implILb1ES3_N6thrust23THRUST_200600_302600_NS6detail15normal_iteratorINS8_10device_ptrIyEEEEPyy9plus_mod3IyEEE10hipError_tPvRmT1_T2_T3_mT4_P12ihipStream_tbEUlT_E0_NS1_11comp_targetILNS1_3genE9ELNS1_11target_archE1100ELNS1_3gpuE3ELNS1_3repE0EEENS1_30default_config_static_selectorELNS0_4arch9wavefront6targetE1EEEvSK_.numbered_sgpr, 0
	.set _ZN7rocprim17ROCPRIM_400000_NS6detail17trampoline_kernelINS0_14default_configENS1_22reduce_config_selectorIyEEZNS1_11reduce_implILb1ES3_N6thrust23THRUST_200600_302600_NS6detail15normal_iteratorINS8_10device_ptrIyEEEEPyy9plus_mod3IyEEE10hipError_tPvRmT1_T2_T3_mT4_P12ihipStream_tbEUlT_E0_NS1_11comp_targetILNS1_3genE9ELNS1_11target_archE1100ELNS1_3gpuE3ELNS1_3repE0EEENS1_30default_config_static_selectorELNS0_4arch9wavefront6targetE1EEEvSK_.num_named_barrier, 0
	.set _ZN7rocprim17ROCPRIM_400000_NS6detail17trampoline_kernelINS0_14default_configENS1_22reduce_config_selectorIyEEZNS1_11reduce_implILb1ES3_N6thrust23THRUST_200600_302600_NS6detail15normal_iteratorINS8_10device_ptrIyEEEEPyy9plus_mod3IyEEE10hipError_tPvRmT1_T2_T3_mT4_P12ihipStream_tbEUlT_E0_NS1_11comp_targetILNS1_3genE9ELNS1_11target_archE1100ELNS1_3gpuE3ELNS1_3repE0EEENS1_30default_config_static_selectorELNS0_4arch9wavefront6targetE1EEEvSK_.private_seg_size, 0
	.set _ZN7rocprim17ROCPRIM_400000_NS6detail17trampoline_kernelINS0_14default_configENS1_22reduce_config_selectorIyEEZNS1_11reduce_implILb1ES3_N6thrust23THRUST_200600_302600_NS6detail15normal_iteratorINS8_10device_ptrIyEEEEPyy9plus_mod3IyEEE10hipError_tPvRmT1_T2_T3_mT4_P12ihipStream_tbEUlT_E0_NS1_11comp_targetILNS1_3genE9ELNS1_11target_archE1100ELNS1_3gpuE3ELNS1_3repE0EEENS1_30default_config_static_selectorELNS0_4arch9wavefront6targetE1EEEvSK_.uses_vcc, 0
	.set _ZN7rocprim17ROCPRIM_400000_NS6detail17trampoline_kernelINS0_14default_configENS1_22reduce_config_selectorIyEEZNS1_11reduce_implILb1ES3_N6thrust23THRUST_200600_302600_NS6detail15normal_iteratorINS8_10device_ptrIyEEEEPyy9plus_mod3IyEEE10hipError_tPvRmT1_T2_T3_mT4_P12ihipStream_tbEUlT_E0_NS1_11comp_targetILNS1_3genE9ELNS1_11target_archE1100ELNS1_3gpuE3ELNS1_3repE0EEENS1_30default_config_static_selectorELNS0_4arch9wavefront6targetE1EEEvSK_.uses_flat_scratch, 0
	.set _ZN7rocprim17ROCPRIM_400000_NS6detail17trampoline_kernelINS0_14default_configENS1_22reduce_config_selectorIyEEZNS1_11reduce_implILb1ES3_N6thrust23THRUST_200600_302600_NS6detail15normal_iteratorINS8_10device_ptrIyEEEEPyy9plus_mod3IyEEE10hipError_tPvRmT1_T2_T3_mT4_P12ihipStream_tbEUlT_E0_NS1_11comp_targetILNS1_3genE9ELNS1_11target_archE1100ELNS1_3gpuE3ELNS1_3repE0EEENS1_30default_config_static_selectorELNS0_4arch9wavefront6targetE1EEEvSK_.has_dyn_sized_stack, 0
	.set _ZN7rocprim17ROCPRIM_400000_NS6detail17trampoline_kernelINS0_14default_configENS1_22reduce_config_selectorIyEEZNS1_11reduce_implILb1ES3_N6thrust23THRUST_200600_302600_NS6detail15normal_iteratorINS8_10device_ptrIyEEEEPyy9plus_mod3IyEEE10hipError_tPvRmT1_T2_T3_mT4_P12ihipStream_tbEUlT_E0_NS1_11comp_targetILNS1_3genE9ELNS1_11target_archE1100ELNS1_3gpuE3ELNS1_3repE0EEENS1_30default_config_static_selectorELNS0_4arch9wavefront6targetE1EEEvSK_.has_recursion, 0
	.set _ZN7rocprim17ROCPRIM_400000_NS6detail17trampoline_kernelINS0_14default_configENS1_22reduce_config_selectorIyEEZNS1_11reduce_implILb1ES3_N6thrust23THRUST_200600_302600_NS6detail15normal_iteratorINS8_10device_ptrIyEEEEPyy9plus_mod3IyEEE10hipError_tPvRmT1_T2_T3_mT4_P12ihipStream_tbEUlT_E0_NS1_11comp_targetILNS1_3genE9ELNS1_11target_archE1100ELNS1_3gpuE3ELNS1_3repE0EEENS1_30default_config_static_selectorELNS0_4arch9wavefront6targetE1EEEvSK_.has_indirect_call, 0
	.section	.AMDGPU.csdata,"",@progbits
; Kernel info:
; codeLenInByte = 0
; TotalNumSgprs: 6
; NumVgprs: 0
; NumAgprs: 0
; TotalNumVgprs: 0
; ScratchSize: 0
; MemoryBound: 0
; FloatMode: 240
; IeeeMode: 1
; LDSByteSize: 0 bytes/workgroup (compile time only)
; SGPRBlocks: 0
; VGPRBlocks: 0
; NumSGPRsForWavesPerEU: 6
; NumVGPRsForWavesPerEU: 1
; AccumOffset: 4
; Occupancy: 8
; WaveLimiterHint : 0
; COMPUTE_PGM_RSRC2:SCRATCH_EN: 0
; COMPUTE_PGM_RSRC2:USER_SGPR: 2
; COMPUTE_PGM_RSRC2:TRAP_HANDLER: 0
; COMPUTE_PGM_RSRC2:TGID_X_EN: 1
; COMPUTE_PGM_RSRC2:TGID_Y_EN: 0
; COMPUTE_PGM_RSRC2:TGID_Z_EN: 0
; COMPUTE_PGM_RSRC2:TIDIG_COMP_CNT: 0
; COMPUTE_PGM_RSRC3_GFX90A:ACCUM_OFFSET: 0
; COMPUTE_PGM_RSRC3_GFX90A:TG_SPLIT: 0
	.section	.text._ZN7rocprim17ROCPRIM_400000_NS6detail17trampoline_kernelINS0_14default_configENS1_22reduce_config_selectorIyEEZNS1_11reduce_implILb1ES3_N6thrust23THRUST_200600_302600_NS6detail15normal_iteratorINS8_10device_ptrIyEEEEPyy9plus_mod3IyEEE10hipError_tPvRmT1_T2_T3_mT4_P12ihipStream_tbEUlT_E0_NS1_11comp_targetILNS1_3genE8ELNS1_11target_archE1030ELNS1_3gpuE2ELNS1_3repE0EEENS1_30default_config_static_selectorELNS0_4arch9wavefront6targetE1EEEvSK_,"axG",@progbits,_ZN7rocprim17ROCPRIM_400000_NS6detail17trampoline_kernelINS0_14default_configENS1_22reduce_config_selectorIyEEZNS1_11reduce_implILb1ES3_N6thrust23THRUST_200600_302600_NS6detail15normal_iteratorINS8_10device_ptrIyEEEEPyy9plus_mod3IyEEE10hipError_tPvRmT1_T2_T3_mT4_P12ihipStream_tbEUlT_E0_NS1_11comp_targetILNS1_3genE8ELNS1_11target_archE1030ELNS1_3gpuE2ELNS1_3repE0EEENS1_30default_config_static_selectorELNS0_4arch9wavefront6targetE1EEEvSK_,comdat
	.protected	_ZN7rocprim17ROCPRIM_400000_NS6detail17trampoline_kernelINS0_14default_configENS1_22reduce_config_selectorIyEEZNS1_11reduce_implILb1ES3_N6thrust23THRUST_200600_302600_NS6detail15normal_iteratorINS8_10device_ptrIyEEEEPyy9plus_mod3IyEEE10hipError_tPvRmT1_T2_T3_mT4_P12ihipStream_tbEUlT_E0_NS1_11comp_targetILNS1_3genE8ELNS1_11target_archE1030ELNS1_3gpuE2ELNS1_3repE0EEENS1_30default_config_static_selectorELNS0_4arch9wavefront6targetE1EEEvSK_ ; -- Begin function _ZN7rocprim17ROCPRIM_400000_NS6detail17trampoline_kernelINS0_14default_configENS1_22reduce_config_selectorIyEEZNS1_11reduce_implILb1ES3_N6thrust23THRUST_200600_302600_NS6detail15normal_iteratorINS8_10device_ptrIyEEEEPyy9plus_mod3IyEEE10hipError_tPvRmT1_T2_T3_mT4_P12ihipStream_tbEUlT_E0_NS1_11comp_targetILNS1_3genE8ELNS1_11target_archE1030ELNS1_3gpuE2ELNS1_3repE0EEENS1_30default_config_static_selectorELNS0_4arch9wavefront6targetE1EEEvSK_
	.globl	_ZN7rocprim17ROCPRIM_400000_NS6detail17trampoline_kernelINS0_14default_configENS1_22reduce_config_selectorIyEEZNS1_11reduce_implILb1ES3_N6thrust23THRUST_200600_302600_NS6detail15normal_iteratorINS8_10device_ptrIyEEEEPyy9plus_mod3IyEEE10hipError_tPvRmT1_T2_T3_mT4_P12ihipStream_tbEUlT_E0_NS1_11comp_targetILNS1_3genE8ELNS1_11target_archE1030ELNS1_3gpuE2ELNS1_3repE0EEENS1_30default_config_static_selectorELNS0_4arch9wavefront6targetE1EEEvSK_
	.p2align	8
	.type	_ZN7rocprim17ROCPRIM_400000_NS6detail17trampoline_kernelINS0_14default_configENS1_22reduce_config_selectorIyEEZNS1_11reduce_implILb1ES3_N6thrust23THRUST_200600_302600_NS6detail15normal_iteratorINS8_10device_ptrIyEEEEPyy9plus_mod3IyEEE10hipError_tPvRmT1_T2_T3_mT4_P12ihipStream_tbEUlT_E0_NS1_11comp_targetILNS1_3genE8ELNS1_11target_archE1030ELNS1_3gpuE2ELNS1_3repE0EEENS1_30default_config_static_selectorELNS0_4arch9wavefront6targetE1EEEvSK_,@function
_ZN7rocprim17ROCPRIM_400000_NS6detail17trampoline_kernelINS0_14default_configENS1_22reduce_config_selectorIyEEZNS1_11reduce_implILb1ES3_N6thrust23THRUST_200600_302600_NS6detail15normal_iteratorINS8_10device_ptrIyEEEEPyy9plus_mod3IyEEE10hipError_tPvRmT1_T2_T3_mT4_P12ihipStream_tbEUlT_E0_NS1_11comp_targetILNS1_3genE8ELNS1_11target_archE1030ELNS1_3gpuE2ELNS1_3repE0EEENS1_30default_config_static_selectorELNS0_4arch9wavefront6targetE1EEEvSK_: ; @_ZN7rocprim17ROCPRIM_400000_NS6detail17trampoline_kernelINS0_14default_configENS1_22reduce_config_selectorIyEEZNS1_11reduce_implILb1ES3_N6thrust23THRUST_200600_302600_NS6detail15normal_iteratorINS8_10device_ptrIyEEEEPyy9plus_mod3IyEEE10hipError_tPvRmT1_T2_T3_mT4_P12ihipStream_tbEUlT_E0_NS1_11comp_targetILNS1_3genE8ELNS1_11target_archE1030ELNS1_3gpuE2ELNS1_3repE0EEENS1_30default_config_static_selectorELNS0_4arch9wavefront6targetE1EEEvSK_
; %bb.0:
	.section	.rodata,"a",@progbits
	.p2align	6, 0x0
	.amdhsa_kernel _ZN7rocprim17ROCPRIM_400000_NS6detail17trampoline_kernelINS0_14default_configENS1_22reduce_config_selectorIyEEZNS1_11reduce_implILb1ES3_N6thrust23THRUST_200600_302600_NS6detail15normal_iteratorINS8_10device_ptrIyEEEEPyy9plus_mod3IyEEE10hipError_tPvRmT1_T2_T3_mT4_P12ihipStream_tbEUlT_E0_NS1_11comp_targetILNS1_3genE8ELNS1_11target_archE1030ELNS1_3gpuE2ELNS1_3repE0EEENS1_30default_config_static_selectorELNS0_4arch9wavefront6targetE1EEEvSK_
		.amdhsa_group_segment_fixed_size 0
		.amdhsa_private_segment_fixed_size 0
		.amdhsa_kernarg_size 64
		.amdhsa_user_sgpr_count 2
		.amdhsa_user_sgpr_dispatch_ptr 0
		.amdhsa_user_sgpr_queue_ptr 0
		.amdhsa_user_sgpr_kernarg_segment_ptr 1
		.amdhsa_user_sgpr_dispatch_id 0
		.amdhsa_user_sgpr_kernarg_preload_length 0
		.amdhsa_user_sgpr_kernarg_preload_offset 0
		.amdhsa_user_sgpr_private_segment_size 0
		.amdhsa_uses_dynamic_stack 0
		.amdhsa_enable_private_segment 0
		.amdhsa_system_sgpr_workgroup_id_x 1
		.amdhsa_system_sgpr_workgroup_id_y 0
		.amdhsa_system_sgpr_workgroup_id_z 0
		.amdhsa_system_sgpr_workgroup_info 0
		.amdhsa_system_vgpr_workitem_id 0
		.amdhsa_next_free_vgpr 1
		.amdhsa_next_free_sgpr 0
		.amdhsa_accum_offset 4
		.amdhsa_reserve_vcc 0
		.amdhsa_float_round_mode_32 0
		.amdhsa_float_round_mode_16_64 0
		.amdhsa_float_denorm_mode_32 3
		.amdhsa_float_denorm_mode_16_64 3
		.amdhsa_dx10_clamp 1
		.amdhsa_ieee_mode 1
		.amdhsa_fp16_overflow 0
		.amdhsa_tg_split 0
		.amdhsa_exception_fp_ieee_invalid_op 0
		.amdhsa_exception_fp_denorm_src 0
		.amdhsa_exception_fp_ieee_div_zero 0
		.amdhsa_exception_fp_ieee_overflow 0
		.amdhsa_exception_fp_ieee_underflow 0
		.amdhsa_exception_fp_ieee_inexact 0
		.amdhsa_exception_int_div_zero 0
	.end_amdhsa_kernel
	.section	.text._ZN7rocprim17ROCPRIM_400000_NS6detail17trampoline_kernelINS0_14default_configENS1_22reduce_config_selectorIyEEZNS1_11reduce_implILb1ES3_N6thrust23THRUST_200600_302600_NS6detail15normal_iteratorINS8_10device_ptrIyEEEEPyy9plus_mod3IyEEE10hipError_tPvRmT1_T2_T3_mT4_P12ihipStream_tbEUlT_E0_NS1_11comp_targetILNS1_3genE8ELNS1_11target_archE1030ELNS1_3gpuE2ELNS1_3repE0EEENS1_30default_config_static_selectorELNS0_4arch9wavefront6targetE1EEEvSK_,"axG",@progbits,_ZN7rocprim17ROCPRIM_400000_NS6detail17trampoline_kernelINS0_14default_configENS1_22reduce_config_selectorIyEEZNS1_11reduce_implILb1ES3_N6thrust23THRUST_200600_302600_NS6detail15normal_iteratorINS8_10device_ptrIyEEEEPyy9plus_mod3IyEEE10hipError_tPvRmT1_T2_T3_mT4_P12ihipStream_tbEUlT_E0_NS1_11comp_targetILNS1_3genE8ELNS1_11target_archE1030ELNS1_3gpuE2ELNS1_3repE0EEENS1_30default_config_static_selectorELNS0_4arch9wavefront6targetE1EEEvSK_,comdat
.Lfunc_end793:
	.size	_ZN7rocprim17ROCPRIM_400000_NS6detail17trampoline_kernelINS0_14default_configENS1_22reduce_config_selectorIyEEZNS1_11reduce_implILb1ES3_N6thrust23THRUST_200600_302600_NS6detail15normal_iteratorINS8_10device_ptrIyEEEEPyy9plus_mod3IyEEE10hipError_tPvRmT1_T2_T3_mT4_P12ihipStream_tbEUlT_E0_NS1_11comp_targetILNS1_3genE8ELNS1_11target_archE1030ELNS1_3gpuE2ELNS1_3repE0EEENS1_30default_config_static_selectorELNS0_4arch9wavefront6targetE1EEEvSK_, .Lfunc_end793-_ZN7rocprim17ROCPRIM_400000_NS6detail17trampoline_kernelINS0_14default_configENS1_22reduce_config_selectorIyEEZNS1_11reduce_implILb1ES3_N6thrust23THRUST_200600_302600_NS6detail15normal_iteratorINS8_10device_ptrIyEEEEPyy9plus_mod3IyEEE10hipError_tPvRmT1_T2_T3_mT4_P12ihipStream_tbEUlT_E0_NS1_11comp_targetILNS1_3genE8ELNS1_11target_archE1030ELNS1_3gpuE2ELNS1_3repE0EEENS1_30default_config_static_selectorELNS0_4arch9wavefront6targetE1EEEvSK_
                                        ; -- End function
	.set _ZN7rocprim17ROCPRIM_400000_NS6detail17trampoline_kernelINS0_14default_configENS1_22reduce_config_selectorIyEEZNS1_11reduce_implILb1ES3_N6thrust23THRUST_200600_302600_NS6detail15normal_iteratorINS8_10device_ptrIyEEEEPyy9plus_mod3IyEEE10hipError_tPvRmT1_T2_T3_mT4_P12ihipStream_tbEUlT_E0_NS1_11comp_targetILNS1_3genE8ELNS1_11target_archE1030ELNS1_3gpuE2ELNS1_3repE0EEENS1_30default_config_static_selectorELNS0_4arch9wavefront6targetE1EEEvSK_.num_vgpr, 0
	.set _ZN7rocprim17ROCPRIM_400000_NS6detail17trampoline_kernelINS0_14default_configENS1_22reduce_config_selectorIyEEZNS1_11reduce_implILb1ES3_N6thrust23THRUST_200600_302600_NS6detail15normal_iteratorINS8_10device_ptrIyEEEEPyy9plus_mod3IyEEE10hipError_tPvRmT1_T2_T3_mT4_P12ihipStream_tbEUlT_E0_NS1_11comp_targetILNS1_3genE8ELNS1_11target_archE1030ELNS1_3gpuE2ELNS1_3repE0EEENS1_30default_config_static_selectorELNS0_4arch9wavefront6targetE1EEEvSK_.num_agpr, 0
	.set _ZN7rocprim17ROCPRIM_400000_NS6detail17trampoline_kernelINS0_14default_configENS1_22reduce_config_selectorIyEEZNS1_11reduce_implILb1ES3_N6thrust23THRUST_200600_302600_NS6detail15normal_iteratorINS8_10device_ptrIyEEEEPyy9plus_mod3IyEEE10hipError_tPvRmT1_T2_T3_mT4_P12ihipStream_tbEUlT_E0_NS1_11comp_targetILNS1_3genE8ELNS1_11target_archE1030ELNS1_3gpuE2ELNS1_3repE0EEENS1_30default_config_static_selectorELNS0_4arch9wavefront6targetE1EEEvSK_.numbered_sgpr, 0
	.set _ZN7rocprim17ROCPRIM_400000_NS6detail17trampoline_kernelINS0_14default_configENS1_22reduce_config_selectorIyEEZNS1_11reduce_implILb1ES3_N6thrust23THRUST_200600_302600_NS6detail15normal_iteratorINS8_10device_ptrIyEEEEPyy9plus_mod3IyEEE10hipError_tPvRmT1_T2_T3_mT4_P12ihipStream_tbEUlT_E0_NS1_11comp_targetILNS1_3genE8ELNS1_11target_archE1030ELNS1_3gpuE2ELNS1_3repE0EEENS1_30default_config_static_selectorELNS0_4arch9wavefront6targetE1EEEvSK_.num_named_barrier, 0
	.set _ZN7rocprim17ROCPRIM_400000_NS6detail17trampoline_kernelINS0_14default_configENS1_22reduce_config_selectorIyEEZNS1_11reduce_implILb1ES3_N6thrust23THRUST_200600_302600_NS6detail15normal_iteratorINS8_10device_ptrIyEEEEPyy9plus_mod3IyEEE10hipError_tPvRmT1_T2_T3_mT4_P12ihipStream_tbEUlT_E0_NS1_11comp_targetILNS1_3genE8ELNS1_11target_archE1030ELNS1_3gpuE2ELNS1_3repE0EEENS1_30default_config_static_selectorELNS0_4arch9wavefront6targetE1EEEvSK_.private_seg_size, 0
	.set _ZN7rocprim17ROCPRIM_400000_NS6detail17trampoline_kernelINS0_14default_configENS1_22reduce_config_selectorIyEEZNS1_11reduce_implILb1ES3_N6thrust23THRUST_200600_302600_NS6detail15normal_iteratorINS8_10device_ptrIyEEEEPyy9plus_mod3IyEEE10hipError_tPvRmT1_T2_T3_mT4_P12ihipStream_tbEUlT_E0_NS1_11comp_targetILNS1_3genE8ELNS1_11target_archE1030ELNS1_3gpuE2ELNS1_3repE0EEENS1_30default_config_static_selectorELNS0_4arch9wavefront6targetE1EEEvSK_.uses_vcc, 0
	.set _ZN7rocprim17ROCPRIM_400000_NS6detail17trampoline_kernelINS0_14default_configENS1_22reduce_config_selectorIyEEZNS1_11reduce_implILb1ES3_N6thrust23THRUST_200600_302600_NS6detail15normal_iteratorINS8_10device_ptrIyEEEEPyy9plus_mod3IyEEE10hipError_tPvRmT1_T2_T3_mT4_P12ihipStream_tbEUlT_E0_NS1_11comp_targetILNS1_3genE8ELNS1_11target_archE1030ELNS1_3gpuE2ELNS1_3repE0EEENS1_30default_config_static_selectorELNS0_4arch9wavefront6targetE1EEEvSK_.uses_flat_scratch, 0
	.set _ZN7rocprim17ROCPRIM_400000_NS6detail17trampoline_kernelINS0_14default_configENS1_22reduce_config_selectorIyEEZNS1_11reduce_implILb1ES3_N6thrust23THRUST_200600_302600_NS6detail15normal_iteratorINS8_10device_ptrIyEEEEPyy9plus_mod3IyEEE10hipError_tPvRmT1_T2_T3_mT4_P12ihipStream_tbEUlT_E0_NS1_11comp_targetILNS1_3genE8ELNS1_11target_archE1030ELNS1_3gpuE2ELNS1_3repE0EEENS1_30default_config_static_selectorELNS0_4arch9wavefront6targetE1EEEvSK_.has_dyn_sized_stack, 0
	.set _ZN7rocprim17ROCPRIM_400000_NS6detail17trampoline_kernelINS0_14default_configENS1_22reduce_config_selectorIyEEZNS1_11reduce_implILb1ES3_N6thrust23THRUST_200600_302600_NS6detail15normal_iteratorINS8_10device_ptrIyEEEEPyy9plus_mod3IyEEE10hipError_tPvRmT1_T2_T3_mT4_P12ihipStream_tbEUlT_E0_NS1_11comp_targetILNS1_3genE8ELNS1_11target_archE1030ELNS1_3gpuE2ELNS1_3repE0EEENS1_30default_config_static_selectorELNS0_4arch9wavefront6targetE1EEEvSK_.has_recursion, 0
	.set _ZN7rocprim17ROCPRIM_400000_NS6detail17trampoline_kernelINS0_14default_configENS1_22reduce_config_selectorIyEEZNS1_11reduce_implILb1ES3_N6thrust23THRUST_200600_302600_NS6detail15normal_iteratorINS8_10device_ptrIyEEEEPyy9plus_mod3IyEEE10hipError_tPvRmT1_T2_T3_mT4_P12ihipStream_tbEUlT_E0_NS1_11comp_targetILNS1_3genE8ELNS1_11target_archE1030ELNS1_3gpuE2ELNS1_3repE0EEENS1_30default_config_static_selectorELNS0_4arch9wavefront6targetE1EEEvSK_.has_indirect_call, 0
	.section	.AMDGPU.csdata,"",@progbits
; Kernel info:
; codeLenInByte = 0
; TotalNumSgprs: 6
; NumVgprs: 0
; NumAgprs: 0
; TotalNumVgprs: 0
; ScratchSize: 0
; MemoryBound: 0
; FloatMode: 240
; IeeeMode: 1
; LDSByteSize: 0 bytes/workgroup (compile time only)
; SGPRBlocks: 0
; VGPRBlocks: 0
; NumSGPRsForWavesPerEU: 6
; NumVGPRsForWavesPerEU: 1
; AccumOffset: 4
; Occupancy: 8
; WaveLimiterHint : 0
; COMPUTE_PGM_RSRC2:SCRATCH_EN: 0
; COMPUTE_PGM_RSRC2:USER_SGPR: 2
; COMPUTE_PGM_RSRC2:TRAP_HANDLER: 0
; COMPUTE_PGM_RSRC2:TGID_X_EN: 1
; COMPUTE_PGM_RSRC2:TGID_Y_EN: 0
; COMPUTE_PGM_RSRC2:TGID_Z_EN: 0
; COMPUTE_PGM_RSRC2:TIDIG_COMP_CNT: 0
; COMPUTE_PGM_RSRC3_GFX90A:ACCUM_OFFSET: 0
; COMPUTE_PGM_RSRC3_GFX90A:TG_SPLIT: 0
	.section	.text._ZN7rocprim17ROCPRIM_400000_NS6detail17trampoline_kernelINS0_14default_configENS1_22reduce_config_selectorIyEEZNS1_11reduce_implILb1ES3_N6thrust23THRUST_200600_302600_NS6detail15normal_iteratorINS8_10device_ptrIyEEEEPyy9plus_mod3IyEEE10hipError_tPvRmT1_T2_T3_mT4_P12ihipStream_tbEUlT_E1_NS1_11comp_targetILNS1_3genE0ELNS1_11target_archE4294967295ELNS1_3gpuE0ELNS1_3repE0EEENS1_30default_config_static_selectorELNS0_4arch9wavefront6targetE1EEEvSK_,"axG",@progbits,_ZN7rocprim17ROCPRIM_400000_NS6detail17trampoline_kernelINS0_14default_configENS1_22reduce_config_selectorIyEEZNS1_11reduce_implILb1ES3_N6thrust23THRUST_200600_302600_NS6detail15normal_iteratorINS8_10device_ptrIyEEEEPyy9plus_mod3IyEEE10hipError_tPvRmT1_T2_T3_mT4_P12ihipStream_tbEUlT_E1_NS1_11comp_targetILNS1_3genE0ELNS1_11target_archE4294967295ELNS1_3gpuE0ELNS1_3repE0EEENS1_30default_config_static_selectorELNS0_4arch9wavefront6targetE1EEEvSK_,comdat
	.protected	_ZN7rocprim17ROCPRIM_400000_NS6detail17trampoline_kernelINS0_14default_configENS1_22reduce_config_selectorIyEEZNS1_11reduce_implILb1ES3_N6thrust23THRUST_200600_302600_NS6detail15normal_iteratorINS8_10device_ptrIyEEEEPyy9plus_mod3IyEEE10hipError_tPvRmT1_T2_T3_mT4_P12ihipStream_tbEUlT_E1_NS1_11comp_targetILNS1_3genE0ELNS1_11target_archE4294967295ELNS1_3gpuE0ELNS1_3repE0EEENS1_30default_config_static_selectorELNS0_4arch9wavefront6targetE1EEEvSK_ ; -- Begin function _ZN7rocprim17ROCPRIM_400000_NS6detail17trampoline_kernelINS0_14default_configENS1_22reduce_config_selectorIyEEZNS1_11reduce_implILb1ES3_N6thrust23THRUST_200600_302600_NS6detail15normal_iteratorINS8_10device_ptrIyEEEEPyy9plus_mod3IyEEE10hipError_tPvRmT1_T2_T3_mT4_P12ihipStream_tbEUlT_E1_NS1_11comp_targetILNS1_3genE0ELNS1_11target_archE4294967295ELNS1_3gpuE0ELNS1_3repE0EEENS1_30default_config_static_selectorELNS0_4arch9wavefront6targetE1EEEvSK_
	.globl	_ZN7rocprim17ROCPRIM_400000_NS6detail17trampoline_kernelINS0_14default_configENS1_22reduce_config_selectorIyEEZNS1_11reduce_implILb1ES3_N6thrust23THRUST_200600_302600_NS6detail15normal_iteratorINS8_10device_ptrIyEEEEPyy9plus_mod3IyEEE10hipError_tPvRmT1_T2_T3_mT4_P12ihipStream_tbEUlT_E1_NS1_11comp_targetILNS1_3genE0ELNS1_11target_archE4294967295ELNS1_3gpuE0ELNS1_3repE0EEENS1_30default_config_static_selectorELNS0_4arch9wavefront6targetE1EEEvSK_
	.p2align	8
	.type	_ZN7rocprim17ROCPRIM_400000_NS6detail17trampoline_kernelINS0_14default_configENS1_22reduce_config_selectorIyEEZNS1_11reduce_implILb1ES3_N6thrust23THRUST_200600_302600_NS6detail15normal_iteratorINS8_10device_ptrIyEEEEPyy9plus_mod3IyEEE10hipError_tPvRmT1_T2_T3_mT4_P12ihipStream_tbEUlT_E1_NS1_11comp_targetILNS1_3genE0ELNS1_11target_archE4294967295ELNS1_3gpuE0ELNS1_3repE0EEENS1_30default_config_static_selectorELNS0_4arch9wavefront6targetE1EEEvSK_,@function
_ZN7rocprim17ROCPRIM_400000_NS6detail17trampoline_kernelINS0_14default_configENS1_22reduce_config_selectorIyEEZNS1_11reduce_implILb1ES3_N6thrust23THRUST_200600_302600_NS6detail15normal_iteratorINS8_10device_ptrIyEEEEPyy9plus_mod3IyEEE10hipError_tPvRmT1_T2_T3_mT4_P12ihipStream_tbEUlT_E1_NS1_11comp_targetILNS1_3genE0ELNS1_11target_archE4294967295ELNS1_3gpuE0ELNS1_3repE0EEENS1_30default_config_static_selectorELNS0_4arch9wavefront6targetE1EEEvSK_: ; @_ZN7rocprim17ROCPRIM_400000_NS6detail17trampoline_kernelINS0_14default_configENS1_22reduce_config_selectorIyEEZNS1_11reduce_implILb1ES3_N6thrust23THRUST_200600_302600_NS6detail15normal_iteratorINS8_10device_ptrIyEEEEPyy9plus_mod3IyEEE10hipError_tPvRmT1_T2_T3_mT4_P12ihipStream_tbEUlT_E1_NS1_11comp_targetILNS1_3genE0ELNS1_11target_archE4294967295ELNS1_3gpuE0ELNS1_3repE0EEENS1_30default_config_static_selectorELNS0_4arch9wavefront6targetE1EEEvSK_
; %bb.0:
	s_load_dword s33, s[0:1], 0x4
	s_load_dwordx8 s[36:43], s[0:1], 0x8
	s_load_dwordx2 s[30:31], s[0:1], 0x28
	s_waitcnt lgkmcnt(0)
	s_cmp_lt_i32 s33, 4
	s_cbranch_scc1 .LBB794_10
; %bb.1:
	s_cmp_gt_i32 s33, 7
	s_cbranch_scc0 .LBB794_11
; %bb.2:
	s_cmp_gt_i32 s33, 15
	s_cbranch_scc0 .LBB794_12
; %bb.3:
	s_mov_b64 s[34:35], 0
	s_cmp_eq_u32 s33, 16
	s_mov_b64 s[16:17], 0
	s_mov_b64 s[14:15], 0
                                        ; implicit-def: $vgpr2_vgpr3
	s_cbranch_scc0 .LBB794_13
; %bb.4:
	s_mov_b32 s3, 0
	s_lshl_b32 s0, s2, 12
	s_mov_b32 s1, s3
	s_lshr_b64 s[4:5], s[38:39], 12
	s_lshl_b64 s[6:7], s[0:1], 3
	s_add_u32 s46, s36, s6
	s_addc_u32 s47, s37, s7
	s_cmp_lg_u64 s[4:5], s[2:3]
	s_cbranch_scc0 .LBB794_22
; %bb.5:
	v_lshlrev_b32_e32 v2, 3, v0
	global_load_dword v1, v2, s[46:47]
	global_load_dword v7, v2, s[46:47] offset:2048
	v_mov_b32_e32 v3, 0
	v_lshl_add_u64 v[4:5], s[46:47], 0, v[2:3]
	v_mov_b32_e32 v6, v3
	v_add_co_u32_e32 v8, vcc, 0x1000, v4
	s_waitcnt vmcnt(0)
	v_add_u32_e32 v7, v7, v1
	v_ashrrev_i64 v[6:7], 29, v[6:7]
	v_addc_co_u32_e32 v9, vcc, 0, v5, vcc
	v_lshl_add_u64 v[6:7], s[30:31], 0, v[6:7]
	global_load_dword v2, v[8:9], off
	global_load_dword v1, v[6:7], off
	v_add_co_u32_e32 v10, vcc, 0x2000, v4
	v_mov_b32_e32 v6, v3
	s_nop 0
	v_addc_co_u32_e32 v11, vcc, 0, v5, vcc
	v_add_co_u32_e32 v12, vcc, 0x3000, v4
	s_waitcnt vmcnt(0)
	v_add_u32_e32 v7, v1, v2
	v_addc_co_u32_e32 v13, vcc, 0, v5, vcc
	v_ashrrev_i64 v[6:7], 29, v[6:7]
	v_add_co_u32_e32 v14, vcc, 0x4000, v4
	v_lshl_add_u64 v[6:7], s[30:31], 0, v[6:7]
	s_nop 0
	v_addc_co_u32_e32 v15, vcc, 0, v5, vcc
	global_load_dword v16, v[8:9], off offset:2048
	global_load_dword v17, v[10:11], off
	global_load_dword v18, v[10:11], off offset:2048
	global_load_dword v19, v[12:13], off
	;; [unrolled: 2-line block ×4, first 2 shown]
	v_mov_b32_e32 v6, v3
	v_add_co_u32_e32 v8, vcc, 0x5000, v4
	s_waitcnt vmcnt(0)
	v_add_u32_e32 v7, v1, v16
	v_ashrrev_i64 v[6:7], 29, v[6:7]
	v_lshl_add_u64 v[6:7], s[30:31], 0, v[6:7]
	global_load_dword v1, v[6:7], off
	v_mov_b32_e32 v6, v3
	v_addc_co_u32_e32 v9, vcc, 0, v5, vcc
	global_load_dword v2, v[8:9], off
	v_add_co_u32_e32 v10, vcc, 0x6000, v4
	s_waitcnt vmcnt(1)
	v_add_u32_e32 v7, v1, v17
	v_ashrrev_i64 v[6:7], 29, v[6:7]
	v_lshl_add_u64 v[6:7], s[30:31], 0, v[6:7]
	global_load_dword v1, v[6:7], off
	v_mov_b32_e32 v6, v3
	v_addc_co_u32_e32 v11, vcc, 0, v5, vcc
	v_add_co_u32_e32 v4, vcc, 0x7000, v4
	s_waitcnt vmcnt(0)
	v_add_u32_e32 v7, v1, v18
	v_ashrrev_i64 v[6:7], 29, v[6:7]
	v_lshl_add_u64 v[6:7], s[30:31], 0, v[6:7]
	global_load_dword v1, v[6:7], off
	v_mov_b32_e32 v6, v3
	v_addc_co_u32_e32 v5, vcc, 0, v5, vcc
	s_waitcnt vmcnt(0)
	v_add_u32_e32 v7, v1, v19
	v_ashrrev_i64 v[6:7], 29, v[6:7]
	v_lshl_add_u64 v[6:7], s[30:31], 0, v[6:7]
	global_load_dword v1, v[6:7], off
	v_mov_b32_e32 v6, v3
	s_waitcnt vmcnt(0)
	v_add_u32_e32 v7, v1, v20
	v_ashrrev_i64 v[6:7], 29, v[6:7]
	v_lshl_add_u64 v[6:7], s[30:31], 0, v[6:7]
	global_load_dword v1, v[6:7], off
	v_mov_b32_e32 v6, v3
	;; [unrolled: 6-line block ×4, first 2 shown]
	global_load_dword v12, v[8:9], off offset:2048
	global_load_dword v13, v[10:11], off
	global_load_dword v14, v[10:11], off offset:2048
	global_load_dword v15, v[4:5], off
	global_load_dword v16, v[4:5], off offset:2048
	s_waitcnt vmcnt(5)
	v_add_u32_e32 v7, v1, v2
	v_ashrrev_i64 v[4:5], 29, v[6:7]
	v_lshl_add_u64 v[4:5], s[30:31], 0, v[4:5]
	global_load_dword v1, v[4:5], off
	v_mov_b32_e32 v4, v3
	v_mov_b32_e32 v2, v3
	s_waitcnt vmcnt(0)
	v_add_u32_e32 v5, v1, v12
	v_ashrrev_i64 v[4:5], 29, v[4:5]
	v_lshl_add_u64 v[4:5], s[30:31], 0, v[4:5]
	global_load_dword v1, v[4:5], off
	v_mov_b32_e32 v4, v3
	s_waitcnt vmcnt(0)
	v_add_u32_e32 v5, v1, v13
	v_ashrrev_i64 v[4:5], 29, v[4:5]
	v_lshl_add_u64 v[4:5], s[30:31], 0, v[4:5]
	global_load_dword v1, v[4:5], off
	;; [unrolled: 6-line block ×5, first 2 shown]
	v_mov_b32_e32 v4, v3
	s_waitcnt vmcnt(0)
	v_add_u32_dpp v5, v1, v1 quad_perm:[1,0,3,2] row_mask:0xf bank_mask:0xf bound_ctrl:1
	v_ashrrev_i64 v[4:5], 29, v[4:5]
	v_lshl_add_u64 v[4:5], s[30:31], 0, v[4:5]
	global_load_dword v1, v[4:5], off
	v_mov_b32_e32 v4, v3
	s_waitcnt vmcnt(0)
	v_add_u32_dpp v5, v1, v1 quad_perm:[2,3,0,1] row_mask:0xf bank_mask:0xf bound_ctrl:1
	v_ashrrev_i64 v[4:5], 29, v[4:5]
	v_lshl_add_u64 v[4:5], s[30:31], 0, v[4:5]
	global_load_dword v1, v[4:5], off
	v_mov_b32_e32 v4, v3
	s_waitcnt vmcnt(0)
	v_add_u32_dpp v5, v1, v1 row_ror:4 row_mask:0xf bank_mask:0xf bound_ctrl:1
	v_ashrrev_i64 v[4:5], 29, v[4:5]
	v_lshl_add_u64 v[4:5], s[30:31], 0, v[4:5]
	global_load_dword v1, v[4:5], off
	v_mov_b32_e32 v4, v3
	s_waitcnt vmcnt(0)
	v_add_u32_dpp v5, v1, v1 row_ror:8 row_mask:0xf bank_mask:0xf bound_ctrl:1
	v_ashrrev_i64 v[4:5], 29, v[4:5]
	v_lshl_add_u64 v[4:5], s[30:31], 0, v[4:5]
	global_load_dword v1, v[4:5], off
	v_mov_b32_e32 v4, v3
	s_waitcnt vmcnt(0)
	v_add_u32_dpp v5, v1, v1 row_bcast:15 row_mask:0xf bank_mask:0xf bound_ctrl:1
	v_ashrrev_i64 v[4:5], 29, v[4:5]
	v_lshl_add_u64 v[4:5], s[30:31], 0, v[4:5]
	global_load_dword v1, v[4:5], off
	s_waitcnt vmcnt(0)
	s_nop 0
	v_add_u32_dpp v3, v1, v1 row_bcast:31 row_mask:0xf bank_mask:0xf bound_ctrl:1
	v_ashrrev_i64 v[2:3], 29, v[2:3]
	v_lshl_add_u64 v[2:3], s[30:31], 0, v[2:3]
	global_load_dwordx2 v[2:3], v[2:3], off
	v_mbcnt_lo_u32_b32 v1, -1, 0
	v_mbcnt_hi_u32_b32 v5, -1, v1
	v_lshlrev_b32_e32 v1, 2, v5
	v_or_b32_e32 v4, 0xfc, v1
	v_cmp_eq_u32_e32 vcc, 0, v5
	s_waitcnt vmcnt(0)
	ds_bpermute_b32 v2, v4, v2
	ds_bpermute_b32 v3, v4, v3
	s_and_saveexec_b64 s[4:5], vcc
	s_cbranch_execz .LBB794_7
; %bb.6:
	v_lshrrev_b32_e32 v4, 3, v0
	v_and_b32_e32 v4, 24, v4
	s_waitcnt lgkmcnt(0)
	ds_write_b64 v4, v[2:3] offset:32
.LBB794_7:
	s_or_b64 exec, exec, s[4:5]
	v_cmp_gt_u32_e32 vcc, 64, v0
	s_mov_b64 s[4:5], 0
	s_mov_b64 s[44:45], 0
	s_waitcnt lgkmcnt(0)
	s_barrier
                                        ; implicit-def: $vgpr4
	s_and_saveexec_b64 s[6:7], vcc
	s_xor_b64 s[6:7], exec, s[6:7]
	s_cbranch_execz .LBB794_9
; %bb.8:
	v_and_b32_e32 v2, 3, v5
	v_lshlrev_b32_e32 v3, 3, v2
	ds_read_b32 v3, v3 offset:32
	v_cmp_ne_u32_e32 vcc, 3, v2
	v_or_b32_e32 v1, 8, v1
	s_mov_b64 s[44:45], exec
	v_addc_co_u32_e32 v2, vcc, 0, v5, vcc
	v_lshlrev_b32_e32 v2, 2, v2
	s_waitcnt lgkmcnt(0)
	ds_bpermute_b32 v2, v2, v3
	s_waitcnt lgkmcnt(0)
	v_add_u32_e32 v3, v3, v2
	v_mov_b32_e32 v2, 0
	v_ashrrev_i64 v[2:3], 29, v[2:3]
	v_lshl_add_u64 v[2:3], s[30:31], 0, v[2:3]
	global_load_dwordx2 v[2:3], v[2:3], off
	s_waitcnt vmcnt(0)
	ds_bpermute_b32 v4, v1, v2
.LBB794_9:
	s_or_b64 exec, exec, s[6:7]
	s_branch .LBB794_23
.LBB794_10:
	s_mov_b64 s[16:17], 0
	s_mov_b64 s[14:15], 0
                                        ; implicit-def: $vgpr2_vgpr3
	s_cbranch_execnz .LBB794_190
	s_branch .LBB794_239
.LBB794_11:
	s_mov_b64 s[16:17], 0
	s_mov_b64 s[14:15], 0
                                        ; implicit-def: $vgpr2_vgpr3
	s_cbranch_execnz .LBB794_145
	s_branch .LBB794_153
.LBB794_12:
	s_mov_b64 s[34:35], -1
	s_mov_b64 s[16:17], 0
	s_mov_b64 s[14:15], 0
                                        ; implicit-def: $vgpr2_vgpr3
.LBB794_13:
	s_and_b64 vcc, exec, s[34:35]
	s_cbranch_vccz .LBB794_95
.LBB794_14:
	s_cmp_eq_u32 s33, 8
	s_cbranch_scc0 .LBB794_21
; %bb.15:
	s_mov_b32 s3, 0
	s_lshl_b32 s0, s2, 11
	s_mov_b32 s1, s3
	s_lshr_b64 s[4:5], s[38:39], 11
	s_lshl_b64 s[6:7], s[0:1], 3
	s_add_u32 s20, s36, s6
	s_addc_u32 s21, s37, s7
	s_cmp_lg_u64 s[4:5], s[2:3]
	s_cbranch_scc0 .LBB794_96
; %bb.16:
	s_waitcnt vmcnt(0)
	v_lshlrev_b32_e32 v2, 3, v0
	global_load_dword v1, v2, s[20:21]
	global_load_dword v7, v2, s[20:21] offset:2048
	v_mov_b32_e32 v3, 0
	s_waitcnt lgkmcnt(0)
	v_lshl_add_u64 v[4:5], s[20:21], 0, v[2:3]
	v_mov_b32_e32 v6, v3
	v_add_co_u32_e32 v8, vcc, 0x1000, v4
	s_waitcnt vmcnt(0)
	v_add_u32_e32 v7, v7, v1
	v_ashrrev_i64 v[6:7], 29, v[6:7]
	v_addc_co_u32_e32 v9, vcc, 0, v5, vcc
	v_lshl_add_u64 v[6:7], s[30:31], 0, v[6:7]
	global_load_dword v2, v[8:9], off
	global_load_dword v1, v[6:7], off
	v_add_co_u32_e32 v10, vcc, 0x2000, v4
	v_mov_b32_e32 v6, v3
	s_nop 0
	v_addc_co_u32_e32 v11, vcc, 0, v5, vcc
	v_add_co_u32_e32 v4, vcc, 0x3000, v4
	s_waitcnt vmcnt(0)
	v_add_u32_e32 v7, v1, v2
	v_addc_co_u32_e32 v5, vcc, 0, v5, vcc
	global_load_dword v12, v[8:9], off offset:2048
	global_load_dword v13, v[10:11], off
	global_load_dword v14, v[10:11], off offset:2048
	global_load_dword v15, v[4:5], off
	global_load_dword v16, v[4:5], off offset:2048
	v_ashrrev_i64 v[4:5], 29, v[6:7]
	v_lshl_add_u64 v[4:5], s[30:31], 0, v[4:5]
	global_load_dword v1, v[4:5], off
	v_mov_b32_e32 v4, v3
	v_mov_b32_e32 v2, v3
	s_waitcnt vmcnt(0)
	v_add_u32_e32 v5, v1, v12
	v_ashrrev_i64 v[4:5], 29, v[4:5]
	v_lshl_add_u64 v[4:5], s[30:31], 0, v[4:5]
	global_load_dword v1, v[4:5], off
	v_mov_b32_e32 v4, v3
	s_waitcnt vmcnt(0)
	v_add_u32_e32 v5, v1, v13
	v_ashrrev_i64 v[4:5], 29, v[4:5]
	v_lshl_add_u64 v[4:5], s[30:31], 0, v[4:5]
	global_load_dword v1, v[4:5], off
	;; [unrolled: 6-line block ×5, first 2 shown]
	v_mov_b32_e32 v4, v3
	s_waitcnt vmcnt(0)
	v_add_u32_dpp v5, v1, v1 quad_perm:[1,0,3,2] row_mask:0xf bank_mask:0xf bound_ctrl:1
	v_ashrrev_i64 v[4:5], 29, v[4:5]
	v_lshl_add_u64 v[4:5], s[30:31], 0, v[4:5]
	global_load_dword v1, v[4:5], off
	v_mov_b32_e32 v4, v3
	s_waitcnt vmcnt(0)
	v_add_u32_dpp v5, v1, v1 quad_perm:[2,3,0,1] row_mask:0xf bank_mask:0xf bound_ctrl:1
	v_ashrrev_i64 v[4:5], 29, v[4:5]
	v_lshl_add_u64 v[4:5], s[30:31], 0, v[4:5]
	global_load_dword v1, v[4:5], off
	v_mov_b32_e32 v4, v3
	s_waitcnt vmcnt(0)
	v_add_u32_dpp v5, v1, v1 row_ror:4 row_mask:0xf bank_mask:0xf bound_ctrl:1
	v_ashrrev_i64 v[4:5], 29, v[4:5]
	v_lshl_add_u64 v[4:5], s[30:31], 0, v[4:5]
	global_load_dword v1, v[4:5], off
	v_mov_b32_e32 v4, v3
	s_waitcnt vmcnt(0)
	v_add_u32_dpp v5, v1, v1 row_ror:8 row_mask:0xf bank_mask:0xf bound_ctrl:1
	v_ashrrev_i64 v[4:5], 29, v[4:5]
	v_lshl_add_u64 v[4:5], s[30:31], 0, v[4:5]
	global_load_dword v1, v[4:5], off
	v_mov_b32_e32 v4, v3
	s_waitcnt vmcnt(0)
	v_add_u32_dpp v5, v1, v1 row_bcast:15 row_mask:0xf bank_mask:0xf bound_ctrl:1
	v_ashrrev_i64 v[4:5], 29, v[4:5]
	v_lshl_add_u64 v[4:5], s[30:31], 0, v[4:5]
	global_load_dword v1, v[4:5], off
	s_waitcnt vmcnt(0)
	s_nop 0
	v_add_u32_dpp v3, v1, v1 row_bcast:31 row_mask:0xf bank_mask:0xf bound_ctrl:1
	v_ashrrev_i64 v[2:3], 29, v[2:3]
	v_lshl_add_u64 v[2:3], s[30:31], 0, v[2:3]
	global_load_dwordx2 v[2:3], v[2:3], off
	v_mbcnt_lo_u32_b32 v1, -1, 0
	v_mbcnt_hi_u32_b32 v5, -1, v1
	v_lshlrev_b32_e32 v1, 2, v5
	v_or_b32_e32 v4, 0xfc, v1
	v_cmp_eq_u32_e32 vcc, 0, v5
	s_waitcnt vmcnt(0)
	ds_bpermute_b32 v2, v4, v2
	ds_bpermute_b32 v3, v4, v3
	s_and_saveexec_b64 s[4:5], vcc
	s_cbranch_execz .LBB794_18
; %bb.17:
	v_lshrrev_b32_e32 v4, 3, v0
	v_and_b32_e32 v4, 24, v4
	s_waitcnt lgkmcnt(0)
	ds_write_b64 v4, v[2:3] offset:160
.LBB794_18:
	s_or_b64 exec, exec, s[4:5]
	v_cmp_gt_u32_e32 vcc, 64, v0
	s_mov_b64 s[4:5], 0
	s_mov_b64 s[18:19], 0
	s_waitcnt lgkmcnt(0)
	s_barrier
                                        ; implicit-def: $vgpr4
	s_and_saveexec_b64 s[6:7], vcc
	s_xor_b64 s[6:7], exec, s[6:7]
	s_cbranch_execz .LBB794_20
; %bb.19:
	v_and_b32_e32 v2, 3, v5
	v_lshlrev_b32_e32 v3, 3, v2
	ds_read_b32 v3, v3 offset:160
	v_cmp_ne_u32_e32 vcc, 3, v2
	v_or_b32_e32 v1, 8, v1
	s_mov_b64 s[18:19], exec
	v_addc_co_u32_e32 v2, vcc, 0, v5, vcc
	v_lshlrev_b32_e32 v2, 2, v2
	s_waitcnt lgkmcnt(0)
	ds_bpermute_b32 v2, v2, v3
	s_waitcnt lgkmcnt(0)
	v_add_u32_e32 v3, v3, v2
	v_mov_b32_e32 v2, 0
	v_ashrrev_i64 v[2:3], 29, v[2:3]
	v_lshl_add_u64 v[2:3], s[30:31], 0, v[2:3]
	global_load_dwordx2 v[2:3], v[2:3], off
	s_waitcnt vmcnt(0)
	ds_bpermute_b32 v4, v1, v2
.LBB794_20:
	s_or_b64 exec, exec, s[6:7]
	s_branch .LBB794_97
.LBB794_21:
                                        ; implicit-def: $vgpr2_vgpr3
	s_branch .LBB794_153
.LBB794_22:
	s_mov_b64 s[4:5], -1
	s_mov_b64 s[44:45], 0
                                        ; implicit-def: $vgpr4
                                        ; implicit-def: $vgpr2_vgpr3
.LBB794_23:
	s_and_b64 vcc, exec, s[4:5]
	s_cbranch_vccz .LBB794_90
; %bb.24:
	s_sub_i32 s50, s38, s0
	v_mov_b32_e32 v2, 0
	v_cmp_gt_u32_e32 vcc, s50, v0
	v_mov_b32_e32 v3, v2
	s_waitcnt lgkmcnt(0)
	v_mov_b32_e32 v4, v2
	v_mov_b32_e32 v6, v2
	;; [unrolled: 1-line block ×15, first 2 shown]
	s_and_saveexec_b64 s[0:1], vcc
	s_cbranch_execz .LBB794_26
; %bb.25:
	v_lshlrev_b32_e32 v1, 3, v0
	global_load_dwordx2 v[4:5], v1, s[46:47]
	v_mov_b32_e32 v6, v2
	v_mov_b32_e32 v8, v2
	;; [unrolled: 1-line block ×15, first 2 shown]
	s_waitcnt vmcnt(0)
	v_mov_b64_e32 v[2:3], v[4:5]
	v_mov_b64_e32 v[4:5], v[6:7]
	;; [unrolled: 1-line block ×16, first 2 shown]
.LBB794_26:
	s_or_b64 exec, exec, s[0:1]
	v_or_b32_e32 v1, 0x100, v0
	v_cmp_gt_u32_e32 vcc, s50, v1
	s_and_saveexec_b64 s[0:1], vcc
	s_cbranch_execz .LBB794_28
; %bb.27:
	v_lshlrev_b32_e32 v1, 3, v0
	global_load_dwordx2 v[4:5], v1, s[46:47] offset:2048
.LBB794_28:
	s_or_b64 exec, exec, s[0:1]
	v_or_b32_e32 v1, 0x200, v0
	v_cmp_gt_u32_e64 s[0:1], s50, v1
	s_and_saveexec_b64 s[4:5], s[0:1]
	s_cbranch_execz .LBB794_30
; %bb.29:
	v_lshlrev_b32_e32 v1, 3, v1
	global_load_dwordx2 v[6:7], v1, s[46:47]
.LBB794_30:
	s_or_b64 exec, exec, s[4:5]
	v_or_b32_e32 v1, 0x300, v0
	v_cmp_gt_u32_e64 s[4:5], s50, v1
	s_and_saveexec_b64 s[6:7], s[4:5]
	s_cbranch_execz .LBB794_32
; %bb.31:
	v_lshlrev_b32_e32 v1, 3, v1
	global_load_dwordx2 v[8:9], v1, s[46:47]
.LBB794_32:
	;; [unrolled: 9-line block ×13, first 2 shown]
	s_or_b64 exec, exec, s[28:29]
	v_or_b32_e32 v1, 0xf00, v0
	v_cmp_gt_u32_e64 s[28:29], s50, v1
	s_and_saveexec_b64 s[48:49], s[28:29]
	s_cbranch_execnz .LBB794_274
; %bb.55:
	s_or_b64 exec, exec, s[48:49]
	s_and_saveexec_b64 s[46:47], vcc
	s_cbranch_execnz .LBB794_275
.LBB794_56:
	s_or_b64 exec, exec, s[46:47]
	s_and_saveexec_b64 s[46:47], s[0:1]
	s_cbranch_execnz .LBB794_276
.LBB794_57:
	s_or_b64 exec, exec, s[46:47]
	s_and_saveexec_b64 s[0:1], s[4:5]
	s_cbranch_execnz .LBB794_277
.LBB794_58:
	s_or_b64 exec, exec, s[0:1]
	s_and_saveexec_b64 s[0:1], s[6:7]
	s_cbranch_execnz .LBB794_278
.LBB794_59:
	s_or_b64 exec, exec, s[0:1]
	s_and_saveexec_b64 s[0:1], s[8:9]
	s_cbranch_execnz .LBB794_279
.LBB794_60:
	s_or_b64 exec, exec, s[0:1]
	s_and_saveexec_b64 s[0:1], s[10:11]
	s_cbranch_execnz .LBB794_280
.LBB794_61:
	s_or_b64 exec, exec, s[0:1]
	s_and_saveexec_b64 s[0:1], s[12:13]
	s_cbranch_execnz .LBB794_281
.LBB794_62:
	s_or_b64 exec, exec, s[0:1]
	s_and_saveexec_b64 s[0:1], s[14:15]
	s_cbranch_execnz .LBB794_282
.LBB794_63:
	s_or_b64 exec, exec, s[0:1]
	s_and_saveexec_b64 s[0:1], s[16:17]
	s_cbranch_execnz .LBB794_283
.LBB794_64:
	s_or_b64 exec, exec, s[0:1]
	s_and_saveexec_b64 s[0:1], s[18:19]
	s_cbranch_execnz .LBB794_284
.LBB794_65:
	s_or_b64 exec, exec, s[0:1]
	s_and_saveexec_b64 s[0:1], s[20:21]
	s_cbranch_execnz .LBB794_285
.LBB794_66:
	s_or_b64 exec, exec, s[0:1]
	s_and_saveexec_b64 s[0:1], s[22:23]
	s_cbranch_execnz .LBB794_286
.LBB794_67:
	s_or_b64 exec, exec, s[0:1]
	s_and_saveexec_b64 s[0:1], s[24:25]
	s_cbranch_execnz .LBB794_287
.LBB794_68:
	s_or_b64 exec, exec, s[0:1]
	s_and_saveexec_b64 s[0:1], s[26:27]
	s_cbranch_execnz .LBB794_288
.LBB794_69:
	s_or_b64 exec, exec, s[0:1]
	s_and_saveexec_b64 s[0:1], s[28:29]
	s_cbranch_execz .LBB794_71
.LBB794_70:
	s_waitcnt vmcnt(0)
	v_add_u32_e32 v3, v2, v32
	v_mov_b32_e32 v2, 0
	v_ashrrev_i64 v[2:3], 29, v[2:3]
	v_lshl_add_u64 v[2:3], s[30:31], 0, v[2:3]
	global_load_dwordx2 v[2:3], v[2:3], off
.LBB794_71:
	s_or_b64 exec, exec, s[0:1]
	v_mbcnt_lo_u32_b32 v1, -1, 0
	v_mbcnt_hi_u32_b32 v1, -1, v1
	s_waitcnt vmcnt(0)
	v_and_b32_e32 v4, 63, v1
	v_cmp_ne_u32_e32 vcc, 63, v4
	s_min_u32 s4, s50, 0x100
	v_add_u32_e32 v7, 1, v4
	v_addc_co_u32_e32 v5, vcc, 0, v1, vcc
	v_lshlrev_b32_e32 v5, 2, v5
	ds_bpermute_b32 v6, v5, v2
	v_and_b32_e32 v5, 0xc0, v0
	v_sub_u32_e64 v5, s4, v5 clamp
	v_cmp_lt_u32_e32 vcc, v7, v5
	s_and_saveexec_b64 s[0:1], vcc
	s_xor_b64 s[0:1], exec, s[0:1]
	s_cbranch_execz .LBB794_73
; %bb.72:
	s_waitcnt lgkmcnt(0)
	v_add_u32_e32 v3, v2, v6
	v_mov_b32_e32 v2, 0
	v_ashrrev_i64 v[2:3], 29, v[2:3]
	v_lshl_add_u64 v[2:3], s[30:31], 0, v[2:3]
	global_load_dwordx2 v[2:3], v[2:3], off
.LBB794_73:
	s_or_b64 exec, exec, s[0:1]
	v_cmp_gt_u32_e32 vcc, 62, v4
	v_add_u32_e32 v7, 2, v4
	s_waitcnt lgkmcnt(0)
	v_cndmask_b32_e64 v6, 0, 2, vcc
	v_add_lshl_u32 v6, v6, v1, 2
	s_waitcnt vmcnt(0)
	ds_bpermute_b32 v6, v6, v2
	v_cmp_lt_u32_e32 vcc, v7, v5
	s_and_saveexec_b64 s[0:1], vcc
	s_cbranch_execz .LBB794_75
; %bb.74:
	s_waitcnt lgkmcnt(0)
	v_add_u32_e32 v3, v2, v6
	v_mov_b32_e32 v2, 0
	v_ashrrev_i64 v[2:3], 29, v[2:3]
	v_lshl_add_u64 v[2:3], s[30:31], 0, v[2:3]
	global_load_dwordx2 v[2:3], v[2:3], off
.LBB794_75:
	s_or_b64 exec, exec, s[0:1]
	v_cmp_gt_u32_e32 vcc, 60, v4
	v_add_u32_e32 v7, 4, v4
	s_waitcnt lgkmcnt(0)
	v_cndmask_b32_e64 v6, 0, 4, vcc
	v_add_lshl_u32 v6, v6, v1, 2
	s_waitcnt vmcnt(0)
	ds_bpermute_b32 v6, v6, v2
	v_cmp_lt_u32_e32 vcc, v7, v5
	s_and_saveexec_b64 s[0:1], vcc
	;; [unrolled: 19-line block ×4, first 2 shown]
	s_cbranch_execz .LBB794_81
; %bb.80:
	s_waitcnt lgkmcnt(0)
	v_add_u32_e32 v3, v2, v6
	v_mov_b32_e32 v2, 0
	v_ashrrev_i64 v[2:3], 29, v[2:3]
	v_lshl_add_u64 v[2:3], s[30:31], 0, v[2:3]
	global_load_dwordx2 v[2:3], v[2:3], off
.LBB794_81:
	s_or_b64 exec, exec, s[0:1]
	s_waitcnt lgkmcnt(0)
	v_lshlrev_b32_e32 v6, 2, v1
	v_or_b32_e32 v7, 0x80, v6
	s_waitcnt vmcnt(0)
	ds_bpermute_b32 v7, v7, v2
	v_add_u32_e32 v4, 32, v4
	v_cmp_lt_u32_e32 vcc, v4, v5
	s_and_saveexec_b64 s[0:1], vcc
	s_cbranch_execz .LBB794_83
; %bb.82:
	s_waitcnt lgkmcnt(0)
	v_add_u32_e32 v3, v2, v7
	v_mov_b32_e32 v2, 0
	v_ashrrev_i64 v[2:3], 29, v[2:3]
	v_lshl_add_u64 v[2:3], s[30:31], 0, v[2:3]
	global_load_dwordx2 v[2:3], v[2:3], off
.LBB794_83:
	s_or_b64 exec, exec, s[0:1]
	v_cmp_eq_u32_e32 vcc, 0, v1
	s_and_saveexec_b64 s[0:1], vcc
	s_cbranch_execz .LBB794_85
; %bb.84:
	v_lshrrev_b32_e32 v4, 3, v0
	v_and_b32_e32 v4, 24, v4
	s_waitcnt vmcnt(0)
	ds_write_b64 v4, v[2:3]
.LBB794_85:
	s_or_b64 exec, exec, s[0:1]
	v_cmp_gt_u32_e32 vcc, 4, v0
	s_waitcnt lgkmcnt(0)
	s_barrier
                                        ; implicit-def: $vgpr4
	s_and_saveexec_b64 s[0:1], vcc
	s_cbranch_execz .LBB794_89
; %bb.86:
	s_waitcnt vmcnt(0)
	v_lshlrev_b32_e32 v2, 3, v1
	ds_read_b64 v[2:3], v2
	v_and_b32_e32 v4, 3, v1
	v_cmp_ne_u32_e32 vcc, 3, v4
	s_add_i32 s4, s4, 63
	s_lshr_b32 s6, s4, 6
	v_addc_co_u32_e32 v1, vcc, 0, v1, vcc
	v_lshlrev_b32_e32 v1, 2, v1
	s_waitcnt lgkmcnt(0)
	ds_bpermute_b32 v1, v1, v2
	v_add_u32_e32 v3, 1, v4
	v_cmp_gt_u32_e32 vcc, s6, v3
	s_and_saveexec_b64 s[4:5], vcc
	s_cbranch_execz .LBB794_88
; %bb.87:
	s_waitcnt lgkmcnt(0)
	v_add_u32_e32 v3, v2, v1
	v_mov_b32_e32 v2, 0
	v_ashrrev_i64 v[2:3], 29, v[2:3]
	v_lshl_add_u64 v[2:3], s[30:31], 0, v[2:3]
	global_load_dwordx2 v[2:3], v[2:3], off
.LBB794_88:
	s_or_b64 exec, exec, s[4:5]
	s_waitcnt vmcnt(0)
	v_or_b32_e32 v3, 8, v6
	s_waitcnt lgkmcnt(0)
	v_add_u32_e32 v1, 2, v4
	ds_bpermute_b32 v4, v3, v2
	v_cmp_gt_u32_e32 vcc, s6, v1
	s_andn2_b64 s[4:5], s[44:45], exec
	s_and_b64 s[6:7], vcc, exec
	s_or_b64 s[44:45], s[4:5], s[6:7]
.LBB794_89:
	s_or_b64 exec, exec, s[0:1]
.LBB794_90:
	s_and_saveexec_b64 s[0:1], s[44:45]
	s_cbranch_execz .LBB794_92
; %bb.91:
	s_waitcnt vmcnt(0) lgkmcnt(0)
	v_add_u32_e32 v3, v2, v4
	v_mov_b32_e32 v2, 0
	v_ashrrev_i64 v[2:3], 29, v[2:3]
	v_lshl_add_u64 v[2:3], s[30:31], 0, v[2:3]
	global_load_dwordx2 v[2:3], v[2:3], off
.LBB794_92:
	s_or_b64 exec, exec, s[0:1]
	v_cmp_eq_u32_e32 vcc, 0, v0
	s_mov_b64 s[16:17], 0
	s_mov_b64 s[14:15], 0
	s_and_saveexec_b64 s[0:1], vcc
	s_xor_b64 s[0:1], exec, s[0:1]
; %bb.93:
	s_cmp_eq_u64 s[38:39], 0
	s_cselect_b64 s[4:5], -1, 0
	s_cmp_lg_u64 s[38:39], 0
	s_cselect_b64 s[6:7], -1, 0
	s_and_b64 s[14:15], s[4:5], exec
	s_and_b64 s[16:17], s[6:7], exec
; %bb.94:
	s_or_b64 exec, exec, s[0:1]
	s_and_b64 vcc, exec, s[34:35]
	s_cbranch_vccnz .LBB794_14
.LBB794_95:
	s_branch .LBB794_153
.LBB794_96:
	s_mov_b64 s[4:5], -1
	s_mov_b64 s[18:19], 0
                                        ; implicit-def: $vgpr4
                                        ; implicit-def: $vgpr2_vgpr3
.LBB794_97:
	s_and_b64 vcc, exec, s[4:5]
	s_cbranch_vccz .LBB794_140
; %bb.98:
	s_sub_i32 s24, s38, s0
	s_waitcnt vmcnt(0)
	v_mov_b32_e32 v2, 0
	v_cmp_gt_u32_e32 vcc, s24, v0
	v_mov_b32_e32 v3, v2
	s_waitcnt lgkmcnt(0)
	v_mov_b32_e32 v4, v2
	v_mov_b32_e32 v6, v2
	v_mov_b32_e32 v8, v2
	v_mov_b32_e32 v10, v2
	v_mov_b32_e32 v12, v2
	v_mov_b32_e32 v14, v2
	v_mov_b32_e32 v16, v2
	s_and_saveexec_b64 s[0:1], vcc
	s_cbranch_execz .LBB794_100
; %bb.99:
	v_lshlrev_b32_e32 v1, 3, v0
	global_load_dwordx2 v[4:5], v1, s[20:21]
	v_mov_b32_e32 v6, v2
	v_mov_b32_e32 v8, v2
	;; [unrolled: 1-line block ×7, first 2 shown]
	s_waitcnt vmcnt(0)
	v_mov_b64_e32 v[2:3], v[4:5]
	v_mov_b64_e32 v[4:5], v[6:7]
	;; [unrolled: 1-line block ×8, first 2 shown]
.LBB794_100:
	s_or_b64 exec, exec, s[0:1]
	v_or_b32_e32 v1, 0x100, v0
	v_cmp_gt_u32_e32 vcc, s24, v1
	s_and_saveexec_b64 s[0:1], vcc
	s_cbranch_execz .LBB794_102
; %bb.101:
	v_lshlrev_b32_e32 v1, 3, v0
	global_load_dwordx2 v[4:5], v1, s[20:21] offset:2048
.LBB794_102:
	s_or_b64 exec, exec, s[0:1]
	v_or_b32_e32 v1, 0x200, v0
	v_cmp_gt_u32_e64 s[0:1], s24, v1
	s_and_saveexec_b64 s[4:5], s[0:1]
	s_cbranch_execz .LBB794_104
; %bb.103:
	v_lshlrev_b32_e32 v1, 3, v1
	global_load_dwordx2 v[6:7], v1, s[20:21]
.LBB794_104:
	s_or_b64 exec, exec, s[4:5]
	v_or_b32_e32 v1, 0x300, v0
	v_cmp_gt_u32_e64 s[4:5], s24, v1
	s_and_saveexec_b64 s[6:7], s[4:5]
	s_cbranch_execz .LBB794_106
; %bb.105:
	v_lshlrev_b32_e32 v1, 3, v1
	global_load_dwordx2 v[8:9], v1, s[20:21]
.LBB794_106:
	;; [unrolled: 9-line block ×5, first 2 shown]
	s_or_b64 exec, exec, s[12:13]
	v_or_b32_e32 v1, 0x700, v0
	v_cmp_gt_u32_e64 s[12:13], s24, v1
	s_and_saveexec_b64 s[22:23], s[12:13]
	s_cbranch_execnz .LBB794_289
; %bb.113:
	s_or_b64 exec, exec, s[22:23]
	s_and_saveexec_b64 s[20:21], vcc
	s_cbranch_execnz .LBB794_290
.LBB794_114:
	s_or_b64 exec, exec, s[20:21]
	s_and_saveexec_b64 s[20:21], s[0:1]
	s_cbranch_execnz .LBB794_291
.LBB794_115:
	s_or_b64 exec, exec, s[20:21]
	s_and_saveexec_b64 s[0:1], s[4:5]
	s_cbranch_execnz .LBB794_292
.LBB794_116:
	s_or_b64 exec, exec, s[0:1]
	s_and_saveexec_b64 s[0:1], s[6:7]
	s_cbranch_execnz .LBB794_293
.LBB794_117:
	s_or_b64 exec, exec, s[0:1]
	s_and_saveexec_b64 s[0:1], s[8:9]
	s_cbranch_execnz .LBB794_294
.LBB794_118:
	s_or_b64 exec, exec, s[0:1]
	s_and_saveexec_b64 s[0:1], s[10:11]
	s_cbranch_execnz .LBB794_295
.LBB794_119:
	s_or_b64 exec, exec, s[0:1]
	s_and_saveexec_b64 s[0:1], s[12:13]
	s_cbranch_execz .LBB794_121
.LBB794_120:
	s_waitcnt vmcnt(0)
	v_add_u32_e32 v3, v2, v16
	v_mov_b32_e32 v2, 0
	v_ashrrev_i64 v[2:3], 29, v[2:3]
	v_lshl_add_u64 v[2:3], s[30:31], 0, v[2:3]
	global_load_dwordx2 v[2:3], v[2:3], off
.LBB794_121:
	s_or_b64 exec, exec, s[0:1]
	v_mbcnt_lo_u32_b32 v1, -1, 0
	v_mbcnt_hi_u32_b32 v1, -1, v1
	s_waitcnt vmcnt(0)
	v_and_b32_e32 v4, 63, v1
	v_cmp_ne_u32_e32 vcc, 63, v4
	s_min_u32 s4, s24, 0x100
	v_add_u32_e32 v7, 1, v4
	v_addc_co_u32_e32 v5, vcc, 0, v1, vcc
	v_lshlrev_b32_e32 v5, 2, v5
	ds_bpermute_b32 v6, v5, v2
	v_and_b32_e32 v5, 0xc0, v0
	v_sub_u32_e64 v5, s4, v5 clamp
	v_cmp_lt_u32_e32 vcc, v7, v5
	s_and_saveexec_b64 s[0:1], vcc
	s_xor_b64 s[0:1], exec, s[0:1]
	s_cbranch_execz .LBB794_123
; %bb.122:
	s_waitcnt lgkmcnt(0)
	v_add_u32_e32 v3, v2, v6
	v_mov_b32_e32 v2, 0
	v_ashrrev_i64 v[2:3], 29, v[2:3]
	v_lshl_add_u64 v[2:3], s[30:31], 0, v[2:3]
	global_load_dwordx2 v[2:3], v[2:3], off
.LBB794_123:
	s_or_b64 exec, exec, s[0:1]
	v_cmp_gt_u32_e32 vcc, 62, v4
	v_add_u32_e32 v7, 2, v4
	s_waitcnt lgkmcnt(0)
	v_cndmask_b32_e64 v6, 0, 2, vcc
	v_add_lshl_u32 v6, v6, v1, 2
	s_waitcnt vmcnt(0)
	ds_bpermute_b32 v6, v6, v2
	v_cmp_lt_u32_e32 vcc, v7, v5
	s_and_saveexec_b64 s[0:1], vcc
	s_cbranch_execz .LBB794_125
; %bb.124:
	s_waitcnt lgkmcnt(0)
	v_add_u32_e32 v3, v2, v6
	v_mov_b32_e32 v2, 0
	v_ashrrev_i64 v[2:3], 29, v[2:3]
	v_lshl_add_u64 v[2:3], s[30:31], 0, v[2:3]
	global_load_dwordx2 v[2:3], v[2:3], off
.LBB794_125:
	s_or_b64 exec, exec, s[0:1]
	v_cmp_gt_u32_e32 vcc, 60, v4
	v_add_u32_e32 v7, 4, v4
	s_waitcnt lgkmcnt(0)
	v_cndmask_b32_e64 v6, 0, 4, vcc
	v_add_lshl_u32 v6, v6, v1, 2
	s_waitcnt vmcnt(0)
	ds_bpermute_b32 v6, v6, v2
	v_cmp_lt_u32_e32 vcc, v7, v5
	s_and_saveexec_b64 s[0:1], vcc
	;; [unrolled: 19-line block ×4, first 2 shown]
	s_cbranch_execz .LBB794_131
; %bb.130:
	s_waitcnt lgkmcnt(0)
	v_add_u32_e32 v3, v2, v6
	v_mov_b32_e32 v2, 0
	v_ashrrev_i64 v[2:3], 29, v[2:3]
	v_lshl_add_u64 v[2:3], s[30:31], 0, v[2:3]
	global_load_dwordx2 v[2:3], v[2:3], off
.LBB794_131:
	s_or_b64 exec, exec, s[0:1]
	s_waitcnt lgkmcnt(0)
	v_lshlrev_b32_e32 v6, 2, v1
	v_or_b32_e32 v7, 0x80, v6
	s_waitcnt vmcnt(0)
	ds_bpermute_b32 v7, v7, v2
	v_add_u32_e32 v4, 32, v4
	v_cmp_lt_u32_e32 vcc, v4, v5
	s_and_saveexec_b64 s[0:1], vcc
	s_cbranch_execz .LBB794_133
; %bb.132:
	s_waitcnt lgkmcnt(0)
	v_add_u32_e32 v3, v2, v7
	v_mov_b32_e32 v2, 0
	v_ashrrev_i64 v[2:3], 29, v[2:3]
	v_lshl_add_u64 v[2:3], s[30:31], 0, v[2:3]
	global_load_dwordx2 v[2:3], v[2:3], off
.LBB794_133:
	s_or_b64 exec, exec, s[0:1]
	v_cmp_eq_u32_e32 vcc, 0, v1
	s_and_saveexec_b64 s[0:1], vcc
	s_cbranch_execz .LBB794_135
; %bb.134:
	v_lshrrev_b32_e32 v4, 3, v0
	v_and_b32_e32 v4, 24, v4
	s_waitcnt vmcnt(0)
	ds_write_b64 v4, v[2:3]
.LBB794_135:
	s_or_b64 exec, exec, s[0:1]
	v_cmp_gt_u32_e32 vcc, 4, v0
	s_waitcnt lgkmcnt(0)
	s_barrier
                                        ; implicit-def: $vgpr4
	s_and_saveexec_b64 s[0:1], vcc
	s_cbranch_execz .LBB794_139
; %bb.136:
	s_waitcnt vmcnt(0)
	v_lshlrev_b32_e32 v2, 3, v1
	ds_read_b64 v[2:3], v2
	v_and_b32_e32 v4, 3, v1
	v_cmp_ne_u32_e32 vcc, 3, v4
	s_add_i32 s4, s4, 63
	s_lshr_b32 s6, s4, 6
	v_addc_co_u32_e32 v1, vcc, 0, v1, vcc
	v_lshlrev_b32_e32 v1, 2, v1
	s_waitcnt lgkmcnt(0)
	ds_bpermute_b32 v1, v1, v2
	v_add_u32_e32 v3, 1, v4
	v_cmp_gt_u32_e32 vcc, s6, v3
	s_and_saveexec_b64 s[4:5], vcc
	s_cbranch_execz .LBB794_138
; %bb.137:
	s_waitcnt lgkmcnt(0)
	v_add_u32_e32 v3, v2, v1
	v_mov_b32_e32 v2, 0
	v_ashrrev_i64 v[2:3], 29, v[2:3]
	v_lshl_add_u64 v[2:3], s[30:31], 0, v[2:3]
	global_load_dwordx2 v[2:3], v[2:3], off
.LBB794_138:
	s_or_b64 exec, exec, s[4:5]
	s_waitcnt vmcnt(0)
	v_or_b32_e32 v3, 8, v6
	s_waitcnt lgkmcnt(0)
	v_add_u32_e32 v1, 2, v4
	ds_bpermute_b32 v4, v3, v2
	v_cmp_gt_u32_e32 vcc, s6, v1
	s_andn2_b64 s[4:5], s[18:19], exec
	s_and_b64 s[6:7], vcc, exec
	s_or_b64 s[18:19], s[4:5], s[6:7]
.LBB794_139:
	s_or_b64 exec, exec, s[0:1]
.LBB794_140:
	s_and_saveexec_b64 s[0:1], s[18:19]
	s_cbranch_execz .LBB794_142
; %bb.141:
	s_waitcnt vmcnt(0) lgkmcnt(0)
	v_add_u32_e32 v3, v2, v4
	v_mov_b32_e32 v2, 0
	v_ashrrev_i64 v[2:3], 29, v[2:3]
	v_lshl_add_u64 v[2:3], s[30:31], 0, v[2:3]
	global_load_dwordx2 v[2:3], v[2:3], off
.LBB794_142:
	s_or_b64 exec, exec, s[0:1]
	v_cmp_eq_u32_e32 vcc, 0, v0
	s_and_saveexec_b64 s[0:1], vcc
	s_xor_b64 s[0:1], exec, s[0:1]
	s_cbranch_execz .LBB794_144
; %bb.143:
	s_cmp_eq_u64 s[38:39], 0
	s_cselect_b64 s[4:5], -1, 0
	s_cmp_lg_u64 s[38:39], 0
	s_cselect_b64 s[6:7], -1, 0
	s_andn2_b64 s[8:9], s[14:15], exec
	s_and_b64 s[4:5], s[4:5], exec
	s_or_b64 s[14:15], s[8:9], s[4:5]
	s_andn2_b64 s[4:5], s[16:17], exec
	s_and_b64 s[6:7], s[6:7], exec
	s_or_b64 s[16:17], s[4:5], s[6:7]
.LBB794_144:
	s_or_b64 exec, exec, s[0:1]
	s_branch .LBB794_153
.LBB794_145:
	s_cmp_eq_u32 s33, 4
	s_cbranch_scc0 .LBB794_152
; %bb.146:
	s_mov_b32 s3, 0
	s_lshl_b32 s0, s2, 10
	s_mov_b32 s1, s3
	s_lshr_b64 s[4:5], s[38:39], 10
	s_lshl_b64 s[6:7], s[0:1], 3
	s_add_u32 s8, s36, s6
	s_addc_u32 s9, s37, s7
	s_cmp_lg_u64 s[4:5], s[2:3]
	s_cbranch_scc0 .LBB794_154
; %bb.147:
	s_waitcnt vmcnt(0)
	v_lshlrev_b32_e32 v2, 3, v0
	global_load_dword v1, v2, s[8:9]
	global_load_dword v7, v2, s[8:9] offset:2048
	v_mov_b32_e32 v3, 0
	s_waitcnt lgkmcnt(0)
	v_lshl_add_u64 v[4:5], s[8:9], 0, v[2:3]
	v_mov_b32_e32 v6, v3
	v_add_co_u32_e32 v4, vcc, 0x1000, v4
	s_waitcnt vmcnt(0)
	v_add_u32_e32 v7, v7, v1
	v_ashrrev_i64 v[6:7], 29, v[6:7]
	v_addc_co_u32_e32 v5, vcc, 0, v5, vcc
	v_lshl_add_u64 v[6:7], s[30:31], 0, v[6:7]
	global_load_dword v2, v[4:5], off
	global_load_dword v8, v[4:5], off offset:2048
	global_load_dword v1, v[6:7], off
	v_mov_b32_e32 v6, v3
	s_waitcnt vmcnt(0)
	v_add_u32_e32 v7, v1, v2
	v_ashrrev_i64 v[4:5], 29, v[6:7]
	v_lshl_add_u64 v[4:5], s[30:31], 0, v[4:5]
	global_load_dword v1, v[4:5], off
	v_mov_b32_e32 v4, v3
	v_mov_b32_e32 v2, v3
	s_waitcnt vmcnt(0)
	v_add_u32_e32 v5, v1, v8
	v_ashrrev_i64 v[4:5], 29, v[4:5]
	v_lshl_add_u64 v[4:5], s[30:31], 0, v[4:5]
	global_load_dword v1, v[4:5], off
	v_mov_b32_e32 v4, v3
	s_waitcnt vmcnt(0)
	v_add_u32_dpp v5, v1, v1 quad_perm:[1,0,3,2] row_mask:0xf bank_mask:0xf bound_ctrl:1
	v_ashrrev_i64 v[4:5], 29, v[4:5]
	v_lshl_add_u64 v[4:5], s[30:31], 0, v[4:5]
	global_load_dword v1, v[4:5], off
	v_mov_b32_e32 v4, v3
	s_waitcnt vmcnt(0)
	v_add_u32_dpp v5, v1, v1 quad_perm:[2,3,0,1] row_mask:0xf bank_mask:0xf bound_ctrl:1
	v_ashrrev_i64 v[4:5], 29, v[4:5]
	v_lshl_add_u64 v[4:5], s[30:31], 0, v[4:5]
	global_load_dword v1, v[4:5], off
	v_mov_b32_e32 v4, v3
	s_waitcnt vmcnt(0)
	v_add_u32_dpp v5, v1, v1 row_ror:4 row_mask:0xf bank_mask:0xf bound_ctrl:1
	v_ashrrev_i64 v[4:5], 29, v[4:5]
	v_lshl_add_u64 v[4:5], s[30:31], 0, v[4:5]
	global_load_dword v1, v[4:5], off
	v_mov_b32_e32 v4, v3
	s_waitcnt vmcnt(0)
	v_add_u32_dpp v5, v1, v1 row_ror:8 row_mask:0xf bank_mask:0xf bound_ctrl:1
	v_ashrrev_i64 v[4:5], 29, v[4:5]
	v_lshl_add_u64 v[4:5], s[30:31], 0, v[4:5]
	global_load_dword v1, v[4:5], off
	v_mov_b32_e32 v4, v3
	s_waitcnt vmcnt(0)
	v_add_u32_dpp v5, v1, v1 row_bcast:15 row_mask:0xf bank_mask:0xf bound_ctrl:1
	v_ashrrev_i64 v[4:5], 29, v[4:5]
	v_lshl_add_u64 v[4:5], s[30:31], 0, v[4:5]
	global_load_dword v1, v[4:5], off
	s_waitcnt vmcnt(0)
	s_nop 0
	v_add_u32_dpp v3, v1, v1 row_bcast:31 row_mask:0xf bank_mask:0xf bound_ctrl:1
	v_ashrrev_i64 v[2:3], 29, v[2:3]
	v_lshl_add_u64 v[2:3], s[30:31], 0, v[2:3]
	global_load_dwordx2 v[2:3], v[2:3], off
	v_mbcnt_lo_u32_b32 v1, -1, 0
	v_mbcnt_hi_u32_b32 v5, -1, v1
	v_lshlrev_b32_e32 v1, 2, v5
	v_or_b32_e32 v4, 0xfc, v1
	v_cmp_eq_u32_e32 vcc, 0, v5
	s_waitcnt vmcnt(0)
	ds_bpermute_b32 v2, v4, v2
	ds_bpermute_b32 v3, v4, v3
	s_and_saveexec_b64 s[4:5], vcc
	s_cbranch_execz .LBB794_149
; %bb.148:
	v_lshrrev_b32_e32 v4, 3, v0
	v_and_b32_e32 v4, 24, v4
	s_waitcnt lgkmcnt(0)
	ds_write_b64 v4, v[2:3] offset:128
.LBB794_149:
	s_or_b64 exec, exec, s[4:5]
	v_cmp_gt_u32_e32 vcc, 64, v0
	s_mov_b64 s[4:5], 0
	s_mov_b64 s[6:7], 0
	s_waitcnt lgkmcnt(0)
	s_barrier
                                        ; implicit-def: $vgpr4
	s_and_saveexec_b64 s[10:11], vcc
	s_xor_b64 s[10:11], exec, s[10:11]
	s_cbranch_execz .LBB794_151
; %bb.150:
	v_and_b32_e32 v2, 3, v5
	v_lshlrev_b32_e32 v3, 3, v2
	ds_read_b32 v3, v3 offset:128
	v_cmp_ne_u32_e32 vcc, 3, v2
	v_or_b32_e32 v1, 8, v1
	s_mov_b64 s[6:7], exec
	v_addc_co_u32_e32 v2, vcc, 0, v5, vcc
	v_lshlrev_b32_e32 v2, 2, v2
	s_waitcnt lgkmcnt(0)
	ds_bpermute_b32 v2, v2, v3
	s_waitcnt lgkmcnt(0)
	v_add_u32_e32 v3, v3, v2
	v_mov_b32_e32 v2, 0
	v_ashrrev_i64 v[2:3], 29, v[2:3]
	v_lshl_add_u64 v[2:3], s[30:31], 0, v[2:3]
	global_load_dwordx2 v[2:3], v[2:3], off
	s_waitcnt vmcnt(0)
	ds_bpermute_b32 v4, v1, v2
.LBB794_151:
	s_or_b64 exec, exec, s[10:11]
	s_and_b64 vcc, exec, s[4:5]
	s_cbranch_vccnz .LBB794_155
	s_branch .LBB794_185
.LBB794_152:
                                        ; implicit-def: $vgpr2_vgpr3
.LBB794_153:
	s_branch .LBB794_239
.LBB794_154:
	s_mov_b64 s[6:7], 0
                                        ; implicit-def: $vgpr4
                                        ; implicit-def: $vgpr2_vgpr3
	s_cbranch_execz .LBB794_185
.LBB794_155:
	s_sub_i32 s12, s38, s0
	s_waitcnt vmcnt(0)
	v_mov_b32_e32 v2, 0
	v_cmp_gt_u32_e32 vcc, s12, v0
	v_mov_b32_e32 v3, v2
	s_waitcnt lgkmcnt(0)
	v_mov_b32_e32 v4, v2
	v_mov_b32_e32 v6, v2
	;; [unrolled: 1-line block ×3, first 2 shown]
	s_and_saveexec_b64 s[0:1], vcc
	s_cbranch_execz .LBB794_157
; %bb.156:
	v_lshlrev_b32_e32 v1, 3, v0
	global_load_dwordx2 v[4:5], v1, s[8:9]
	v_mov_b32_e32 v6, v2
	v_mov_b32_e32 v8, v2
	;; [unrolled: 1-line block ×3, first 2 shown]
	s_waitcnt vmcnt(0)
	v_mov_b64_e32 v[2:3], v[4:5]
	v_mov_b64_e32 v[4:5], v[6:7]
	v_mov_b64_e32 v[6:7], v[8:9]
	v_mov_b64_e32 v[8:9], v[10:11]
.LBB794_157:
	s_or_b64 exec, exec, s[0:1]
	v_or_b32_e32 v1, 0x100, v0
	v_cmp_gt_u32_e32 vcc, s12, v1
	s_and_saveexec_b64 s[0:1], vcc
	s_cbranch_execz .LBB794_159
; %bb.158:
	v_lshlrev_b32_e32 v1, 3, v0
	global_load_dwordx2 v[4:5], v1, s[8:9] offset:2048
.LBB794_159:
	s_or_b64 exec, exec, s[0:1]
	v_or_b32_e32 v1, 0x200, v0
	v_cmp_gt_u32_e64 s[0:1], s12, v1
	s_and_saveexec_b64 s[4:5], s[0:1]
	s_cbranch_execz .LBB794_161
; %bb.160:
	v_lshlrev_b32_e32 v1, 3, v1
	global_load_dwordx2 v[6:7], v1, s[8:9]
.LBB794_161:
	s_or_b64 exec, exec, s[4:5]
	v_or_b32_e32 v1, 0x300, v0
	v_cmp_gt_u32_e64 s[4:5], s12, v1
	s_and_saveexec_b64 s[10:11], s[4:5]
	s_cbranch_execnz .LBB794_271
; %bb.162:
	s_or_b64 exec, exec, s[10:11]
	s_and_saveexec_b64 s[8:9], vcc
	s_cbranch_execnz .LBB794_272
.LBB794_163:
	s_or_b64 exec, exec, s[8:9]
	s_and_saveexec_b64 s[8:9], s[0:1]
	s_cbranch_execnz .LBB794_273
.LBB794_164:
	s_or_b64 exec, exec, s[8:9]
	s_and_saveexec_b64 s[0:1], s[4:5]
	s_cbranch_execz .LBB794_166
.LBB794_165:
	s_waitcnt vmcnt(0)
	v_add_u32_e32 v3, v2, v8
	v_mov_b32_e32 v2, 0
	v_ashrrev_i64 v[2:3], 29, v[2:3]
	v_lshl_add_u64 v[2:3], s[30:31], 0, v[2:3]
	global_load_dwordx2 v[2:3], v[2:3], off
.LBB794_166:
	s_or_b64 exec, exec, s[0:1]
	v_mbcnt_lo_u32_b32 v1, -1, 0
	v_mbcnt_hi_u32_b32 v1, -1, v1
	s_waitcnt vmcnt(0)
	v_and_b32_e32 v4, 63, v1
	v_cmp_ne_u32_e32 vcc, 63, v4
	s_min_u32 s4, s12, 0x100
	v_add_u32_e32 v7, 1, v4
	v_addc_co_u32_e32 v5, vcc, 0, v1, vcc
	v_lshlrev_b32_e32 v5, 2, v5
	ds_bpermute_b32 v6, v5, v2
	v_and_b32_e32 v5, 0xc0, v0
	v_sub_u32_e64 v5, s4, v5 clamp
	v_cmp_lt_u32_e32 vcc, v7, v5
	s_and_saveexec_b64 s[0:1], vcc
	s_xor_b64 s[0:1], exec, s[0:1]
	s_cbranch_execz .LBB794_168
; %bb.167:
	s_waitcnt lgkmcnt(0)
	v_add_u32_e32 v3, v2, v6
	v_mov_b32_e32 v2, 0
	v_ashrrev_i64 v[2:3], 29, v[2:3]
	v_lshl_add_u64 v[2:3], s[30:31], 0, v[2:3]
	global_load_dwordx2 v[2:3], v[2:3], off
.LBB794_168:
	s_or_b64 exec, exec, s[0:1]
	v_cmp_gt_u32_e32 vcc, 62, v4
	v_add_u32_e32 v7, 2, v4
	s_waitcnt lgkmcnt(0)
	v_cndmask_b32_e64 v6, 0, 2, vcc
	v_add_lshl_u32 v6, v6, v1, 2
	s_waitcnt vmcnt(0)
	ds_bpermute_b32 v6, v6, v2
	v_cmp_lt_u32_e32 vcc, v7, v5
	s_and_saveexec_b64 s[0:1], vcc
	s_cbranch_execz .LBB794_170
; %bb.169:
	s_waitcnt lgkmcnt(0)
	v_add_u32_e32 v3, v2, v6
	v_mov_b32_e32 v2, 0
	v_ashrrev_i64 v[2:3], 29, v[2:3]
	v_lshl_add_u64 v[2:3], s[30:31], 0, v[2:3]
	global_load_dwordx2 v[2:3], v[2:3], off
.LBB794_170:
	s_or_b64 exec, exec, s[0:1]
	v_cmp_gt_u32_e32 vcc, 60, v4
	v_add_u32_e32 v7, 4, v4
	s_waitcnt lgkmcnt(0)
	v_cndmask_b32_e64 v6, 0, 4, vcc
	v_add_lshl_u32 v6, v6, v1, 2
	s_waitcnt vmcnt(0)
	ds_bpermute_b32 v6, v6, v2
	v_cmp_lt_u32_e32 vcc, v7, v5
	s_and_saveexec_b64 s[0:1], vcc
	;; [unrolled: 19-line block ×4, first 2 shown]
	s_cbranch_execz .LBB794_176
; %bb.175:
	s_waitcnt lgkmcnt(0)
	v_add_u32_e32 v3, v2, v6
	v_mov_b32_e32 v2, 0
	v_ashrrev_i64 v[2:3], 29, v[2:3]
	v_lshl_add_u64 v[2:3], s[30:31], 0, v[2:3]
	global_load_dwordx2 v[2:3], v[2:3], off
.LBB794_176:
	s_or_b64 exec, exec, s[0:1]
	s_waitcnt lgkmcnt(0)
	v_lshlrev_b32_e32 v6, 2, v1
	v_or_b32_e32 v7, 0x80, v6
	s_waitcnt vmcnt(0)
	ds_bpermute_b32 v7, v7, v2
	v_add_u32_e32 v4, 32, v4
	v_cmp_lt_u32_e32 vcc, v4, v5
	s_and_saveexec_b64 s[0:1], vcc
	s_cbranch_execz .LBB794_178
; %bb.177:
	s_waitcnt lgkmcnt(0)
	v_add_u32_e32 v3, v2, v7
	v_mov_b32_e32 v2, 0
	v_ashrrev_i64 v[2:3], 29, v[2:3]
	v_lshl_add_u64 v[2:3], s[30:31], 0, v[2:3]
	global_load_dwordx2 v[2:3], v[2:3], off
.LBB794_178:
	s_or_b64 exec, exec, s[0:1]
	v_cmp_eq_u32_e32 vcc, 0, v1
	s_and_saveexec_b64 s[0:1], vcc
	s_cbranch_execz .LBB794_180
; %bb.179:
	v_lshrrev_b32_e32 v4, 3, v0
	v_and_b32_e32 v4, 24, v4
	s_waitcnt vmcnt(0)
	ds_write_b64 v4, v[2:3]
.LBB794_180:
	s_or_b64 exec, exec, s[0:1]
	v_cmp_gt_u32_e32 vcc, 4, v0
	s_waitcnt lgkmcnt(0)
	s_barrier
                                        ; implicit-def: $vgpr4
	s_and_saveexec_b64 s[0:1], vcc
	s_cbranch_execz .LBB794_184
; %bb.181:
	s_waitcnt vmcnt(0)
	v_lshlrev_b32_e32 v2, 3, v1
	ds_read_b64 v[2:3], v2
	v_and_b32_e32 v4, 3, v1
	v_cmp_ne_u32_e32 vcc, 3, v4
	s_add_i32 s4, s4, 63
	s_lshr_b32 s8, s4, 6
	v_addc_co_u32_e32 v1, vcc, 0, v1, vcc
	v_lshlrev_b32_e32 v1, 2, v1
	s_waitcnt lgkmcnt(0)
	ds_bpermute_b32 v1, v1, v2
	v_add_u32_e32 v3, 1, v4
	v_cmp_gt_u32_e32 vcc, s8, v3
	s_and_saveexec_b64 s[4:5], vcc
	s_cbranch_execz .LBB794_183
; %bb.182:
	s_waitcnt lgkmcnt(0)
	v_add_u32_e32 v3, v2, v1
	v_mov_b32_e32 v2, 0
	v_ashrrev_i64 v[2:3], 29, v[2:3]
	v_lshl_add_u64 v[2:3], s[30:31], 0, v[2:3]
	global_load_dwordx2 v[2:3], v[2:3], off
.LBB794_183:
	s_or_b64 exec, exec, s[4:5]
	s_waitcnt vmcnt(0)
	v_or_b32_e32 v3, 8, v6
	s_waitcnt lgkmcnt(0)
	v_add_u32_e32 v1, 2, v4
	ds_bpermute_b32 v4, v3, v2
	v_cmp_gt_u32_e32 vcc, s8, v1
	s_andn2_b64 s[4:5], s[6:7], exec
	s_and_b64 s[6:7], vcc, exec
	s_or_b64 s[6:7], s[4:5], s[6:7]
.LBB794_184:
	s_or_b64 exec, exec, s[0:1]
.LBB794_185:
	s_and_saveexec_b64 s[0:1], s[6:7]
	s_cbranch_execz .LBB794_187
; %bb.186:
	s_waitcnt vmcnt(0) lgkmcnt(0)
	v_add_u32_e32 v3, v2, v4
	v_mov_b32_e32 v2, 0
	v_ashrrev_i64 v[2:3], 29, v[2:3]
	v_lshl_add_u64 v[2:3], s[30:31], 0, v[2:3]
	global_load_dwordx2 v[2:3], v[2:3], off
.LBB794_187:
	s_or_b64 exec, exec, s[0:1]
	v_cmp_eq_u32_e32 vcc, 0, v0
	s_and_saveexec_b64 s[0:1], vcc
	s_xor_b64 s[0:1], exec, s[0:1]
	s_cbranch_execz .LBB794_189
; %bb.188:
	s_cmp_eq_u64 s[38:39], 0
	s_cselect_b64 s[4:5], -1, 0
	s_cmp_lg_u64 s[38:39], 0
	s_cselect_b64 s[6:7], -1, 0
	s_andn2_b64 s[8:9], s[14:15], exec
	s_and_b64 s[4:5], s[4:5], exec
	s_or_b64 s[14:15], s[8:9], s[4:5]
	s_andn2_b64 s[4:5], s[16:17], exec
	s_and_b64 s[6:7], s[6:7], exec
	s_or_b64 s[16:17], s[4:5], s[6:7]
.LBB794_189:
	s_or_b64 exec, exec, s[0:1]
	s_branch .LBB794_239
.LBB794_190:
	s_cmp_gt_i32 s33, 1
	s_cbranch_scc0 .LBB794_198
; %bb.191:
	s_cmp_eq_u32 s33, 2
	s_cbranch_scc0 .LBB794_199
; %bb.192:
	s_mov_b32 s3, 0
	s_lshl_b32 s6, s2, 9
	s_mov_b32 s7, s3
	s_lshr_b64 s[0:1], s[38:39], 9
	s_lshl_b64 s[4:5], s[6:7], 3
	s_add_u32 s4, s36, s4
	s_addc_u32 s5, s37, s5
	s_cmp_lg_u64 s[0:1], s[2:3]
	s_cbranch_scc0 .LBB794_200
; %bb.193:
	v_lshlrev_b32_e32 v1, 3, v0
	global_load_dword v3, v1, s[4:5]
	s_waitcnt lgkmcnt(0)
	global_load_dword v4, v1, s[4:5] offset:2048
	s_waitcnt vmcnt(2)
	v_mov_b32_e32 v2, 0
	s_waitcnt vmcnt(0)
	v_add_u32_e32 v3, v4, v3
	v_ashrrev_i64 v[4:5], 29, v[2:3]
	v_lshl_add_u64 v[4:5], s[30:31], 0, v[4:5]
	global_load_dword v1, v[4:5], off
	s_waitcnt vmcnt(0)
	s_nop 0
	v_add_u32_dpp v3, v1, v1 quad_perm:[1,0,3,2] row_mask:0xf bank_mask:0xf bound_ctrl:1
	v_ashrrev_i64 v[4:5], 29, v[2:3]
	v_lshl_add_u64 v[4:5], s[30:31], 0, v[4:5]
	global_load_dword v1, v[4:5], off
	s_waitcnt vmcnt(0)
	s_nop 0
	v_add_u32_dpp v3, v1, v1 quad_perm:[2,3,0,1] row_mask:0xf bank_mask:0xf bound_ctrl:1
	v_ashrrev_i64 v[4:5], 29, v[2:3]
	v_lshl_add_u64 v[4:5], s[30:31], 0, v[4:5]
	global_load_dword v1, v[4:5], off
	s_waitcnt vmcnt(0)
	s_nop 0
	v_add_u32_dpp v3, v1, v1 row_ror:4 row_mask:0xf bank_mask:0xf bound_ctrl:1
	v_ashrrev_i64 v[4:5], 29, v[2:3]
	v_lshl_add_u64 v[4:5], s[30:31], 0, v[4:5]
	global_load_dword v1, v[4:5], off
	s_waitcnt vmcnt(0)
	s_nop 0
	v_add_u32_dpp v3, v1, v1 row_ror:8 row_mask:0xf bank_mask:0xf bound_ctrl:1
	v_ashrrev_i64 v[4:5], 29, v[2:3]
	v_lshl_add_u64 v[4:5], s[30:31], 0, v[4:5]
	global_load_dword v1, v[4:5], off
	s_waitcnt vmcnt(0)
	s_nop 0
	v_add_u32_dpp v3, v1, v1 row_bcast:15 row_mask:0xf bank_mask:0xf bound_ctrl:1
	v_ashrrev_i64 v[4:5], 29, v[2:3]
	v_lshl_add_u64 v[4:5], s[30:31], 0, v[4:5]
	global_load_dword v1, v[4:5], off
	s_waitcnt vmcnt(0)
	s_nop 0
	v_add_u32_dpp v3, v1, v1 row_bcast:31 row_mask:0xf bank_mask:0xf bound_ctrl:1
	v_ashrrev_i64 v[2:3], 29, v[2:3]
	v_lshl_add_u64 v[2:3], s[30:31], 0, v[2:3]
	global_load_dwordx2 v[2:3], v[2:3], off
	v_mbcnt_lo_u32_b32 v1, -1, 0
	v_mbcnt_hi_u32_b32 v5, -1, v1
	v_lshlrev_b32_e32 v1, 2, v5
	v_or_b32_e32 v4, 0xfc, v1
	v_cmp_eq_u32_e32 vcc, 0, v5
	s_waitcnt vmcnt(0)
	ds_bpermute_b32 v2, v4, v2
	ds_bpermute_b32 v3, v4, v3
	s_and_saveexec_b64 s[0:1], vcc
	s_cbranch_execz .LBB794_195
; %bb.194:
	v_lshrrev_b32_e32 v4, 3, v0
	v_and_b32_e32 v4, 24, v4
	s_waitcnt lgkmcnt(0)
	ds_write_b64 v4, v[2:3] offset:96
.LBB794_195:
	s_or_b64 exec, exec, s[0:1]
	v_cmp_gt_u32_e32 vcc, 64, v0
	s_mov_b64 s[8:9], 0
	s_mov_b64 s[0:1], 0
	s_waitcnt lgkmcnt(0)
	s_barrier
                                        ; implicit-def: $vgpr4
	s_and_saveexec_b64 s[10:11], vcc
	s_xor_b64 s[10:11], exec, s[10:11]
	s_cbranch_execz .LBB794_197
; %bb.196:
	v_and_b32_e32 v2, 3, v5
	v_lshlrev_b32_e32 v3, 3, v2
	ds_read_b32 v3, v3 offset:96
	v_cmp_ne_u32_e32 vcc, 3, v2
	v_or_b32_e32 v1, 8, v1
	s_mov_b64 s[0:1], exec
	v_addc_co_u32_e32 v2, vcc, 0, v5, vcc
	v_lshlrev_b32_e32 v2, 2, v2
	s_waitcnt lgkmcnt(0)
	ds_bpermute_b32 v2, v2, v3
	s_waitcnt lgkmcnt(0)
	v_add_u32_e32 v3, v3, v2
	v_mov_b32_e32 v2, 0
	v_ashrrev_i64 v[2:3], 29, v[2:3]
	v_lshl_add_u64 v[2:3], s[30:31], 0, v[2:3]
	global_load_dwordx2 v[2:3], v[2:3], off
	s_waitcnt vmcnt(0)
	ds_bpermute_b32 v4, v1, v2
.LBB794_197:
	s_or_b64 exec, exec, s[10:11]
	s_and_b64 vcc, exec, s[8:9]
	s_cbranch_vccnz .LBB794_201
	s_branch .LBB794_226
.LBB794_198:
                                        ; implicit-def: $vgpr2_vgpr3
	s_cbranch_execnz .LBB794_231
	s_branch .LBB794_239
.LBB794_199:
                                        ; implicit-def: $vgpr2_vgpr3
	s_branch .LBB794_239
.LBB794_200:
	s_mov_b64 s[0:1], 0
                                        ; implicit-def: $vgpr4
                                        ; implicit-def: $vgpr2_vgpr3
	s_cbranch_execz .LBB794_226
.LBB794_201:
	s_sub_i32 s8, s38, s6
	s_waitcnt vmcnt(0)
	v_mov_b32_e32 v2, 0
	v_cmp_gt_u32_e32 vcc, s8, v0
	v_mov_b32_e32 v3, v2
	s_waitcnt lgkmcnt(0)
	v_mov_b32_e32 v4, v2
	s_and_saveexec_b64 s[6:7], vcc
	s_cbranch_execz .LBB794_203
; %bb.202:
	v_lshlrev_b32_e32 v1, 3, v0
	global_load_dwordx2 v[4:5], v1, s[4:5]
	v_mov_b32_e32 v6, v2
	s_waitcnt vmcnt(0)
	v_mov_b64_e32 v[2:3], v[4:5]
	v_mov_b64_e32 v[4:5], v[6:7]
.LBB794_203:
	s_or_b64 exec, exec, s[6:7]
	v_or_b32_e32 v1, 0x100, v0
	v_cmp_gt_u32_e32 vcc, s8, v1
	s_and_saveexec_b64 s[6:7], vcc
	s_cbranch_execz .LBB794_205
; %bb.204:
	v_lshlrev_b32_e32 v1, 3, v0
	global_load_dwordx2 v[4:5], v1, s[4:5] offset:2048
.LBB794_205:
	s_or_b64 exec, exec, s[6:7]
	s_and_saveexec_b64 s[4:5], vcc
	s_cbranch_execz .LBB794_207
; %bb.206:
	s_waitcnt vmcnt(0)
	v_add_u32_e32 v3, v2, v4
	v_mov_b32_e32 v2, 0
	v_ashrrev_i64 v[2:3], 29, v[2:3]
	v_lshl_add_u64 v[2:3], s[30:31], 0, v[2:3]
	global_load_dwordx2 v[2:3], v[2:3], off
.LBB794_207:
	s_or_b64 exec, exec, s[4:5]
	v_mbcnt_lo_u32_b32 v1, -1, 0
	v_mbcnt_hi_u32_b32 v1, -1, v1
	s_waitcnt vmcnt(0)
	v_and_b32_e32 v4, 63, v1
	v_cmp_ne_u32_e32 vcc, 63, v4
	s_min_u32 s6, s8, 0x100
	v_add_u32_e32 v7, 1, v4
	v_addc_co_u32_e32 v5, vcc, 0, v1, vcc
	v_lshlrev_b32_e32 v5, 2, v5
	ds_bpermute_b32 v6, v5, v2
	v_and_b32_e32 v5, 0xc0, v0
	v_sub_u32_e64 v5, s6, v5 clamp
	v_cmp_lt_u32_e32 vcc, v7, v5
	s_and_saveexec_b64 s[4:5], vcc
	s_xor_b64 s[4:5], exec, s[4:5]
	s_cbranch_execz .LBB794_209
; %bb.208:
	s_waitcnt lgkmcnt(0)
	v_add_u32_e32 v3, v2, v6
	v_mov_b32_e32 v2, 0
	v_ashrrev_i64 v[2:3], 29, v[2:3]
	v_lshl_add_u64 v[2:3], s[30:31], 0, v[2:3]
	global_load_dwordx2 v[2:3], v[2:3], off
.LBB794_209:
	s_or_b64 exec, exec, s[4:5]
	v_cmp_gt_u32_e32 vcc, 62, v4
	v_add_u32_e32 v7, 2, v4
	s_waitcnt lgkmcnt(0)
	v_cndmask_b32_e64 v6, 0, 2, vcc
	v_add_lshl_u32 v6, v6, v1, 2
	s_waitcnt vmcnt(0)
	ds_bpermute_b32 v6, v6, v2
	v_cmp_lt_u32_e32 vcc, v7, v5
	s_and_saveexec_b64 s[4:5], vcc
	s_cbranch_execz .LBB794_211
; %bb.210:
	s_waitcnt lgkmcnt(0)
	v_add_u32_e32 v3, v2, v6
	v_mov_b32_e32 v2, 0
	v_ashrrev_i64 v[2:3], 29, v[2:3]
	v_lshl_add_u64 v[2:3], s[30:31], 0, v[2:3]
	global_load_dwordx2 v[2:3], v[2:3], off
.LBB794_211:
	s_or_b64 exec, exec, s[4:5]
	v_cmp_gt_u32_e32 vcc, 60, v4
	v_add_u32_e32 v7, 4, v4
	s_waitcnt lgkmcnt(0)
	v_cndmask_b32_e64 v6, 0, 4, vcc
	v_add_lshl_u32 v6, v6, v1, 2
	s_waitcnt vmcnt(0)
	ds_bpermute_b32 v6, v6, v2
	v_cmp_lt_u32_e32 vcc, v7, v5
	s_and_saveexec_b64 s[4:5], vcc
	;; [unrolled: 19-line block ×4, first 2 shown]
	s_cbranch_execz .LBB794_217
; %bb.216:
	s_waitcnt lgkmcnt(0)
	v_add_u32_e32 v3, v2, v6
	v_mov_b32_e32 v2, 0
	v_ashrrev_i64 v[2:3], 29, v[2:3]
	v_lshl_add_u64 v[2:3], s[30:31], 0, v[2:3]
	global_load_dwordx2 v[2:3], v[2:3], off
.LBB794_217:
	s_or_b64 exec, exec, s[4:5]
	s_waitcnt lgkmcnt(0)
	v_lshlrev_b32_e32 v6, 2, v1
	v_or_b32_e32 v7, 0x80, v6
	s_waitcnt vmcnt(0)
	ds_bpermute_b32 v7, v7, v2
	v_add_u32_e32 v4, 32, v4
	v_cmp_lt_u32_e32 vcc, v4, v5
	s_and_saveexec_b64 s[4:5], vcc
	s_cbranch_execz .LBB794_219
; %bb.218:
	s_waitcnt lgkmcnt(0)
	v_add_u32_e32 v3, v2, v7
	v_mov_b32_e32 v2, 0
	v_ashrrev_i64 v[2:3], 29, v[2:3]
	v_lshl_add_u64 v[2:3], s[30:31], 0, v[2:3]
	global_load_dwordx2 v[2:3], v[2:3], off
.LBB794_219:
	s_or_b64 exec, exec, s[4:5]
	v_cmp_eq_u32_e32 vcc, 0, v1
	s_and_saveexec_b64 s[4:5], vcc
	s_cbranch_execz .LBB794_221
; %bb.220:
	v_lshrrev_b32_e32 v4, 3, v0
	v_and_b32_e32 v4, 24, v4
	s_waitcnt vmcnt(0)
	ds_write_b64 v4, v[2:3]
.LBB794_221:
	s_or_b64 exec, exec, s[4:5]
	v_cmp_gt_u32_e32 vcc, 4, v0
	s_waitcnt lgkmcnt(0)
	s_barrier
                                        ; implicit-def: $vgpr4
	s_and_saveexec_b64 s[4:5], vcc
	s_cbranch_execz .LBB794_225
; %bb.222:
	s_waitcnt vmcnt(0)
	v_lshlrev_b32_e32 v2, 3, v1
	ds_read_b64 v[2:3], v2
	v_and_b32_e32 v4, 3, v1
	v_cmp_ne_u32_e32 vcc, 3, v4
	s_add_i32 s6, s6, 63
	s_lshr_b32 s8, s6, 6
	v_addc_co_u32_e32 v1, vcc, 0, v1, vcc
	v_lshlrev_b32_e32 v1, 2, v1
	s_waitcnt lgkmcnt(0)
	ds_bpermute_b32 v1, v1, v2
	v_add_u32_e32 v3, 1, v4
	v_cmp_gt_u32_e32 vcc, s8, v3
	s_and_saveexec_b64 s[6:7], vcc
	s_cbranch_execz .LBB794_224
; %bb.223:
	s_waitcnt lgkmcnt(0)
	v_add_u32_e32 v3, v2, v1
	v_mov_b32_e32 v2, 0
	v_ashrrev_i64 v[2:3], 29, v[2:3]
	v_lshl_add_u64 v[2:3], s[30:31], 0, v[2:3]
	global_load_dwordx2 v[2:3], v[2:3], off
.LBB794_224:
	s_or_b64 exec, exec, s[6:7]
	s_waitcnt vmcnt(0)
	v_or_b32_e32 v3, 8, v6
	s_waitcnt lgkmcnt(0)
	v_add_u32_e32 v1, 2, v4
	ds_bpermute_b32 v4, v3, v2
	v_cmp_gt_u32_e32 vcc, s8, v1
	s_andn2_b64 s[0:1], s[0:1], exec
	s_and_b64 s[6:7], vcc, exec
	s_or_b64 s[0:1], s[0:1], s[6:7]
.LBB794_225:
	s_or_b64 exec, exec, s[4:5]
.LBB794_226:
	s_and_saveexec_b64 s[4:5], s[0:1]
	s_cbranch_execz .LBB794_228
; %bb.227:
	s_waitcnt vmcnt(0) lgkmcnt(0)
	v_add_u32_e32 v3, v2, v4
	v_mov_b32_e32 v2, 0
	v_ashrrev_i64 v[2:3], 29, v[2:3]
	v_lshl_add_u64 v[2:3], s[30:31], 0, v[2:3]
	global_load_dwordx2 v[2:3], v[2:3], off
.LBB794_228:
	s_or_b64 exec, exec, s[4:5]
	v_cmp_eq_u32_e32 vcc, 0, v0
	s_and_saveexec_b64 s[0:1], vcc
	s_xor_b64 s[0:1], exec, s[0:1]
	s_cbranch_execz .LBB794_230
; %bb.229:
	s_cmp_eq_u64 s[38:39], 0
	s_cselect_b64 s[4:5], -1, 0
	s_cmp_lg_u64 s[38:39], 0
	s_cselect_b64 s[6:7], -1, 0
	s_andn2_b64 s[8:9], s[14:15], exec
	s_and_b64 s[4:5], s[4:5], exec
	s_or_b64 s[14:15], s[8:9], s[4:5]
	s_andn2_b64 s[4:5], s[16:17], exec
	s_and_b64 s[6:7], s[6:7], exec
	s_or_b64 s[16:17], s[4:5], s[6:7]
.LBB794_230:
	s_or_b64 exec, exec, s[0:1]
	s_branch .LBB794_239
.LBB794_231:
	s_cmp_eq_u32 s33, 1
	s_cbranch_scc0 .LBB794_238
; %bb.232:
	s_mov_b32 s5, 0
	s_lshl_b32 s4, s2, 8
	s_mov_b32 s3, s5
	s_lshr_b64 s[0:1], s[38:39], 8
	s_cmp_lg_u64 s[0:1], s[2:3]
	v_mbcnt_lo_u32_b32 v1, -1, 0
	s_cbranch_scc0 .LBB794_242
; %bb.233:
	s_lshl_b64 s[0:1], s[4:5], 3
	s_add_u32 s0, s36, s0
	s_addc_u32 s1, s37, s1
	s_waitcnt vmcnt(0)
	v_lshlrev_b32_e32 v2, 3, v0
	global_load_dword v3, v2, s[0:1]
	v_mov_b32_e32 v2, 0
	v_mbcnt_hi_u32_b32 v6, -1, v1
	v_cmp_eq_u32_e32 vcc, 0, v6
	s_waitcnt vmcnt(0)
	v_add_u32_dpp v3, v3, v3 quad_perm:[1,0,3,2] row_mask:0xf bank_mask:0xf bound_ctrl:1
	s_waitcnt lgkmcnt(0)
	v_ashrrev_i64 v[4:5], 29, v[2:3]
	v_lshl_add_u64 v[4:5], s[30:31], 0, v[4:5]
	global_load_dword v3, v[4:5], off
	s_waitcnt vmcnt(0)
	s_nop 0
	v_add_u32_dpp v3, v3, v3 quad_perm:[2,3,0,1] row_mask:0xf bank_mask:0xf bound_ctrl:1
	v_ashrrev_i64 v[4:5], 29, v[2:3]
	v_lshl_add_u64 v[4:5], s[30:31], 0, v[4:5]
	global_load_dword v3, v[4:5], off
	s_waitcnt vmcnt(0)
	s_nop 0
	v_add_u32_dpp v3, v3, v3 row_ror:4 row_mask:0xf bank_mask:0xf bound_ctrl:1
	v_ashrrev_i64 v[4:5], 29, v[2:3]
	v_lshl_add_u64 v[4:5], s[30:31], 0, v[4:5]
	global_load_dword v3, v[4:5], off
	s_waitcnt vmcnt(0)
	s_nop 0
	v_add_u32_dpp v3, v3, v3 row_ror:8 row_mask:0xf bank_mask:0xf bound_ctrl:1
	v_ashrrev_i64 v[4:5], 29, v[2:3]
	v_lshl_add_u64 v[4:5], s[30:31], 0, v[4:5]
	global_load_dword v3, v[4:5], off
	s_waitcnt vmcnt(0)
	s_nop 0
	v_add_u32_dpp v3, v3, v3 row_bcast:15 row_mask:0xf bank_mask:0xf bound_ctrl:1
	v_ashrrev_i64 v[4:5], 29, v[2:3]
	v_lshl_add_u64 v[4:5], s[30:31], 0, v[4:5]
	global_load_dword v3, v[4:5], off
	v_lshlrev_b32_e32 v5, 2, v6
	v_or_b32_e32 v4, 0xfc, v5
	s_waitcnt vmcnt(0)
	v_add_u32_dpp v3, v3, v3 row_bcast:31 row_mask:0xf bank_mask:0xf bound_ctrl:1
	v_ashrrev_i64 v[2:3], 29, v[2:3]
	v_lshl_add_u64 v[2:3], s[30:31], 0, v[2:3]
	global_load_dwordx2 v[2:3], v[2:3], off
	s_waitcnt vmcnt(0)
	ds_bpermute_b32 v2, v4, v2
	ds_bpermute_b32 v3, v4, v3
	s_and_saveexec_b64 s[0:1], vcc
	s_cbranch_execz .LBB794_235
; %bb.234:
	v_lshrrev_b32_e32 v4, 3, v0
	v_and_b32_e32 v4, 24, v4
	s_waitcnt lgkmcnt(0)
	ds_write_b64 v4, v[2:3] offset:64
.LBB794_235:
	s_or_b64 exec, exec, s[0:1]
	v_cmp_gt_u32_e32 vcc, 64, v0
	s_mov_b64 s[6:7], 0
	s_mov_b64 s[0:1], 0
	s_waitcnt lgkmcnt(0)
	s_barrier
                                        ; implicit-def: $vgpr4
	s_and_saveexec_b64 s[8:9], vcc
	s_xor_b64 s[8:9], exec, s[8:9]
	s_cbranch_execz .LBB794_237
; %bb.236:
	v_and_b32_e32 v2, 3, v6
	v_lshlrev_b32_e32 v3, 3, v2
	ds_read_b32 v3, v3 offset:64
	v_cmp_ne_u32_e32 vcc, 3, v2
	s_mov_b64 s[0:1], exec
	s_nop 0
	v_addc_co_u32_e32 v2, vcc, 0, v6, vcc
	v_lshlrev_b32_e32 v2, 2, v2
	s_waitcnt lgkmcnt(0)
	ds_bpermute_b32 v2, v2, v3
	s_waitcnt lgkmcnt(0)
	v_add_u32_e32 v3, v3, v2
	v_mov_b32_e32 v2, 0
	v_ashrrev_i64 v[2:3], 29, v[2:3]
	v_lshl_add_u64 v[2:3], s[30:31], 0, v[2:3]
	global_load_dwordx2 v[2:3], v[2:3], off
	s_waitcnt vmcnt(0)
	v_or_b32_e32 v3, 8, v5
	ds_bpermute_b32 v4, v3, v2
.LBB794_237:
	s_or_b64 exec, exec, s[8:9]
	s_and_b64 vcc, exec, s[6:7]
	s_cbranch_vccnz .LBB794_243
	s_branch .LBB794_264
.LBB794_238:
                                        ; implicit-def: $sgpr2_sgpr3
                                        ; implicit-def: $vgpr2_vgpr3
.LBB794_239:
	v_mov_b64_e32 v[0:1], s[42:43]
	s_and_saveexec_b64 s[0:1], s[16:17]
	s_cbranch_execnz .LBB794_269
.LBB794_240:
	s_or_b64 exec, exec, s[0:1]
	s_and_saveexec_b64 s[0:1], s[14:15]
	s_cbranch_execnz .LBB794_270
.LBB794_241:
	s_endpgm
.LBB794_242:
	s_mov_b64 s[0:1], 0
                                        ; implicit-def: $vgpr4
                                        ; implicit-def: $vgpr2_vgpr3
	s_cbranch_execz .LBB794_264
.LBB794_243:
	s_sub_i32 s8, s38, s4
	v_cmp_gt_u32_e32 vcc, s8, v0
                                        ; implicit-def: $vgpr2_vgpr3
	s_and_saveexec_b64 s[6:7], vcc
	s_cbranch_execz .LBB794_245
; %bb.244:
	s_lshl_b64 s[4:5], s[4:5], 3
	s_add_u32 s4, s36, s4
	s_addc_u32 s5, s37, s5
	s_waitcnt vmcnt(0)
	v_lshlrev_b32_e32 v2, 3, v0
	global_load_dwordx2 v[2:3], v2, s[4:5]
.LBB794_245:
	s_or_b64 exec, exec, s[6:7]
	v_mbcnt_hi_u32_b32 v1, -1, v1
	s_waitcnt lgkmcnt(0)
	v_and_b32_e32 v4, 63, v1
	v_cmp_ne_u32_e32 vcc, 63, v4
	s_min_u32 s6, s8, 0x100
	v_add_u32_e32 v7, 1, v4
	v_addc_co_u32_e32 v5, vcc, 0, v1, vcc
	v_lshlrev_b32_e32 v5, 2, v5
	s_waitcnt vmcnt(0)
	ds_bpermute_b32 v6, v5, v2
	v_and_b32_e32 v5, 0xc0, v0
	v_sub_u32_e64 v5, s6, v5 clamp
	v_cmp_lt_u32_e32 vcc, v7, v5
	s_and_saveexec_b64 s[4:5], vcc
	s_cbranch_execz .LBB794_247
; %bb.246:
	s_waitcnt lgkmcnt(0)
	v_add_u32_e32 v3, v2, v6
	v_mov_b32_e32 v2, 0
	v_ashrrev_i64 v[2:3], 29, v[2:3]
	v_lshl_add_u64 v[2:3], s[30:31], 0, v[2:3]
	global_load_dwordx2 v[2:3], v[2:3], off
.LBB794_247:
	s_or_b64 exec, exec, s[4:5]
	v_cmp_gt_u32_e32 vcc, 62, v4
	v_add_u32_e32 v7, 2, v4
	s_waitcnt lgkmcnt(0)
	v_cndmask_b32_e64 v6, 0, 2, vcc
	v_add_lshl_u32 v6, v6, v1, 2
	s_waitcnt vmcnt(0)
	ds_bpermute_b32 v6, v6, v2
	v_cmp_lt_u32_e32 vcc, v7, v5
	s_and_saveexec_b64 s[4:5], vcc
	s_cbranch_execz .LBB794_249
; %bb.248:
	s_waitcnt lgkmcnt(0)
	v_add_u32_e32 v3, v2, v6
	v_mov_b32_e32 v2, 0
	v_ashrrev_i64 v[2:3], 29, v[2:3]
	v_lshl_add_u64 v[2:3], s[30:31], 0, v[2:3]
	global_load_dwordx2 v[2:3], v[2:3], off
.LBB794_249:
	s_or_b64 exec, exec, s[4:5]
	v_cmp_gt_u32_e32 vcc, 60, v4
	v_add_u32_e32 v7, 4, v4
	s_waitcnt lgkmcnt(0)
	v_cndmask_b32_e64 v6, 0, 4, vcc
	v_add_lshl_u32 v6, v6, v1, 2
	s_waitcnt vmcnt(0)
	ds_bpermute_b32 v6, v6, v2
	;; [unrolled: 19-line block ×4, first 2 shown]
	v_cmp_lt_u32_e32 vcc, v7, v5
	s_and_saveexec_b64 s[4:5], vcc
	s_cbranch_execz .LBB794_255
; %bb.254:
	s_waitcnt lgkmcnt(0)
	v_add_u32_e32 v3, v2, v6
	v_mov_b32_e32 v2, 0
	v_ashrrev_i64 v[2:3], 29, v[2:3]
	v_lshl_add_u64 v[2:3], s[30:31], 0, v[2:3]
	global_load_dwordx2 v[2:3], v[2:3], off
.LBB794_255:
	s_or_b64 exec, exec, s[4:5]
	s_waitcnt lgkmcnt(0)
	v_lshlrev_b32_e32 v6, 2, v1
	v_or_b32_e32 v7, 0x80, v6
	s_waitcnt vmcnt(0)
	ds_bpermute_b32 v7, v7, v2
	v_add_u32_e32 v4, 32, v4
	v_cmp_lt_u32_e32 vcc, v4, v5
	s_and_saveexec_b64 s[4:5], vcc
	s_cbranch_execz .LBB794_257
; %bb.256:
	s_waitcnt lgkmcnt(0)
	v_add_u32_e32 v3, v2, v7
	v_mov_b32_e32 v2, 0
	v_ashrrev_i64 v[2:3], 29, v[2:3]
	v_lshl_add_u64 v[2:3], s[30:31], 0, v[2:3]
	global_load_dwordx2 v[2:3], v[2:3], off
.LBB794_257:
	s_or_b64 exec, exec, s[4:5]
	v_cmp_eq_u32_e32 vcc, 0, v1
	s_and_saveexec_b64 s[4:5], vcc
	s_cbranch_execz .LBB794_259
; %bb.258:
	v_lshrrev_b32_e32 v4, 3, v0
	v_and_b32_e32 v4, 24, v4
	s_waitcnt vmcnt(0)
	ds_write_b64 v4, v[2:3]
.LBB794_259:
	s_or_b64 exec, exec, s[4:5]
	v_cmp_gt_u32_e32 vcc, 4, v0
	s_waitcnt lgkmcnt(0)
	s_barrier
                                        ; implicit-def: $vgpr4
	s_and_saveexec_b64 s[4:5], vcc
	s_cbranch_execz .LBB794_263
; %bb.260:
	s_waitcnt vmcnt(0)
	v_lshlrev_b32_e32 v2, 3, v1
	ds_read_b64 v[2:3], v2
	v_and_b32_e32 v4, 3, v1
	v_cmp_ne_u32_e32 vcc, 3, v4
	s_add_i32 s6, s6, 63
	s_lshr_b32 s8, s6, 6
	v_addc_co_u32_e32 v1, vcc, 0, v1, vcc
	v_lshlrev_b32_e32 v1, 2, v1
	s_waitcnt lgkmcnt(0)
	ds_bpermute_b32 v1, v1, v2
	v_add_u32_e32 v3, 1, v4
	v_cmp_gt_u32_e32 vcc, s8, v3
	s_and_saveexec_b64 s[6:7], vcc
	s_cbranch_execz .LBB794_262
; %bb.261:
	s_waitcnt lgkmcnt(0)
	v_add_u32_e32 v3, v2, v1
	v_mov_b32_e32 v2, 0
	v_ashrrev_i64 v[2:3], 29, v[2:3]
	v_lshl_add_u64 v[2:3], s[30:31], 0, v[2:3]
	global_load_dwordx2 v[2:3], v[2:3], off
.LBB794_262:
	s_or_b64 exec, exec, s[6:7]
	s_waitcnt vmcnt(0)
	v_or_b32_e32 v3, 8, v6
	s_waitcnt lgkmcnt(0)
	v_add_u32_e32 v1, 2, v4
	ds_bpermute_b32 v4, v3, v2
	v_cmp_gt_u32_e32 vcc, s8, v1
	s_andn2_b64 s[0:1], s[0:1], exec
	s_and_b64 s[6:7], vcc, exec
	s_or_b64 s[0:1], s[0:1], s[6:7]
.LBB794_263:
	s_or_b64 exec, exec, s[4:5]
.LBB794_264:
	s_and_saveexec_b64 s[4:5], s[0:1]
	s_cbranch_execz .LBB794_266
; %bb.265:
	s_waitcnt vmcnt(0) lgkmcnt(0)
	v_add_u32_e32 v3, v2, v4
	v_mov_b32_e32 v2, 0
	v_ashrrev_i64 v[2:3], 29, v[2:3]
	v_lshl_add_u64 v[2:3], s[30:31], 0, v[2:3]
	global_load_dwordx2 v[2:3], v[2:3], off
.LBB794_266:
	s_or_b64 exec, exec, s[4:5]
	v_cmp_eq_u32_e32 vcc, 0, v0
	s_and_saveexec_b64 s[0:1], vcc
	s_cbranch_execz .LBB794_268
; %bb.267:
	s_cmp_eq_u64 s[38:39], 0
	s_cselect_b64 s[4:5], -1, 0
	s_cmp_lg_u64 s[38:39], 0
	s_cselect_b64 s[6:7], -1, 0
	s_andn2_b64 s[8:9], s[14:15], exec
	s_and_b64 s[4:5], s[4:5], exec
	s_or_b64 s[14:15], s[8:9], s[4:5]
	s_andn2_b64 s[4:5], s[16:17], exec
	s_and_b64 s[6:7], s[6:7], exec
	s_or_b64 s[16:17], s[4:5], s[6:7]
.LBB794_268:
	s_or_b64 exec, exec, s[0:1]
	v_mov_b64_e32 v[0:1], s[42:43]
	s_and_saveexec_b64 s[0:1], s[16:17]
	s_cbranch_execz .LBB794_240
.LBB794_269:
	s_waitcnt vmcnt(0)
	v_add_u32_e32 v1, s42, v2
	v_mov_b32_e32 v0, 0
	v_ashrrev_i64 v[0:1], 29, v[0:1]
	v_lshl_add_u64 v[0:1], s[30:31], 0, v[0:1]
	global_load_dwordx2 v[0:1], v[0:1], off
	s_or_b64 s[14:15], s[14:15], exec
	s_or_b64 exec, exec, s[0:1]
	s_and_saveexec_b64 s[0:1], s[14:15]
	s_cbranch_execz .LBB794_241
.LBB794_270:
	s_lshl_b64 s[0:1], s[2:3], 3
	s_add_u32 s0, s40, s0
	s_addc_u32 s1, s41, s1
	s_waitcnt vmcnt(0)
	v_mov_b32_e32 v2, 0
	global_store_dwordx2 v2, v[0:1], s[0:1]
	s_endpgm
.LBB794_271:
	v_lshlrev_b32_e32 v1, 3, v1
	global_load_dwordx2 v[8:9], v1, s[8:9]
	s_or_b64 exec, exec, s[10:11]
	s_and_saveexec_b64 s[8:9], vcc
	s_cbranch_execz .LBB794_163
.LBB794_272:
	s_waitcnt vmcnt(0)
	v_add_u32_e32 v3, v4, v2
	v_mov_b32_e32 v2, 0
	v_ashrrev_i64 v[2:3], 29, v[2:3]
	v_lshl_add_u64 v[2:3], s[30:31], 0, v[2:3]
	global_load_dwordx2 v[2:3], v[2:3], off
	s_or_b64 exec, exec, s[8:9]
	s_and_saveexec_b64 s[8:9], s[0:1]
	s_cbranch_execz .LBB794_164
.LBB794_273:
	s_waitcnt vmcnt(0)
	v_add_u32_e32 v3, v2, v6
	v_mov_b32_e32 v2, 0
	v_ashrrev_i64 v[2:3], 29, v[2:3]
	v_lshl_add_u64 v[2:3], s[30:31], 0, v[2:3]
	global_load_dwordx2 v[2:3], v[2:3], off
	s_or_b64 exec, exec, s[8:9]
	s_and_saveexec_b64 s[0:1], s[4:5]
	s_cbranch_execnz .LBB794_165
	s_branch .LBB794_166
.LBB794_274:
	v_lshlrev_b32_e32 v1, 3, v1
	global_load_dwordx2 v[32:33], v1, s[46:47]
	s_or_b64 exec, exec, s[48:49]
	s_and_saveexec_b64 s[46:47], vcc
	s_cbranch_execz .LBB794_56
.LBB794_275:
	s_waitcnt vmcnt(0)
	v_add_u32_e32 v3, v4, v2
	v_mov_b32_e32 v2, 0
	v_ashrrev_i64 v[2:3], 29, v[2:3]
	v_lshl_add_u64 v[2:3], s[30:31], 0, v[2:3]
	global_load_dwordx2 v[2:3], v[2:3], off
	s_or_b64 exec, exec, s[46:47]
	s_and_saveexec_b64 s[46:47], s[0:1]
	s_cbranch_execz .LBB794_57
.LBB794_276:
	s_waitcnt vmcnt(0)
	v_add_u32_e32 v3, v2, v6
	v_mov_b32_e32 v2, 0
	v_ashrrev_i64 v[2:3], 29, v[2:3]
	v_lshl_add_u64 v[2:3], s[30:31], 0, v[2:3]
	global_load_dwordx2 v[2:3], v[2:3], off
	s_or_b64 exec, exec, s[46:47]
	s_and_saveexec_b64 s[0:1], s[4:5]
	s_cbranch_execz .LBB794_58
.LBB794_277:
	s_waitcnt vmcnt(0)
	v_add_u32_e32 v3, v2, v8
	v_mov_b32_e32 v2, 0
	v_ashrrev_i64 v[2:3], 29, v[2:3]
	v_lshl_add_u64 v[2:3], s[30:31], 0, v[2:3]
	global_load_dwordx2 v[2:3], v[2:3], off
	s_or_b64 exec, exec, s[0:1]
	s_and_saveexec_b64 s[0:1], s[6:7]
	s_cbranch_execz .LBB794_59
.LBB794_278:
	s_waitcnt vmcnt(0)
	v_add_u32_e32 v3, v2, v10
	v_mov_b32_e32 v2, 0
	v_ashrrev_i64 v[2:3], 29, v[2:3]
	v_lshl_add_u64 v[2:3], s[30:31], 0, v[2:3]
	global_load_dwordx2 v[2:3], v[2:3], off
	s_or_b64 exec, exec, s[0:1]
	s_and_saveexec_b64 s[0:1], s[8:9]
	s_cbranch_execz .LBB794_60
.LBB794_279:
	s_waitcnt vmcnt(0)
	v_add_u32_e32 v3, v2, v12
	v_mov_b32_e32 v2, 0
	v_ashrrev_i64 v[2:3], 29, v[2:3]
	v_lshl_add_u64 v[2:3], s[30:31], 0, v[2:3]
	global_load_dwordx2 v[2:3], v[2:3], off
	s_or_b64 exec, exec, s[0:1]
	s_and_saveexec_b64 s[0:1], s[10:11]
	s_cbranch_execz .LBB794_61
.LBB794_280:
	s_waitcnt vmcnt(0)
	v_add_u32_e32 v3, v2, v14
	v_mov_b32_e32 v2, 0
	v_ashrrev_i64 v[2:3], 29, v[2:3]
	v_lshl_add_u64 v[2:3], s[30:31], 0, v[2:3]
	global_load_dwordx2 v[2:3], v[2:3], off
	s_or_b64 exec, exec, s[0:1]
	s_and_saveexec_b64 s[0:1], s[12:13]
	s_cbranch_execz .LBB794_62
.LBB794_281:
	s_waitcnt vmcnt(0)
	v_add_u32_e32 v3, v2, v16
	v_mov_b32_e32 v2, 0
	v_ashrrev_i64 v[2:3], 29, v[2:3]
	v_lshl_add_u64 v[2:3], s[30:31], 0, v[2:3]
	global_load_dwordx2 v[2:3], v[2:3], off
	s_or_b64 exec, exec, s[0:1]
	s_and_saveexec_b64 s[0:1], s[14:15]
	s_cbranch_execz .LBB794_63
.LBB794_282:
	s_waitcnt vmcnt(0)
	v_add_u32_e32 v3, v2, v18
	v_mov_b32_e32 v2, 0
	v_ashrrev_i64 v[2:3], 29, v[2:3]
	v_lshl_add_u64 v[2:3], s[30:31], 0, v[2:3]
	global_load_dwordx2 v[2:3], v[2:3], off
	s_or_b64 exec, exec, s[0:1]
	s_and_saveexec_b64 s[0:1], s[16:17]
	s_cbranch_execz .LBB794_64
.LBB794_283:
	s_waitcnt vmcnt(0)
	v_add_u32_e32 v3, v2, v20
	v_mov_b32_e32 v2, 0
	v_ashrrev_i64 v[2:3], 29, v[2:3]
	v_lshl_add_u64 v[2:3], s[30:31], 0, v[2:3]
	global_load_dwordx2 v[2:3], v[2:3], off
	s_or_b64 exec, exec, s[0:1]
	s_and_saveexec_b64 s[0:1], s[18:19]
	s_cbranch_execz .LBB794_65
.LBB794_284:
	s_waitcnt vmcnt(0)
	v_add_u32_e32 v3, v2, v22
	v_mov_b32_e32 v2, 0
	v_ashrrev_i64 v[2:3], 29, v[2:3]
	v_lshl_add_u64 v[2:3], s[30:31], 0, v[2:3]
	global_load_dwordx2 v[2:3], v[2:3], off
	s_or_b64 exec, exec, s[0:1]
	s_and_saveexec_b64 s[0:1], s[20:21]
	s_cbranch_execz .LBB794_66
.LBB794_285:
	s_waitcnt vmcnt(0)
	v_add_u32_e32 v3, v2, v24
	v_mov_b32_e32 v2, 0
	v_ashrrev_i64 v[2:3], 29, v[2:3]
	v_lshl_add_u64 v[2:3], s[30:31], 0, v[2:3]
	global_load_dwordx2 v[2:3], v[2:3], off
	s_or_b64 exec, exec, s[0:1]
	s_and_saveexec_b64 s[0:1], s[22:23]
	s_cbranch_execz .LBB794_67
.LBB794_286:
	s_waitcnt vmcnt(0)
	v_add_u32_e32 v3, v2, v26
	v_mov_b32_e32 v2, 0
	v_ashrrev_i64 v[2:3], 29, v[2:3]
	v_lshl_add_u64 v[2:3], s[30:31], 0, v[2:3]
	global_load_dwordx2 v[2:3], v[2:3], off
	s_or_b64 exec, exec, s[0:1]
	s_and_saveexec_b64 s[0:1], s[24:25]
	s_cbranch_execz .LBB794_68
.LBB794_287:
	s_waitcnt vmcnt(0)
	v_add_u32_e32 v3, v2, v28
	v_mov_b32_e32 v2, 0
	v_ashrrev_i64 v[2:3], 29, v[2:3]
	v_lshl_add_u64 v[2:3], s[30:31], 0, v[2:3]
	global_load_dwordx2 v[2:3], v[2:3], off
	s_or_b64 exec, exec, s[0:1]
	s_and_saveexec_b64 s[0:1], s[26:27]
	s_cbranch_execz .LBB794_69
.LBB794_288:
	s_waitcnt vmcnt(0)
	v_add_u32_e32 v3, v2, v30
	v_mov_b32_e32 v2, 0
	v_ashrrev_i64 v[2:3], 29, v[2:3]
	v_lshl_add_u64 v[2:3], s[30:31], 0, v[2:3]
	global_load_dwordx2 v[2:3], v[2:3], off
	s_or_b64 exec, exec, s[0:1]
	s_and_saveexec_b64 s[0:1], s[28:29]
	s_cbranch_execnz .LBB794_70
	s_branch .LBB794_71
.LBB794_289:
	v_lshlrev_b32_e32 v1, 3, v1
	global_load_dwordx2 v[16:17], v1, s[20:21]
	s_or_b64 exec, exec, s[22:23]
	s_and_saveexec_b64 s[20:21], vcc
	s_cbranch_execz .LBB794_114
.LBB794_290:
	s_waitcnt vmcnt(0)
	v_add_u32_e32 v3, v4, v2
	v_mov_b32_e32 v2, 0
	v_ashrrev_i64 v[2:3], 29, v[2:3]
	v_lshl_add_u64 v[2:3], s[30:31], 0, v[2:3]
	global_load_dwordx2 v[2:3], v[2:3], off
	s_or_b64 exec, exec, s[20:21]
	s_and_saveexec_b64 s[20:21], s[0:1]
	s_cbranch_execz .LBB794_115
.LBB794_291:
	s_waitcnt vmcnt(0)
	v_add_u32_e32 v3, v2, v6
	v_mov_b32_e32 v2, 0
	v_ashrrev_i64 v[2:3], 29, v[2:3]
	v_lshl_add_u64 v[2:3], s[30:31], 0, v[2:3]
	global_load_dwordx2 v[2:3], v[2:3], off
	s_or_b64 exec, exec, s[20:21]
	s_and_saveexec_b64 s[0:1], s[4:5]
	s_cbranch_execz .LBB794_116
.LBB794_292:
	s_waitcnt vmcnt(0)
	v_add_u32_e32 v3, v2, v8
	v_mov_b32_e32 v2, 0
	v_ashrrev_i64 v[2:3], 29, v[2:3]
	v_lshl_add_u64 v[2:3], s[30:31], 0, v[2:3]
	global_load_dwordx2 v[2:3], v[2:3], off
	s_or_b64 exec, exec, s[0:1]
	s_and_saveexec_b64 s[0:1], s[6:7]
	s_cbranch_execz .LBB794_117
.LBB794_293:
	s_waitcnt vmcnt(0)
	v_add_u32_e32 v3, v2, v10
	v_mov_b32_e32 v2, 0
	v_ashrrev_i64 v[2:3], 29, v[2:3]
	v_lshl_add_u64 v[2:3], s[30:31], 0, v[2:3]
	global_load_dwordx2 v[2:3], v[2:3], off
	s_or_b64 exec, exec, s[0:1]
	s_and_saveexec_b64 s[0:1], s[8:9]
	s_cbranch_execz .LBB794_118
.LBB794_294:
	s_waitcnt vmcnt(0)
	v_add_u32_e32 v3, v2, v12
	v_mov_b32_e32 v2, 0
	v_ashrrev_i64 v[2:3], 29, v[2:3]
	v_lshl_add_u64 v[2:3], s[30:31], 0, v[2:3]
	global_load_dwordx2 v[2:3], v[2:3], off
	s_or_b64 exec, exec, s[0:1]
	s_and_saveexec_b64 s[0:1], s[10:11]
	s_cbranch_execz .LBB794_119
.LBB794_295:
	s_waitcnt vmcnt(0)
	v_add_u32_e32 v3, v2, v14
	v_mov_b32_e32 v2, 0
	v_ashrrev_i64 v[2:3], 29, v[2:3]
	v_lshl_add_u64 v[2:3], s[30:31], 0, v[2:3]
	global_load_dwordx2 v[2:3], v[2:3], off
	s_or_b64 exec, exec, s[0:1]
	s_and_saveexec_b64 s[0:1], s[12:13]
	s_cbranch_execnz .LBB794_120
	s_branch .LBB794_121
	.section	.rodata,"a",@progbits
	.p2align	6, 0x0
	.amdhsa_kernel _ZN7rocprim17ROCPRIM_400000_NS6detail17trampoline_kernelINS0_14default_configENS1_22reduce_config_selectorIyEEZNS1_11reduce_implILb1ES3_N6thrust23THRUST_200600_302600_NS6detail15normal_iteratorINS8_10device_ptrIyEEEEPyy9plus_mod3IyEEE10hipError_tPvRmT1_T2_T3_mT4_P12ihipStream_tbEUlT_E1_NS1_11comp_targetILNS1_3genE0ELNS1_11target_archE4294967295ELNS1_3gpuE0ELNS1_3repE0EEENS1_30default_config_static_selectorELNS0_4arch9wavefront6targetE1EEEvSK_
		.amdhsa_group_segment_fixed_size 192
		.amdhsa_private_segment_fixed_size 0
		.amdhsa_kernarg_size 48
		.amdhsa_user_sgpr_count 2
		.amdhsa_user_sgpr_dispatch_ptr 0
		.amdhsa_user_sgpr_queue_ptr 0
		.amdhsa_user_sgpr_kernarg_segment_ptr 1
		.amdhsa_user_sgpr_dispatch_id 0
		.amdhsa_user_sgpr_kernarg_preload_length 0
		.amdhsa_user_sgpr_kernarg_preload_offset 0
		.amdhsa_user_sgpr_private_segment_size 0
		.amdhsa_uses_dynamic_stack 0
		.amdhsa_enable_private_segment 0
		.amdhsa_system_sgpr_workgroup_id_x 1
		.amdhsa_system_sgpr_workgroup_id_y 0
		.amdhsa_system_sgpr_workgroup_id_z 0
		.amdhsa_system_sgpr_workgroup_info 0
		.amdhsa_system_vgpr_workitem_id 0
		.amdhsa_next_free_vgpr 36
		.amdhsa_next_free_sgpr 51
		.amdhsa_accum_offset 36
		.amdhsa_reserve_vcc 1
		.amdhsa_float_round_mode_32 0
		.amdhsa_float_round_mode_16_64 0
		.amdhsa_float_denorm_mode_32 3
		.amdhsa_float_denorm_mode_16_64 3
		.amdhsa_dx10_clamp 1
		.amdhsa_ieee_mode 1
		.amdhsa_fp16_overflow 0
		.amdhsa_tg_split 0
		.amdhsa_exception_fp_ieee_invalid_op 0
		.amdhsa_exception_fp_denorm_src 0
		.amdhsa_exception_fp_ieee_div_zero 0
		.amdhsa_exception_fp_ieee_overflow 0
		.amdhsa_exception_fp_ieee_underflow 0
		.amdhsa_exception_fp_ieee_inexact 0
		.amdhsa_exception_int_div_zero 0
	.end_amdhsa_kernel
	.section	.text._ZN7rocprim17ROCPRIM_400000_NS6detail17trampoline_kernelINS0_14default_configENS1_22reduce_config_selectorIyEEZNS1_11reduce_implILb1ES3_N6thrust23THRUST_200600_302600_NS6detail15normal_iteratorINS8_10device_ptrIyEEEEPyy9plus_mod3IyEEE10hipError_tPvRmT1_T2_T3_mT4_P12ihipStream_tbEUlT_E1_NS1_11comp_targetILNS1_3genE0ELNS1_11target_archE4294967295ELNS1_3gpuE0ELNS1_3repE0EEENS1_30default_config_static_selectorELNS0_4arch9wavefront6targetE1EEEvSK_,"axG",@progbits,_ZN7rocprim17ROCPRIM_400000_NS6detail17trampoline_kernelINS0_14default_configENS1_22reduce_config_selectorIyEEZNS1_11reduce_implILb1ES3_N6thrust23THRUST_200600_302600_NS6detail15normal_iteratorINS8_10device_ptrIyEEEEPyy9plus_mod3IyEEE10hipError_tPvRmT1_T2_T3_mT4_P12ihipStream_tbEUlT_E1_NS1_11comp_targetILNS1_3genE0ELNS1_11target_archE4294967295ELNS1_3gpuE0ELNS1_3repE0EEENS1_30default_config_static_selectorELNS0_4arch9wavefront6targetE1EEEvSK_,comdat
.Lfunc_end794:
	.size	_ZN7rocprim17ROCPRIM_400000_NS6detail17trampoline_kernelINS0_14default_configENS1_22reduce_config_selectorIyEEZNS1_11reduce_implILb1ES3_N6thrust23THRUST_200600_302600_NS6detail15normal_iteratorINS8_10device_ptrIyEEEEPyy9plus_mod3IyEEE10hipError_tPvRmT1_T2_T3_mT4_P12ihipStream_tbEUlT_E1_NS1_11comp_targetILNS1_3genE0ELNS1_11target_archE4294967295ELNS1_3gpuE0ELNS1_3repE0EEENS1_30default_config_static_selectorELNS0_4arch9wavefront6targetE1EEEvSK_, .Lfunc_end794-_ZN7rocprim17ROCPRIM_400000_NS6detail17trampoline_kernelINS0_14default_configENS1_22reduce_config_selectorIyEEZNS1_11reduce_implILb1ES3_N6thrust23THRUST_200600_302600_NS6detail15normal_iteratorINS8_10device_ptrIyEEEEPyy9plus_mod3IyEEE10hipError_tPvRmT1_T2_T3_mT4_P12ihipStream_tbEUlT_E1_NS1_11comp_targetILNS1_3genE0ELNS1_11target_archE4294967295ELNS1_3gpuE0ELNS1_3repE0EEENS1_30default_config_static_selectorELNS0_4arch9wavefront6targetE1EEEvSK_
                                        ; -- End function
	.set _ZN7rocprim17ROCPRIM_400000_NS6detail17trampoline_kernelINS0_14default_configENS1_22reduce_config_selectorIyEEZNS1_11reduce_implILb1ES3_N6thrust23THRUST_200600_302600_NS6detail15normal_iteratorINS8_10device_ptrIyEEEEPyy9plus_mod3IyEEE10hipError_tPvRmT1_T2_T3_mT4_P12ihipStream_tbEUlT_E1_NS1_11comp_targetILNS1_3genE0ELNS1_11target_archE4294967295ELNS1_3gpuE0ELNS1_3repE0EEENS1_30default_config_static_selectorELNS0_4arch9wavefront6targetE1EEEvSK_.num_vgpr, 36
	.set _ZN7rocprim17ROCPRIM_400000_NS6detail17trampoline_kernelINS0_14default_configENS1_22reduce_config_selectorIyEEZNS1_11reduce_implILb1ES3_N6thrust23THRUST_200600_302600_NS6detail15normal_iteratorINS8_10device_ptrIyEEEEPyy9plus_mod3IyEEE10hipError_tPvRmT1_T2_T3_mT4_P12ihipStream_tbEUlT_E1_NS1_11comp_targetILNS1_3genE0ELNS1_11target_archE4294967295ELNS1_3gpuE0ELNS1_3repE0EEENS1_30default_config_static_selectorELNS0_4arch9wavefront6targetE1EEEvSK_.num_agpr, 0
	.set _ZN7rocprim17ROCPRIM_400000_NS6detail17trampoline_kernelINS0_14default_configENS1_22reduce_config_selectorIyEEZNS1_11reduce_implILb1ES3_N6thrust23THRUST_200600_302600_NS6detail15normal_iteratorINS8_10device_ptrIyEEEEPyy9plus_mod3IyEEE10hipError_tPvRmT1_T2_T3_mT4_P12ihipStream_tbEUlT_E1_NS1_11comp_targetILNS1_3genE0ELNS1_11target_archE4294967295ELNS1_3gpuE0ELNS1_3repE0EEENS1_30default_config_static_selectorELNS0_4arch9wavefront6targetE1EEEvSK_.numbered_sgpr, 51
	.set _ZN7rocprim17ROCPRIM_400000_NS6detail17trampoline_kernelINS0_14default_configENS1_22reduce_config_selectorIyEEZNS1_11reduce_implILb1ES3_N6thrust23THRUST_200600_302600_NS6detail15normal_iteratorINS8_10device_ptrIyEEEEPyy9plus_mod3IyEEE10hipError_tPvRmT1_T2_T3_mT4_P12ihipStream_tbEUlT_E1_NS1_11comp_targetILNS1_3genE0ELNS1_11target_archE4294967295ELNS1_3gpuE0ELNS1_3repE0EEENS1_30default_config_static_selectorELNS0_4arch9wavefront6targetE1EEEvSK_.num_named_barrier, 0
	.set _ZN7rocprim17ROCPRIM_400000_NS6detail17trampoline_kernelINS0_14default_configENS1_22reduce_config_selectorIyEEZNS1_11reduce_implILb1ES3_N6thrust23THRUST_200600_302600_NS6detail15normal_iteratorINS8_10device_ptrIyEEEEPyy9plus_mod3IyEEE10hipError_tPvRmT1_T2_T3_mT4_P12ihipStream_tbEUlT_E1_NS1_11comp_targetILNS1_3genE0ELNS1_11target_archE4294967295ELNS1_3gpuE0ELNS1_3repE0EEENS1_30default_config_static_selectorELNS0_4arch9wavefront6targetE1EEEvSK_.private_seg_size, 0
	.set _ZN7rocprim17ROCPRIM_400000_NS6detail17trampoline_kernelINS0_14default_configENS1_22reduce_config_selectorIyEEZNS1_11reduce_implILb1ES3_N6thrust23THRUST_200600_302600_NS6detail15normal_iteratorINS8_10device_ptrIyEEEEPyy9plus_mod3IyEEE10hipError_tPvRmT1_T2_T3_mT4_P12ihipStream_tbEUlT_E1_NS1_11comp_targetILNS1_3genE0ELNS1_11target_archE4294967295ELNS1_3gpuE0ELNS1_3repE0EEENS1_30default_config_static_selectorELNS0_4arch9wavefront6targetE1EEEvSK_.uses_vcc, 1
	.set _ZN7rocprim17ROCPRIM_400000_NS6detail17trampoline_kernelINS0_14default_configENS1_22reduce_config_selectorIyEEZNS1_11reduce_implILb1ES3_N6thrust23THRUST_200600_302600_NS6detail15normal_iteratorINS8_10device_ptrIyEEEEPyy9plus_mod3IyEEE10hipError_tPvRmT1_T2_T3_mT4_P12ihipStream_tbEUlT_E1_NS1_11comp_targetILNS1_3genE0ELNS1_11target_archE4294967295ELNS1_3gpuE0ELNS1_3repE0EEENS1_30default_config_static_selectorELNS0_4arch9wavefront6targetE1EEEvSK_.uses_flat_scratch, 0
	.set _ZN7rocprim17ROCPRIM_400000_NS6detail17trampoline_kernelINS0_14default_configENS1_22reduce_config_selectorIyEEZNS1_11reduce_implILb1ES3_N6thrust23THRUST_200600_302600_NS6detail15normal_iteratorINS8_10device_ptrIyEEEEPyy9plus_mod3IyEEE10hipError_tPvRmT1_T2_T3_mT4_P12ihipStream_tbEUlT_E1_NS1_11comp_targetILNS1_3genE0ELNS1_11target_archE4294967295ELNS1_3gpuE0ELNS1_3repE0EEENS1_30default_config_static_selectorELNS0_4arch9wavefront6targetE1EEEvSK_.has_dyn_sized_stack, 0
	.set _ZN7rocprim17ROCPRIM_400000_NS6detail17trampoline_kernelINS0_14default_configENS1_22reduce_config_selectorIyEEZNS1_11reduce_implILb1ES3_N6thrust23THRUST_200600_302600_NS6detail15normal_iteratorINS8_10device_ptrIyEEEEPyy9plus_mod3IyEEE10hipError_tPvRmT1_T2_T3_mT4_P12ihipStream_tbEUlT_E1_NS1_11comp_targetILNS1_3genE0ELNS1_11target_archE4294967295ELNS1_3gpuE0ELNS1_3repE0EEENS1_30default_config_static_selectorELNS0_4arch9wavefront6targetE1EEEvSK_.has_recursion, 0
	.set _ZN7rocprim17ROCPRIM_400000_NS6detail17trampoline_kernelINS0_14default_configENS1_22reduce_config_selectorIyEEZNS1_11reduce_implILb1ES3_N6thrust23THRUST_200600_302600_NS6detail15normal_iteratorINS8_10device_ptrIyEEEEPyy9plus_mod3IyEEE10hipError_tPvRmT1_T2_T3_mT4_P12ihipStream_tbEUlT_E1_NS1_11comp_targetILNS1_3genE0ELNS1_11target_archE4294967295ELNS1_3gpuE0ELNS1_3repE0EEENS1_30default_config_static_selectorELNS0_4arch9wavefront6targetE1EEEvSK_.has_indirect_call, 0
	.section	.AMDGPU.csdata,"",@progbits
; Kernel info:
; codeLenInByte = 11940
; TotalNumSgprs: 57
; NumVgprs: 36
; NumAgprs: 0
; TotalNumVgprs: 36
; ScratchSize: 0
; MemoryBound: 0
; FloatMode: 240
; IeeeMode: 1
; LDSByteSize: 192 bytes/workgroup (compile time only)
; SGPRBlocks: 7
; VGPRBlocks: 4
; NumSGPRsForWavesPerEU: 57
; NumVGPRsForWavesPerEU: 36
; AccumOffset: 36
; Occupancy: 8
; WaveLimiterHint : 1
; COMPUTE_PGM_RSRC2:SCRATCH_EN: 0
; COMPUTE_PGM_RSRC2:USER_SGPR: 2
; COMPUTE_PGM_RSRC2:TRAP_HANDLER: 0
; COMPUTE_PGM_RSRC2:TGID_X_EN: 1
; COMPUTE_PGM_RSRC2:TGID_Y_EN: 0
; COMPUTE_PGM_RSRC2:TGID_Z_EN: 0
; COMPUTE_PGM_RSRC2:TIDIG_COMP_CNT: 0
; COMPUTE_PGM_RSRC3_GFX90A:ACCUM_OFFSET: 8
; COMPUTE_PGM_RSRC3_GFX90A:TG_SPLIT: 0
	.section	.text._ZN7rocprim17ROCPRIM_400000_NS6detail17trampoline_kernelINS0_14default_configENS1_22reduce_config_selectorIyEEZNS1_11reduce_implILb1ES3_N6thrust23THRUST_200600_302600_NS6detail15normal_iteratorINS8_10device_ptrIyEEEEPyy9plus_mod3IyEEE10hipError_tPvRmT1_T2_T3_mT4_P12ihipStream_tbEUlT_E1_NS1_11comp_targetILNS1_3genE5ELNS1_11target_archE942ELNS1_3gpuE9ELNS1_3repE0EEENS1_30default_config_static_selectorELNS0_4arch9wavefront6targetE1EEEvSK_,"axG",@progbits,_ZN7rocprim17ROCPRIM_400000_NS6detail17trampoline_kernelINS0_14default_configENS1_22reduce_config_selectorIyEEZNS1_11reduce_implILb1ES3_N6thrust23THRUST_200600_302600_NS6detail15normal_iteratorINS8_10device_ptrIyEEEEPyy9plus_mod3IyEEE10hipError_tPvRmT1_T2_T3_mT4_P12ihipStream_tbEUlT_E1_NS1_11comp_targetILNS1_3genE5ELNS1_11target_archE942ELNS1_3gpuE9ELNS1_3repE0EEENS1_30default_config_static_selectorELNS0_4arch9wavefront6targetE1EEEvSK_,comdat
	.protected	_ZN7rocprim17ROCPRIM_400000_NS6detail17trampoline_kernelINS0_14default_configENS1_22reduce_config_selectorIyEEZNS1_11reduce_implILb1ES3_N6thrust23THRUST_200600_302600_NS6detail15normal_iteratorINS8_10device_ptrIyEEEEPyy9plus_mod3IyEEE10hipError_tPvRmT1_T2_T3_mT4_P12ihipStream_tbEUlT_E1_NS1_11comp_targetILNS1_3genE5ELNS1_11target_archE942ELNS1_3gpuE9ELNS1_3repE0EEENS1_30default_config_static_selectorELNS0_4arch9wavefront6targetE1EEEvSK_ ; -- Begin function _ZN7rocprim17ROCPRIM_400000_NS6detail17trampoline_kernelINS0_14default_configENS1_22reduce_config_selectorIyEEZNS1_11reduce_implILb1ES3_N6thrust23THRUST_200600_302600_NS6detail15normal_iteratorINS8_10device_ptrIyEEEEPyy9plus_mod3IyEEE10hipError_tPvRmT1_T2_T3_mT4_P12ihipStream_tbEUlT_E1_NS1_11comp_targetILNS1_3genE5ELNS1_11target_archE942ELNS1_3gpuE9ELNS1_3repE0EEENS1_30default_config_static_selectorELNS0_4arch9wavefront6targetE1EEEvSK_
	.globl	_ZN7rocprim17ROCPRIM_400000_NS6detail17trampoline_kernelINS0_14default_configENS1_22reduce_config_selectorIyEEZNS1_11reduce_implILb1ES3_N6thrust23THRUST_200600_302600_NS6detail15normal_iteratorINS8_10device_ptrIyEEEEPyy9plus_mod3IyEEE10hipError_tPvRmT1_T2_T3_mT4_P12ihipStream_tbEUlT_E1_NS1_11comp_targetILNS1_3genE5ELNS1_11target_archE942ELNS1_3gpuE9ELNS1_3repE0EEENS1_30default_config_static_selectorELNS0_4arch9wavefront6targetE1EEEvSK_
	.p2align	8
	.type	_ZN7rocprim17ROCPRIM_400000_NS6detail17trampoline_kernelINS0_14default_configENS1_22reduce_config_selectorIyEEZNS1_11reduce_implILb1ES3_N6thrust23THRUST_200600_302600_NS6detail15normal_iteratorINS8_10device_ptrIyEEEEPyy9plus_mod3IyEEE10hipError_tPvRmT1_T2_T3_mT4_P12ihipStream_tbEUlT_E1_NS1_11comp_targetILNS1_3genE5ELNS1_11target_archE942ELNS1_3gpuE9ELNS1_3repE0EEENS1_30default_config_static_selectorELNS0_4arch9wavefront6targetE1EEEvSK_,@function
_ZN7rocprim17ROCPRIM_400000_NS6detail17trampoline_kernelINS0_14default_configENS1_22reduce_config_selectorIyEEZNS1_11reduce_implILb1ES3_N6thrust23THRUST_200600_302600_NS6detail15normal_iteratorINS8_10device_ptrIyEEEEPyy9plus_mod3IyEEE10hipError_tPvRmT1_T2_T3_mT4_P12ihipStream_tbEUlT_E1_NS1_11comp_targetILNS1_3genE5ELNS1_11target_archE942ELNS1_3gpuE9ELNS1_3repE0EEENS1_30default_config_static_selectorELNS0_4arch9wavefront6targetE1EEEvSK_: ; @_ZN7rocprim17ROCPRIM_400000_NS6detail17trampoline_kernelINS0_14default_configENS1_22reduce_config_selectorIyEEZNS1_11reduce_implILb1ES3_N6thrust23THRUST_200600_302600_NS6detail15normal_iteratorINS8_10device_ptrIyEEEEPyy9plus_mod3IyEEE10hipError_tPvRmT1_T2_T3_mT4_P12ihipStream_tbEUlT_E1_NS1_11comp_targetILNS1_3genE5ELNS1_11target_archE942ELNS1_3gpuE9ELNS1_3repE0EEENS1_30default_config_static_selectorELNS0_4arch9wavefront6targetE1EEEvSK_
; %bb.0:
	.section	.rodata,"a",@progbits
	.p2align	6, 0x0
	.amdhsa_kernel _ZN7rocprim17ROCPRIM_400000_NS6detail17trampoline_kernelINS0_14default_configENS1_22reduce_config_selectorIyEEZNS1_11reduce_implILb1ES3_N6thrust23THRUST_200600_302600_NS6detail15normal_iteratorINS8_10device_ptrIyEEEEPyy9plus_mod3IyEEE10hipError_tPvRmT1_T2_T3_mT4_P12ihipStream_tbEUlT_E1_NS1_11comp_targetILNS1_3genE5ELNS1_11target_archE942ELNS1_3gpuE9ELNS1_3repE0EEENS1_30default_config_static_selectorELNS0_4arch9wavefront6targetE1EEEvSK_
		.amdhsa_group_segment_fixed_size 0
		.amdhsa_private_segment_fixed_size 0
		.amdhsa_kernarg_size 48
		.amdhsa_user_sgpr_count 2
		.amdhsa_user_sgpr_dispatch_ptr 0
		.amdhsa_user_sgpr_queue_ptr 0
		.amdhsa_user_sgpr_kernarg_segment_ptr 1
		.amdhsa_user_sgpr_dispatch_id 0
		.amdhsa_user_sgpr_kernarg_preload_length 0
		.amdhsa_user_sgpr_kernarg_preload_offset 0
		.amdhsa_user_sgpr_private_segment_size 0
		.amdhsa_uses_dynamic_stack 0
		.amdhsa_enable_private_segment 0
		.amdhsa_system_sgpr_workgroup_id_x 1
		.amdhsa_system_sgpr_workgroup_id_y 0
		.amdhsa_system_sgpr_workgroup_id_z 0
		.amdhsa_system_sgpr_workgroup_info 0
		.amdhsa_system_vgpr_workitem_id 0
		.amdhsa_next_free_vgpr 1
		.amdhsa_next_free_sgpr 0
		.amdhsa_accum_offset 4
		.amdhsa_reserve_vcc 0
		.amdhsa_float_round_mode_32 0
		.amdhsa_float_round_mode_16_64 0
		.amdhsa_float_denorm_mode_32 3
		.amdhsa_float_denorm_mode_16_64 3
		.amdhsa_dx10_clamp 1
		.amdhsa_ieee_mode 1
		.amdhsa_fp16_overflow 0
		.amdhsa_tg_split 0
		.amdhsa_exception_fp_ieee_invalid_op 0
		.amdhsa_exception_fp_denorm_src 0
		.amdhsa_exception_fp_ieee_div_zero 0
		.amdhsa_exception_fp_ieee_overflow 0
		.amdhsa_exception_fp_ieee_underflow 0
		.amdhsa_exception_fp_ieee_inexact 0
		.amdhsa_exception_int_div_zero 0
	.end_amdhsa_kernel
	.section	.text._ZN7rocprim17ROCPRIM_400000_NS6detail17trampoline_kernelINS0_14default_configENS1_22reduce_config_selectorIyEEZNS1_11reduce_implILb1ES3_N6thrust23THRUST_200600_302600_NS6detail15normal_iteratorINS8_10device_ptrIyEEEEPyy9plus_mod3IyEEE10hipError_tPvRmT1_T2_T3_mT4_P12ihipStream_tbEUlT_E1_NS1_11comp_targetILNS1_3genE5ELNS1_11target_archE942ELNS1_3gpuE9ELNS1_3repE0EEENS1_30default_config_static_selectorELNS0_4arch9wavefront6targetE1EEEvSK_,"axG",@progbits,_ZN7rocprim17ROCPRIM_400000_NS6detail17trampoline_kernelINS0_14default_configENS1_22reduce_config_selectorIyEEZNS1_11reduce_implILb1ES3_N6thrust23THRUST_200600_302600_NS6detail15normal_iteratorINS8_10device_ptrIyEEEEPyy9plus_mod3IyEEE10hipError_tPvRmT1_T2_T3_mT4_P12ihipStream_tbEUlT_E1_NS1_11comp_targetILNS1_3genE5ELNS1_11target_archE942ELNS1_3gpuE9ELNS1_3repE0EEENS1_30default_config_static_selectorELNS0_4arch9wavefront6targetE1EEEvSK_,comdat
.Lfunc_end795:
	.size	_ZN7rocprim17ROCPRIM_400000_NS6detail17trampoline_kernelINS0_14default_configENS1_22reduce_config_selectorIyEEZNS1_11reduce_implILb1ES3_N6thrust23THRUST_200600_302600_NS6detail15normal_iteratorINS8_10device_ptrIyEEEEPyy9plus_mod3IyEEE10hipError_tPvRmT1_T2_T3_mT4_P12ihipStream_tbEUlT_E1_NS1_11comp_targetILNS1_3genE5ELNS1_11target_archE942ELNS1_3gpuE9ELNS1_3repE0EEENS1_30default_config_static_selectorELNS0_4arch9wavefront6targetE1EEEvSK_, .Lfunc_end795-_ZN7rocprim17ROCPRIM_400000_NS6detail17trampoline_kernelINS0_14default_configENS1_22reduce_config_selectorIyEEZNS1_11reduce_implILb1ES3_N6thrust23THRUST_200600_302600_NS6detail15normal_iteratorINS8_10device_ptrIyEEEEPyy9plus_mod3IyEEE10hipError_tPvRmT1_T2_T3_mT4_P12ihipStream_tbEUlT_E1_NS1_11comp_targetILNS1_3genE5ELNS1_11target_archE942ELNS1_3gpuE9ELNS1_3repE0EEENS1_30default_config_static_selectorELNS0_4arch9wavefront6targetE1EEEvSK_
                                        ; -- End function
	.set _ZN7rocprim17ROCPRIM_400000_NS6detail17trampoline_kernelINS0_14default_configENS1_22reduce_config_selectorIyEEZNS1_11reduce_implILb1ES3_N6thrust23THRUST_200600_302600_NS6detail15normal_iteratorINS8_10device_ptrIyEEEEPyy9plus_mod3IyEEE10hipError_tPvRmT1_T2_T3_mT4_P12ihipStream_tbEUlT_E1_NS1_11comp_targetILNS1_3genE5ELNS1_11target_archE942ELNS1_3gpuE9ELNS1_3repE0EEENS1_30default_config_static_selectorELNS0_4arch9wavefront6targetE1EEEvSK_.num_vgpr, 0
	.set _ZN7rocprim17ROCPRIM_400000_NS6detail17trampoline_kernelINS0_14default_configENS1_22reduce_config_selectorIyEEZNS1_11reduce_implILb1ES3_N6thrust23THRUST_200600_302600_NS6detail15normal_iteratorINS8_10device_ptrIyEEEEPyy9plus_mod3IyEEE10hipError_tPvRmT1_T2_T3_mT4_P12ihipStream_tbEUlT_E1_NS1_11comp_targetILNS1_3genE5ELNS1_11target_archE942ELNS1_3gpuE9ELNS1_3repE0EEENS1_30default_config_static_selectorELNS0_4arch9wavefront6targetE1EEEvSK_.num_agpr, 0
	.set _ZN7rocprim17ROCPRIM_400000_NS6detail17trampoline_kernelINS0_14default_configENS1_22reduce_config_selectorIyEEZNS1_11reduce_implILb1ES3_N6thrust23THRUST_200600_302600_NS6detail15normal_iteratorINS8_10device_ptrIyEEEEPyy9plus_mod3IyEEE10hipError_tPvRmT1_T2_T3_mT4_P12ihipStream_tbEUlT_E1_NS1_11comp_targetILNS1_3genE5ELNS1_11target_archE942ELNS1_3gpuE9ELNS1_3repE0EEENS1_30default_config_static_selectorELNS0_4arch9wavefront6targetE1EEEvSK_.numbered_sgpr, 0
	.set _ZN7rocprim17ROCPRIM_400000_NS6detail17trampoline_kernelINS0_14default_configENS1_22reduce_config_selectorIyEEZNS1_11reduce_implILb1ES3_N6thrust23THRUST_200600_302600_NS6detail15normal_iteratorINS8_10device_ptrIyEEEEPyy9plus_mod3IyEEE10hipError_tPvRmT1_T2_T3_mT4_P12ihipStream_tbEUlT_E1_NS1_11comp_targetILNS1_3genE5ELNS1_11target_archE942ELNS1_3gpuE9ELNS1_3repE0EEENS1_30default_config_static_selectorELNS0_4arch9wavefront6targetE1EEEvSK_.num_named_barrier, 0
	.set _ZN7rocprim17ROCPRIM_400000_NS6detail17trampoline_kernelINS0_14default_configENS1_22reduce_config_selectorIyEEZNS1_11reduce_implILb1ES3_N6thrust23THRUST_200600_302600_NS6detail15normal_iteratorINS8_10device_ptrIyEEEEPyy9plus_mod3IyEEE10hipError_tPvRmT1_T2_T3_mT4_P12ihipStream_tbEUlT_E1_NS1_11comp_targetILNS1_3genE5ELNS1_11target_archE942ELNS1_3gpuE9ELNS1_3repE0EEENS1_30default_config_static_selectorELNS0_4arch9wavefront6targetE1EEEvSK_.private_seg_size, 0
	.set _ZN7rocprim17ROCPRIM_400000_NS6detail17trampoline_kernelINS0_14default_configENS1_22reduce_config_selectorIyEEZNS1_11reduce_implILb1ES3_N6thrust23THRUST_200600_302600_NS6detail15normal_iteratorINS8_10device_ptrIyEEEEPyy9plus_mod3IyEEE10hipError_tPvRmT1_T2_T3_mT4_P12ihipStream_tbEUlT_E1_NS1_11comp_targetILNS1_3genE5ELNS1_11target_archE942ELNS1_3gpuE9ELNS1_3repE0EEENS1_30default_config_static_selectorELNS0_4arch9wavefront6targetE1EEEvSK_.uses_vcc, 0
	.set _ZN7rocprim17ROCPRIM_400000_NS6detail17trampoline_kernelINS0_14default_configENS1_22reduce_config_selectorIyEEZNS1_11reduce_implILb1ES3_N6thrust23THRUST_200600_302600_NS6detail15normal_iteratorINS8_10device_ptrIyEEEEPyy9plus_mod3IyEEE10hipError_tPvRmT1_T2_T3_mT4_P12ihipStream_tbEUlT_E1_NS1_11comp_targetILNS1_3genE5ELNS1_11target_archE942ELNS1_3gpuE9ELNS1_3repE0EEENS1_30default_config_static_selectorELNS0_4arch9wavefront6targetE1EEEvSK_.uses_flat_scratch, 0
	.set _ZN7rocprim17ROCPRIM_400000_NS6detail17trampoline_kernelINS0_14default_configENS1_22reduce_config_selectorIyEEZNS1_11reduce_implILb1ES3_N6thrust23THRUST_200600_302600_NS6detail15normal_iteratorINS8_10device_ptrIyEEEEPyy9plus_mod3IyEEE10hipError_tPvRmT1_T2_T3_mT4_P12ihipStream_tbEUlT_E1_NS1_11comp_targetILNS1_3genE5ELNS1_11target_archE942ELNS1_3gpuE9ELNS1_3repE0EEENS1_30default_config_static_selectorELNS0_4arch9wavefront6targetE1EEEvSK_.has_dyn_sized_stack, 0
	.set _ZN7rocprim17ROCPRIM_400000_NS6detail17trampoline_kernelINS0_14default_configENS1_22reduce_config_selectorIyEEZNS1_11reduce_implILb1ES3_N6thrust23THRUST_200600_302600_NS6detail15normal_iteratorINS8_10device_ptrIyEEEEPyy9plus_mod3IyEEE10hipError_tPvRmT1_T2_T3_mT4_P12ihipStream_tbEUlT_E1_NS1_11comp_targetILNS1_3genE5ELNS1_11target_archE942ELNS1_3gpuE9ELNS1_3repE0EEENS1_30default_config_static_selectorELNS0_4arch9wavefront6targetE1EEEvSK_.has_recursion, 0
	.set _ZN7rocprim17ROCPRIM_400000_NS6detail17trampoline_kernelINS0_14default_configENS1_22reduce_config_selectorIyEEZNS1_11reduce_implILb1ES3_N6thrust23THRUST_200600_302600_NS6detail15normal_iteratorINS8_10device_ptrIyEEEEPyy9plus_mod3IyEEE10hipError_tPvRmT1_T2_T3_mT4_P12ihipStream_tbEUlT_E1_NS1_11comp_targetILNS1_3genE5ELNS1_11target_archE942ELNS1_3gpuE9ELNS1_3repE0EEENS1_30default_config_static_selectorELNS0_4arch9wavefront6targetE1EEEvSK_.has_indirect_call, 0
	.section	.AMDGPU.csdata,"",@progbits
; Kernel info:
; codeLenInByte = 0
; TotalNumSgprs: 6
; NumVgprs: 0
; NumAgprs: 0
; TotalNumVgprs: 0
; ScratchSize: 0
; MemoryBound: 0
; FloatMode: 240
; IeeeMode: 1
; LDSByteSize: 0 bytes/workgroup (compile time only)
; SGPRBlocks: 0
; VGPRBlocks: 0
; NumSGPRsForWavesPerEU: 6
; NumVGPRsForWavesPerEU: 1
; AccumOffset: 4
; Occupancy: 8
; WaveLimiterHint : 0
; COMPUTE_PGM_RSRC2:SCRATCH_EN: 0
; COMPUTE_PGM_RSRC2:USER_SGPR: 2
; COMPUTE_PGM_RSRC2:TRAP_HANDLER: 0
; COMPUTE_PGM_RSRC2:TGID_X_EN: 1
; COMPUTE_PGM_RSRC2:TGID_Y_EN: 0
; COMPUTE_PGM_RSRC2:TGID_Z_EN: 0
; COMPUTE_PGM_RSRC2:TIDIG_COMP_CNT: 0
; COMPUTE_PGM_RSRC3_GFX90A:ACCUM_OFFSET: 0
; COMPUTE_PGM_RSRC3_GFX90A:TG_SPLIT: 0
	.section	.text._ZN7rocprim17ROCPRIM_400000_NS6detail17trampoline_kernelINS0_14default_configENS1_22reduce_config_selectorIyEEZNS1_11reduce_implILb1ES3_N6thrust23THRUST_200600_302600_NS6detail15normal_iteratorINS8_10device_ptrIyEEEEPyy9plus_mod3IyEEE10hipError_tPvRmT1_T2_T3_mT4_P12ihipStream_tbEUlT_E1_NS1_11comp_targetILNS1_3genE4ELNS1_11target_archE910ELNS1_3gpuE8ELNS1_3repE0EEENS1_30default_config_static_selectorELNS0_4arch9wavefront6targetE1EEEvSK_,"axG",@progbits,_ZN7rocprim17ROCPRIM_400000_NS6detail17trampoline_kernelINS0_14default_configENS1_22reduce_config_selectorIyEEZNS1_11reduce_implILb1ES3_N6thrust23THRUST_200600_302600_NS6detail15normal_iteratorINS8_10device_ptrIyEEEEPyy9plus_mod3IyEEE10hipError_tPvRmT1_T2_T3_mT4_P12ihipStream_tbEUlT_E1_NS1_11comp_targetILNS1_3genE4ELNS1_11target_archE910ELNS1_3gpuE8ELNS1_3repE0EEENS1_30default_config_static_selectorELNS0_4arch9wavefront6targetE1EEEvSK_,comdat
	.protected	_ZN7rocprim17ROCPRIM_400000_NS6detail17trampoline_kernelINS0_14default_configENS1_22reduce_config_selectorIyEEZNS1_11reduce_implILb1ES3_N6thrust23THRUST_200600_302600_NS6detail15normal_iteratorINS8_10device_ptrIyEEEEPyy9plus_mod3IyEEE10hipError_tPvRmT1_T2_T3_mT4_P12ihipStream_tbEUlT_E1_NS1_11comp_targetILNS1_3genE4ELNS1_11target_archE910ELNS1_3gpuE8ELNS1_3repE0EEENS1_30default_config_static_selectorELNS0_4arch9wavefront6targetE1EEEvSK_ ; -- Begin function _ZN7rocprim17ROCPRIM_400000_NS6detail17trampoline_kernelINS0_14default_configENS1_22reduce_config_selectorIyEEZNS1_11reduce_implILb1ES3_N6thrust23THRUST_200600_302600_NS6detail15normal_iteratorINS8_10device_ptrIyEEEEPyy9plus_mod3IyEEE10hipError_tPvRmT1_T2_T3_mT4_P12ihipStream_tbEUlT_E1_NS1_11comp_targetILNS1_3genE4ELNS1_11target_archE910ELNS1_3gpuE8ELNS1_3repE0EEENS1_30default_config_static_selectorELNS0_4arch9wavefront6targetE1EEEvSK_
	.globl	_ZN7rocprim17ROCPRIM_400000_NS6detail17trampoline_kernelINS0_14default_configENS1_22reduce_config_selectorIyEEZNS1_11reduce_implILb1ES3_N6thrust23THRUST_200600_302600_NS6detail15normal_iteratorINS8_10device_ptrIyEEEEPyy9plus_mod3IyEEE10hipError_tPvRmT1_T2_T3_mT4_P12ihipStream_tbEUlT_E1_NS1_11comp_targetILNS1_3genE4ELNS1_11target_archE910ELNS1_3gpuE8ELNS1_3repE0EEENS1_30default_config_static_selectorELNS0_4arch9wavefront6targetE1EEEvSK_
	.p2align	8
	.type	_ZN7rocprim17ROCPRIM_400000_NS6detail17trampoline_kernelINS0_14default_configENS1_22reduce_config_selectorIyEEZNS1_11reduce_implILb1ES3_N6thrust23THRUST_200600_302600_NS6detail15normal_iteratorINS8_10device_ptrIyEEEEPyy9plus_mod3IyEEE10hipError_tPvRmT1_T2_T3_mT4_P12ihipStream_tbEUlT_E1_NS1_11comp_targetILNS1_3genE4ELNS1_11target_archE910ELNS1_3gpuE8ELNS1_3repE0EEENS1_30default_config_static_selectorELNS0_4arch9wavefront6targetE1EEEvSK_,@function
_ZN7rocprim17ROCPRIM_400000_NS6detail17trampoline_kernelINS0_14default_configENS1_22reduce_config_selectorIyEEZNS1_11reduce_implILb1ES3_N6thrust23THRUST_200600_302600_NS6detail15normal_iteratorINS8_10device_ptrIyEEEEPyy9plus_mod3IyEEE10hipError_tPvRmT1_T2_T3_mT4_P12ihipStream_tbEUlT_E1_NS1_11comp_targetILNS1_3genE4ELNS1_11target_archE910ELNS1_3gpuE8ELNS1_3repE0EEENS1_30default_config_static_selectorELNS0_4arch9wavefront6targetE1EEEvSK_: ; @_ZN7rocprim17ROCPRIM_400000_NS6detail17trampoline_kernelINS0_14default_configENS1_22reduce_config_selectorIyEEZNS1_11reduce_implILb1ES3_N6thrust23THRUST_200600_302600_NS6detail15normal_iteratorINS8_10device_ptrIyEEEEPyy9plus_mod3IyEEE10hipError_tPvRmT1_T2_T3_mT4_P12ihipStream_tbEUlT_E1_NS1_11comp_targetILNS1_3genE4ELNS1_11target_archE910ELNS1_3gpuE8ELNS1_3repE0EEENS1_30default_config_static_selectorELNS0_4arch9wavefront6targetE1EEEvSK_
; %bb.0:
	.section	.rodata,"a",@progbits
	.p2align	6, 0x0
	.amdhsa_kernel _ZN7rocprim17ROCPRIM_400000_NS6detail17trampoline_kernelINS0_14default_configENS1_22reduce_config_selectorIyEEZNS1_11reduce_implILb1ES3_N6thrust23THRUST_200600_302600_NS6detail15normal_iteratorINS8_10device_ptrIyEEEEPyy9plus_mod3IyEEE10hipError_tPvRmT1_T2_T3_mT4_P12ihipStream_tbEUlT_E1_NS1_11comp_targetILNS1_3genE4ELNS1_11target_archE910ELNS1_3gpuE8ELNS1_3repE0EEENS1_30default_config_static_selectorELNS0_4arch9wavefront6targetE1EEEvSK_
		.amdhsa_group_segment_fixed_size 0
		.amdhsa_private_segment_fixed_size 0
		.amdhsa_kernarg_size 48
		.amdhsa_user_sgpr_count 2
		.amdhsa_user_sgpr_dispatch_ptr 0
		.amdhsa_user_sgpr_queue_ptr 0
		.amdhsa_user_sgpr_kernarg_segment_ptr 1
		.amdhsa_user_sgpr_dispatch_id 0
		.amdhsa_user_sgpr_kernarg_preload_length 0
		.amdhsa_user_sgpr_kernarg_preload_offset 0
		.amdhsa_user_sgpr_private_segment_size 0
		.amdhsa_uses_dynamic_stack 0
		.amdhsa_enable_private_segment 0
		.amdhsa_system_sgpr_workgroup_id_x 1
		.amdhsa_system_sgpr_workgroup_id_y 0
		.amdhsa_system_sgpr_workgroup_id_z 0
		.amdhsa_system_sgpr_workgroup_info 0
		.amdhsa_system_vgpr_workitem_id 0
		.amdhsa_next_free_vgpr 1
		.amdhsa_next_free_sgpr 0
		.amdhsa_accum_offset 4
		.amdhsa_reserve_vcc 0
		.amdhsa_float_round_mode_32 0
		.amdhsa_float_round_mode_16_64 0
		.amdhsa_float_denorm_mode_32 3
		.amdhsa_float_denorm_mode_16_64 3
		.amdhsa_dx10_clamp 1
		.amdhsa_ieee_mode 1
		.amdhsa_fp16_overflow 0
		.amdhsa_tg_split 0
		.amdhsa_exception_fp_ieee_invalid_op 0
		.amdhsa_exception_fp_denorm_src 0
		.amdhsa_exception_fp_ieee_div_zero 0
		.amdhsa_exception_fp_ieee_overflow 0
		.amdhsa_exception_fp_ieee_underflow 0
		.amdhsa_exception_fp_ieee_inexact 0
		.amdhsa_exception_int_div_zero 0
	.end_amdhsa_kernel
	.section	.text._ZN7rocprim17ROCPRIM_400000_NS6detail17trampoline_kernelINS0_14default_configENS1_22reduce_config_selectorIyEEZNS1_11reduce_implILb1ES3_N6thrust23THRUST_200600_302600_NS6detail15normal_iteratorINS8_10device_ptrIyEEEEPyy9plus_mod3IyEEE10hipError_tPvRmT1_T2_T3_mT4_P12ihipStream_tbEUlT_E1_NS1_11comp_targetILNS1_3genE4ELNS1_11target_archE910ELNS1_3gpuE8ELNS1_3repE0EEENS1_30default_config_static_selectorELNS0_4arch9wavefront6targetE1EEEvSK_,"axG",@progbits,_ZN7rocprim17ROCPRIM_400000_NS6detail17trampoline_kernelINS0_14default_configENS1_22reduce_config_selectorIyEEZNS1_11reduce_implILb1ES3_N6thrust23THRUST_200600_302600_NS6detail15normal_iteratorINS8_10device_ptrIyEEEEPyy9plus_mod3IyEEE10hipError_tPvRmT1_T2_T3_mT4_P12ihipStream_tbEUlT_E1_NS1_11comp_targetILNS1_3genE4ELNS1_11target_archE910ELNS1_3gpuE8ELNS1_3repE0EEENS1_30default_config_static_selectorELNS0_4arch9wavefront6targetE1EEEvSK_,comdat
.Lfunc_end796:
	.size	_ZN7rocprim17ROCPRIM_400000_NS6detail17trampoline_kernelINS0_14default_configENS1_22reduce_config_selectorIyEEZNS1_11reduce_implILb1ES3_N6thrust23THRUST_200600_302600_NS6detail15normal_iteratorINS8_10device_ptrIyEEEEPyy9plus_mod3IyEEE10hipError_tPvRmT1_T2_T3_mT4_P12ihipStream_tbEUlT_E1_NS1_11comp_targetILNS1_3genE4ELNS1_11target_archE910ELNS1_3gpuE8ELNS1_3repE0EEENS1_30default_config_static_selectorELNS0_4arch9wavefront6targetE1EEEvSK_, .Lfunc_end796-_ZN7rocprim17ROCPRIM_400000_NS6detail17trampoline_kernelINS0_14default_configENS1_22reduce_config_selectorIyEEZNS1_11reduce_implILb1ES3_N6thrust23THRUST_200600_302600_NS6detail15normal_iteratorINS8_10device_ptrIyEEEEPyy9plus_mod3IyEEE10hipError_tPvRmT1_T2_T3_mT4_P12ihipStream_tbEUlT_E1_NS1_11comp_targetILNS1_3genE4ELNS1_11target_archE910ELNS1_3gpuE8ELNS1_3repE0EEENS1_30default_config_static_selectorELNS0_4arch9wavefront6targetE1EEEvSK_
                                        ; -- End function
	.set _ZN7rocprim17ROCPRIM_400000_NS6detail17trampoline_kernelINS0_14default_configENS1_22reduce_config_selectorIyEEZNS1_11reduce_implILb1ES3_N6thrust23THRUST_200600_302600_NS6detail15normal_iteratorINS8_10device_ptrIyEEEEPyy9plus_mod3IyEEE10hipError_tPvRmT1_T2_T3_mT4_P12ihipStream_tbEUlT_E1_NS1_11comp_targetILNS1_3genE4ELNS1_11target_archE910ELNS1_3gpuE8ELNS1_3repE0EEENS1_30default_config_static_selectorELNS0_4arch9wavefront6targetE1EEEvSK_.num_vgpr, 0
	.set _ZN7rocprim17ROCPRIM_400000_NS6detail17trampoline_kernelINS0_14default_configENS1_22reduce_config_selectorIyEEZNS1_11reduce_implILb1ES3_N6thrust23THRUST_200600_302600_NS6detail15normal_iteratorINS8_10device_ptrIyEEEEPyy9plus_mod3IyEEE10hipError_tPvRmT1_T2_T3_mT4_P12ihipStream_tbEUlT_E1_NS1_11comp_targetILNS1_3genE4ELNS1_11target_archE910ELNS1_3gpuE8ELNS1_3repE0EEENS1_30default_config_static_selectorELNS0_4arch9wavefront6targetE1EEEvSK_.num_agpr, 0
	.set _ZN7rocprim17ROCPRIM_400000_NS6detail17trampoline_kernelINS0_14default_configENS1_22reduce_config_selectorIyEEZNS1_11reduce_implILb1ES3_N6thrust23THRUST_200600_302600_NS6detail15normal_iteratorINS8_10device_ptrIyEEEEPyy9plus_mod3IyEEE10hipError_tPvRmT1_T2_T3_mT4_P12ihipStream_tbEUlT_E1_NS1_11comp_targetILNS1_3genE4ELNS1_11target_archE910ELNS1_3gpuE8ELNS1_3repE0EEENS1_30default_config_static_selectorELNS0_4arch9wavefront6targetE1EEEvSK_.numbered_sgpr, 0
	.set _ZN7rocprim17ROCPRIM_400000_NS6detail17trampoline_kernelINS0_14default_configENS1_22reduce_config_selectorIyEEZNS1_11reduce_implILb1ES3_N6thrust23THRUST_200600_302600_NS6detail15normal_iteratorINS8_10device_ptrIyEEEEPyy9plus_mod3IyEEE10hipError_tPvRmT1_T2_T3_mT4_P12ihipStream_tbEUlT_E1_NS1_11comp_targetILNS1_3genE4ELNS1_11target_archE910ELNS1_3gpuE8ELNS1_3repE0EEENS1_30default_config_static_selectorELNS0_4arch9wavefront6targetE1EEEvSK_.num_named_barrier, 0
	.set _ZN7rocprim17ROCPRIM_400000_NS6detail17trampoline_kernelINS0_14default_configENS1_22reduce_config_selectorIyEEZNS1_11reduce_implILb1ES3_N6thrust23THRUST_200600_302600_NS6detail15normal_iteratorINS8_10device_ptrIyEEEEPyy9plus_mod3IyEEE10hipError_tPvRmT1_T2_T3_mT4_P12ihipStream_tbEUlT_E1_NS1_11comp_targetILNS1_3genE4ELNS1_11target_archE910ELNS1_3gpuE8ELNS1_3repE0EEENS1_30default_config_static_selectorELNS0_4arch9wavefront6targetE1EEEvSK_.private_seg_size, 0
	.set _ZN7rocprim17ROCPRIM_400000_NS6detail17trampoline_kernelINS0_14default_configENS1_22reduce_config_selectorIyEEZNS1_11reduce_implILb1ES3_N6thrust23THRUST_200600_302600_NS6detail15normal_iteratorINS8_10device_ptrIyEEEEPyy9plus_mod3IyEEE10hipError_tPvRmT1_T2_T3_mT4_P12ihipStream_tbEUlT_E1_NS1_11comp_targetILNS1_3genE4ELNS1_11target_archE910ELNS1_3gpuE8ELNS1_3repE0EEENS1_30default_config_static_selectorELNS0_4arch9wavefront6targetE1EEEvSK_.uses_vcc, 0
	.set _ZN7rocprim17ROCPRIM_400000_NS6detail17trampoline_kernelINS0_14default_configENS1_22reduce_config_selectorIyEEZNS1_11reduce_implILb1ES3_N6thrust23THRUST_200600_302600_NS6detail15normal_iteratorINS8_10device_ptrIyEEEEPyy9plus_mod3IyEEE10hipError_tPvRmT1_T2_T3_mT4_P12ihipStream_tbEUlT_E1_NS1_11comp_targetILNS1_3genE4ELNS1_11target_archE910ELNS1_3gpuE8ELNS1_3repE0EEENS1_30default_config_static_selectorELNS0_4arch9wavefront6targetE1EEEvSK_.uses_flat_scratch, 0
	.set _ZN7rocprim17ROCPRIM_400000_NS6detail17trampoline_kernelINS0_14default_configENS1_22reduce_config_selectorIyEEZNS1_11reduce_implILb1ES3_N6thrust23THRUST_200600_302600_NS6detail15normal_iteratorINS8_10device_ptrIyEEEEPyy9plus_mod3IyEEE10hipError_tPvRmT1_T2_T3_mT4_P12ihipStream_tbEUlT_E1_NS1_11comp_targetILNS1_3genE4ELNS1_11target_archE910ELNS1_3gpuE8ELNS1_3repE0EEENS1_30default_config_static_selectorELNS0_4arch9wavefront6targetE1EEEvSK_.has_dyn_sized_stack, 0
	.set _ZN7rocprim17ROCPRIM_400000_NS6detail17trampoline_kernelINS0_14default_configENS1_22reduce_config_selectorIyEEZNS1_11reduce_implILb1ES3_N6thrust23THRUST_200600_302600_NS6detail15normal_iteratorINS8_10device_ptrIyEEEEPyy9plus_mod3IyEEE10hipError_tPvRmT1_T2_T3_mT4_P12ihipStream_tbEUlT_E1_NS1_11comp_targetILNS1_3genE4ELNS1_11target_archE910ELNS1_3gpuE8ELNS1_3repE0EEENS1_30default_config_static_selectorELNS0_4arch9wavefront6targetE1EEEvSK_.has_recursion, 0
	.set _ZN7rocprim17ROCPRIM_400000_NS6detail17trampoline_kernelINS0_14default_configENS1_22reduce_config_selectorIyEEZNS1_11reduce_implILb1ES3_N6thrust23THRUST_200600_302600_NS6detail15normal_iteratorINS8_10device_ptrIyEEEEPyy9plus_mod3IyEEE10hipError_tPvRmT1_T2_T3_mT4_P12ihipStream_tbEUlT_E1_NS1_11comp_targetILNS1_3genE4ELNS1_11target_archE910ELNS1_3gpuE8ELNS1_3repE0EEENS1_30default_config_static_selectorELNS0_4arch9wavefront6targetE1EEEvSK_.has_indirect_call, 0
	.section	.AMDGPU.csdata,"",@progbits
; Kernel info:
; codeLenInByte = 0
; TotalNumSgprs: 6
; NumVgprs: 0
; NumAgprs: 0
; TotalNumVgprs: 0
; ScratchSize: 0
; MemoryBound: 0
; FloatMode: 240
; IeeeMode: 1
; LDSByteSize: 0 bytes/workgroup (compile time only)
; SGPRBlocks: 0
; VGPRBlocks: 0
; NumSGPRsForWavesPerEU: 6
; NumVGPRsForWavesPerEU: 1
; AccumOffset: 4
; Occupancy: 8
; WaveLimiterHint : 0
; COMPUTE_PGM_RSRC2:SCRATCH_EN: 0
; COMPUTE_PGM_RSRC2:USER_SGPR: 2
; COMPUTE_PGM_RSRC2:TRAP_HANDLER: 0
; COMPUTE_PGM_RSRC2:TGID_X_EN: 1
; COMPUTE_PGM_RSRC2:TGID_Y_EN: 0
; COMPUTE_PGM_RSRC2:TGID_Z_EN: 0
; COMPUTE_PGM_RSRC2:TIDIG_COMP_CNT: 0
; COMPUTE_PGM_RSRC3_GFX90A:ACCUM_OFFSET: 0
; COMPUTE_PGM_RSRC3_GFX90A:TG_SPLIT: 0
	.section	.text._ZN7rocprim17ROCPRIM_400000_NS6detail17trampoline_kernelINS0_14default_configENS1_22reduce_config_selectorIyEEZNS1_11reduce_implILb1ES3_N6thrust23THRUST_200600_302600_NS6detail15normal_iteratorINS8_10device_ptrIyEEEEPyy9plus_mod3IyEEE10hipError_tPvRmT1_T2_T3_mT4_P12ihipStream_tbEUlT_E1_NS1_11comp_targetILNS1_3genE3ELNS1_11target_archE908ELNS1_3gpuE7ELNS1_3repE0EEENS1_30default_config_static_selectorELNS0_4arch9wavefront6targetE1EEEvSK_,"axG",@progbits,_ZN7rocprim17ROCPRIM_400000_NS6detail17trampoline_kernelINS0_14default_configENS1_22reduce_config_selectorIyEEZNS1_11reduce_implILb1ES3_N6thrust23THRUST_200600_302600_NS6detail15normal_iteratorINS8_10device_ptrIyEEEEPyy9plus_mod3IyEEE10hipError_tPvRmT1_T2_T3_mT4_P12ihipStream_tbEUlT_E1_NS1_11comp_targetILNS1_3genE3ELNS1_11target_archE908ELNS1_3gpuE7ELNS1_3repE0EEENS1_30default_config_static_selectorELNS0_4arch9wavefront6targetE1EEEvSK_,comdat
	.protected	_ZN7rocprim17ROCPRIM_400000_NS6detail17trampoline_kernelINS0_14default_configENS1_22reduce_config_selectorIyEEZNS1_11reduce_implILb1ES3_N6thrust23THRUST_200600_302600_NS6detail15normal_iteratorINS8_10device_ptrIyEEEEPyy9plus_mod3IyEEE10hipError_tPvRmT1_T2_T3_mT4_P12ihipStream_tbEUlT_E1_NS1_11comp_targetILNS1_3genE3ELNS1_11target_archE908ELNS1_3gpuE7ELNS1_3repE0EEENS1_30default_config_static_selectorELNS0_4arch9wavefront6targetE1EEEvSK_ ; -- Begin function _ZN7rocprim17ROCPRIM_400000_NS6detail17trampoline_kernelINS0_14default_configENS1_22reduce_config_selectorIyEEZNS1_11reduce_implILb1ES3_N6thrust23THRUST_200600_302600_NS6detail15normal_iteratorINS8_10device_ptrIyEEEEPyy9plus_mod3IyEEE10hipError_tPvRmT1_T2_T3_mT4_P12ihipStream_tbEUlT_E1_NS1_11comp_targetILNS1_3genE3ELNS1_11target_archE908ELNS1_3gpuE7ELNS1_3repE0EEENS1_30default_config_static_selectorELNS0_4arch9wavefront6targetE1EEEvSK_
	.globl	_ZN7rocprim17ROCPRIM_400000_NS6detail17trampoline_kernelINS0_14default_configENS1_22reduce_config_selectorIyEEZNS1_11reduce_implILb1ES3_N6thrust23THRUST_200600_302600_NS6detail15normal_iteratorINS8_10device_ptrIyEEEEPyy9plus_mod3IyEEE10hipError_tPvRmT1_T2_T3_mT4_P12ihipStream_tbEUlT_E1_NS1_11comp_targetILNS1_3genE3ELNS1_11target_archE908ELNS1_3gpuE7ELNS1_3repE0EEENS1_30default_config_static_selectorELNS0_4arch9wavefront6targetE1EEEvSK_
	.p2align	8
	.type	_ZN7rocprim17ROCPRIM_400000_NS6detail17trampoline_kernelINS0_14default_configENS1_22reduce_config_selectorIyEEZNS1_11reduce_implILb1ES3_N6thrust23THRUST_200600_302600_NS6detail15normal_iteratorINS8_10device_ptrIyEEEEPyy9plus_mod3IyEEE10hipError_tPvRmT1_T2_T3_mT4_P12ihipStream_tbEUlT_E1_NS1_11comp_targetILNS1_3genE3ELNS1_11target_archE908ELNS1_3gpuE7ELNS1_3repE0EEENS1_30default_config_static_selectorELNS0_4arch9wavefront6targetE1EEEvSK_,@function
_ZN7rocprim17ROCPRIM_400000_NS6detail17trampoline_kernelINS0_14default_configENS1_22reduce_config_selectorIyEEZNS1_11reduce_implILb1ES3_N6thrust23THRUST_200600_302600_NS6detail15normal_iteratorINS8_10device_ptrIyEEEEPyy9plus_mod3IyEEE10hipError_tPvRmT1_T2_T3_mT4_P12ihipStream_tbEUlT_E1_NS1_11comp_targetILNS1_3genE3ELNS1_11target_archE908ELNS1_3gpuE7ELNS1_3repE0EEENS1_30default_config_static_selectorELNS0_4arch9wavefront6targetE1EEEvSK_: ; @_ZN7rocprim17ROCPRIM_400000_NS6detail17trampoline_kernelINS0_14default_configENS1_22reduce_config_selectorIyEEZNS1_11reduce_implILb1ES3_N6thrust23THRUST_200600_302600_NS6detail15normal_iteratorINS8_10device_ptrIyEEEEPyy9plus_mod3IyEEE10hipError_tPvRmT1_T2_T3_mT4_P12ihipStream_tbEUlT_E1_NS1_11comp_targetILNS1_3genE3ELNS1_11target_archE908ELNS1_3gpuE7ELNS1_3repE0EEENS1_30default_config_static_selectorELNS0_4arch9wavefront6targetE1EEEvSK_
; %bb.0:
	.section	.rodata,"a",@progbits
	.p2align	6, 0x0
	.amdhsa_kernel _ZN7rocprim17ROCPRIM_400000_NS6detail17trampoline_kernelINS0_14default_configENS1_22reduce_config_selectorIyEEZNS1_11reduce_implILb1ES3_N6thrust23THRUST_200600_302600_NS6detail15normal_iteratorINS8_10device_ptrIyEEEEPyy9plus_mod3IyEEE10hipError_tPvRmT1_T2_T3_mT4_P12ihipStream_tbEUlT_E1_NS1_11comp_targetILNS1_3genE3ELNS1_11target_archE908ELNS1_3gpuE7ELNS1_3repE0EEENS1_30default_config_static_selectorELNS0_4arch9wavefront6targetE1EEEvSK_
		.amdhsa_group_segment_fixed_size 0
		.amdhsa_private_segment_fixed_size 0
		.amdhsa_kernarg_size 48
		.amdhsa_user_sgpr_count 2
		.amdhsa_user_sgpr_dispatch_ptr 0
		.amdhsa_user_sgpr_queue_ptr 0
		.amdhsa_user_sgpr_kernarg_segment_ptr 1
		.amdhsa_user_sgpr_dispatch_id 0
		.amdhsa_user_sgpr_kernarg_preload_length 0
		.amdhsa_user_sgpr_kernarg_preload_offset 0
		.amdhsa_user_sgpr_private_segment_size 0
		.amdhsa_uses_dynamic_stack 0
		.amdhsa_enable_private_segment 0
		.amdhsa_system_sgpr_workgroup_id_x 1
		.amdhsa_system_sgpr_workgroup_id_y 0
		.amdhsa_system_sgpr_workgroup_id_z 0
		.amdhsa_system_sgpr_workgroup_info 0
		.amdhsa_system_vgpr_workitem_id 0
		.amdhsa_next_free_vgpr 1
		.amdhsa_next_free_sgpr 0
		.amdhsa_accum_offset 4
		.amdhsa_reserve_vcc 0
		.amdhsa_float_round_mode_32 0
		.amdhsa_float_round_mode_16_64 0
		.amdhsa_float_denorm_mode_32 3
		.amdhsa_float_denorm_mode_16_64 3
		.amdhsa_dx10_clamp 1
		.amdhsa_ieee_mode 1
		.amdhsa_fp16_overflow 0
		.amdhsa_tg_split 0
		.amdhsa_exception_fp_ieee_invalid_op 0
		.amdhsa_exception_fp_denorm_src 0
		.amdhsa_exception_fp_ieee_div_zero 0
		.amdhsa_exception_fp_ieee_overflow 0
		.amdhsa_exception_fp_ieee_underflow 0
		.amdhsa_exception_fp_ieee_inexact 0
		.amdhsa_exception_int_div_zero 0
	.end_amdhsa_kernel
	.section	.text._ZN7rocprim17ROCPRIM_400000_NS6detail17trampoline_kernelINS0_14default_configENS1_22reduce_config_selectorIyEEZNS1_11reduce_implILb1ES3_N6thrust23THRUST_200600_302600_NS6detail15normal_iteratorINS8_10device_ptrIyEEEEPyy9plus_mod3IyEEE10hipError_tPvRmT1_T2_T3_mT4_P12ihipStream_tbEUlT_E1_NS1_11comp_targetILNS1_3genE3ELNS1_11target_archE908ELNS1_3gpuE7ELNS1_3repE0EEENS1_30default_config_static_selectorELNS0_4arch9wavefront6targetE1EEEvSK_,"axG",@progbits,_ZN7rocprim17ROCPRIM_400000_NS6detail17trampoline_kernelINS0_14default_configENS1_22reduce_config_selectorIyEEZNS1_11reduce_implILb1ES3_N6thrust23THRUST_200600_302600_NS6detail15normal_iteratorINS8_10device_ptrIyEEEEPyy9plus_mod3IyEEE10hipError_tPvRmT1_T2_T3_mT4_P12ihipStream_tbEUlT_E1_NS1_11comp_targetILNS1_3genE3ELNS1_11target_archE908ELNS1_3gpuE7ELNS1_3repE0EEENS1_30default_config_static_selectorELNS0_4arch9wavefront6targetE1EEEvSK_,comdat
.Lfunc_end797:
	.size	_ZN7rocprim17ROCPRIM_400000_NS6detail17trampoline_kernelINS0_14default_configENS1_22reduce_config_selectorIyEEZNS1_11reduce_implILb1ES3_N6thrust23THRUST_200600_302600_NS6detail15normal_iteratorINS8_10device_ptrIyEEEEPyy9plus_mod3IyEEE10hipError_tPvRmT1_T2_T3_mT4_P12ihipStream_tbEUlT_E1_NS1_11comp_targetILNS1_3genE3ELNS1_11target_archE908ELNS1_3gpuE7ELNS1_3repE0EEENS1_30default_config_static_selectorELNS0_4arch9wavefront6targetE1EEEvSK_, .Lfunc_end797-_ZN7rocprim17ROCPRIM_400000_NS6detail17trampoline_kernelINS0_14default_configENS1_22reduce_config_selectorIyEEZNS1_11reduce_implILb1ES3_N6thrust23THRUST_200600_302600_NS6detail15normal_iteratorINS8_10device_ptrIyEEEEPyy9plus_mod3IyEEE10hipError_tPvRmT1_T2_T3_mT4_P12ihipStream_tbEUlT_E1_NS1_11comp_targetILNS1_3genE3ELNS1_11target_archE908ELNS1_3gpuE7ELNS1_3repE0EEENS1_30default_config_static_selectorELNS0_4arch9wavefront6targetE1EEEvSK_
                                        ; -- End function
	.set _ZN7rocprim17ROCPRIM_400000_NS6detail17trampoline_kernelINS0_14default_configENS1_22reduce_config_selectorIyEEZNS1_11reduce_implILb1ES3_N6thrust23THRUST_200600_302600_NS6detail15normal_iteratorINS8_10device_ptrIyEEEEPyy9plus_mod3IyEEE10hipError_tPvRmT1_T2_T3_mT4_P12ihipStream_tbEUlT_E1_NS1_11comp_targetILNS1_3genE3ELNS1_11target_archE908ELNS1_3gpuE7ELNS1_3repE0EEENS1_30default_config_static_selectorELNS0_4arch9wavefront6targetE1EEEvSK_.num_vgpr, 0
	.set _ZN7rocprim17ROCPRIM_400000_NS6detail17trampoline_kernelINS0_14default_configENS1_22reduce_config_selectorIyEEZNS1_11reduce_implILb1ES3_N6thrust23THRUST_200600_302600_NS6detail15normal_iteratorINS8_10device_ptrIyEEEEPyy9plus_mod3IyEEE10hipError_tPvRmT1_T2_T3_mT4_P12ihipStream_tbEUlT_E1_NS1_11comp_targetILNS1_3genE3ELNS1_11target_archE908ELNS1_3gpuE7ELNS1_3repE0EEENS1_30default_config_static_selectorELNS0_4arch9wavefront6targetE1EEEvSK_.num_agpr, 0
	.set _ZN7rocprim17ROCPRIM_400000_NS6detail17trampoline_kernelINS0_14default_configENS1_22reduce_config_selectorIyEEZNS1_11reduce_implILb1ES3_N6thrust23THRUST_200600_302600_NS6detail15normal_iteratorINS8_10device_ptrIyEEEEPyy9plus_mod3IyEEE10hipError_tPvRmT1_T2_T3_mT4_P12ihipStream_tbEUlT_E1_NS1_11comp_targetILNS1_3genE3ELNS1_11target_archE908ELNS1_3gpuE7ELNS1_3repE0EEENS1_30default_config_static_selectorELNS0_4arch9wavefront6targetE1EEEvSK_.numbered_sgpr, 0
	.set _ZN7rocprim17ROCPRIM_400000_NS6detail17trampoline_kernelINS0_14default_configENS1_22reduce_config_selectorIyEEZNS1_11reduce_implILb1ES3_N6thrust23THRUST_200600_302600_NS6detail15normal_iteratorINS8_10device_ptrIyEEEEPyy9plus_mod3IyEEE10hipError_tPvRmT1_T2_T3_mT4_P12ihipStream_tbEUlT_E1_NS1_11comp_targetILNS1_3genE3ELNS1_11target_archE908ELNS1_3gpuE7ELNS1_3repE0EEENS1_30default_config_static_selectorELNS0_4arch9wavefront6targetE1EEEvSK_.num_named_barrier, 0
	.set _ZN7rocprim17ROCPRIM_400000_NS6detail17trampoline_kernelINS0_14default_configENS1_22reduce_config_selectorIyEEZNS1_11reduce_implILb1ES3_N6thrust23THRUST_200600_302600_NS6detail15normal_iteratorINS8_10device_ptrIyEEEEPyy9plus_mod3IyEEE10hipError_tPvRmT1_T2_T3_mT4_P12ihipStream_tbEUlT_E1_NS1_11comp_targetILNS1_3genE3ELNS1_11target_archE908ELNS1_3gpuE7ELNS1_3repE0EEENS1_30default_config_static_selectorELNS0_4arch9wavefront6targetE1EEEvSK_.private_seg_size, 0
	.set _ZN7rocprim17ROCPRIM_400000_NS6detail17trampoline_kernelINS0_14default_configENS1_22reduce_config_selectorIyEEZNS1_11reduce_implILb1ES3_N6thrust23THRUST_200600_302600_NS6detail15normal_iteratorINS8_10device_ptrIyEEEEPyy9plus_mod3IyEEE10hipError_tPvRmT1_T2_T3_mT4_P12ihipStream_tbEUlT_E1_NS1_11comp_targetILNS1_3genE3ELNS1_11target_archE908ELNS1_3gpuE7ELNS1_3repE0EEENS1_30default_config_static_selectorELNS0_4arch9wavefront6targetE1EEEvSK_.uses_vcc, 0
	.set _ZN7rocprim17ROCPRIM_400000_NS6detail17trampoline_kernelINS0_14default_configENS1_22reduce_config_selectorIyEEZNS1_11reduce_implILb1ES3_N6thrust23THRUST_200600_302600_NS6detail15normal_iteratorINS8_10device_ptrIyEEEEPyy9plus_mod3IyEEE10hipError_tPvRmT1_T2_T3_mT4_P12ihipStream_tbEUlT_E1_NS1_11comp_targetILNS1_3genE3ELNS1_11target_archE908ELNS1_3gpuE7ELNS1_3repE0EEENS1_30default_config_static_selectorELNS0_4arch9wavefront6targetE1EEEvSK_.uses_flat_scratch, 0
	.set _ZN7rocprim17ROCPRIM_400000_NS6detail17trampoline_kernelINS0_14default_configENS1_22reduce_config_selectorIyEEZNS1_11reduce_implILb1ES3_N6thrust23THRUST_200600_302600_NS6detail15normal_iteratorINS8_10device_ptrIyEEEEPyy9plus_mod3IyEEE10hipError_tPvRmT1_T2_T3_mT4_P12ihipStream_tbEUlT_E1_NS1_11comp_targetILNS1_3genE3ELNS1_11target_archE908ELNS1_3gpuE7ELNS1_3repE0EEENS1_30default_config_static_selectorELNS0_4arch9wavefront6targetE1EEEvSK_.has_dyn_sized_stack, 0
	.set _ZN7rocprim17ROCPRIM_400000_NS6detail17trampoline_kernelINS0_14default_configENS1_22reduce_config_selectorIyEEZNS1_11reduce_implILb1ES3_N6thrust23THRUST_200600_302600_NS6detail15normal_iteratorINS8_10device_ptrIyEEEEPyy9plus_mod3IyEEE10hipError_tPvRmT1_T2_T3_mT4_P12ihipStream_tbEUlT_E1_NS1_11comp_targetILNS1_3genE3ELNS1_11target_archE908ELNS1_3gpuE7ELNS1_3repE0EEENS1_30default_config_static_selectorELNS0_4arch9wavefront6targetE1EEEvSK_.has_recursion, 0
	.set _ZN7rocprim17ROCPRIM_400000_NS6detail17trampoline_kernelINS0_14default_configENS1_22reduce_config_selectorIyEEZNS1_11reduce_implILb1ES3_N6thrust23THRUST_200600_302600_NS6detail15normal_iteratorINS8_10device_ptrIyEEEEPyy9plus_mod3IyEEE10hipError_tPvRmT1_T2_T3_mT4_P12ihipStream_tbEUlT_E1_NS1_11comp_targetILNS1_3genE3ELNS1_11target_archE908ELNS1_3gpuE7ELNS1_3repE0EEENS1_30default_config_static_selectorELNS0_4arch9wavefront6targetE1EEEvSK_.has_indirect_call, 0
	.section	.AMDGPU.csdata,"",@progbits
; Kernel info:
; codeLenInByte = 0
; TotalNumSgprs: 6
; NumVgprs: 0
; NumAgprs: 0
; TotalNumVgprs: 0
; ScratchSize: 0
; MemoryBound: 0
; FloatMode: 240
; IeeeMode: 1
; LDSByteSize: 0 bytes/workgroup (compile time only)
; SGPRBlocks: 0
; VGPRBlocks: 0
; NumSGPRsForWavesPerEU: 6
; NumVGPRsForWavesPerEU: 1
; AccumOffset: 4
; Occupancy: 8
; WaveLimiterHint : 0
; COMPUTE_PGM_RSRC2:SCRATCH_EN: 0
; COMPUTE_PGM_RSRC2:USER_SGPR: 2
; COMPUTE_PGM_RSRC2:TRAP_HANDLER: 0
; COMPUTE_PGM_RSRC2:TGID_X_EN: 1
; COMPUTE_PGM_RSRC2:TGID_Y_EN: 0
; COMPUTE_PGM_RSRC2:TGID_Z_EN: 0
; COMPUTE_PGM_RSRC2:TIDIG_COMP_CNT: 0
; COMPUTE_PGM_RSRC3_GFX90A:ACCUM_OFFSET: 0
; COMPUTE_PGM_RSRC3_GFX90A:TG_SPLIT: 0
	.section	.text._ZN7rocprim17ROCPRIM_400000_NS6detail17trampoline_kernelINS0_14default_configENS1_22reduce_config_selectorIyEEZNS1_11reduce_implILb1ES3_N6thrust23THRUST_200600_302600_NS6detail15normal_iteratorINS8_10device_ptrIyEEEEPyy9plus_mod3IyEEE10hipError_tPvRmT1_T2_T3_mT4_P12ihipStream_tbEUlT_E1_NS1_11comp_targetILNS1_3genE2ELNS1_11target_archE906ELNS1_3gpuE6ELNS1_3repE0EEENS1_30default_config_static_selectorELNS0_4arch9wavefront6targetE1EEEvSK_,"axG",@progbits,_ZN7rocprim17ROCPRIM_400000_NS6detail17trampoline_kernelINS0_14default_configENS1_22reduce_config_selectorIyEEZNS1_11reduce_implILb1ES3_N6thrust23THRUST_200600_302600_NS6detail15normal_iteratorINS8_10device_ptrIyEEEEPyy9plus_mod3IyEEE10hipError_tPvRmT1_T2_T3_mT4_P12ihipStream_tbEUlT_E1_NS1_11comp_targetILNS1_3genE2ELNS1_11target_archE906ELNS1_3gpuE6ELNS1_3repE0EEENS1_30default_config_static_selectorELNS0_4arch9wavefront6targetE1EEEvSK_,comdat
	.protected	_ZN7rocprim17ROCPRIM_400000_NS6detail17trampoline_kernelINS0_14default_configENS1_22reduce_config_selectorIyEEZNS1_11reduce_implILb1ES3_N6thrust23THRUST_200600_302600_NS6detail15normal_iteratorINS8_10device_ptrIyEEEEPyy9plus_mod3IyEEE10hipError_tPvRmT1_T2_T3_mT4_P12ihipStream_tbEUlT_E1_NS1_11comp_targetILNS1_3genE2ELNS1_11target_archE906ELNS1_3gpuE6ELNS1_3repE0EEENS1_30default_config_static_selectorELNS0_4arch9wavefront6targetE1EEEvSK_ ; -- Begin function _ZN7rocprim17ROCPRIM_400000_NS6detail17trampoline_kernelINS0_14default_configENS1_22reduce_config_selectorIyEEZNS1_11reduce_implILb1ES3_N6thrust23THRUST_200600_302600_NS6detail15normal_iteratorINS8_10device_ptrIyEEEEPyy9plus_mod3IyEEE10hipError_tPvRmT1_T2_T3_mT4_P12ihipStream_tbEUlT_E1_NS1_11comp_targetILNS1_3genE2ELNS1_11target_archE906ELNS1_3gpuE6ELNS1_3repE0EEENS1_30default_config_static_selectorELNS0_4arch9wavefront6targetE1EEEvSK_
	.globl	_ZN7rocprim17ROCPRIM_400000_NS6detail17trampoline_kernelINS0_14default_configENS1_22reduce_config_selectorIyEEZNS1_11reduce_implILb1ES3_N6thrust23THRUST_200600_302600_NS6detail15normal_iteratorINS8_10device_ptrIyEEEEPyy9plus_mod3IyEEE10hipError_tPvRmT1_T2_T3_mT4_P12ihipStream_tbEUlT_E1_NS1_11comp_targetILNS1_3genE2ELNS1_11target_archE906ELNS1_3gpuE6ELNS1_3repE0EEENS1_30default_config_static_selectorELNS0_4arch9wavefront6targetE1EEEvSK_
	.p2align	8
	.type	_ZN7rocprim17ROCPRIM_400000_NS6detail17trampoline_kernelINS0_14default_configENS1_22reduce_config_selectorIyEEZNS1_11reduce_implILb1ES3_N6thrust23THRUST_200600_302600_NS6detail15normal_iteratorINS8_10device_ptrIyEEEEPyy9plus_mod3IyEEE10hipError_tPvRmT1_T2_T3_mT4_P12ihipStream_tbEUlT_E1_NS1_11comp_targetILNS1_3genE2ELNS1_11target_archE906ELNS1_3gpuE6ELNS1_3repE0EEENS1_30default_config_static_selectorELNS0_4arch9wavefront6targetE1EEEvSK_,@function
_ZN7rocprim17ROCPRIM_400000_NS6detail17trampoline_kernelINS0_14default_configENS1_22reduce_config_selectorIyEEZNS1_11reduce_implILb1ES3_N6thrust23THRUST_200600_302600_NS6detail15normal_iteratorINS8_10device_ptrIyEEEEPyy9plus_mod3IyEEE10hipError_tPvRmT1_T2_T3_mT4_P12ihipStream_tbEUlT_E1_NS1_11comp_targetILNS1_3genE2ELNS1_11target_archE906ELNS1_3gpuE6ELNS1_3repE0EEENS1_30default_config_static_selectorELNS0_4arch9wavefront6targetE1EEEvSK_: ; @_ZN7rocprim17ROCPRIM_400000_NS6detail17trampoline_kernelINS0_14default_configENS1_22reduce_config_selectorIyEEZNS1_11reduce_implILb1ES3_N6thrust23THRUST_200600_302600_NS6detail15normal_iteratorINS8_10device_ptrIyEEEEPyy9plus_mod3IyEEE10hipError_tPvRmT1_T2_T3_mT4_P12ihipStream_tbEUlT_E1_NS1_11comp_targetILNS1_3genE2ELNS1_11target_archE906ELNS1_3gpuE6ELNS1_3repE0EEENS1_30default_config_static_selectorELNS0_4arch9wavefront6targetE1EEEvSK_
; %bb.0:
	.section	.rodata,"a",@progbits
	.p2align	6, 0x0
	.amdhsa_kernel _ZN7rocprim17ROCPRIM_400000_NS6detail17trampoline_kernelINS0_14default_configENS1_22reduce_config_selectorIyEEZNS1_11reduce_implILb1ES3_N6thrust23THRUST_200600_302600_NS6detail15normal_iteratorINS8_10device_ptrIyEEEEPyy9plus_mod3IyEEE10hipError_tPvRmT1_T2_T3_mT4_P12ihipStream_tbEUlT_E1_NS1_11comp_targetILNS1_3genE2ELNS1_11target_archE906ELNS1_3gpuE6ELNS1_3repE0EEENS1_30default_config_static_selectorELNS0_4arch9wavefront6targetE1EEEvSK_
		.amdhsa_group_segment_fixed_size 0
		.amdhsa_private_segment_fixed_size 0
		.amdhsa_kernarg_size 48
		.amdhsa_user_sgpr_count 2
		.amdhsa_user_sgpr_dispatch_ptr 0
		.amdhsa_user_sgpr_queue_ptr 0
		.amdhsa_user_sgpr_kernarg_segment_ptr 1
		.amdhsa_user_sgpr_dispatch_id 0
		.amdhsa_user_sgpr_kernarg_preload_length 0
		.amdhsa_user_sgpr_kernarg_preload_offset 0
		.amdhsa_user_sgpr_private_segment_size 0
		.amdhsa_uses_dynamic_stack 0
		.amdhsa_enable_private_segment 0
		.amdhsa_system_sgpr_workgroup_id_x 1
		.amdhsa_system_sgpr_workgroup_id_y 0
		.amdhsa_system_sgpr_workgroup_id_z 0
		.amdhsa_system_sgpr_workgroup_info 0
		.amdhsa_system_vgpr_workitem_id 0
		.amdhsa_next_free_vgpr 1
		.amdhsa_next_free_sgpr 0
		.amdhsa_accum_offset 4
		.amdhsa_reserve_vcc 0
		.amdhsa_float_round_mode_32 0
		.amdhsa_float_round_mode_16_64 0
		.amdhsa_float_denorm_mode_32 3
		.amdhsa_float_denorm_mode_16_64 3
		.amdhsa_dx10_clamp 1
		.amdhsa_ieee_mode 1
		.amdhsa_fp16_overflow 0
		.amdhsa_tg_split 0
		.amdhsa_exception_fp_ieee_invalid_op 0
		.amdhsa_exception_fp_denorm_src 0
		.amdhsa_exception_fp_ieee_div_zero 0
		.amdhsa_exception_fp_ieee_overflow 0
		.amdhsa_exception_fp_ieee_underflow 0
		.amdhsa_exception_fp_ieee_inexact 0
		.amdhsa_exception_int_div_zero 0
	.end_amdhsa_kernel
	.section	.text._ZN7rocprim17ROCPRIM_400000_NS6detail17trampoline_kernelINS0_14default_configENS1_22reduce_config_selectorIyEEZNS1_11reduce_implILb1ES3_N6thrust23THRUST_200600_302600_NS6detail15normal_iteratorINS8_10device_ptrIyEEEEPyy9plus_mod3IyEEE10hipError_tPvRmT1_T2_T3_mT4_P12ihipStream_tbEUlT_E1_NS1_11comp_targetILNS1_3genE2ELNS1_11target_archE906ELNS1_3gpuE6ELNS1_3repE0EEENS1_30default_config_static_selectorELNS0_4arch9wavefront6targetE1EEEvSK_,"axG",@progbits,_ZN7rocprim17ROCPRIM_400000_NS6detail17trampoline_kernelINS0_14default_configENS1_22reduce_config_selectorIyEEZNS1_11reduce_implILb1ES3_N6thrust23THRUST_200600_302600_NS6detail15normal_iteratorINS8_10device_ptrIyEEEEPyy9plus_mod3IyEEE10hipError_tPvRmT1_T2_T3_mT4_P12ihipStream_tbEUlT_E1_NS1_11comp_targetILNS1_3genE2ELNS1_11target_archE906ELNS1_3gpuE6ELNS1_3repE0EEENS1_30default_config_static_selectorELNS0_4arch9wavefront6targetE1EEEvSK_,comdat
.Lfunc_end798:
	.size	_ZN7rocprim17ROCPRIM_400000_NS6detail17trampoline_kernelINS0_14default_configENS1_22reduce_config_selectorIyEEZNS1_11reduce_implILb1ES3_N6thrust23THRUST_200600_302600_NS6detail15normal_iteratorINS8_10device_ptrIyEEEEPyy9plus_mod3IyEEE10hipError_tPvRmT1_T2_T3_mT4_P12ihipStream_tbEUlT_E1_NS1_11comp_targetILNS1_3genE2ELNS1_11target_archE906ELNS1_3gpuE6ELNS1_3repE0EEENS1_30default_config_static_selectorELNS0_4arch9wavefront6targetE1EEEvSK_, .Lfunc_end798-_ZN7rocprim17ROCPRIM_400000_NS6detail17trampoline_kernelINS0_14default_configENS1_22reduce_config_selectorIyEEZNS1_11reduce_implILb1ES3_N6thrust23THRUST_200600_302600_NS6detail15normal_iteratorINS8_10device_ptrIyEEEEPyy9plus_mod3IyEEE10hipError_tPvRmT1_T2_T3_mT4_P12ihipStream_tbEUlT_E1_NS1_11comp_targetILNS1_3genE2ELNS1_11target_archE906ELNS1_3gpuE6ELNS1_3repE0EEENS1_30default_config_static_selectorELNS0_4arch9wavefront6targetE1EEEvSK_
                                        ; -- End function
	.set _ZN7rocprim17ROCPRIM_400000_NS6detail17trampoline_kernelINS0_14default_configENS1_22reduce_config_selectorIyEEZNS1_11reduce_implILb1ES3_N6thrust23THRUST_200600_302600_NS6detail15normal_iteratorINS8_10device_ptrIyEEEEPyy9plus_mod3IyEEE10hipError_tPvRmT1_T2_T3_mT4_P12ihipStream_tbEUlT_E1_NS1_11comp_targetILNS1_3genE2ELNS1_11target_archE906ELNS1_3gpuE6ELNS1_3repE0EEENS1_30default_config_static_selectorELNS0_4arch9wavefront6targetE1EEEvSK_.num_vgpr, 0
	.set _ZN7rocprim17ROCPRIM_400000_NS6detail17trampoline_kernelINS0_14default_configENS1_22reduce_config_selectorIyEEZNS1_11reduce_implILb1ES3_N6thrust23THRUST_200600_302600_NS6detail15normal_iteratorINS8_10device_ptrIyEEEEPyy9plus_mod3IyEEE10hipError_tPvRmT1_T2_T3_mT4_P12ihipStream_tbEUlT_E1_NS1_11comp_targetILNS1_3genE2ELNS1_11target_archE906ELNS1_3gpuE6ELNS1_3repE0EEENS1_30default_config_static_selectorELNS0_4arch9wavefront6targetE1EEEvSK_.num_agpr, 0
	.set _ZN7rocprim17ROCPRIM_400000_NS6detail17trampoline_kernelINS0_14default_configENS1_22reduce_config_selectorIyEEZNS1_11reduce_implILb1ES3_N6thrust23THRUST_200600_302600_NS6detail15normal_iteratorINS8_10device_ptrIyEEEEPyy9plus_mod3IyEEE10hipError_tPvRmT1_T2_T3_mT4_P12ihipStream_tbEUlT_E1_NS1_11comp_targetILNS1_3genE2ELNS1_11target_archE906ELNS1_3gpuE6ELNS1_3repE0EEENS1_30default_config_static_selectorELNS0_4arch9wavefront6targetE1EEEvSK_.numbered_sgpr, 0
	.set _ZN7rocprim17ROCPRIM_400000_NS6detail17trampoline_kernelINS0_14default_configENS1_22reduce_config_selectorIyEEZNS1_11reduce_implILb1ES3_N6thrust23THRUST_200600_302600_NS6detail15normal_iteratorINS8_10device_ptrIyEEEEPyy9plus_mod3IyEEE10hipError_tPvRmT1_T2_T3_mT4_P12ihipStream_tbEUlT_E1_NS1_11comp_targetILNS1_3genE2ELNS1_11target_archE906ELNS1_3gpuE6ELNS1_3repE0EEENS1_30default_config_static_selectorELNS0_4arch9wavefront6targetE1EEEvSK_.num_named_barrier, 0
	.set _ZN7rocprim17ROCPRIM_400000_NS6detail17trampoline_kernelINS0_14default_configENS1_22reduce_config_selectorIyEEZNS1_11reduce_implILb1ES3_N6thrust23THRUST_200600_302600_NS6detail15normal_iteratorINS8_10device_ptrIyEEEEPyy9plus_mod3IyEEE10hipError_tPvRmT1_T2_T3_mT4_P12ihipStream_tbEUlT_E1_NS1_11comp_targetILNS1_3genE2ELNS1_11target_archE906ELNS1_3gpuE6ELNS1_3repE0EEENS1_30default_config_static_selectorELNS0_4arch9wavefront6targetE1EEEvSK_.private_seg_size, 0
	.set _ZN7rocprim17ROCPRIM_400000_NS6detail17trampoline_kernelINS0_14default_configENS1_22reduce_config_selectorIyEEZNS1_11reduce_implILb1ES3_N6thrust23THRUST_200600_302600_NS6detail15normal_iteratorINS8_10device_ptrIyEEEEPyy9plus_mod3IyEEE10hipError_tPvRmT1_T2_T3_mT4_P12ihipStream_tbEUlT_E1_NS1_11comp_targetILNS1_3genE2ELNS1_11target_archE906ELNS1_3gpuE6ELNS1_3repE0EEENS1_30default_config_static_selectorELNS0_4arch9wavefront6targetE1EEEvSK_.uses_vcc, 0
	.set _ZN7rocprim17ROCPRIM_400000_NS6detail17trampoline_kernelINS0_14default_configENS1_22reduce_config_selectorIyEEZNS1_11reduce_implILb1ES3_N6thrust23THRUST_200600_302600_NS6detail15normal_iteratorINS8_10device_ptrIyEEEEPyy9plus_mod3IyEEE10hipError_tPvRmT1_T2_T3_mT4_P12ihipStream_tbEUlT_E1_NS1_11comp_targetILNS1_3genE2ELNS1_11target_archE906ELNS1_3gpuE6ELNS1_3repE0EEENS1_30default_config_static_selectorELNS0_4arch9wavefront6targetE1EEEvSK_.uses_flat_scratch, 0
	.set _ZN7rocprim17ROCPRIM_400000_NS6detail17trampoline_kernelINS0_14default_configENS1_22reduce_config_selectorIyEEZNS1_11reduce_implILb1ES3_N6thrust23THRUST_200600_302600_NS6detail15normal_iteratorINS8_10device_ptrIyEEEEPyy9plus_mod3IyEEE10hipError_tPvRmT1_T2_T3_mT4_P12ihipStream_tbEUlT_E1_NS1_11comp_targetILNS1_3genE2ELNS1_11target_archE906ELNS1_3gpuE6ELNS1_3repE0EEENS1_30default_config_static_selectorELNS0_4arch9wavefront6targetE1EEEvSK_.has_dyn_sized_stack, 0
	.set _ZN7rocprim17ROCPRIM_400000_NS6detail17trampoline_kernelINS0_14default_configENS1_22reduce_config_selectorIyEEZNS1_11reduce_implILb1ES3_N6thrust23THRUST_200600_302600_NS6detail15normal_iteratorINS8_10device_ptrIyEEEEPyy9plus_mod3IyEEE10hipError_tPvRmT1_T2_T3_mT4_P12ihipStream_tbEUlT_E1_NS1_11comp_targetILNS1_3genE2ELNS1_11target_archE906ELNS1_3gpuE6ELNS1_3repE0EEENS1_30default_config_static_selectorELNS0_4arch9wavefront6targetE1EEEvSK_.has_recursion, 0
	.set _ZN7rocprim17ROCPRIM_400000_NS6detail17trampoline_kernelINS0_14default_configENS1_22reduce_config_selectorIyEEZNS1_11reduce_implILb1ES3_N6thrust23THRUST_200600_302600_NS6detail15normal_iteratorINS8_10device_ptrIyEEEEPyy9plus_mod3IyEEE10hipError_tPvRmT1_T2_T3_mT4_P12ihipStream_tbEUlT_E1_NS1_11comp_targetILNS1_3genE2ELNS1_11target_archE906ELNS1_3gpuE6ELNS1_3repE0EEENS1_30default_config_static_selectorELNS0_4arch9wavefront6targetE1EEEvSK_.has_indirect_call, 0
	.section	.AMDGPU.csdata,"",@progbits
; Kernel info:
; codeLenInByte = 0
; TotalNumSgprs: 6
; NumVgprs: 0
; NumAgprs: 0
; TotalNumVgprs: 0
; ScratchSize: 0
; MemoryBound: 0
; FloatMode: 240
; IeeeMode: 1
; LDSByteSize: 0 bytes/workgroup (compile time only)
; SGPRBlocks: 0
; VGPRBlocks: 0
; NumSGPRsForWavesPerEU: 6
; NumVGPRsForWavesPerEU: 1
; AccumOffset: 4
; Occupancy: 8
; WaveLimiterHint : 0
; COMPUTE_PGM_RSRC2:SCRATCH_EN: 0
; COMPUTE_PGM_RSRC2:USER_SGPR: 2
; COMPUTE_PGM_RSRC2:TRAP_HANDLER: 0
; COMPUTE_PGM_RSRC2:TGID_X_EN: 1
; COMPUTE_PGM_RSRC2:TGID_Y_EN: 0
; COMPUTE_PGM_RSRC2:TGID_Z_EN: 0
; COMPUTE_PGM_RSRC2:TIDIG_COMP_CNT: 0
; COMPUTE_PGM_RSRC3_GFX90A:ACCUM_OFFSET: 0
; COMPUTE_PGM_RSRC3_GFX90A:TG_SPLIT: 0
	.section	.text._ZN7rocprim17ROCPRIM_400000_NS6detail17trampoline_kernelINS0_14default_configENS1_22reduce_config_selectorIyEEZNS1_11reduce_implILb1ES3_N6thrust23THRUST_200600_302600_NS6detail15normal_iteratorINS8_10device_ptrIyEEEEPyy9plus_mod3IyEEE10hipError_tPvRmT1_T2_T3_mT4_P12ihipStream_tbEUlT_E1_NS1_11comp_targetILNS1_3genE10ELNS1_11target_archE1201ELNS1_3gpuE5ELNS1_3repE0EEENS1_30default_config_static_selectorELNS0_4arch9wavefront6targetE1EEEvSK_,"axG",@progbits,_ZN7rocprim17ROCPRIM_400000_NS6detail17trampoline_kernelINS0_14default_configENS1_22reduce_config_selectorIyEEZNS1_11reduce_implILb1ES3_N6thrust23THRUST_200600_302600_NS6detail15normal_iteratorINS8_10device_ptrIyEEEEPyy9plus_mod3IyEEE10hipError_tPvRmT1_T2_T3_mT4_P12ihipStream_tbEUlT_E1_NS1_11comp_targetILNS1_3genE10ELNS1_11target_archE1201ELNS1_3gpuE5ELNS1_3repE0EEENS1_30default_config_static_selectorELNS0_4arch9wavefront6targetE1EEEvSK_,comdat
	.protected	_ZN7rocprim17ROCPRIM_400000_NS6detail17trampoline_kernelINS0_14default_configENS1_22reduce_config_selectorIyEEZNS1_11reduce_implILb1ES3_N6thrust23THRUST_200600_302600_NS6detail15normal_iteratorINS8_10device_ptrIyEEEEPyy9plus_mod3IyEEE10hipError_tPvRmT1_T2_T3_mT4_P12ihipStream_tbEUlT_E1_NS1_11comp_targetILNS1_3genE10ELNS1_11target_archE1201ELNS1_3gpuE5ELNS1_3repE0EEENS1_30default_config_static_selectorELNS0_4arch9wavefront6targetE1EEEvSK_ ; -- Begin function _ZN7rocprim17ROCPRIM_400000_NS6detail17trampoline_kernelINS0_14default_configENS1_22reduce_config_selectorIyEEZNS1_11reduce_implILb1ES3_N6thrust23THRUST_200600_302600_NS6detail15normal_iteratorINS8_10device_ptrIyEEEEPyy9plus_mod3IyEEE10hipError_tPvRmT1_T2_T3_mT4_P12ihipStream_tbEUlT_E1_NS1_11comp_targetILNS1_3genE10ELNS1_11target_archE1201ELNS1_3gpuE5ELNS1_3repE0EEENS1_30default_config_static_selectorELNS0_4arch9wavefront6targetE1EEEvSK_
	.globl	_ZN7rocprim17ROCPRIM_400000_NS6detail17trampoline_kernelINS0_14default_configENS1_22reduce_config_selectorIyEEZNS1_11reduce_implILb1ES3_N6thrust23THRUST_200600_302600_NS6detail15normal_iteratorINS8_10device_ptrIyEEEEPyy9plus_mod3IyEEE10hipError_tPvRmT1_T2_T3_mT4_P12ihipStream_tbEUlT_E1_NS1_11comp_targetILNS1_3genE10ELNS1_11target_archE1201ELNS1_3gpuE5ELNS1_3repE0EEENS1_30default_config_static_selectorELNS0_4arch9wavefront6targetE1EEEvSK_
	.p2align	8
	.type	_ZN7rocprim17ROCPRIM_400000_NS6detail17trampoline_kernelINS0_14default_configENS1_22reduce_config_selectorIyEEZNS1_11reduce_implILb1ES3_N6thrust23THRUST_200600_302600_NS6detail15normal_iteratorINS8_10device_ptrIyEEEEPyy9plus_mod3IyEEE10hipError_tPvRmT1_T2_T3_mT4_P12ihipStream_tbEUlT_E1_NS1_11comp_targetILNS1_3genE10ELNS1_11target_archE1201ELNS1_3gpuE5ELNS1_3repE0EEENS1_30default_config_static_selectorELNS0_4arch9wavefront6targetE1EEEvSK_,@function
_ZN7rocprim17ROCPRIM_400000_NS6detail17trampoline_kernelINS0_14default_configENS1_22reduce_config_selectorIyEEZNS1_11reduce_implILb1ES3_N6thrust23THRUST_200600_302600_NS6detail15normal_iteratorINS8_10device_ptrIyEEEEPyy9plus_mod3IyEEE10hipError_tPvRmT1_T2_T3_mT4_P12ihipStream_tbEUlT_E1_NS1_11comp_targetILNS1_3genE10ELNS1_11target_archE1201ELNS1_3gpuE5ELNS1_3repE0EEENS1_30default_config_static_selectorELNS0_4arch9wavefront6targetE1EEEvSK_: ; @_ZN7rocprim17ROCPRIM_400000_NS6detail17trampoline_kernelINS0_14default_configENS1_22reduce_config_selectorIyEEZNS1_11reduce_implILb1ES3_N6thrust23THRUST_200600_302600_NS6detail15normal_iteratorINS8_10device_ptrIyEEEEPyy9plus_mod3IyEEE10hipError_tPvRmT1_T2_T3_mT4_P12ihipStream_tbEUlT_E1_NS1_11comp_targetILNS1_3genE10ELNS1_11target_archE1201ELNS1_3gpuE5ELNS1_3repE0EEENS1_30default_config_static_selectorELNS0_4arch9wavefront6targetE1EEEvSK_
; %bb.0:
	.section	.rodata,"a",@progbits
	.p2align	6, 0x0
	.amdhsa_kernel _ZN7rocprim17ROCPRIM_400000_NS6detail17trampoline_kernelINS0_14default_configENS1_22reduce_config_selectorIyEEZNS1_11reduce_implILb1ES3_N6thrust23THRUST_200600_302600_NS6detail15normal_iteratorINS8_10device_ptrIyEEEEPyy9plus_mod3IyEEE10hipError_tPvRmT1_T2_T3_mT4_P12ihipStream_tbEUlT_E1_NS1_11comp_targetILNS1_3genE10ELNS1_11target_archE1201ELNS1_3gpuE5ELNS1_3repE0EEENS1_30default_config_static_selectorELNS0_4arch9wavefront6targetE1EEEvSK_
		.amdhsa_group_segment_fixed_size 0
		.amdhsa_private_segment_fixed_size 0
		.amdhsa_kernarg_size 48
		.amdhsa_user_sgpr_count 2
		.amdhsa_user_sgpr_dispatch_ptr 0
		.amdhsa_user_sgpr_queue_ptr 0
		.amdhsa_user_sgpr_kernarg_segment_ptr 1
		.amdhsa_user_sgpr_dispatch_id 0
		.amdhsa_user_sgpr_kernarg_preload_length 0
		.amdhsa_user_sgpr_kernarg_preload_offset 0
		.amdhsa_user_sgpr_private_segment_size 0
		.amdhsa_uses_dynamic_stack 0
		.amdhsa_enable_private_segment 0
		.amdhsa_system_sgpr_workgroup_id_x 1
		.amdhsa_system_sgpr_workgroup_id_y 0
		.amdhsa_system_sgpr_workgroup_id_z 0
		.amdhsa_system_sgpr_workgroup_info 0
		.amdhsa_system_vgpr_workitem_id 0
		.amdhsa_next_free_vgpr 1
		.amdhsa_next_free_sgpr 0
		.amdhsa_accum_offset 4
		.amdhsa_reserve_vcc 0
		.amdhsa_float_round_mode_32 0
		.amdhsa_float_round_mode_16_64 0
		.amdhsa_float_denorm_mode_32 3
		.amdhsa_float_denorm_mode_16_64 3
		.amdhsa_dx10_clamp 1
		.amdhsa_ieee_mode 1
		.amdhsa_fp16_overflow 0
		.amdhsa_tg_split 0
		.amdhsa_exception_fp_ieee_invalid_op 0
		.amdhsa_exception_fp_denorm_src 0
		.amdhsa_exception_fp_ieee_div_zero 0
		.amdhsa_exception_fp_ieee_overflow 0
		.amdhsa_exception_fp_ieee_underflow 0
		.amdhsa_exception_fp_ieee_inexact 0
		.amdhsa_exception_int_div_zero 0
	.end_amdhsa_kernel
	.section	.text._ZN7rocprim17ROCPRIM_400000_NS6detail17trampoline_kernelINS0_14default_configENS1_22reduce_config_selectorIyEEZNS1_11reduce_implILb1ES3_N6thrust23THRUST_200600_302600_NS6detail15normal_iteratorINS8_10device_ptrIyEEEEPyy9plus_mod3IyEEE10hipError_tPvRmT1_T2_T3_mT4_P12ihipStream_tbEUlT_E1_NS1_11comp_targetILNS1_3genE10ELNS1_11target_archE1201ELNS1_3gpuE5ELNS1_3repE0EEENS1_30default_config_static_selectorELNS0_4arch9wavefront6targetE1EEEvSK_,"axG",@progbits,_ZN7rocprim17ROCPRIM_400000_NS6detail17trampoline_kernelINS0_14default_configENS1_22reduce_config_selectorIyEEZNS1_11reduce_implILb1ES3_N6thrust23THRUST_200600_302600_NS6detail15normal_iteratorINS8_10device_ptrIyEEEEPyy9plus_mod3IyEEE10hipError_tPvRmT1_T2_T3_mT4_P12ihipStream_tbEUlT_E1_NS1_11comp_targetILNS1_3genE10ELNS1_11target_archE1201ELNS1_3gpuE5ELNS1_3repE0EEENS1_30default_config_static_selectorELNS0_4arch9wavefront6targetE1EEEvSK_,comdat
.Lfunc_end799:
	.size	_ZN7rocprim17ROCPRIM_400000_NS6detail17trampoline_kernelINS0_14default_configENS1_22reduce_config_selectorIyEEZNS1_11reduce_implILb1ES3_N6thrust23THRUST_200600_302600_NS6detail15normal_iteratorINS8_10device_ptrIyEEEEPyy9plus_mod3IyEEE10hipError_tPvRmT1_T2_T3_mT4_P12ihipStream_tbEUlT_E1_NS1_11comp_targetILNS1_3genE10ELNS1_11target_archE1201ELNS1_3gpuE5ELNS1_3repE0EEENS1_30default_config_static_selectorELNS0_4arch9wavefront6targetE1EEEvSK_, .Lfunc_end799-_ZN7rocprim17ROCPRIM_400000_NS6detail17trampoline_kernelINS0_14default_configENS1_22reduce_config_selectorIyEEZNS1_11reduce_implILb1ES3_N6thrust23THRUST_200600_302600_NS6detail15normal_iteratorINS8_10device_ptrIyEEEEPyy9plus_mod3IyEEE10hipError_tPvRmT1_T2_T3_mT4_P12ihipStream_tbEUlT_E1_NS1_11comp_targetILNS1_3genE10ELNS1_11target_archE1201ELNS1_3gpuE5ELNS1_3repE0EEENS1_30default_config_static_selectorELNS0_4arch9wavefront6targetE1EEEvSK_
                                        ; -- End function
	.set _ZN7rocprim17ROCPRIM_400000_NS6detail17trampoline_kernelINS0_14default_configENS1_22reduce_config_selectorIyEEZNS1_11reduce_implILb1ES3_N6thrust23THRUST_200600_302600_NS6detail15normal_iteratorINS8_10device_ptrIyEEEEPyy9plus_mod3IyEEE10hipError_tPvRmT1_T2_T3_mT4_P12ihipStream_tbEUlT_E1_NS1_11comp_targetILNS1_3genE10ELNS1_11target_archE1201ELNS1_3gpuE5ELNS1_3repE0EEENS1_30default_config_static_selectorELNS0_4arch9wavefront6targetE1EEEvSK_.num_vgpr, 0
	.set _ZN7rocprim17ROCPRIM_400000_NS6detail17trampoline_kernelINS0_14default_configENS1_22reduce_config_selectorIyEEZNS1_11reduce_implILb1ES3_N6thrust23THRUST_200600_302600_NS6detail15normal_iteratorINS8_10device_ptrIyEEEEPyy9plus_mod3IyEEE10hipError_tPvRmT1_T2_T3_mT4_P12ihipStream_tbEUlT_E1_NS1_11comp_targetILNS1_3genE10ELNS1_11target_archE1201ELNS1_3gpuE5ELNS1_3repE0EEENS1_30default_config_static_selectorELNS0_4arch9wavefront6targetE1EEEvSK_.num_agpr, 0
	.set _ZN7rocprim17ROCPRIM_400000_NS6detail17trampoline_kernelINS0_14default_configENS1_22reduce_config_selectorIyEEZNS1_11reduce_implILb1ES3_N6thrust23THRUST_200600_302600_NS6detail15normal_iteratorINS8_10device_ptrIyEEEEPyy9plus_mod3IyEEE10hipError_tPvRmT1_T2_T3_mT4_P12ihipStream_tbEUlT_E1_NS1_11comp_targetILNS1_3genE10ELNS1_11target_archE1201ELNS1_3gpuE5ELNS1_3repE0EEENS1_30default_config_static_selectorELNS0_4arch9wavefront6targetE1EEEvSK_.numbered_sgpr, 0
	.set _ZN7rocprim17ROCPRIM_400000_NS6detail17trampoline_kernelINS0_14default_configENS1_22reduce_config_selectorIyEEZNS1_11reduce_implILb1ES3_N6thrust23THRUST_200600_302600_NS6detail15normal_iteratorINS8_10device_ptrIyEEEEPyy9plus_mod3IyEEE10hipError_tPvRmT1_T2_T3_mT4_P12ihipStream_tbEUlT_E1_NS1_11comp_targetILNS1_3genE10ELNS1_11target_archE1201ELNS1_3gpuE5ELNS1_3repE0EEENS1_30default_config_static_selectorELNS0_4arch9wavefront6targetE1EEEvSK_.num_named_barrier, 0
	.set _ZN7rocprim17ROCPRIM_400000_NS6detail17trampoline_kernelINS0_14default_configENS1_22reduce_config_selectorIyEEZNS1_11reduce_implILb1ES3_N6thrust23THRUST_200600_302600_NS6detail15normal_iteratorINS8_10device_ptrIyEEEEPyy9plus_mod3IyEEE10hipError_tPvRmT1_T2_T3_mT4_P12ihipStream_tbEUlT_E1_NS1_11comp_targetILNS1_3genE10ELNS1_11target_archE1201ELNS1_3gpuE5ELNS1_3repE0EEENS1_30default_config_static_selectorELNS0_4arch9wavefront6targetE1EEEvSK_.private_seg_size, 0
	.set _ZN7rocprim17ROCPRIM_400000_NS6detail17trampoline_kernelINS0_14default_configENS1_22reduce_config_selectorIyEEZNS1_11reduce_implILb1ES3_N6thrust23THRUST_200600_302600_NS6detail15normal_iteratorINS8_10device_ptrIyEEEEPyy9plus_mod3IyEEE10hipError_tPvRmT1_T2_T3_mT4_P12ihipStream_tbEUlT_E1_NS1_11comp_targetILNS1_3genE10ELNS1_11target_archE1201ELNS1_3gpuE5ELNS1_3repE0EEENS1_30default_config_static_selectorELNS0_4arch9wavefront6targetE1EEEvSK_.uses_vcc, 0
	.set _ZN7rocprim17ROCPRIM_400000_NS6detail17trampoline_kernelINS0_14default_configENS1_22reduce_config_selectorIyEEZNS1_11reduce_implILb1ES3_N6thrust23THRUST_200600_302600_NS6detail15normal_iteratorINS8_10device_ptrIyEEEEPyy9plus_mod3IyEEE10hipError_tPvRmT1_T2_T3_mT4_P12ihipStream_tbEUlT_E1_NS1_11comp_targetILNS1_3genE10ELNS1_11target_archE1201ELNS1_3gpuE5ELNS1_3repE0EEENS1_30default_config_static_selectorELNS0_4arch9wavefront6targetE1EEEvSK_.uses_flat_scratch, 0
	.set _ZN7rocprim17ROCPRIM_400000_NS6detail17trampoline_kernelINS0_14default_configENS1_22reduce_config_selectorIyEEZNS1_11reduce_implILb1ES3_N6thrust23THRUST_200600_302600_NS6detail15normal_iteratorINS8_10device_ptrIyEEEEPyy9plus_mod3IyEEE10hipError_tPvRmT1_T2_T3_mT4_P12ihipStream_tbEUlT_E1_NS1_11comp_targetILNS1_3genE10ELNS1_11target_archE1201ELNS1_3gpuE5ELNS1_3repE0EEENS1_30default_config_static_selectorELNS0_4arch9wavefront6targetE1EEEvSK_.has_dyn_sized_stack, 0
	.set _ZN7rocprim17ROCPRIM_400000_NS6detail17trampoline_kernelINS0_14default_configENS1_22reduce_config_selectorIyEEZNS1_11reduce_implILb1ES3_N6thrust23THRUST_200600_302600_NS6detail15normal_iteratorINS8_10device_ptrIyEEEEPyy9plus_mod3IyEEE10hipError_tPvRmT1_T2_T3_mT4_P12ihipStream_tbEUlT_E1_NS1_11comp_targetILNS1_3genE10ELNS1_11target_archE1201ELNS1_3gpuE5ELNS1_3repE0EEENS1_30default_config_static_selectorELNS0_4arch9wavefront6targetE1EEEvSK_.has_recursion, 0
	.set _ZN7rocprim17ROCPRIM_400000_NS6detail17trampoline_kernelINS0_14default_configENS1_22reduce_config_selectorIyEEZNS1_11reduce_implILb1ES3_N6thrust23THRUST_200600_302600_NS6detail15normal_iteratorINS8_10device_ptrIyEEEEPyy9plus_mod3IyEEE10hipError_tPvRmT1_T2_T3_mT4_P12ihipStream_tbEUlT_E1_NS1_11comp_targetILNS1_3genE10ELNS1_11target_archE1201ELNS1_3gpuE5ELNS1_3repE0EEENS1_30default_config_static_selectorELNS0_4arch9wavefront6targetE1EEEvSK_.has_indirect_call, 0
	.section	.AMDGPU.csdata,"",@progbits
; Kernel info:
; codeLenInByte = 0
; TotalNumSgprs: 6
; NumVgprs: 0
; NumAgprs: 0
; TotalNumVgprs: 0
; ScratchSize: 0
; MemoryBound: 0
; FloatMode: 240
; IeeeMode: 1
; LDSByteSize: 0 bytes/workgroup (compile time only)
; SGPRBlocks: 0
; VGPRBlocks: 0
; NumSGPRsForWavesPerEU: 6
; NumVGPRsForWavesPerEU: 1
; AccumOffset: 4
; Occupancy: 8
; WaveLimiterHint : 0
; COMPUTE_PGM_RSRC2:SCRATCH_EN: 0
; COMPUTE_PGM_RSRC2:USER_SGPR: 2
; COMPUTE_PGM_RSRC2:TRAP_HANDLER: 0
; COMPUTE_PGM_RSRC2:TGID_X_EN: 1
; COMPUTE_PGM_RSRC2:TGID_Y_EN: 0
; COMPUTE_PGM_RSRC2:TGID_Z_EN: 0
; COMPUTE_PGM_RSRC2:TIDIG_COMP_CNT: 0
; COMPUTE_PGM_RSRC3_GFX90A:ACCUM_OFFSET: 0
; COMPUTE_PGM_RSRC3_GFX90A:TG_SPLIT: 0
	.section	.text._ZN7rocprim17ROCPRIM_400000_NS6detail17trampoline_kernelINS0_14default_configENS1_22reduce_config_selectorIyEEZNS1_11reduce_implILb1ES3_N6thrust23THRUST_200600_302600_NS6detail15normal_iteratorINS8_10device_ptrIyEEEEPyy9plus_mod3IyEEE10hipError_tPvRmT1_T2_T3_mT4_P12ihipStream_tbEUlT_E1_NS1_11comp_targetILNS1_3genE10ELNS1_11target_archE1200ELNS1_3gpuE4ELNS1_3repE0EEENS1_30default_config_static_selectorELNS0_4arch9wavefront6targetE1EEEvSK_,"axG",@progbits,_ZN7rocprim17ROCPRIM_400000_NS6detail17trampoline_kernelINS0_14default_configENS1_22reduce_config_selectorIyEEZNS1_11reduce_implILb1ES3_N6thrust23THRUST_200600_302600_NS6detail15normal_iteratorINS8_10device_ptrIyEEEEPyy9plus_mod3IyEEE10hipError_tPvRmT1_T2_T3_mT4_P12ihipStream_tbEUlT_E1_NS1_11comp_targetILNS1_3genE10ELNS1_11target_archE1200ELNS1_3gpuE4ELNS1_3repE0EEENS1_30default_config_static_selectorELNS0_4arch9wavefront6targetE1EEEvSK_,comdat
	.protected	_ZN7rocprim17ROCPRIM_400000_NS6detail17trampoline_kernelINS0_14default_configENS1_22reduce_config_selectorIyEEZNS1_11reduce_implILb1ES3_N6thrust23THRUST_200600_302600_NS6detail15normal_iteratorINS8_10device_ptrIyEEEEPyy9plus_mod3IyEEE10hipError_tPvRmT1_T2_T3_mT4_P12ihipStream_tbEUlT_E1_NS1_11comp_targetILNS1_3genE10ELNS1_11target_archE1200ELNS1_3gpuE4ELNS1_3repE0EEENS1_30default_config_static_selectorELNS0_4arch9wavefront6targetE1EEEvSK_ ; -- Begin function _ZN7rocprim17ROCPRIM_400000_NS6detail17trampoline_kernelINS0_14default_configENS1_22reduce_config_selectorIyEEZNS1_11reduce_implILb1ES3_N6thrust23THRUST_200600_302600_NS6detail15normal_iteratorINS8_10device_ptrIyEEEEPyy9plus_mod3IyEEE10hipError_tPvRmT1_T2_T3_mT4_P12ihipStream_tbEUlT_E1_NS1_11comp_targetILNS1_3genE10ELNS1_11target_archE1200ELNS1_3gpuE4ELNS1_3repE0EEENS1_30default_config_static_selectorELNS0_4arch9wavefront6targetE1EEEvSK_
	.globl	_ZN7rocprim17ROCPRIM_400000_NS6detail17trampoline_kernelINS0_14default_configENS1_22reduce_config_selectorIyEEZNS1_11reduce_implILb1ES3_N6thrust23THRUST_200600_302600_NS6detail15normal_iteratorINS8_10device_ptrIyEEEEPyy9plus_mod3IyEEE10hipError_tPvRmT1_T2_T3_mT4_P12ihipStream_tbEUlT_E1_NS1_11comp_targetILNS1_3genE10ELNS1_11target_archE1200ELNS1_3gpuE4ELNS1_3repE0EEENS1_30default_config_static_selectorELNS0_4arch9wavefront6targetE1EEEvSK_
	.p2align	8
	.type	_ZN7rocprim17ROCPRIM_400000_NS6detail17trampoline_kernelINS0_14default_configENS1_22reduce_config_selectorIyEEZNS1_11reduce_implILb1ES3_N6thrust23THRUST_200600_302600_NS6detail15normal_iteratorINS8_10device_ptrIyEEEEPyy9plus_mod3IyEEE10hipError_tPvRmT1_T2_T3_mT4_P12ihipStream_tbEUlT_E1_NS1_11comp_targetILNS1_3genE10ELNS1_11target_archE1200ELNS1_3gpuE4ELNS1_3repE0EEENS1_30default_config_static_selectorELNS0_4arch9wavefront6targetE1EEEvSK_,@function
_ZN7rocprim17ROCPRIM_400000_NS6detail17trampoline_kernelINS0_14default_configENS1_22reduce_config_selectorIyEEZNS1_11reduce_implILb1ES3_N6thrust23THRUST_200600_302600_NS6detail15normal_iteratorINS8_10device_ptrIyEEEEPyy9plus_mod3IyEEE10hipError_tPvRmT1_T2_T3_mT4_P12ihipStream_tbEUlT_E1_NS1_11comp_targetILNS1_3genE10ELNS1_11target_archE1200ELNS1_3gpuE4ELNS1_3repE0EEENS1_30default_config_static_selectorELNS0_4arch9wavefront6targetE1EEEvSK_: ; @_ZN7rocprim17ROCPRIM_400000_NS6detail17trampoline_kernelINS0_14default_configENS1_22reduce_config_selectorIyEEZNS1_11reduce_implILb1ES3_N6thrust23THRUST_200600_302600_NS6detail15normal_iteratorINS8_10device_ptrIyEEEEPyy9plus_mod3IyEEE10hipError_tPvRmT1_T2_T3_mT4_P12ihipStream_tbEUlT_E1_NS1_11comp_targetILNS1_3genE10ELNS1_11target_archE1200ELNS1_3gpuE4ELNS1_3repE0EEENS1_30default_config_static_selectorELNS0_4arch9wavefront6targetE1EEEvSK_
; %bb.0:
	.section	.rodata,"a",@progbits
	.p2align	6, 0x0
	.amdhsa_kernel _ZN7rocprim17ROCPRIM_400000_NS6detail17trampoline_kernelINS0_14default_configENS1_22reduce_config_selectorIyEEZNS1_11reduce_implILb1ES3_N6thrust23THRUST_200600_302600_NS6detail15normal_iteratorINS8_10device_ptrIyEEEEPyy9plus_mod3IyEEE10hipError_tPvRmT1_T2_T3_mT4_P12ihipStream_tbEUlT_E1_NS1_11comp_targetILNS1_3genE10ELNS1_11target_archE1200ELNS1_3gpuE4ELNS1_3repE0EEENS1_30default_config_static_selectorELNS0_4arch9wavefront6targetE1EEEvSK_
		.amdhsa_group_segment_fixed_size 0
		.amdhsa_private_segment_fixed_size 0
		.amdhsa_kernarg_size 48
		.amdhsa_user_sgpr_count 2
		.amdhsa_user_sgpr_dispatch_ptr 0
		.amdhsa_user_sgpr_queue_ptr 0
		.amdhsa_user_sgpr_kernarg_segment_ptr 1
		.amdhsa_user_sgpr_dispatch_id 0
		.amdhsa_user_sgpr_kernarg_preload_length 0
		.amdhsa_user_sgpr_kernarg_preload_offset 0
		.amdhsa_user_sgpr_private_segment_size 0
		.amdhsa_uses_dynamic_stack 0
		.amdhsa_enable_private_segment 0
		.amdhsa_system_sgpr_workgroup_id_x 1
		.amdhsa_system_sgpr_workgroup_id_y 0
		.amdhsa_system_sgpr_workgroup_id_z 0
		.amdhsa_system_sgpr_workgroup_info 0
		.amdhsa_system_vgpr_workitem_id 0
		.amdhsa_next_free_vgpr 1
		.amdhsa_next_free_sgpr 0
		.amdhsa_accum_offset 4
		.amdhsa_reserve_vcc 0
		.amdhsa_float_round_mode_32 0
		.amdhsa_float_round_mode_16_64 0
		.amdhsa_float_denorm_mode_32 3
		.amdhsa_float_denorm_mode_16_64 3
		.amdhsa_dx10_clamp 1
		.amdhsa_ieee_mode 1
		.amdhsa_fp16_overflow 0
		.amdhsa_tg_split 0
		.amdhsa_exception_fp_ieee_invalid_op 0
		.amdhsa_exception_fp_denorm_src 0
		.amdhsa_exception_fp_ieee_div_zero 0
		.amdhsa_exception_fp_ieee_overflow 0
		.amdhsa_exception_fp_ieee_underflow 0
		.amdhsa_exception_fp_ieee_inexact 0
		.amdhsa_exception_int_div_zero 0
	.end_amdhsa_kernel
	.section	.text._ZN7rocprim17ROCPRIM_400000_NS6detail17trampoline_kernelINS0_14default_configENS1_22reduce_config_selectorIyEEZNS1_11reduce_implILb1ES3_N6thrust23THRUST_200600_302600_NS6detail15normal_iteratorINS8_10device_ptrIyEEEEPyy9plus_mod3IyEEE10hipError_tPvRmT1_T2_T3_mT4_P12ihipStream_tbEUlT_E1_NS1_11comp_targetILNS1_3genE10ELNS1_11target_archE1200ELNS1_3gpuE4ELNS1_3repE0EEENS1_30default_config_static_selectorELNS0_4arch9wavefront6targetE1EEEvSK_,"axG",@progbits,_ZN7rocprim17ROCPRIM_400000_NS6detail17trampoline_kernelINS0_14default_configENS1_22reduce_config_selectorIyEEZNS1_11reduce_implILb1ES3_N6thrust23THRUST_200600_302600_NS6detail15normal_iteratorINS8_10device_ptrIyEEEEPyy9plus_mod3IyEEE10hipError_tPvRmT1_T2_T3_mT4_P12ihipStream_tbEUlT_E1_NS1_11comp_targetILNS1_3genE10ELNS1_11target_archE1200ELNS1_3gpuE4ELNS1_3repE0EEENS1_30default_config_static_selectorELNS0_4arch9wavefront6targetE1EEEvSK_,comdat
.Lfunc_end800:
	.size	_ZN7rocprim17ROCPRIM_400000_NS6detail17trampoline_kernelINS0_14default_configENS1_22reduce_config_selectorIyEEZNS1_11reduce_implILb1ES3_N6thrust23THRUST_200600_302600_NS6detail15normal_iteratorINS8_10device_ptrIyEEEEPyy9plus_mod3IyEEE10hipError_tPvRmT1_T2_T3_mT4_P12ihipStream_tbEUlT_E1_NS1_11comp_targetILNS1_3genE10ELNS1_11target_archE1200ELNS1_3gpuE4ELNS1_3repE0EEENS1_30default_config_static_selectorELNS0_4arch9wavefront6targetE1EEEvSK_, .Lfunc_end800-_ZN7rocprim17ROCPRIM_400000_NS6detail17trampoline_kernelINS0_14default_configENS1_22reduce_config_selectorIyEEZNS1_11reduce_implILb1ES3_N6thrust23THRUST_200600_302600_NS6detail15normal_iteratorINS8_10device_ptrIyEEEEPyy9plus_mod3IyEEE10hipError_tPvRmT1_T2_T3_mT4_P12ihipStream_tbEUlT_E1_NS1_11comp_targetILNS1_3genE10ELNS1_11target_archE1200ELNS1_3gpuE4ELNS1_3repE0EEENS1_30default_config_static_selectorELNS0_4arch9wavefront6targetE1EEEvSK_
                                        ; -- End function
	.set _ZN7rocprim17ROCPRIM_400000_NS6detail17trampoline_kernelINS0_14default_configENS1_22reduce_config_selectorIyEEZNS1_11reduce_implILb1ES3_N6thrust23THRUST_200600_302600_NS6detail15normal_iteratorINS8_10device_ptrIyEEEEPyy9plus_mod3IyEEE10hipError_tPvRmT1_T2_T3_mT4_P12ihipStream_tbEUlT_E1_NS1_11comp_targetILNS1_3genE10ELNS1_11target_archE1200ELNS1_3gpuE4ELNS1_3repE0EEENS1_30default_config_static_selectorELNS0_4arch9wavefront6targetE1EEEvSK_.num_vgpr, 0
	.set _ZN7rocprim17ROCPRIM_400000_NS6detail17trampoline_kernelINS0_14default_configENS1_22reduce_config_selectorIyEEZNS1_11reduce_implILb1ES3_N6thrust23THRUST_200600_302600_NS6detail15normal_iteratorINS8_10device_ptrIyEEEEPyy9plus_mod3IyEEE10hipError_tPvRmT1_T2_T3_mT4_P12ihipStream_tbEUlT_E1_NS1_11comp_targetILNS1_3genE10ELNS1_11target_archE1200ELNS1_3gpuE4ELNS1_3repE0EEENS1_30default_config_static_selectorELNS0_4arch9wavefront6targetE1EEEvSK_.num_agpr, 0
	.set _ZN7rocprim17ROCPRIM_400000_NS6detail17trampoline_kernelINS0_14default_configENS1_22reduce_config_selectorIyEEZNS1_11reduce_implILb1ES3_N6thrust23THRUST_200600_302600_NS6detail15normal_iteratorINS8_10device_ptrIyEEEEPyy9plus_mod3IyEEE10hipError_tPvRmT1_T2_T3_mT4_P12ihipStream_tbEUlT_E1_NS1_11comp_targetILNS1_3genE10ELNS1_11target_archE1200ELNS1_3gpuE4ELNS1_3repE0EEENS1_30default_config_static_selectorELNS0_4arch9wavefront6targetE1EEEvSK_.numbered_sgpr, 0
	.set _ZN7rocprim17ROCPRIM_400000_NS6detail17trampoline_kernelINS0_14default_configENS1_22reduce_config_selectorIyEEZNS1_11reduce_implILb1ES3_N6thrust23THRUST_200600_302600_NS6detail15normal_iteratorINS8_10device_ptrIyEEEEPyy9plus_mod3IyEEE10hipError_tPvRmT1_T2_T3_mT4_P12ihipStream_tbEUlT_E1_NS1_11comp_targetILNS1_3genE10ELNS1_11target_archE1200ELNS1_3gpuE4ELNS1_3repE0EEENS1_30default_config_static_selectorELNS0_4arch9wavefront6targetE1EEEvSK_.num_named_barrier, 0
	.set _ZN7rocprim17ROCPRIM_400000_NS6detail17trampoline_kernelINS0_14default_configENS1_22reduce_config_selectorIyEEZNS1_11reduce_implILb1ES3_N6thrust23THRUST_200600_302600_NS6detail15normal_iteratorINS8_10device_ptrIyEEEEPyy9plus_mod3IyEEE10hipError_tPvRmT1_T2_T3_mT4_P12ihipStream_tbEUlT_E1_NS1_11comp_targetILNS1_3genE10ELNS1_11target_archE1200ELNS1_3gpuE4ELNS1_3repE0EEENS1_30default_config_static_selectorELNS0_4arch9wavefront6targetE1EEEvSK_.private_seg_size, 0
	.set _ZN7rocprim17ROCPRIM_400000_NS6detail17trampoline_kernelINS0_14default_configENS1_22reduce_config_selectorIyEEZNS1_11reduce_implILb1ES3_N6thrust23THRUST_200600_302600_NS6detail15normal_iteratorINS8_10device_ptrIyEEEEPyy9plus_mod3IyEEE10hipError_tPvRmT1_T2_T3_mT4_P12ihipStream_tbEUlT_E1_NS1_11comp_targetILNS1_3genE10ELNS1_11target_archE1200ELNS1_3gpuE4ELNS1_3repE0EEENS1_30default_config_static_selectorELNS0_4arch9wavefront6targetE1EEEvSK_.uses_vcc, 0
	.set _ZN7rocprim17ROCPRIM_400000_NS6detail17trampoline_kernelINS0_14default_configENS1_22reduce_config_selectorIyEEZNS1_11reduce_implILb1ES3_N6thrust23THRUST_200600_302600_NS6detail15normal_iteratorINS8_10device_ptrIyEEEEPyy9plus_mod3IyEEE10hipError_tPvRmT1_T2_T3_mT4_P12ihipStream_tbEUlT_E1_NS1_11comp_targetILNS1_3genE10ELNS1_11target_archE1200ELNS1_3gpuE4ELNS1_3repE0EEENS1_30default_config_static_selectorELNS0_4arch9wavefront6targetE1EEEvSK_.uses_flat_scratch, 0
	.set _ZN7rocprim17ROCPRIM_400000_NS6detail17trampoline_kernelINS0_14default_configENS1_22reduce_config_selectorIyEEZNS1_11reduce_implILb1ES3_N6thrust23THRUST_200600_302600_NS6detail15normal_iteratorINS8_10device_ptrIyEEEEPyy9plus_mod3IyEEE10hipError_tPvRmT1_T2_T3_mT4_P12ihipStream_tbEUlT_E1_NS1_11comp_targetILNS1_3genE10ELNS1_11target_archE1200ELNS1_3gpuE4ELNS1_3repE0EEENS1_30default_config_static_selectorELNS0_4arch9wavefront6targetE1EEEvSK_.has_dyn_sized_stack, 0
	.set _ZN7rocprim17ROCPRIM_400000_NS6detail17trampoline_kernelINS0_14default_configENS1_22reduce_config_selectorIyEEZNS1_11reduce_implILb1ES3_N6thrust23THRUST_200600_302600_NS6detail15normal_iteratorINS8_10device_ptrIyEEEEPyy9plus_mod3IyEEE10hipError_tPvRmT1_T2_T3_mT4_P12ihipStream_tbEUlT_E1_NS1_11comp_targetILNS1_3genE10ELNS1_11target_archE1200ELNS1_3gpuE4ELNS1_3repE0EEENS1_30default_config_static_selectorELNS0_4arch9wavefront6targetE1EEEvSK_.has_recursion, 0
	.set _ZN7rocprim17ROCPRIM_400000_NS6detail17trampoline_kernelINS0_14default_configENS1_22reduce_config_selectorIyEEZNS1_11reduce_implILb1ES3_N6thrust23THRUST_200600_302600_NS6detail15normal_iteratorINS8_10device_ptrIyEEEEPyy9plus_mod3IyEEE10hipError_tPvRmT1_T2_T3_mT4_P12ihipStream_tbEUlT_E1_NS1_11comp_targetILNS1_3genE10ELNS1_11target_archE1200ELNS1_3gpuE4ELNS1_3repE0EEENS1_30default_config_static_selectorELNS0_4arch9wavefront6targetE1EEEvSK_.has_indirect_call, 0
	.section	.AMDGPU.csdata,"",@progbits
; Kernel info:
; codeLenInByte = 0
; TotalNumSgprs: 6
; NumVgprs: 0
; NumAgprs: 0
; TotalNumVgprs: 0
; ScratchSize: 0
; MemoryBound: 0
; FloatMode: 240
; IeeeMode: 1
; LDSByteSize: 0 bytes/workgroup (compile time only)
; SGPRBlocks: 0
; VGPRBlocks: 0
; NumSGPRsForWavesPerEU: 6
; NumVGPRsForWavesPerEU: 1
; AccumOffset: 4
; Occupancy: 8
; WaveLimiterHint : 0
; COMPUTE_PGM_RSRC2:SCRATCH_EN: 0
; COMPUTE_PGM_RSRC2:USER_SGPR: 2
; COMPUTE_PGM_RSRC2:TRAP_HANDLER: 0
; COMPUTE_PGM_RSRC2:TGID_X_EN: 1
; COMPUTE_PGM_RSRC2:TGID_Y_EN: 0
; COMPUTE_PGM_RSRC2:TGID_Z_EN: 0
; COMPUTE_PGM_RSRC2:TIDIG_COMP_CNT: 0
; COMPUTE_PGM_RSRC3_GFX90A:ACCUM_OFFSET: 0
; COMPUTE_PGM_RSRC3_GFX90A:TG_SPLIT: 0
	.section	.text._ZN7rocprim17ROCPRIM_400000_NS6detail17trampoline_kernelINS0_14default_configENS1_22reduce_config_selectorIyEEZNS1_11reduce_implILb1ES3_N6thrust23THRUST_200600_302600_NS6detail15normal_iteratorINS8_10device_ptrIyEEEEPyy9plus_mod3IyEEE10hipError_tPvRmT1_T2_T3_mT4_P12ihipStream_tbEUlT_E1_NS1_11comp_targetILNS1_3genE9ELNS1_11target_archE1100ELNS1_3gpuE3ELNS1_3repE0EEENS1_30default_config_static_selectorELNS0_4arch9wavefront6targetE1EEEvSK_,"axG",@progbits,_ZN7rocprim17ROCPRIM_400000_NS6detail17trampoline_kernelINS0_14default_configENS1_22reduce_config_selectorIyEEZNS1_11reduce_implILb1ES3_N6thrust23THRUST_200600_302600_NS6detail15normal_iteratorINS8_10device_ptrIyEEEEPyy9plus_mod3IyEEE10hipError_tPvRmT1_T2_T3_mT4_P12ihipStream_tbEUlT_E1_NS1_11comp_targetILNS1_3genE9ELNS1_11target_archE1100ELNS1_3gpuE3ELNS1_3repE0EEENS1_30default_config_static_selectorELNS0_4arch9wavefront6targetE1EEEvSK_,comdat
	.protected	_ZN7rocprim17ROCPRIM_400000_NS6detail17trampoline_kernelINS0_14default_configENS1_22reduce_config_selectorIyEEZNS1_11reduce_implILb1ES3_N6thrust23THRUST_200600_302600_NS6detail15normal_iteratorINS8_10device_ptrIyEEEEPyy9plus_mod3IyEEE10hipError_tPvRmT1_T2_T3_mT4_P12ihipStream_tbEUlT_E1_NS1_11comp_targetILNS1_3genE9ELNS1_11target_archE1100ELNS1_3gpuE3ELNS1_3repE0EEENS1_30default_config_static_selectorELNS0_4arch9wavefront6targetE1EEEvSK_ ; -- Begin function _ZN7rocprim17ROCPRIM_400000_NS6detail17trampoline_kernelINS0_14default_configENS1_22reduce_config_selectorIyEEZNS1_11reduce_implILb1ES3_N6thrust23THRUST_200600_302600_NS6detail15normal_iteratorINS8_10device_ptrIyEEEEPyy9plus_mod3IyEEE10hipError_tPvRmT1_T2_T3_mT4_P12ihipStream_tbEUlT_E1_NS1_11comp_targetILNS1_3genE9ELNS1_11target_archE1100ELNS1_3gpuE3ELNS1_3repE0EEENS1_30default_config_static_selectorELNS0_4arch9wavefront6targetE1EEEvSK_
	.globl	_ZN7rocprim17ROCPRIM_400000_NS6detail17trampoline_kernelINS0_14default_configENS1_22reduce_config_selectorIyEEZNS1_11reduce_implILb1ES3_N6thrust23THRUST_200600_302600_NS6detail15normal_iteratorINS8_10device_ptrIyEEEEPyy9plus_mod3IyEEE10hipError_tPvRmT1_T2_T3_mT4_P12ihipStream_tbEUlT_E1_NS1_11comp_targetILNS1_3genE9ELNS1_11target_archE1100ELNS1_3gpuE3ELNS1_3repE0EEENS1_30default_config_static_selectorELNS0_4arch9wavefront6targetE1EEEvSK_
	.p2align	8
	.type	_ZN7rocprim17ROCPRIM_400000_NS6detail17trampoline_kernelINS0_14default_configENS1_22reduce_config_selectorIyEEZNS1_11reduce_implILb1ES3_N6thrust23THRUST_200600_302600_NS6detail15normal_iteratorINS8_10device_ptrIyEEEEPyy9plus_mod3IyEEE10hipError_tPvRmT1_T2_T3_mT4_P12ihipStream_tbEUlT_E1_NS1_11comp_targetILNS1_3genE9ELNS1_11target_archE1100ELNS1_3gpuE3ELNS1_3repE0EEENS1_30default_config_static_selectorELNS0_4arch9wavefront6targetE1EEEvSK_,@function
_ZN7rocprim17ROCPRIM_400000_NS6detail17trampoline_kernelINS0_14default_configENS1_22reduce_config_selectorIyEEZNS1_11reduce_implILb1ES3_N6thrust23THRUST_200600_302600_NS6detail15normal_iteratorINS8_10device_ptrIyEEEEPyy9plus_mod3IyEEE10hipError_tPvRmT1_T2_T3_mT4_P12ihipStream_tbEUlT_E1_NS1_11comp_targetILNS1_3genE9ELNS1_11target_archE1100ELNS1_3gpuE3ELNS1_3repE0EEENS1_30default_config_static_selectorELNS0_4arch9wavefront6targetE1EEEvSK_: ; @_ZN7rocprim17ROCPRIM_400000_NS6detail17trampoline_kernelINS0_14default_configENS1_22reduce_config_selectorIyEEZNS1_11reduce_implILb1ES3_N6thrust23THRUST_200600_302600_NS6detail15normal_iteratorINS8_10device_ptrIyEEEEPyy9plus_mod3IyEEE10hipError_tPvRmT1_T2_T3_mT4_P12ihipStream_tbEUlT_E1_NS1_11comp_targetILNS1_3genE9ELNS1_11target_archE1100ELNS1_3gpuE3ELNS1_3repE0EEENS1_30default_config_static_selectorELNS0_4arch9wavefront6targetE1EEEvSK_
; %bb.0:
	.section	.rodata,"a",@progbits
	.p2align	6, 0x0
	.amdhsa_kernel _ZN7rocprim17ROCPRIM_400000_NS6detail17trampoline_kernelINS0_14default_configENS1_22reduce_config_selectorIyEEZNS1_11reduce_implILb1ES3_N6thrust23THRUST_200600_302600_NS6detail15normal_iteratorINS8_10device_ptrIyEEEEPyy9plus_mod3IyEEE10hipError_tPvRmT1_T2_T3_mT4_P12ihipStream_tbEUlT_E1_NS1_11comp_targetILNS1_3genE9ELNS1_11target_archE1100ELNS1_3gpuE3ELNS1_3repE0EEENS1_30default_config_static_selectorELNS0_4arch9wavefront6targetE1EEEvSK_
		.amdhsa_group_segment_fixed_size 0
		.amdhsa_private_segment_fixed_size 0
		.amdhsa_kernarg_size 48
		.amdhsa_user_sgpr_count 2
		.amdhsa_user_sgpr_dispatch_ptr 0
		.amdhsa_user_sgpr_queue_ptr 0
		.amdhsa_user_sgpr_kernarg_segment_ptr 1
		.amdhsa_user_sgpr_dispatch_id 0
		.amdhsa_user_sgpr_kernarg_preload_length 0
		.amdhsa_user_sgpr_kernarg_preload_offset 0
		.amdhsa_user_sgpr_private_segment_size 0
		.amdhsa_uses_dynamic_stack 0
		.amdhsa_enable_private_segment 0
		.amdhsa_system_sgpr_workgroup_id_x 1
		.amdhsa_system_sgpr_workgroup_id_y 0
		.amdhsa_system_sgpr_workgroup_id_z 0
		.amdhsa_system_sgpr_workgroup_info 0
		.amdhsa_system_vgpr_workitem_id 0
		.amdhsa_next_free_vgpr 1
		.amdhsa_next_free_sgpr 0
		.amdhsa_accum_offset 4
		.amdhsa_reserve_vcc 0
		.amdhsa_float_round_mode_32 0
		.amdhsa_float_round_mode_16_64 0
		.amdhsa_float_denorm_mode_32 3
		.amdhsa_float_denorm_mode_16_64 3
		.amdhsa_dx10_clamp 1
		.amdhsa_ieee_mode 1
		.amdhsa_fp16_overflow 0
		.amdhsa_tg_split 0
		.amdhsa_exception_fp_ieee_invalid_op 0
		.amdhsa_exception_fp_denorm_src 0
		.amdhsa_exception_fp_ieee_div_zero 0
		.amdhsa_exception_fp_ieee_overflow 0
		.amdhsa_exception_fp_ieee_underflow 0
		.amdhsa_exception_fp_ieee_inexact 0
		.amdhsa_exception_int_div_zero 0
	.end_amdhsa_kernel
	.section	.text._ZN7rocprim17ROCPRIM_400000_NS6detail17trampoline_kernelINS0_14default_configENS1_22reduce_config_selectorIyEEZNS1_11reduce_implILb1ES3_N6thrust23THRUST_200600_302600_NS6detail15normal_iteratorINS8_10device_ptrIyEEEEPyy9plus_mod3IyEEE10hipError_tPvRmT1_T2_T3_mT4_P12ihipStream_tbEUlT_E1_NS1_11comp_targetILNS1_3genE9ELNS1_11target_archE1100ELNS1_3gpuE3ELNS1_3repE0EEENS1_30default_config_static_selectorELNS0_4arch9wavefront6targetE1EEEvSK_,"axG",@progbits,_ZN7rocprim17ROCPRIM_400000_NS6detail17trampoline_kernelINS0_14default_configENS1_22reduce_config_selectorIyEEZNS1_11reduce_implILb1ES3_N6thrust23THRUST_200600_302600_NS6detail15normal_iteratorINS8_10device_ptrIyEEEEPyy9plus_mod3IyEEE10hipError_tPvRmT1_T2_T3_mT4_P12ihipStream_tbEUlT_E1_NS1_11comp_targetILNS1_3genE9ELNS1_11target_archE1100ELNS1_3gpuE3ELNS1_3repE0EEENS1_30default_config_static_selectorELNS0_4arch9wavefront6targetE1EEEvSK_,comdat
.Lfunc_end801:
	.size	_ZN7rocprim17ROCPRIM_400000_NS6detail17trampoline_kernelINS0_14default_configENS1_22reduce_config_selectorIyEEZNS1_11reduce_implILb1ES3_N6thrust23THRUST_200600_302600_NS6detail15normal_iteratorINS8_10device_ptrIyEEEEPyy9plus_mod3IyEEE10hipError_tPvRmT1_T2_T3_mT4_P12ihipStream_tbEUlT_E1_NS1_11comp_targetILNS1_3genE9ELNS1_11target_archE1100ELNS1_3gpuE3ELNS1_3repE0EEENS1_30default_config_static_selectorELNS0_4arch9wavefront6targetE1EEEvSK_, .Lfunc_end801-_ZN7rocprim17ROCPRIM_400000_NS6detail17trampoline_kernelINS0_14default_configENS1_22reduce_config_selectorIyEEZNS1_11reduce_implILb1ES3_N6thrust23THRUST_200600_302600_NS6detail15normal_iteratorINS8_10device_ptrIyEEEEPyy9plus_mod3IyEEE10hipError_tPvRmT1_T2_T3_mT4_P12ihipStream_tbEUlT_E1_NS1_11comp_targetILNS1_3genE9ELNS1_11target_archE1100ELNS1_3gpuE3ELNS1_3repE0EEENS1_30default_config_static_selectorELNS0_4arch9wavefront6targetE1EEEvSK_
                                        ; -- End function
	.set _ZN7rocprim17ROCPRIM_400000_NS6detail17trampoline_kernelINS0_14default_configENS1_22reduce_config_selectorIyEEZNS1_11reduce_implILb1ES3_N6thrust23THRUST_200600_302600_NS6detail15normal_iteratorINS8_10device_ptrIyEEEEPyy9plus_mod3IyEEE10hipError_tPvRmT1_T2_T3_mT4_P12ihipStream_tbEUlT_E1_NS1_11comp_targetILNS1_3genE9ELNS1_11target_archE1100ELNS1_3gpuE3ELNS1_3repE0EEENS1_30default_config_static_selectorELNS0_4arch9wavefront6targetE1EEEvSK_.num_vgpr, 0
	.set _ZN7rocprim17ROCPRIM_400000_NS6detail17trampoline_kernelINS0_14default_configENS1_22reduce_config_selectorIyEEZNS1_11reduce_implILb1ES3_N6thrust23THRUST_200600_302600_NS6detail15normal_iteratorINS8_10device_ptrIyEEEEPyy9plus_mod3IyEEE10hipError_tPvRmT1_T2_T3_mT4_P12ihipStream_tbEUlT_E1_NS1_11comp_targetILNS1_3genE9ELNS1_11target_archE1100ELNS1_3gpuE3ELNS1_3repE0EEENS1_30default_config_static_selectorELNS0_4arch9wavefront6targetE1EEEvSK_.num_agpr, 0
	.set _ZN7rocprim17ROCPRIM_400000_NS6detail17trampoline_kernelINS0_14default_configENS1_22reduce_config_selectorIyEEZNS1_11reduce_implILb1ES3_N6thrust23THRUST_200600_302600_NS6detail15normal_iteratorINS8_10device_ptrIyEEEEPyy9plus_mod3IyEEE10hipError_tPvRmT1_T2_T3_mT4_P12ihipStream_tbEUlT_E1_NS1_11comp_targetILNS1_3genE9ELNS1_11target_archE1100ELNS1_3gpuE3ELNS1_3repE0EEENS1_30default_config_static_selectorELNS0_4arch9wavefront6targetE1EEEvSK_.numbered_sgpr, 0
	.set _ZN7rocprim17ROCPRIM_400000_NS6detail17trampoline_kernelINS0_14default_configENS1_22reduce_config_selectorIyEEZNS1_11reduce_implILb1ES3_N6thrust23THRUST_200600_302600_NS6detail15normal_iteratorINS8_10device_ptrIyEEEEPyy9plus_mod3IyEEE10hipError_tPvRmT1_T2_T3_mT4_P12ihipStream_tbEUlT_E1_NS1_11comp_targetILNS1_3genE9ELNS1_11target_archE1100ELNS1_3gpuE3ELNS1_3repE0EEENS1_30default_config_static_selectorELNS0_4arch9wavefront6targetE1EEEvSK_.num_named_barrier, 0
	.set _ZN7rocprim17ROCPRIM_400000_NS6detail17trampoline_kernelINS0_14default_configENS1_22reduce_config_selectorIyEEZNS1_11reduce_implILb1ES3_N6thrust23THRUST_200600_302600_NS6detail15normal_iteratorINS8_10device_ptrIyEEEEPyy9plus_mod3IyEEE10hipError_tPvRmT1_T2_T3_mT4_P12ihipStream_tbEUlT_E1_NS1_11comp_targetILNS1_3genE9ELNS1_11target_archE1100ELNS1_3gpuE3ELNS1_3repE0EEENS1_30default_config_static_selectorELNS0_4arch9wavefront6targetE1EEEvSK_.private_seg_size, 0
	.set _ZN7rocprim17ROCPRIM_400000_NS6detail17trampoline_kernelINS0_14default_configENS1_22reduce_config_selectorIyEEZNS1_11reduce_implILb1ES3_N6thrust23THRUST_200600_302600_NS6detail15normal_iteratorINS8_10device_ptrIyEEEEPyy9plus_mod3IyEEE10hipError_tPvRmT1_T2_T3_mT4_P12ihipStream_tbEUlT_E1_NS1_11comp_targetILNS1_3genE9ELNS1_11target_archE1100ELNS1_3gpuE3ELNS1_3repE0EEENS1_30default_config_static_selectorELNS0_4arch9wavefront6targetE1EEEvSK_.uses_vcc, 0
	.set _ZN7rocprim17ROCPRIM_400000_NS6detail17trampoline_kernelINS0_14default_configENS1_22reduce_config_selectorIyEEZNS1_11reduce_implILb1ES3_N6thrust23THRUST_200600_302600_NS6detail15normal_iteratorINS8_10device_ptrIyEEEEPyy9plus_mod3IyEEE10hipError_tPvRmT1_T2_T3_mT4_P12ihipStream_tbEUlT_E1_NS1_11comp_targetILNS1_3genE9ELNS1_11target_archE1100ELNS1_3gpuE3ELNS1_3repE0EEENS1_30default_config_static_selectorELNS0_4arch9wavefront6targetE1EEEvSK_.uses_flat_scratch, 0
	.set _ZN7rocprim17ROCPRIM_400000_NS6detail17trampoline_kernelINS0_14default_configENS1_22reduce_config_selectorIyEEZNS1_11reduce_implILb1ES3_N6thrust23THRUST_200600_302600_NS6detail15normal_iteratorINS8_10device_ptrIyEEEEPyy9plus_mod3IyEEE10hipError_tPvRmT1_T2_T3_mT4_P12ihipStream_tbEUlT_E1_NS1_11comp_targetILNS1_3genE9ELNS1_11target_archE1100ELNS1_3gpuE3ELNS1_3repE0EEENS1_30default_config_static_selectorELNS0_4arch9wavefront6targetE1EEEvSK_.has_dyn_sized_stack, 0
	.set _ZN7rocprim17ROCPRIM_400000_NS6detail17trampoline_kernelINS0_14default_configENS1_22reduce_config_selectorIyEEZNS1_11reduce_implILb1ES3_N6thrust23THRUST_200600_302600_NS6detail15normal_iteratorINS8_10device_ptrIyEEEEPyy9plus_mod3IyEEE10hipError_tPvRmT1_T2_T3_mT4_P12ihipStream_tbEUlT_E1_NS1_11comp_targetILNS1_3genE9ELNS1_11target_archE1100ELNS1_3gpuE3ELNS1_3repE0EEENS1_30default_config_static_selectorELNS0_4arch9wavefront6targetE1EEEvSK_.has_recursion, 0
	.set _ZN7rocprim17ROCPRIM_400000_NS6detail17trampoline_kernelINS0_14default_configENS1_22reduce_config_selectorIyEEZNS1_11reduce_implILb1ES3_N6thrust23THRUST_200600_302600_NS6detail15normal_iteratorINS8_10device_ptrIyEEEEPyy9plus_mod3IyEEE10hipError_tPvRmT1_T2_T3_mT4_P12ihipStream_tbEUlT_E1_NS1_11comp_targetILNS1_3genE9ELNS1_11target_archE1100ELNS1_3gpuE3ELNS1_3repE0EEENS1_30default_config_static_selectorELNS0_4arch9wavefront6targetE1EEEvSK_.has_indirect_call, 0
	.section	.AMDGPU.csdata,"",@progbits
; Kernel info:
; codeLenInByte = 0
; TotalNumSgprs: 6
; NumVgprs: 0
; NumAgprs: 0
; TotalNumVgprs: 0
; ScratchSize: 0
; MemoryBound: 0
; FloatMode: 240
; IeeeMode: 1
; LDSByteSize: 0 bytes/workgroup (compile time only)
; SGPRBlocks: 0
; VGPRBlocks: 0
; NumSGPRsForWavesPerEU: 6
; NumVGPRsForWavesPerEU: 1
; AccumOffset: 4
; Occupancy: 8
; WaveLimiterHint : 0
; COMPUTE_PGM_RSRC2:SCRATCH_EN: 0
; COMPUTE_PGM_RSRC2:USER_SGPR: 2
; COMPUTE_PGM_RSRC2:TRAP_HANDLER: 0
; COMPUTE_PGM_RSRC2:TGID_X_EN: 1
; COMPUTE_PGM_RSRC2:TGID_Y_EN: 0
; COMPUTE_PGM_RSRC2:TGID_Z_EN: 0
; COMPUTE_PGM_RSRC2:TIDIG_COMP_CNT: 0
; COMPUTE_PGM_RSRC3_GFX90A:ACCUM_OFFSET: 0
; COMPUTE_PGM_RSRC3_GFX90A:TG_SPLIT: 0
	.section	.text._ZN7rocprim17ROCPRIM_400000_NS6detail17trampoline_kernelINS0_14default_configENS1_22reduce_config_selectorIyEEZNS1_11reduce_implILb1ES3_N6thrust23THRUST_200600_302600_NS6detail15normal_iteratorINS8_10device_ptrIyEEEEPyy9plus_mod3IyEEE10hipError_tPvRmT1_T2_T3_mT4_P12ihipStream_tbEUlT_E1_NS1_11comp_targetILNS1_3genE8ELNS1_11target_archE1030ELNS1_3gpuE2ELNS1_3repE0EEENS1_30default_config_static_selectorELNS0_4arch9wavefront6targetE1EEEvSK_,"axG",@progbits,_ZN7rocprim17ROCPRIM_400000_NS6detail17trampoline_kernelINS0_14default_configENS1_22reduce_config_selectorIyEEZNS1_11reduce_implILb1ES3_N6thrust23THRUST_200600_302600_NS6detail15normal_iteratorINS8_10device_ptrIyEEEEPyy9plus_mod3IyEEE10hipError_tPvRmT1_T2_T3_mT4_P12ihipStream_tbEUlT_E1_NS1_11comp_targetILNS1_3genE8ELNS1_11target_archE1030ELNS1_3gpuE2ELNS1_3repE0EEENS1_30default_config_static_selectorELNS0_4arch9wavefront6targetE1EEEvSK_,comdat
	.protected	_ZN7rocprim17ROCPRIM_400000_NS6detail17trampoline_kernelINS0_14default_configENS1_22reduce_config_selectorIyEEZNS1_11reduce_implILb1ES3_N6thrust23THRUST_200600_302600_NS6detail15normal_iteratorINS8_10device_ptrIyEEEEPyy9plus_mod3IyEEE10hipError_tPvRmT1_T2_T3_mT4_P12ihipStream_tbEUlT_E1_NS1_11comp_targetILNS1_3genE8ELNS1_11target_archE1030ELNS1_3gpuE2ELNS1_3repE0EEENS1_30default_config_static_selectorELNS0_4arch9wavefront6targetE1EEEvSK_ ; -- Begin function _ZN7rocprim17ROCPRIM_400000_NS6detail17trampoline_kernelINS0_14default_configENS1_22reduce_config_selectorIyEEZNS1_11reduce_implILb1ES3_N6thrust23THRUST_200600_302600_NS6detail15normal_iteratorINS8_10device_ptrIyEEEEPyy9plus_mod3IyEEE10hipError_tPvRmT1_T2_T3_mT4_P12ihipStream_tbEUlT_E1_NS1_11comp_targetILNS1_3genE8ELNS1_11target_archE1030ELNS1_3gpuE2ELNS1_3repE0EEENS1_30default_config_static_selectorELNS0_4arch9wavefront6targetE1EEEvSK_
	.globl	_ZN7rocprim17ROCPRIM_400000_NS6detail17trampoline_kernelINS0_14default_configENS1_22reduce_config_selectorIyEEZNS1_11reduce_implILb1ES3_N6thrust23THRUST_200600_302600_NS6detail15normal_iteratorINS8_10device_ptrIyEEEEPyy9plus_mod3IyEEE10hipError_tPvRmT1_T2_T3_mT4_P12ihipStream_tbEUlT_E1_NS1_11comp_targetILNS1_3genE8ELNS1_11target_archE1030ELNS1_3gpuE2ELNS1_3repE0EEENS1_30default_config_static_selectorELNS0_4arch9wavefront6targetE1EEEvSK_
	.p2align	8
	.type	_ZN7rocprim17ROCPRIM_400000_NS6detail17trampoline_kernelINS0_14default_configENS1_22reduce_config_selectorIyEEZNS1_11reduce_implILb1ES3_N6thrust23THRUST_200600_302600_NS6detail15normal_iteratorINS8_10device_ptrIyEEEEPyy9plus_mod3IyEEE10hipError_tPvRmT1_T2_T3_mT4_P12ihipStream_tbEUlT_E1_NS1_11comp_targetILNS1_3genE8ELNS1_11target_archE1030ELNS1_3gpuE2ELNS1_3repE0EEENS1_30default_config_static_selectorELNS0_4arch9wavefront6targetE1EEEvSK_,@function
_ZN7rocprim17ROCPRIM_400000_NS6detail17trampoline_kernelINS0_14default_configENS1_22reduce_config_selectorIyEEZNS1_11reduce_implILb1ES3_N6thrust23THRUST_200600_302600_NS6detail15normal_iteratorINS8_10device_ptrIyEEEEPyy9plus_mod3IyEEE10hipError_tPvRmT1_T2_T3_mT4_P12ihipStream_tbEUlT_E1_NS1_11comp_targetILNS1_3genE8ELNS1_11target_archE1030ELNS1_3gpuE2ELNS1_3repE0EEENS1_30default_config_static_selectorELNS0_4arch9wavefront6targetE1EEEvSK_: ; @_ZN7rocprim17ROCPRIM_400000_NS6detail17trampoline_kernelINS0_14default_configENS1_22reduce_config_selectorIyEEZNS1_11reduce_implILb1ES3_N6thrust23THRUST_200600_302600_NS6detail15normal_iteratorINS8_10device_ptrIyEEEEPyy9plus_mod3IyEEE10hipError_tPvRmT1_T2_T3_mT4_P12ihipStream_tbEUlT_E1_NS1_11comp_targetILNS1_3genE8ELNS1_11target_archE1030ELNS1_3gpuE2ELNS1_3repE0EEENS1_30default_config_static_selectorELNS0_4arch9wavefront6targetE1EEEvSK_
; %bb.0:
	.section	.rodata,"a",@progbits
	.p2align	6, 0x0
	.amdhsa_kernel _ZN7rocprim17ROCPRIM_400000_NS6detail17trampoline_kernelINS0_14default_configENS1_22reduce_config_selectorIyEEZNS1_11reduce_implILb1ES3_N6thrust23THRUST_200600_302600_NS6detail15normal_iteratorINS8_10device_ptrIyEEEEPyy9plus_mod3IyEEE10hipError_tPvRmT1_T2_T3_mT4_P12ihipStream_tbEUlT_E1_NS1_11comp_targetILNS1_3genE8ELNS1_11target_archE1030ELNS1_3gpuE2ELNS1_3repE0EEENS1_30default_config_static_selectorELNS0_4arch9wavefront6targetE1EEEvSK_
		.amdhsa_group_segment_fixed_size 0
		.amdhsa_private_segment_fixed_size 0
		.amdhsa_kernarg_size 48
		.amdhsa_user_sgpr_count 2
		.amdhsa_user_sgpr_dispatch_ptr 0
		.amdhsa_user_sgpr_queue_ptr 0
		.amdhsa_user_sgpr_kernarg_segment_ptr 1
		.amdhsa_user_sgpr_dispatch_id 0
		.amdhsa_user_sgpr_kernarg_preload_length 0
		.amdhsa_user_sgpr_kernarg_preload_offset 0
		.amdhsa_user_sgpr_private_segment_size 0
		.amdhsa_uses_dynamic_stack 0
		.amdhsa_enable_private_segment 0
		.amdhsa_system_sgpr_workgroup_id_x 1
		.amdhsa_system_sgpr_workgroup_id_y 0
		.amdhsa_system_sgpr_workgroup_id_z 0
		.amdhsa_system_sgpr_workgroup_info 0
		.amdhsa_system_vgpr_workitem_id 0
		.amdhsa_next_free_vgpr 1
		.amdhsa_next_free_sgpr 0
		.amdhsa_accum_offset 4
		.amdhsa_reserve_vcc 0
		.amdhsa_float_round_mode_32 0
		.amdhsa_float_round_mode_16_64 0
		.amdhsa_float_denorm_mode_32 3
		.amdhsa_float_denorm_mode_16_64 3
		.amdhsa_dx10_clamp 1
		.amdhsa_ieee_mode 1
		.amdhsa_fp16_overflow 0
		.amdhsa_tg_split 0
		.amdhsa_exception_fp_ieee_invalid_op 0
		.amdhsa_exception_fp_denorm_src 0
		.amdhsa_exception_fp_ieee_div_zero 0
		.amdhsa_exception_fp_ieee_overflow 0
		.amdhsa_exception_fp_ieee_underflow 0
		.amdhsa_exception_fp_ieee_inexact 0
		.amdhsa_exception_int_div_zero 0
	.end_amdhsa_kernel
	.section	.text._ZN7rocprim17ROCPRIM_400000_NS6detail17trampoline_kernelINS0_14default_configENS1_22reduce_config_selectorIyEEZNS1_11reduce_implILb1ES3_N6thrust23THRUST_200600_302600_NS6detail15normal_iteratorINS8_10device_ptrIyEEEEPyy9plus_mod3IyEEE10hipError_tPvRmT1_T2_T3_mT4_P12ihipStream_tbEUlT_E1_NS1_11comp_targetILNS1_3genE8ELNS1_11target_archE1030ELNS1_3gpuE2ELNS1_3repE0EEENS1_30default_config_static_selectorELNS0_4arch9wavefront6targetE1EEEvSK_,"axG",@progbits,_ZN7rocprim17ROCPRIM_400000_NS6detail17trampoline_kernelINS0_14default_configENS1_22reduce_config_selectorIyEEZNS1_11reduce_implILb1ES3_N6thrust23THRUST_200600_302600_NS6detail15normal_iteratorINS8_10device_ptrIyEEEEPyy9plus_mod3IyEEE10hipError_tPvRmT1_T2_T3_mT4_P12ihipStream_tbEUlT_E1_NS1_11comp_targetILNS1_3genE8ELNS1_11target_archE1030ELNS1_3gpuE2ELNS1_3repE0EEENS1_30default_config_static_selectorELNS0_4arch9wavefront6targetE1EEEvSK_,comdat
.Lfunc_end802:
	.size	_ZN7rocprim17ROCPRIM_400000_NS6detail17trampoline_kernelINS0_14default_configENS1_22reduce_config_selectorIyEEZNS1_11reduce_implILb1ES3_N6thrust23THRUST_200600_302600_NS6detail15normal_iteratorINS8_10device_ptrIyEEEEPyy9plus_mod3IyEEE10hipError_tPvRmT1_T2_T3_mT4_P12ihipStream_tbEUlT_E1_NS1_11comp_targetILNS1_3genE8ELNS1_11target_archE1030ELNS1_3gpuE2ELNS1_3repE0EEENS1_30default_config_static_selectorELNS0_4arch9wavefront6targetE1EEEvSK_, .Lfunc_end802-_ZN7rocprim17ROCPRIM_400000_NS6detail17trampoline_kernelINS0_14default_configENS1_22reduce_config_selectorIyEEZNS1_11reduce_implILb1ES3_N6thrust23THRUST_200600_302600_NS6detail15normal_iteratorINS8_10device_ptrIyEEEEPyy9plus_mod3IyEEE10hipError_tPvRmT1_T2_T3_mT4_P12ihipStream_tbEUlT_E1_NS1_11comp_targetILNS1_3genE8ELNS1_11target_archE1030ELNS1_3gpuE2ELNS1_3repE0EEENS1_30default_config_static_selectorELNS0_4arch9wavefront6targetE1EEEvSK_
                                        ; -- End function
	.set _ZN7rocprim17ROCPRIM_400000_NS6detail17trampoline_kernelINS0_14default_configENS1_22reduce_config_selectorIyEEZNS1_11reduce_implILb1ES3_N6thrust23THRUST_200600_302600_NS6detail15normal_iteratorINS8_10device_ptrIyEEEEPyy9plus_mod3IyEEE10hipError_tPvRmT1_T2_T3_mT4_P12ihipStream_tbEUlT_E1_NS1_11comp_targetILNS1_3genE8ELNS1_11target_archE1030ELNS1_3gpuE2ELNS1_3repE0EEENS1_30default_config_static_selectorELNS0_4arch9wavefront6targetE1EEEvSK_.num_vgpr, 0
	.set _ZN7rocprim17ROCPRIM_400000_NS6detail17trampoline_kernelINS0_14default_configENS1_22reduce_config_selectorIyEEZNS1_11reduce_implILb1ES3_N6thrust23THRUST_200600_302600_NS6detail15normal_iteratorINS8_10device_ptrIyEEEEPyy9plus_mod3IyEEE10hipError_tPvRmT1_T2_T3_mT4_P12ihipStream_tbEUlT_E1_NS1_11comp_targetILNS1_3genE8ELNS1_11target_archE1030ELNS1_3gpuE2ELNS1_3repE0EEENS1_30default_config_static_selectorELNS0_4arch9wavefront6targetE1EEEvSK_.num_agpr, 0
	.set _ZN7rocprim17ROCPRIM_400000_NS6detail17trampoline_kernelINS0_14default_configENS1_22reduce_config_selectorIyEEZNS1_11reduce_implILb1ES3_N6thrust23THRUST_200600_302600_NS6detail15normal_iteratorINS8_10device_ptrIyEEEEPyy9plus_mod3IyEEE10hipError_tPvRmT1_T2_T3_mT4_P12ihipStream_tbEUlT_E1_NS1_11comp_targetILNS1_3genE8ELNS1_11target_archE1030ELNS1_3gpuE2ELNS1_3repE0EEENS1_30default_config_static_selectorELNS0_4arch9wavefront6targetE1EEEvSK_.numbered_sgpr, 0
	.set _ZN7rocprim17ROCPRIM_400000_NS6detail17trampoline_kernelINS0_14default_configENS1_22reduce_config_selectorIyEEZNS1_11reduce_implILb1ES3_N6thrust23THRUST_200600_302600_NS6detail15normal_iteratorINS8_10device_ptrIyEEEEPyy9plus_mod3IyEEE10hipError_tPvRmT1_T2_T3_mT4_P12ihipStream_tbEUlT_E1_NS1_11comp_targetILNS1_3genE8ELNS1_11target_archE1030ELNS1_3gpuE2ELNS1_3repE0EEENS1_30default_config_static_selectorELNS0_4arch9wavefront6targetE1EEEvSK_.num_named_barrier, 0
	.set _ZN7rocprim17ROCPRIM_400000_NS6detail17trampoline_kernelINS0_14default_configENS1_22reduce_config_selectorIyEEZNS1_11reduce_implILb1ES3_N6thrust23THRUST_200600_302600_NS6detail15normal_iteratorINS8_10device_ptrIyEEEEPyy9plus_mod3IyEEE10hipError_tPvRmT1_T2_T3_mT4_P12ihipStream_tbEUlT_E1_NS1_11comp_targetILNS1_3genE8ELNS1_11target_archE1030ELNS1_3gpuE2ELNS1_3repE0EEENS1_30default_config_static_selectorELNS0_4arch9wavefront6targetE1EEEvSK_.private_seg_size, 0
	.set _ZN7rocprim17ROCPRIM_400000_NS6detail17trampoline_kernelINS0_14default_configENS1_22reduce_config_selectorIyEEZNS1_11reduce_implILb1ES3_N6thrust23THRUST_200600_302600_NS6detail15normal_iteratorINS8_10device_ptrIyEEEEPyy9plus_mod3IyEEE10hipError_tPvRmT1_T2_T3_mT4_P12ihipStream_tbEUlT_E1_NS1_11comp_targetILNS1_3genE8ELNS1_11target_archE1030ELNS1_3gpuE2ELNS1_3repE0EEENS1_30default_config_static_selectorELNS0_4arch9wavefront6targetE1EEEvSK_.uses_vcc, 0
	.set _ZN7rocprim17ROCPRIM_400000_NS6detail17trampoline_kernelINS0_14default_configENS1_22reduce_config_selectorIyEEZNS1_11reduce_implILb1ES3_N6thrust23THRUST_200600_302600_NS6detail15normal_iteratorINS8_10device_ptrIyEEEEPyy9plus_mod3IyEEE10hipError_tPvRmT1_T2_T3_mT4_P12ihipStream_tbEUlT_E1_NS1_11comp_targetILNS1_3genE8ELNS1_11target_archE1030ELNS1_3gpuE2ELNS1_3repE0EEENS1_30default_config_static_selectorELNS0_4arch9wavefront6targetE1EEEvSK_.uses_flat_scratch, 0
	.set _ZN7rocprim17ROCPRIM_400000_NS6detail17trampoline_kernelINS0_14default_configENS1_22reduce_config_selectorIyEEZNS1_11reduce_implILb1ES3_N6thrust23THRUST_200600_302600_NS6detail15normal_iteratorINS8_10device_ptrIyEEEEPyy9plus_mod3IyEEE10hipError_tPvRmT1_T2_T3_mT4_P12ihipStream_tbEUlT_E1_NS1_11comp_targetILNS1_3genE8ELNS1_11target_archE1030ELNS1_3gpuE2ELNS1_3repE0EEENS1_30default_config_static_selectorELNS0_4arch9wavefront6targetE1EEEvSK_.has_dyn_sized_stack, 0
	.set _ZN7rocprim17ROCPRIM_400000_NS6detail17trampoline_kernelINS0_14default_configENS1_22reduce_config_selectorIyEEZNS1_11reduce_implILb1ES3_N6thrust23THRUST_200600_302600_NS6detail15normal_iteratorINS8_10device_ptrIyEEEEPyy9plus_mod3IyEEE10hipError_tPvRmT1_T2_T3_mT4_P12ihipStream_tbEUlT_E1_NS1_11comp_targetILNS1_3genE8ELNS1_11target_archE1030ELNS1_3gpuE2ELNS1_3repE0EEENS1_30default_config_static_selectorELNS0_4arch9wavefront6targetE1EEEvSK_.has_recursion, 0
	.set _ZN7rocprim17ROCPRIM_400000_NS6detail17trampoline_kernelINS0_14default_configENS1_22reduce_config_selectorIyEEZNS1_11reduce_implILb1ES3_N6thrust23THRUST_200600_302600_NS6detail15normal_iteratorINS8_10device_ptrIyEEEEPyy9plus_mod3IyEEE10hipError_tPvRmT1_T2_T3_mT4_P12ihipStream_tbEUlT_E1_NS1_11comp_targetILNS1_3genE8ELNS1_11target_archE1030ELNS1_3gpuE2ELNS1_3repE0EEENS1_30default_config_static_selectorELNS0_4arch9wavefront6targetE1EEEvSK_.has_indirect_call, 0
	.section	.AMDGPU.csdata,"",@progbits
; Kernel info:
; codeLenInByte = 0
; TotalNumSgprs: 6
; NumVgprs: 0
; NumAgprs: 0
; TotalNumVgprs: 0
; ScratchSize: 0
; MemoryBound: 0
; FloatMode: 240
; IeeeMode: 1
; LDSByteSize: 0 bytes/workgroup (compile time only)
; SGPRBlocks: 0
; VGPRBlocks: 0
; NumSGPRsForWavesPerEU: 6
; NumVGPRsForWavesPerEU: 1
; AccumOffset: 4
; Occupancy: 8
; WaveLimiterHint : 0
; COMPUTE_PGM_RSRC2:SCRATCH_EN: 0
; COMPUTE_PGM_RSRC2:USER_SGPR: 2
; COMPUTE_PGM_RSRC2:TRAP_HANDLER: 0
; COMPUTE_PGM_RSRC2:TGID_X_EN: 1
; COMPUTE_PGM_RSRC2:TGID_Y_EN: 0
; COMPUTE_PGM_RSRC2:TGID_Z_EN: 0
; COMPUTE_PGM_RSRC2:TIDIG_COMP_CNT: 0
; COMPUTE_PGM_RSRC3_GFX90A:ACCUM_OFFSET: 0
; COMPUTE_PGM_RSRC3_GFX90A:TG_SPLIT: 0
	.section	.text._ZN7rocprim17ROCPRIM_400000_NS6detail17trampoline_kernelINS0_14default_configENS1_22reduce_config_selectorIjEEZNS1_11reduce_implILb1ES3_PjS7_j9plus_mod3IjEEE10hipError_tPvRmT1_T2_T3_mT4_P12ihipStream_tbEUlT_E0_NS1_11comp_targetILNS1_3genE0ELNS1_11target_archE4294967295ELNS1_3gpuE0ELNS1_3repE0EEENS1_30default_config_static_selectorELNS0_4arch9wavefront6targetE1EEEvSD_,"axG",@progbits,_ZN7rocprim17ROCPRIM_400000_NS6detail17trampoline_kernelINS0_14default_configENS1_22reduce_config_selectorIjEEZNS1_11reduce_implILb1ES3_PjS7_j9plus_mod3IjEEE10hipError_tPvRmT1_T2_T3_mT4_P12ihipStream_tbEUlT_E0_NS1_11comp_targetILNS1_3genE0ELNS1_11target_archE4294967295ELNS1_3gpuE0ELNS1_3repE0EEENS1_30default_config_static_selectorELNS0_4arch9wavefront6targetE1EEEvSD_,comdat
	.protected	_ZN7rocprim17ROCPRIM_400000_NS6detail17trampoline_kernelINS0_14default_configENS1_22reduce_config_selectorIjEEZNS1_11reduce_implILb1ES3_PjS7_j9plus_mod3IjEEE10hipError_tPvRmT1_T2_T3_mT4_P12ihipStream_tbEUlT_E0_NS1_11comp_targetILNS1_3genE0ELNS1_11target_archE4294967295ELNS1_3gpuE0ELNS1_3repE0EEENS1_30default_config_static_selectorELNS0_4arch9wavefront6targetE1EEEvSD_ ; -- Begin function _ZN7rocprim17ROCPRIM_400000_NS6detail17trampoline_kernelINS0_14default_configENS1_22reduce_config_selectorIjEEZNS1_11reduce_implILb1ES3_PjS7_j9plus_mod3IjEEE10hipError_tPvRmT1_T2_T3_mT4_P12ihipStream_tbEUlT_E0_NS1_11comp_targetILNS1_3genE0ELNS1_11target_archE4294967295ELNS1_3gpuE0ELNS1_3repE0EEENS1_30default_config_static_selectorELNS0_4arch9wavefront6targetE1EEEvSD_
	.globl	_ZN7rocprim17ROCPRIM_400000_NS6detail17trampoline_kernelINS0_14default_configENS1_22reduce_config_selectorIjEEZNS1_11reduce_implILb1ES3_PjS7_j9plus_mod3IjEEE10hipError_tPvRmT1_T2_T3_mT4_P12ihipStream_tbEUlT_E0_NS1_11comp_targetILNS1_3genE0ELNS1_11target_archE4294967295ELNS1_3gpuE0ELNS1_3repE0EEENS1_30default_config_static_selectorELNS0_4arch9wavefront6targetE1EEEvSD_
	.p2align	8
	.type	_ZN7rocprim17ROCPRIM_400000_NS6detail17trampoline_kernelINS0_14default_configENS1_22reduce_config_selectorIjEEZNS1_11reduce_implILb1ES3_PjS7_j9plus_mod3IjEEE10hipError_tPvRmT1_T2_T3_mT4_P12ihipStream_tbEUlT_E0_NS1_11comp_targetILNS1_3genE0ELNS1_11target_archE4294967295ELNS1_3gpuE0ELNS1_3repE0EEENS1_30default_config_static_selectorELNS0_4arch9wavefront6targetE1EEEvSD_,@function
_ZN7rocprim17ROCPRIM_400000_NS6detail17trampoline_kernelINS0_14default_configENS1_22reduce_config_selectorIjEEZNS1_11reduce_implILb1ES3_PjS7_j9plus_mod3IjEEE10hipError_tPvRmT1_T2_T3_mT4_P12ihipStream_tbEUlT_E0_NS1_11comp_targetILNS1_3genE0ELNS1_11target_archE4294967295ELNS1_3gpuE0ELNS1_3repE0EEENS1_30default_config_static_selectorELNS0_4arch9wavefront6targetE1EEEvSD_: ; @_ZN7rocprim17ROCPRIM_400000_NS6detail17trampoline_kernelINS0_14default_configENS1_22reduce_config_selectorIjEEZNS1_11reduce_implILb1ES3_PjS7_j9plus_mod3IjEEE10hipError_tPvRmT1_T2_T3_mT4_P12ihipStream_tbEUlT_E0_NS1_11comp_targetILNS1_3genE0ELNS1_11target_archE4294967295ELNS1_3gpuE0ELNS1_3repE0EEENS1_30default_config_static_selectorELNS0_4arch9wavefront6targetE1EEEvSD_
; %bb.0:
	s_load_dwordx8 s[4:11], s[0:1], 0x0
	s_load_dwordx2 s[12:13], s[0:1], 0x38
	v_lshlrev_b32_e32 v6, 2, v0
	v_mbcnt_lo_u32_b32 v1, -1, 0
	s_waitcnt lgkmcnt(0)
	s_lshl_b64 s[6:7], s[6:7], 2
	s_add_u32 s16, s4, s6
	s_addc_u32 s17, s5, s7
	s_lshl_b32 s4, s2, 10
	s_mov_b32 s5, 0
	s_lshr_b64 s[6:7], s[8:9], 10
	s_lshl_b64 s[14:15], s[4:5], 2
	s_add_u32 s16, s16, s14
	s_mov_b32 s3, s5
	s_addc_u32 s17, s17, s15
	s_cmp_lg_u64 s[6:7], s[2:3]
	s_cbranch_scc0 .LBB803_6
; %bb.1:
	global_load_dword v2, v6, s[16:17]
	global_load_dword v3, v6, s[16:17] offset:1024
	global_load_dword v4, v6, s[16:17] offset:2048
	;; [unrolled: 1-line block ×3, first 2 shown]
	s_waitcnt vmcnt(2)
	v_add_u32_e32 v2, v3, v2
	v_ashrrev_i32_e32 v3, 31, v2
	v_lshl_add_u64 v[2:3], v[2:3], 2, s[12:13]
	global_load_dword v2, v[2:3], off
	s_waitcnt vmcnt(0)
	v_add_u32_e32 v2, v2, v4
	v_ashrrev_i32_e32 v3, 31, v2
	v_lshl_add_u64 v[2:3], v[2:3], 2, s[12:13]
	global_load_dword v2, v[2:3], off
	s_waitcnt vmcnt(0)
	v_add_u32_e32 v2, v2, v5
	v_ashrrev_i32_e32 v3, 31, v2
	v_lshl_add_u64 v[2:3], v[2:3], 2, s[12:13]
	global_load_dword v2, v[2:3], off
	v_mbcnt_hi_u32_b32 v5, -1, v1
	v_cmp_eq_u32_e32 vcc, 0, v5
	s_waitcnt vmcnt(0)
	v_add_u32_dpp v2, v2, v2 quad_perm:[1,0,3,2] row_mask:0xf bank_mask:0xf bound_ctrl:1
	v_ashrrev_i32_e32 v3, 31, v2
	v_lshl_add_u64 v[2:3], v[2:3], 2, s[12:13]
	global_load_dword v2, v[2:3], off
	s_waitcnt vmcnt(0)
	s_nop 0
	v_add_u32_dpp v2, v2, v2 quad_perm:[2,3,0,1] row_mask:0xf bank_mask:0xf bound_ctrl:1
	v_ashrrev_i32_e32 v3, 31, v2
	v_lshl_add_u64 v[2:3], v[2:3], 2, s[12:13]
	global_load_dword v2, v[2:3], off
	s_waitcnt vmcnt(0)
	s_nop 0
	v_add_u32_dpp v2, v2, v2 row_ror:4 row_mask:0xf bank_mask:0xf bound_ctrl:1
	v_ashrrev_i32_e32 v3, 31, v2
	v_lshl_add_u64 v[2:3], v[2:3], 2, s[12:13]
	global_load_dword v2, v[2:3], off
	s_waitcnt vmcnt(0)
	s_nop 0
	v_add_u32_dpp v2, v2, v2 row_ror:8 row_mask:0xf bank_mask:0xf bound_ctrl:1
	v_ashrrev_i32_e32 v3, 31, v2
	v_lshl_add_u64 v[2:3], v[2:3], 2, s[12:13]
	global_load_dword v2, v[2:3], off
	s_waitcnt vmcnt(0)
	s_nop 0
	v_add_u32_dpp v2, v2, v2 row_bcast:15 row_mask:0xf bank_mask:0xf bound_ctrl:1
	v_ashrrev_i32_e32 v3, 31, v2
	v_lshl_add_u64 v[2:3], v[2:3], 2, s[12:13]
	global_load_dword v2, v[2:3], off
	s_waitcnt vmcnt(0)
	s_nop 0
	v_add_u32_dpp v2, v2, v2 row_bcast:31 row_mask:0xf bank_mask:0xf bound_ctrl:1
	v_ashrrev_i32_e32 v3, 31, v2
	v_lshl_add_u64 v[2:3], v[2:3], 2, s[12:13]
	global_load_dword v2, v[2:3], off
	v_lshlrev_b32_e32 v3, 2, v5
	v_or_b32_e32 v4, 0xfc, v3
	s_waitcnt vmcnt(0)
	ds_bpermute_b32 v2, v4, v2
	s_and_saveexec_b64 s[6:7], vcc
	s_cbranch_execz .LBB803_3
; %bb.2:
	v_lshrrev_b32_e32 v4, 4, v0
	v_and_b32_e32 v4, 12, v4
	s_waitcnt lgkmcnt(0)
	ds_write_b32 v4, v2 offset:16
.LBB803_3:
	s_or_b64 exec, exec, s[6:7]
	v_cmp_gt_u32_e32 vcc, 64, v0
	s_mov_b64 s[6:7], 0
	s_mov_b64 s[14:15], 0
	s_waitcnt lgkmcnt(0)
	s_barrier
                                        ; implicit-def: $vgpr4
	s_and_saveexec_b64 s[18:19], vcc
	s_xor_b64 s[18:19], exec, s[18:19]
	s_cbranch_execz .LBB803_5
; %bb.4:
	v_and_b32_e32 v4, 3, v5
	v_lshlrev_b32_e32 v7, 2, v4
	ds_read_b32 v7, v7 offset:16
	v_cmp_ne_u32_e32 vcc, 3, v4
	v_or_b32_e32 v3, 8, v3
	s_mov_b64 s[14:15], exec
	v_addc_co_u32_e32 v4, vcc, 0, v5, vcc
	v_lshlrev_b32_e32 v4, 2, v4
	s_waitcnt lgkmcnt(0)
	ds_bpermute_b32 v4, v4, v7
	s_waitcnt lgkmcnt(0)
	v_add_u32_e32 v4, v4, v7
	v_ashrrev_i32_e32 v5, 31, v4
	v_lshl_add_u64 v[4:5], v[4:5], 2, s[12:13]
	global_load_dword v4, v[4:5], off
	s_waitcnt vmcnt(0)
	ds_bpermute_b32 v3, v3, v4
	s_waitcnt lgkmcnt(0)
	v_add_u32_e32 v4, v3, v4
.LBB803_5:
	s_or_b64 exec, exec, s[18:19]
	s_and_b64 vcc, exec, s[6:7]
	s_cbranch_vccnz .LBB803_7
	s_branch .LBB803_39
.LBB803_6:
	s_mov_b64 s[14:15], 0
                                        ; implicit-def: $vgpr4
                                        ; implicit-def: $vgpr2
	s_cbranch_execz .LBB803_39
.LBB803_7:
	s_sub_i32 s20, s8, s4
	v_mov_b32_e32 v2, 0
	v_cmp_gt_u32_e32 vcc, s20, v0
	v_mov_b32_e32 v3, v2
	v_mov_b32_e32 v4, v2
	;; [unrolled: 1-line block ×3, first 2 shown]
	s_and_saveexec_b64 s[4:5], vcc
	s_cbranch_execz .LBB803_9
; %bb.8:
	global_load_dword v8, v6, s[16:17]
	v_mov_b32_e32 v9, v2
	v_mov_b32_e32 v10, v2
	;; [unrolled: 1-line block ×3, first 2 shown]
	s_waitcnt vmcnt(0)
	v_mov_b64_e32 v[2:3], v[8:9]
	v_mov_b64_e32 v[4:5], v[10:11]
.LBB803_9:
	s_or_b64 exec, exec, s[4:5]
	v_or_b32_e32 v7, 0x100, v0
	v_cmp_gt_u32_e64 s[6:7], s20, v7
	s_and_saveexec_b64 s[4:5], s[6:7]
	s_cbranch_execz .LBB803_11
; %bb.10:
	global_load_dword v3, v6, s[16:17] offset:1024
.LBB803_11:
	s_or_b64 exec, exec, s[4:5]
	v_or_b32_e32 v7, 0x200, v0
	v_cmp_gt_u32_e64 s[4:5], s20, v7
	s_and_saveexec_b64 s[18:19], s[4:5]
	s_cbranch_execz .LBB803_13
; %bb.12:
	global_load_dword v4, v6, s[16:17] offset:2048
.LBB803_13:
	s_or_b64 exec, exec, s[18:19]
	v_or_b32_e32 v7, 0x300, v0
	v_cmp_gt_u32_e32 vcc, s20, v7
	s_and_saveexec_b64 s[18:19], vcc
	s_cbranch_execnz .LBB803_44
; %bb.14:
	s_or_b64 exec, exec, s[18:19]
	s_and_saveexec_b64 s[16:17], s[6:7]
	s_cbranch_execnz .LBB803_45
.LBB803_15:
	s_or_b64 exec, exec, s[16:17]
	s_and_saveexec_b64 s[6:7], s[4:5]
	s_cbranch_execnz .LBB803_46
.LBB803_16:
	s_or_b64 exec, exec, s[6:7]
	s_and_saveexec_b64 s[4:5], vcc
	s_cbranch_execz .LBB803_18
.LBB803_17:
	s_waitcnt vmcnt(0)
	v_add_u32_e32 v2, v2, v5
	v_ashrrev_i32_e32 v3, 31, v2
	v_lshl_add_u64 v[2:3], v[2:3], 2, s[12:13]
	global_load_dword v2, v[2:3], off
.LBB803_18:
	s_or_b64 exec, exec, s[4:5]
	v_mbcnt_hi_u32_b32 v1, -1, v1
	s_waitcnt vmcnt(0)
	v_and_b32_e32 v3, 63, v1
	v_cmp_ne_u32_e32 vcc, 63, v3
	s_min_u32 s6, s20, 0x100
	v_add_u32_e32 v6, 1, v3
	v_addc_co_u32_e32 v4, vcc, 0, v1, vcc
	v_lshlrev_b32_e32 v4, 2, v4
	ds_bpermute_b32 v5, v4, v2
	v_and_b32_e32 v4, 0xc0, v0
	v_sub_u32_e64 v4, s6, v4 clamp
	v_cmp_lt_u32_e32 vcc, v6, v4
	s_and_saveexec_b64 s[4:5], vcc
	s_xor_b64 s[4:5], exec, s[4:5]
	s_cbranch_execz .LBB803_20
; %bb.19:
	s_waitcnt lgkmcnt(0)
	v_add_u32_e32 v6, v5, v2
	v_ashrrev_i32_e32 v7, 31, v6
	v_lshl_add_u64 v[6:7], v[6:7], 2, s[12:13]
	global_load_dword v2, v[6:7], off
.LBB803_20:
	s_or_b64 exec, exec, s[4:5]
	v_cmp_gt_u32_e32 vcc, 62, v3
	v_add_u32_e32 v6, 2, v3
	s_waitcnt lgkmcnt(0)
	v_cndmask_b32_e64 v5, 0, 2, vcc
	v_add_lshl_u32 v5, v5, v1, 2
	s_waitcnt vmcnt(0)
	ds_bpermute_b32 v5, v5, v2
	v_cmp_lt_u32_e32 vcc, v6, v4
	s_and_saveexec_b64 s[4:5], vcc
	s_cbranch_execz .LBB803_22
; %bb.21:
	s_waitcnt lgkmcnt(0)
	v_add_u32_e32 v6, v5, v2
	v_ashrrev_i32_e32 v7, 31, v6
	v_lshl_add_u64 v[6:7], v[6:7], 2, s[12:13]
	global_load_dword v2, v[6:7], off
.LBB803_22:
	s_or_b64 exec, exec, s[4:5]
	v_cmp_gt_u32_e32 vcc, 60, v3
	v_add_u32_e32 v6, 4, v3
	s_waitcnt lgkmcnt(0)
	v_cndmask_b32_e64 v5, 0, 4, vcc
	v_add_lshl_u32 v5, v5, v1, 2
	s_waitcnt vmcnt(0)
	ds_bpermute_b32 v5, v5, v2
	v_cmp_lt_u32_e32 vcc, v6, v4
	s_and_saveexec_b64 s[4:5], vcc
	;; [unrolled: 18-line block ×4, first 2 shown]
	s_cbranch_execz .LBB803_28
; %bb.27:
	s_waitcnt lgkmcnt(0)
	v_add_u32_e32 v6, v5, v2
	v_ashrrev_i32_e32 v7, 31, v6
	v_lshl_add_u64 v[6:7], v[6:7], 2, s[12:13]
	global_load_dword v2, v[6:7], off
.LBB803_28:
	s_or_b64 exec, exec, s[4:5]
	s_waitcnt lgkmcnt(0)
	v_lshlrev_b32_e32 v5, 2, v1
	v_or_b32_e32 v6, 0x80, v5
	s_waitcnt vmcnt(0)
	ds_bpermute_b32 v6, v6, v2
	v_add_u32_e32 v3, 32, v3
	v_cmp_lt_u32_e32 vcc, v3, v4
	s_and_saveexec_b64 s[4:5], vcc
	s_cbranch_execz .LBB803_30
; %bb.29:
	s_waitcnt lgkmcnt(0)
	v_add_u32_e32 v2, v6, v2
	v_ashrrev_i32_e32 v3, 31, v2
	v_lshl_add_u64 v[2:3], v[2:3], 2, s[12:13]
	global_load_dword v2, v[2:3], off
.LBB803_30:
	s_or_b64 exec, exec, s[4:5]
	v_cmp_eq_u32_e32 vcc, 0, v1
	s_and_saveexec_b64 s[4:5], vcc
	s_cbranch_execz .LBB803_32
; %bb.31:
	v_lshrrev_b32_e32 v3, 4, v0
	v_and_b32_e32 v3, 12, v3
	s_waitcnt vmcnt(0)
	ds_write_b32 v3, v2
.LBB803_32:
	s_or_b64 exec, exec, s[4:5]
	v_cmp_gt_u32_e32 vcc, 4, v0
	s_waitcnt lgkmcnt(0)
	s_barrier
                                        ; implicit-def: $vgpr4
	s_and_saveexec_b64 s[4:5], vcc
	s_cbranch_execz .LBB803_38
; %bb.33:
	s_waitcnt vmcnt(0)
	ds_read_b32 v2, v5
	v_and_b32_e32 v3, 3, v1
	v_cmp_ne_u32_e32 vcc, 3, v3
	s_add_i32 s6, s6, 63
	s_lshr_b32 s16, s6, 6
	v_addc_co_u32_e32 v1, vcc, 0, v1, vcc
	v_lshlrev_b32_e32 v1, 2, v1
	s_waitcnt lgkmcnt(0)
	ds_bpermute_b32 v1, v1, v2
	v_add_u32_e32 v4, 1, v3
	v_cmp_gt_u32_e32 vcc, s16, v4
	s_and_saveexec_b64 s[6:7], vcc
	s_cbranch_execz .LBB803_35
; %bb.34:
	s_waitcnt lgkmcnt(0)
	v_add_u32_e32 v6, v1, v2
	v_ashrrev_i32_e32 v7, 31, v6
	v_lshl_add_u64 v[6:7], v[6:7], 2, s[12:13]
	global_load_dword v2, v[6:7], off
.LBB803_35:
	s_or_b64 exec, exec, s[6:7]
	s_waitcnt lgkmcnt(0)
	v_or_b32_e32 v1, 8, v5
	s_waitcnt vmcnt(0)
	ds_bpermute_b32 v1, v1, v2
	v_add_u32_e32 v3, 2, v3
	v_cmp_gt_u32_e32 vcc, s16, v3
	s_mov_b64 s[6:7], s[14:15]
                                        ; implicit-def: $vgpr4
	s_and_saveexec_b64 s[16:17], vcc
	s_cbranch_execz .LBB803_37
; %bb.36:
	s_waitcnt lgkmcnt(0)
	v_add_u32_e32 v4, v1, v2
	s_or_b64 s[6:7], s[14:15], exec
.LBB803_37:
	s_or_b64 exec, exec, s[16:17]
	s_andn2_b64 s[14:15], s[14:15], exec
	s_and_b64 s[6:7], s[6:7], exec
	s_or_b64 s[14:15], s[14:15], s[6:7]
.LBB803_38:
	s_or_b64 exec, exec, s[4:5]
.LBB803_39:
	s_and_saveexec_b64 s[4:5], s[14:15]
	s_cbranch_execnz .LBB803_42
; %bb.40:
	s_or_b64 exec, exec, s[4:5]
	v_cmp_eq_u32_e32 vcc, 0, v0
	s_and_saveexec_b64 s[4:5], vcc
	s_cbranch_execnz .LBB803_43
.LBB803_41:
	s_endpgm
.LBB803_42:
	v_ashrrev_i32_e32 v5, 31, v4
	s_waitcnt vmcnt(0)
	v_lshl_add_u64 v[2:3], v[4:5], 2, s[12:13]
	global_load_dword v2, v[2:3], off
	s_or_b64 exec, exec, s[4:5]
	v_cmp_eq_u32_e32 vcc, 0, v0
	s_and_saveexec_b64 s[4:5], vcc
	s_cbranch_execz .LBB803_41
.LBB803_43:
	s_load_dwordx4 s[4:7], s[0:1], 0x20
	s_load_dword s12, s[0:1], 0x30
	s_waitcnt lgkmcnt(0)
	v_mov_b32_e32 v1, 0
	s_mul_i32 s1, s6, s5
	s_mul_hi_u32 s5, s6, s4
	s_mul_i32 s7, s7, s4
	s_add_i32 s1, s5, s1
	s_mul_i32 s0, s6, s4
	s_add_i32 s1, s1, s7
	s_lshl_b64 s[0:1], s[0:1], 2
	s_add_u32 s4, s10, s0
	s_addc_u32 s5, s11, s1
	s_cmp_eq_u64 s[8:9], 0
	s_cselect_b64 vcc, -1, 0
	s_lshl_b64 s[0:1], s[2:3], 2
	v_mov_b32_e32 v0, s12
	s_add_u32 s0, s4, s0
	s_waitcnt vmcnt(0)
	v_cndmask_b32_e32 v0, v2, v0, vcc
	s_addc_u32 s1, s5, s1
	global_store_dword v1, v0, s[0:1]
	s_endpgm
.LBB803_44:
	global_load_dword v5, v6, s[16:17] offset:3072
	s_or_b64 exec, exec, s[18:19]
	s_and_saveexec_b64 s[16:17], s[6:7]
	s_cbranch_execz .LBB803_15
.LBB803_45:
	s_waitcnt vmcnt(0)
	v_add_u32_e32 v2, v3, v2
	v_ashrrev_i32_e32 v3, 31, v2
	v_lshl_add_u64 v[2:3], v[2:3], 2, s[12:13]
	global_load_dword v2, v[2:3], off
	s_or_b64 exec, exec, s[16:17]
	s_and_saveexec_b64 s[6:7], s[4:5]
	s_cbranch_execz .LBB803_16
.LBB803_46:
	s_waitcnt vmcnt(0)
	v_add_u32_e32 v2, v2, v4
	v_ashrrev_i32_e32 v3, 31, v2
	v_lshl_add_u64 v[2:3], v[2:3], 2, s[12:13]
	global_load_dword v2, v[2:3], off
	s_or_b64 exec, exec, s[6:7]
	s_and_saveexec_b64 s[4:5], vcc
	s_cbranch_execnz .LBB803_17
	s_branch .LBB803_18
	.section	.rodata,"a",@progbits
	.p2align	6, 0x0
	.amdhsa_kernel _ZN7rocprim17ROCPRIM_400000_NS6detail17trampoline_kernelINS0_14default_configENS1_22reduce_config_selectorIjEEZNS1_11reduce_implILb1ES3_PjS7_j9plus_mod3IjEEE10hipError_tPvRmT1_T2_T3_mT4_P12ihipStream_tbEUlT_E0_NS1_11comp_targetILNS1_3genE0ELNS1_11target_archE4294967295ELNS1_3gpuE0ELNS1_3repE0EEENS1_30default_config_static_selectorELNS0_4arch9wavefront6targetE1EEEvSD_
		.amdhsa_group_segment_fixed_size 32
		.amdhsa_private_segment_fixed_size 0
		.amdhsa_kernarg_size 64
		.amdhsa_user_sgpr_count 2
		.amdhsa_user_sgpr_dispatch_ptr 0
		.amdhsa_user_sgpr_queue_ptr 0
		.amdhsa_user_sgpr_kernarg_segment_ptr 1
		.amdhsa_user_sgpr_dispatch_id 0
		.amdhsa_user_sgpr_kernarg_preload_length 0
		.amdhsa_user_sgpr_kernarg_preload_offset 0
		.amdhsa_user_sgpr_private_segment_size 0
		.amdhsa_uses_dynamic_stack 0
		.amdhsa_enable_private_segment 0
		.amdhsa_system_sgpr_workgroup_id_x 1
		.amdhsa_system_sgpr_workgroup_id_y 0
		.amdhsa_system_sgpr_workgroup_id_z 0
		.amdhsa_system_sgpr_workgroup_info 0
		.amdhsa_system_vgpr_workitem_id 0
		.amdhsa_next_free_vgpr 12
		.amdhsa_next_free_sgpr 21
		.amdhsa_accum_offset 12
		.amdhsa_reserve_vcc 1
		.amdhsa_float_round_mode_32 0
		.amdhsa_float_round_mode_16_64 0
		.amdhsa_float_denorm_mode_32 3
		.amdhsa_float_denorm_mode_16_64 3
		.amdhsa_dx10_clamp 1
		.amdhsa_ieee_mode 1
		.amdhsa_fp16_overflow 0
		.amdhsa_tg_split 0
		.amdhsa_exception_fp_ieee_invalid_op 0
		.amdhsa_exception_fp_denorm_src 0
		.amdhsa_exception_fp_ieee_div_zero 0
		.amdhsa_exception_fp_ieee_overflow 0
		.amdhsa_exception_fp_ieee_underflow 0
		.amdhsa_exception_fp_ieee_inexact 0
		.amdhsa_exception_int_div_zero 0
	.end_amdhsa_kernel
	.section	.text._ZN7rocprim17ROCPRIM_400000_NS6detail17trampoline_kernelINS0_14default_configENS1_22reduce_config_selectorIjEEZNS1_11reduce_implILb1ES3_PjS7_j9plus_mod3IjEEE10hipError_tPvRmT1_T2_T3_mT4_P12ihipStream_tbEUlT_E0_NS1_11comp_targetILNS1_3genE0ELNS1_11target_archE4294967295ELNS1_3gpuE0ELNS1_3repE0EEENS1_30default_config_static_selectorELNS0_4arch9wavefront6targetE1EEEvSD_,"axG",@progbits,_ZN7rocprim17ROCPRIM_400000_NS6detail17trampoline_kernelINS0_14default_configENS1_22reduce_config_selectorIjEEZNS1_11reduce_implILb1ES3_PjS7_j9plus_mod3IjEEE10hipError_tPvRmT1_T2_T3_mT4_P12ihipStream_tbEUlT_E0_NS1_11comp_targetILNS1_3genE0ELNS1_11target_archE4294967295ELNS1_3gpuE0ELNS1_3repE0EEENS1_30default_config_static_selectorELNS0_4arch9wavefront6targetE1EEEvSD_,comdat
.Lfunc_end803:
	.size	_ZN7rocprim17ROCPRIM_400000_NS6detail17trampoline_kernelINS0_14default_configENS1_22reduce_config_selectorIjEEZNS1_11reduce_implILb1ES3_PjS7_j9plus_mod3IjEEE10hipError_tPvRmT1_T2_T3_mT4_P12ihipStream_tbEUlT_E0_NS1_11comp_targetILNS1_3genE0ELNS1_11target_archE4294967295ELNS1_3gpuE0ELNS1_3repE0EEENS1_30default_config_static_selectorELNS0_4arch9wavefront6targetE1EEEvSD_, .Lfunc_end803-_ZN7rocprim17ROCPRIM_400000_NS6detail17trampoline_kernelINS0_14default_configENS1_22reduce_config_selectorIjEEZNS1_11reduce_implILb1ES3_PjS7_j9plus_mod3IjEEE10hipError_tPvRmT1_T2_T3_mT4_P12ihipStream_tbEUlT_E0_NS1_11comp_targetILNS1_3genE0ELNS1_11target_archE4294967295ELNS1_3gpuE0ELNS1_3repE0EEENS1_30default_config_static_selectorELNS0_4arch9wavefront6targetE1EEEvSD_
                                        ; -- End function
	.set _ZN7rocprim17ROCPRIM_400000_NS6detail17trampoline_kernelINS0_14default_configENS1_22reduce_config_selectorIjEEZNS1_11reduce_implILb1ES3_PjS7_j9plus_mod3IjEEE10hipError_tPvRmT1_T2_T3_mT4_P12ihipStream_tbEUlT_E0_NS1_11comp_targetILNS1_3genE0ELNS1_11target_archE4294967295ELNS1_3gpuE0ELNS1_3repE0EEENS1_30default_config_static_selectorELNS0_4arch9wavefront6targetE1EEEvSD_.num_vgpr, 12
	.set _ZN7rocprim17ROCPRIM_400000_NS6detail17trampoline_kernelINS0_14default_configENS1_22reduce_config_selectorIjEEZNS1_11reduce_implILb1ES3_PjS7_j9plus_mod3IjEEE10hipError_tPvRmT1_T2_T3_mT4_P12ihipStream_tbEUlT_E0_NS1_11comp_targetILNS1_3genE0ELNS1_11target_archE4294967295ELNS1_3gpuE0ELNS1_3repE0EEENS1_30default_config_static_selectorELNS0_4arch9wavefront6targetE1EEEvSD_.num_agpr, 0
	.set _ZN7rocprim17ROCPRIM_400000_NS6detail17trampoline_kernelINS0_14default_configENS1_22reduce_config_selectorIjEEZNS1_11reduce_implILb1ES3_PjS7_j9plus_mod3IjEEE10hipError_tPvRmT1_T2_T3_mT4_P12ihipStream_tbEUlT_E0_NS1_11comp_targetILNS1_3genE0ELNS1_11target_archE4294967295ELNS1_3gpuE0ELNS1_3repE0EEENS1_30default_config_static_selectorELNS0_4arch9wavefront6targetE1EEEvSD_.numbered_sgpr, 21
	.set _ZN7rocprim17ROCPRIM_400000_NS6detail17trampoline_kernelINS0_14default_configENS1_22reduce_config_selectorIjEEZNS1_11reduce_implILb1ES3_PjS7_j9plus_mod3IjEEE10hipError_tPvRmT1_T2_T3_mT4_P12ihipStream_tbEUlT_E0_NS1_11comp_targetILNS1_3genE0ELNS1_11target_archE4294967295ELNS1_3gpuE0ELNS1_3repE0EEENS1_30default_config_static_selectorELNS0_4arch9wavefront6targetE1EEEvSD_.num_named_barrier, 0
	.set _ZN7rocprim17ROCPRIM_400000_NS6detail17trampoline_kernelINS0_14default_configENS1_22reduce_config_selectorIjEEZNS1_11reduce_implILb1ES3_PjS7_j9plus_mod3IjEEE10hipError_tPvRmT1_T2_T3_mT4_P12ihipStream_tbEUlT_E0_NS1_11comp_targetILNS1_3genE0ELNS1_11target_archE4294967295ELNS1_3gpuE0ELNS1_3repE0EEENS1_30default_config_static_selectorELNS0_4arch9wavefront6targetE1EEEvSD_.private_seg_size, 0
	.set _ZN7rocprim17ROCPRIM_400000_NS6detail17trampoline_kernelINS0_14default_configENS1_22reduce_config_selectorIjEEZNS1_11reduce_implILb1ES3_PjS7_j9plus_mod3IjEEE10hipError_tPvRmT1_T2_T3_mT4_P12ihipStream_tbEUlT_E0_NS1_11comp_targetILNS1_3genE0ELNS1_11target_archE4294967295ELNS1_3gpuE0ELNS1_3repE0EEENS1_30default_config_static_selectorELNS0_4arch9wavefront6targetE1EEEvSD_.uses_vcc, 1
	.set _ZN7rocprim17ROCPRIM_400000_NS6detail17trampoline_kernelINS0_14default_configENS1_22reduce_config_selectorIjEEZNS1_11reduce_implILb1ES3_PjS7_j9plus_mod3IjEEE10hipError_tPvRmT1_T2_T3_mT4_P12ihipStream_tbEUlT_E0_NS1_11comp_targetILNS1_3genE0ELNS1_11target_archE4294967295ELNS1_3gpuE0ELNS1_3repE0EEENS1_30default_config_static_selectorELNS0_4arch9wavefront6targetE1EEEvSD_.uses_flat_scratch, 0
	.set _ZN7rocprim17ROCPRIM_400000_NS6detail17trampoline_kernelINS0_14default_configENS1_22reduce_config_selectorIjEEZNS1_11reduce_implILb1ES3_PjS7_j9plus_mod3IjEEE10hipError_tPvRmT1_T2_T3_mT4_P12ihipStream_tbEUlT_E0_NS1_11comp_targetILNS1_3genE0ELNS1_11target_archE4294967295ELNS1_3gpuE0ELNS1_3repE0EEENS1_30default_config_static_selectorELNS0_4arch9wavefront6targetE1EEEvSD_.has_dyn_sized_stack, 0
	.set _ZN7rocprim17ROCPRIM_400000_NS6detail17trampoline_kernelINS0_14default_configENS1_22reduce_config_selectorIjEEZNS1_11reduce_implILb1ES3_PjS7_j9plus_mod3IjEEE10hipError_tPvRmT1_T2_T3_mT4_P12ihipStream_tbEUlT_E0_NS1_11comp_targetILNS1_3genE0ELNS1_11target_archE4294967295ELNS1_3gpuE0ELNS1_3repE0EEENS1_30default_config_static_selectorELNS0_4arch9wavefront6targetE1EEEvSD_.has_recursion, 0
	.set _ZN7rocprim17ROCPRIM_400000_NS6detail17trampoline_kernelINS0_14default_configENS1_22reduce_config_selectorIjEEZNS1_11reduce_implILb1ES3_PjS7_j9plus_mod3IjEEE10hipError_tPvRmT1_T2_T3_mT4_P12ihipStream_tbEUlT_E0_NS1_11comp_targetILNS1_3genE0ELNS1_11target_archE4294967295ELNS1_3gpuE0ELNS1_3repE0EEENS1_30default_config_static_selectorELNS0_4arch9wavefront6targetE1EEEvSD_.has_indirect_call, 0
	.section	.AMDGPU.csdata,"",@progbits
; Kernel info:
; codeLenInByte = 1880
; TotalNumSgprs: 27
; NumVgprs: 12
; NumAgprs: 0
; TotalNumVgprs: 12
; ScratchSize: 0
; MemoryBound: 0
; FloatMode: 240
; IeeeMode: 1
; LDSByteSize: 32 bytes/workgroup (compile time only)
; SGPRBlocks: 3
; VGPRBlocks: 1
; NumSGPRsForWavesPerEU: 27
; NumVGPRsForWavesPerEU: 12
; AccumOffset: 12
; Occupancy: 8
; WaveLimiterHint : 1
; COMPUTE_PGM_RSRC2:SCRATCH_EN: 0
; COMPUTE_PGM_RSRC2:USER_SGPR: 2
; COMPUTE_PGM_RSRC2:TRAP_HANDLER: 0
; COMPUTE_PGM_RSRC2:TGID_X_EN: 1
; COMPUTE_PGM_RSRC2:TGID_Y_EN: 0
; COMPUTE_PGM_RSRC2:TGID_Z_EN: 0
; COMPUTE_PGM_RSRC2:TIDIG_COMP_CNT: 0
; COMPUTE_PGM_RSRC3_GFX90A:ACCUM_OFFSET: 2
; COMPUTE_PGM_RSRC3_GFX90A:TG_SPLIT: 0
	.section	.text._ZN7rocprim17ROCPRIM_400000_NS6detail17trampoline_kernelINS0_14default_configENS1_22reduce_config_selectorIjEEZNS1_11reduce_implILb1ES3_PjS7_j9plus_mod3IjEEE10hipError_tPvRmT1_T2_T3_mT4_P12ihipStream_tbEUlT_E0_NS1_11comp_targetILNS1_3genE5ELNS1_11target_archE942ELNS1_3gpuE9ELNS1_3repE0EEENS1_30default_config_static_selectorELNS0_4arch9wavefront6targetE1EEEvSD_,"axG",@progbits,_ZN7rocprim17ROCPRIM_400000_NS6detail17trampoline_kernelINS0_14default_configENS1_22reduce_config_selectorIjEEZNS1_11reduce_implILb1ES3_PjS7_j9plus_mod3IjEEE10hipError_tPvRmT1_T2_T3_mT4_P12ihipStream_tbEUlT_E0_NS1_11comp_targetILNS1_3genE5ELNS1_11target_archE942ELNS1_3gpuE9ELNS1_3repE0EEENS1_30default_config_static_selectorELNS0_4arch9wavefront6targetE1EEEvSD_,comdat
	.protected	_ZN7rocprim17ROCPRIM_400000_NS6detail17trampoline_kernelINS0_14default_configENS1_22reduce_config_selectorIjEEZNS1_11reduce_implILb1ES3_PjS7_j9plus_mod3IjEEE10hipError_tPvRmT1_T2_T3_mT4_P12ihipStream_tbEUlT_E0_NS1_11comp_targetILNS1_3genE5ELNS1_11target_archE942ELNS1_3gpuE9ELNS1_3repE0EEENS1_30default_config_static_selectorELNS0_4arch9wavefront6targetE1EEEvSD_ ; -- Begin function _ZN7rocprim17ROCPRIM_400000_NS6detail17trampoline_kernelINS0_14default_configENS1_22reduce_config_selectorIjEEZNS1_11reduce_implILb1ES3_PjS7_j9plus_mod3IjEEE10hipError_tPvRmT1_T2_T3_mT4_P12ihipStream_tbEUlT_E0_NS1_11comp_targetILNS1_3genE5ELNS1_11target_archE942ELNS1_3gpuE9ELNS1_3repE0EEENS1_30default_config_static_selectorELNS0_4arch9wavefront6targetE1EEEvSD_
	.globl	_ZN7rocprim17ROCPRIM_400000_NS6detail17trampoline_kernelINS0_14default_configENS1_22reduce_config_selectorIjEEZNS1_11reduce_implILb1ES3_PjS7_j9plus_mod3IjEEE10hipError_tPvRmT1_T2_T3_mT4_P12ihipStream_tbEUlT_E0_NS1_11comp_targetILNS1_3genE5ELNS1_11target_archE942ELNS1_3gpuE9ELNS1_3repE0EEENS1_30default_config_static_selectorELNS0_4arch9wavefront6targetE1EEEvSD_
	.p2align	8
	.type	_ZN7rocprim17ROCPRIM_400000_NS6detail17trampoline_kernelINS0_14default_configENS1_22reduce_config_selectorIjEEZNS1_11reduce_implILb1ES3_PjS7_j9plus_mod3IjEEE10hipError_tPvRmT1_T2_T3_mT4_P12ihipStream_tbEUlT_E0_NS1_11comp_targetILNS1_3genE5ELNS1_11target_archE942ELNS1_3gpuE9ELNS1_3repE0EEENS1_30default_config_static_selectorELNS0_4arch9wavefront6targetE1EEEvSD_,@function
_ZN7rocprim17ROCPRIM_400000_NS6detail17trampoline_kernelINS0_14default_configENS1_22reduce_config_selectorIjEEZNS1_11reduce_implILb1ES3_PjS7_j9plus_mod3IjEEE10hipError_tPvRmT1_T2_T3_mT4_P12ihipStream_tbEUlT_E0_NS1_11comp_targetILNS1_3genE5ELNS1_11target_archE942ELNS1_3gpuE9ELNS1_3repE0EEENS1_30default_config_static_selectorELNS0_4arch9wavefront6targetE1EEEvSD_: ; @_ZN7rocprim17ROCPRIM_400000_NS6detail17trampoline_kernelINS0_14default_configENS1_22reduce_config_selectorIjEEZNS1_11reduce_implILb1ES3_PjS7_j9plus_mod3IjEEE10hipError_tPvRmT1_T2_T3_mT4_P12ihipStream_tbEUlT_E0_NS1_11comp_targetILNS1_3genE5ELNS1_11target_archE942ELNS1_3gpuE9ELNS1_3repE0EEENS1_30default_config_static_selectorELNS0_4arch9wavefront6targetE1EEEvSD_
; %bb.0:
	.section	.rodata,"a",@progbits
	.p2align	6, 0x0
	.amdhsa_kernel _ZN7rocprim17ROCPRIM_400000_NS6detail17trampoline_kernelINS0_14default_configENS1_22reduce_config_selectorIjEEZNS1_11reduce_implILb1ES3_PjS7_j9plus_mod3IjEEE10hipError_tPvRmT1_T2_T3_mT4_P12ihipStream_tbEUlT_E0_NS1_11comp_targetILNS1_3genE5ELNS1_11target_archE942ELNS1_3gpuE9ELNS1_3repE0EEENS1_30default_config_static_selectorELNS0_4arch9wavefront6targetE1EEEvSD_
		.amdhsa_group_segment_fixed_size 0
		.amdhsa_private_segment_fixed_size 0
		.amdhsa_kernarg_size 64
		.amdhsa_user_sgpr_count 2
		.amdhsa_user_sgpr_dispatch_ptr 0
		.amdhsa_user_sgpr_queue_ptr 0
		.amdhsa_user_sgpr_kernarg_segment_ptr 1
		.amdhsa_user_sgpr_dispatch_id 0
		.amdhsa_user_sgpr_kernarg_preload_length 0
		.amdhsa_user_sgpr_kernarg_preload_offset 0
		.amdhsa_user_sgpr_private_segment_size 0
		.amdhsa_uses_dynamic_stack 0
		.amdhsa_enable_private_segment 0
		.amdhsa_system_sgpr_workgroup_id_x 1
		.amdhsa_system_sgpr_workgroup_id_y 0
		.amdhsa_system_sgpr_workgroup_id_z 0
		.amdhsa_system_sgpr_workgroup_info 0
		.amdhsa_system_vgpr_workitem_id 0
		.amdhsa_next_free_vgpr 1
		.amdhsa_next_free_sgpr 0
		.amdhsa_accum_offset 4
		.amdhsa_reserve_vcc 0
		.amdhsa_float_round_mode_32 0
		.amdhsa_float_round_mode_16_64 0
		.amdhsa_float_denorm_mode_32 3
		.amdhsa_float_denorm_mode_16_64 3
		.amdhsa_dx10_clamp 1
		.amdhsa_ieee_mode 1
		.amdhsa_fp16_overflow 0
		.amdhsa_tg_split 0
		.amdhsa_exception_fp_ieee_invalid_op 0
		.amdhsa_exception_fp_denorm_src 0
		.amdhsa_exception_fp_ieee_div_zero 0
		.amdhsa_exception_fp_ieee_overflow 0
		.amdhsa_exception_fp_ieee_underflow 0
		.amdhsa_exception_fp_ieee_inexact 0
		.amdhsa_exception_int_div_zero 0
	.end_amdhsa_kernel
	.section	.text._ZN7rocprim17ROCPRIM_400000_NS6detail17trampoline_kernelINS0_14default_configENS1_22reduce_config_selectorIjEEZNS1_11reduce_implILb1ES3_PjS7_j9plus_mod3IjEEE10hipError_tPvRmT1_T2_T3_mT4_P12ihipStream_tbEUlT_E0_NS1_11comp_targetILNS1_3genE5ELNS1_11target_archE942ELNS1_3gpuE9ELNS1_3repE0EEENS1_30default_config_static_selectorELNS0_4arch9wavefront6targetE1EEEvSD_,"axG",@progbits,_ZN7rocprim17ROCPRIM_400000_NS6detail17trampoline_kernelINS0_14default_configENS1_22reduce_config_selectorIjEEZNS1_11reduce_implILb1ES3_PjS7_j9plus_mod3IjEEE10hipError_tPvRmT1_T2_T3_mT4_P12ihipStream_tbEUlT_E0_NS1_11comp_targetILNS1_3genE5ELNS1_11target_archE942ELNS1_3gpuE9ELNS1_3repE0EEENS1_30default_config_static_selectorELNS0_4arch9wavefront6targetE1EEEvSD_,comdat
.Lfunc_end804:
	.size	_ZN7rocprim17ROCPRIM_400000_NS6detail17trampoline_kernelINS0_14default_configENS1_22reduce_config_selectorIjEEZNS1_11reduce_implILb1ES3_PjS7_j9plus_mod3IjEEE10hipError_tPvRmT1_T2_T3_mT4_P12ihipStream_tbEUlT_E0_NS1_11comp_targetILNS1_3genE5ELNS1_11target_archE942ELNS1_3gpuE9ELNS1_3repE0EEENS1_30default_config_static_selectorELNS0_4arch9wavefront6targetE1EEEvSD_, .Lfunc_end804-_ZN7rocprim17ROCPRIM_400000_NS6detail17trampoline_kernelINS0_14default_configENS1_22reduce_config_selectorIjEEZNS1_11reduce_implILb1ES3_PjS7_j9plus_mod3IjEEE10hipError_tPvRmT1_T2_T3_mT4_P12ihipStream_tbEUlT_E0_NS1_11comp_targetILNS1_3genE5ELNS1_11target_archE942ELNS1_3gpuE9ELNS1_3repE0EEENS1_30default_config_static_selectorELNS0_4arch9wavefront6targetE1EEEvSD_
                                        ; -- End function
	.set _ZN7rocprim17ROCPRIM_400000_NS6detail17trampoline_kernelINS0_14default_configENS1_22reduce_config_selectorIjEEZNS1_11reduce_implILb1ES3_PjS7_j9plus_mod3IjEEE10hipError_tPvRmT1_T2_T3_mT4_P12ihipStream_tbEUlT_E0_NS1_11comp_targetILNS1_3genE5ELNS1_11target_archE942ELNS1_3gpuE9ELNS1_3repE0EEENS1_30default_config_static_selectorELNS0_4arch9wavefront6targetE1EEEvSD_.num_vgpr, 0
	.set _ZN7rocprim17ROCPRIM_400000_NS6detail17trampoline_kernelINS0_14default_configENS1_22reduce_config_selectorIjEEZNS1_11reduce_implILb1ES3_PjS7_j9plus_mod3IjEEE10hipError_tPvRmT1_T2_T3_mT4_P12ihipStream_tbEUlT_E0_NS1_11comp_targetILNS1_3genE5ELNS1_11target_archE942ELNS1_3gpuE9ELNS1_3repE0EEENS1_30default_config_static_selectorELNS0_4arch9wavefront6targetE1EEEvSD_.num_agpr, 0
	.set _ZN7rocprim17ROCPRIM_400000_NS6detail17trampoline_kernelINS0_14default_configENS1_22reduce_config_selectorIjEEZNS1_11reduce_implILb1ES3_PjS7_j9plus_mod3IjEEE10hipError_tPvRmT1_T2_T3_mT4_P12ihipStream_tbEUlT_E0_NS1_11comp_targetILNS1_3genE5ELNS1_11target_archE942ELNS1_3gpuE9ELNS1_3repE0EEENS1_30default_config_static_selectorELNS0_4arch9wavefront6targetE1EEEvSD_.numbered_sgpr, 0
	.set _ZN7rocprim17ROCPRIM_400000_NS6detail17trampoline_kernelINS0_14default_configENS1_22reduce_config_selectorIjEEZNS1_11reduce_implILb1ES3_PjS7_j9plus_mod3IjEEE10hipError_tPvRmT1_T2_T3_mT4_P12ihipStream_tbEUlT_E0_NS1_11comp_targetILNS1_3genE5ELNS1_11target_archE942ELNS1_3gpuE9ELNS1_3repE0EEENS1_30default_config_static_selectorELNS0_4arch9wavefront6targetE1EEEvSD_.num_named_barrier, 0
	.set _ZN7rocprim17ROCPRIM_400000_NS6detail17trampoline_kernelINS0_14default_configENS1_22reduce_config_selectorIjEEZNS1_11reduce_implILb1ES3_PjS7_j9plus_mod3IjEEE10hipError_tPvRmT1_T2_T3_mT4_P12ihipStream_tbEUlT_E0_NS1_11comp_targetILNS1_3genE5ELNS1_11target_archE942ELNS1_3gpuE9ELNS1_3repE0EEENS1_30default_config_static_selectorELNS0_4arch9wavefront6targetE1EEEvSD_.private_seg_size, 0
	.set _ZN7rocprim17ROCPRIM_400000_NS6detail17trampoline_kernelINS0_14default_configENS1_22reduce_config_selectorIjEEZNS1_11reduce_implILb1ES3_PjS7_j9plus_mod3IjEEE10hipError_tPvRmT1_T2_T3_mT4_P12ihipStream_tbEUlT_E0_NS1_11comp_targetILNS1_3genE5ELNS1_11target_archE942ELNS1_3gpuE9ELNS1_3repE0EEENS1_30default_config_static_selectorELNS0_4arch9wavefront6targetE1EEEvSD_.uses_vcc, 0
	.set _ZN7rocprim17ROCPRIM_400000_NS6detail17trampoline_kernelINS0_14default_configENS1_22reduce_config_selectorIjEEZNS1_11reduce_implILb1ES3_PjS7_j9plus_mod3IjEEE10hipError_tPvRmT1_T2_T3_mT4_P12ihipStream_tbEUlT_E0_NS1_11comp_targetILNS1_3genE5ELNS1_11target_archE942ELNS1_3gpuE9ELNS1_3repE0EEENS1_30default_config_static_selectorELNS0_4arch9wavefront6targetE1EEEvSD_.uses_flat_scratch, 0
	.set _ZN7rocprim17ROCPRIM_400000_NS6detail17trampoline_kernelINS0_14default_configENS1_22reduce_config_selectorIjEEZNS1_11reduce_implILb1ES3_PjS7_j9plus_mod3IjEEE10hipError_tPvRmT1_T2_T3_mT4_P12ihipStream_tbEUlT_E0_NS1_11comp_targetILNS1_3genE5ELNS1_11target_archE942ELNS1_3gpuE9ELNS1_3repE0EEENS1_30default_config_static_selectorELNS0_4arch9wavefront6targetE1EEEvSD_.has_dyn_sized_stack, 0
	.set _ZN7rocprim17ROCPRIM_400000_NS6detail17trampoline_kernelINS0_14default_configENS1_22reduce_config_selectorIjEEZNS1_11reduce_implILb1ES3_PjS7_j9plus_mod3IjEEE10hipError_tPvRmT1_T2_T3_mT4_P12ihipStream_tbEUlT_E0_NS1_11comp_targetILNS1_3genE5ELNS1_11target_archE942ELNS1_3gpuE9ELNS1_3repE0EEENS1_30default_config_static_selectorELNS0_4arch9wavefront6targetE1EEEvSD_.has_recursion, 0
	.set _ZN7rocprim17ROCPRIM_400000_NS6detail17trampoline_kernelINS0_14default_configENS1_22reduce_config_selectorIjEEZNS1_11reduce_implILb1ES3_PjS7_j9plus_mod3IjEEE10hipError_tPvRmT1_T2_T3_mT4_P12ihipStream_tbEUlT_E0_NS1_11comp_targetILNS1_3genE5ELNS1_11target_archE942ELNS1_3gpuE9ELNS1_3repE0EEENS1_30default_config_static_selectorELNS0_4arch9wavefront6targetE1EEEvSD_.has_indirect_call, 0
	.section	.AMDGPU.csdata,"",@progbits
; Kernel info:
; codeLenInByte = 0
; TotalNumSgprs: 6
; NumVgprs: 0
; NumAgprs: 0
; TotalNumVgprs: 0
; ScratchSize: 0
; MemoryBound: 0
; FloatMode: 240
; IeeeMode: 1
; LDSByteSize: 0 bytes/workgroup (compile time only)
; SGPRBlocks: 0
; VGPRBlocks: 0
; NumSGPRsForWavesPerEU: 6
; NumVGPRsForWavesPerEU: 1
; AccumOffset: 4
; Occupancy: 8
; WaveLimiterHint : 0
; COMPUTE_PGM_RSRC2:SCRATCH_EN: 0
; COMPUTE_PGM_RSRC2:USER_SGPR: 2
; COMPUTE_PGM_RSRC2:TRAP_HANDLER: 0
; COMPUTE_PGM_RSRC2:TGID_X_EN: 1
; COMPUTE_PGM_RSRC2:TGID_Y_EN: 0
; COMPUTE_PGM_RSRC2:TGID_Z_EN: 0
; COMPUTE_PGM_RSRC2:TIDIG_COMP_CNT: 0
; COMPUTE_PGM_RSRC3_GFX90A:ACCUM_OFFSET: 0
; COMPUTE_PGM_RSRC3_GFX90A:TG_SPLIT: 0
	.section	.text._ZN7rocprim17ROCPRIM_400000_NS6detail17trampoline_kernelINS0_14default_configENS1_22reduce_config_selectorIjEEZNS1_11reduce_implILb1ES3_PjS7_j9plus_mod3IjEEE10hipError_tPvRmT1_T2_T3_mT4_P12ihipStream_tbEUlT_E0_NS1_11comp_targetILNS1_3genE4ELNS1_11target_archE910ELNS1_3gpuE8ELNS1_3repE0EEENS1_30default_config_static_selectorELNS0_4arch9wavefront6targetE1EEEvSD_,"axG",@progbits,_ZN7rocprim17ROCPRIM_400000_NS6detail17trampoline_kernelINS0_14default_configENS1_22reduce_config_selectorIjEEZNS1_11reduce_implILb1ES3_PjS7_j9plus_mod3IjEEE10hipError_tPvRmT1_T2_T3_mT4_P12ihipStream_tbEUlT_E0_NS1_11comp_targetILNS1_3genE4ELNS1_11target_archE910ELNS1_3gpuE8ELNS1_3repE0EEENS1_30default_config_static_selectorELNS0_4arch9wavefront6targetE1EEEvSD_,comdat
	.protected	_ZN7rocprim17ROCPRIM_400000_NS6detail17trampoline_kernelINS0_14default_configENS1_22reduce_config_selectorIjEEZNS1_11reduce_implILb1ES3_PjS7_j9plus_mod3IjEEE10hipError_tPvRmT1_T2_T3_mT4_P12ihipStream_tbEUlT_E0_NS1_11comp_targetILNS1_3genE4ELNS1_11target_archE910ELNS1_3gpuE8ELNS1_3repE0EEENS1_30default_config_static_selectorELNS0_4arch9wavefront6targetE1EEEvSD_ ; -- Begin function _ZN7rocprim17ROCPRIM_400000_NS6detail17trampoline_kernelINS0_14default_configENS1_22reduce_config_selectorIjEEZNS1_11reduce_implILb1ES3_PjS7_j9plus_mod3IjEEE10hipError_tPvRmT1_T2_T3_mT4_P12ihipStream_tbEUlT_E0_NS1_11comp_targetILNS1_3genE4ELNS1_11target_archE910ELNS1_3gpuE8ELNS1_3repE0EEENS1_30default_config_static_selectorELNS0_4arch9wavefront6targetE1EEEvSD_
	.globl	_ZN7rocprim17ROCPRIM_400000_NS6detail17trampoline_kernelINS0_14default_configENS1_22reduce_config_selectorIjEEZNS1_11reduce_implILb1ES3_PjS7_j9plus_mod3IjEEE10hipError_tPvRmT1_T2_T3_mT4_P12ihipStream_tbEUlT_E0_NS1_11comp_targetILNS1_3genE4ELNS1_11target_archE910ELNS1_3gpuE8ELNS1_3repE0EEENS1_30default_config_static_selectorELNS0_4arch9wavefront6targetE1EEEvSD_
	.p2align	8
	.type	_ZN7rocprim17ROCPRIM_400000_NS6detail17trampoline_kernelINS0_14default_configENS1_22reduce_config_selectorIjEEZNS1_11reduce_implILb1ES3_PjS7_j9plus_mod3IjEEE10hipError_tPvRmT1_T2_T3_mT4_P12ihipStream_tbEUlT_E0_NS1_11comp_targetILNS1_3genE4ELNS1_11target_archE910ELNS1_3gpuE8ELNS1_3repE0EEENS1_30default_config_static_selectorELNS0_4arch9wavefront6targetE1EEEvSD_,@function
_ZN7rocprim17ROCPRIM_400000_NS6detail17trampoline_kernelINS0_14default_configENS1_22reduce_config_selectorIjEEZNS1_11reduce_implILb1ES3_PjS7_j9plus_mod3IjEEE10hipError_tPvRmT1_T2_T3_mT4_P12ihipStream_tbEUlT_E0_NS1_11comp_targetILNS1_3genE4ELNS1_11target_archE910ELNS1_3gpuE8ELNS1_3repE0EEENS1_30default_config_static_selectorELNS0_4arch9wavefront6targetE1EEEvSD_: ; @_ZN7rocprim17ROCPRIM_400000_NS6detail17trampoline_kernelINS0_14default_configENS1_22reduce_config_selectorIjEEZNS1_11reduce_implILb1ES3_PjS7_j9plus_mod3IjEEE10hipError_tPvRmT1_T2_T3_mT4_P12ihipStream_tbEUlT_E0_NS1_11comp_targetILNS1_3genE4ELNS1_11target_archE910ELNS1_3gpuE8ELNS1_3repE0EEENS1_30default_config_static_selectorELNS0_4arch9wavefront6targetE1EEEvSD_
; %bb.0:
	.section	.rodata,"a",@progbits
	.p2align	6, 0x0
	.amdhsa_kernel _ZN7rocprim17ROCPRIM_400000_NS6detail17trampoline_kernelINS0_14default_configENS1_22reduce_config_selectorIjEEZNS1_11reduce_implILb1ES3_PjS7_j9plus_mod3IjEEE10hipError_tPvRmT1_T2_T3_mT4_P12ihipStream_tbEUlT_E0_NS1_11comp_targetILNS1_3genE4ELNS1_11target_archE910ELNS1_3gpuE8ELNS1_3repE0EEENS1_30default_config_static_selectorELNS0_4arch9wavefront6targetE1EEEvSD_
		.amdhsa_group_segment_fixed_size 0
		.amdhsa_private_segment_fixed_size 0
		.amdhsa_kernarg_size 64
		.amdhsa_user_sgpr_count 2
		.amdhsa_user_sgpr_dispatch_ptr 0
		.amdhsa_user_sgpr_queue_ptr 0
		.amdhsa_user_sgpr_kernarg_segment_ptr 1
		.amdhsa_user_sgpr_dispatch_id 0
		.amdhsa_user_sgpr_kernarg_preload_length 0
		.amdhsa_user_sgpr_kernarg_preload_offset 0
		.amdhsa_user_sgpr_private_segment_size 0
		.amdhsa_uses_dynamic_stack 0
		.amdhsa_enable_private_segment 0
		.amdhsa_system_sgpr_workgroup_id_x 1
		.amdhsa_system_sgpr_workgroup_id_y 0
		.amdhsa_system_sgpr_workgroup_id_z 0
		.amdhsa_system_sgpr_workgroup_info 0
		.amdhsa_system_vgpr_workitem_id 0
		.amdhsa_next_free_vgpr 1
		.amdhsa_next_free_sgpr 0
		.amdhsa_accum_offset 4
		.amdhsa_reserve_vcc 0
		.amdhsa_float_round_mode_32 0
		.amdhsa_float_round_mode_16_64 0
		.amdhsa_float_denorm_mode_32 3
		.amdhsa_float_denorm_mode_16_64 3
		.amdhsa_dx10_clamp 1
		.amdhsa_ieee_mode 1
		.amdhsa_fp16_overflow 0
		.amdhsa_tg_split 0
		.amdhsa_exception_fp_ieee_invalid_op 0
		.amdhsa_exception_fp_denorm_src 0
		.amdhsa_exception_fp_ieee_div_zero 0
		.amdhsa_exception_fp_ieee_overflow 0
		.amdhsa_exception_fp_ieee_underflow 0
		.amdhsa_exception_fp_ieee_inexact 0
		.amdhsa_exception_int_div_zero 0
	.end_amdhsa_kernel
	.section	.text._ZN7rocprim17ROCPRIM_400000_NS6detail17trampoline_kernelINS0_14default_configENS1_22reduce_config_selectorIjEEZNS1_11reduce_implILb1ES3_PjS7_j9plus_mod3IjEEE10hipError_tPvRmT1_T2_T3_mT4_P12ihipStream_tbEUlT_E0_NS1_11comp_targetILNS1_3genE4ELNS1_11target_archE910ELNS1_3gpuE8ELNS1_3repE0EEENS1_30default_config_static_selectorELNS0_4arch9wavefront6targetE1EEEvSD_,"axG",@progbits,_ZN7rocprim17ROCPRIM_400000_NS6detail17trampoline_kernelINS0_14default_configENS1_22reduce_config_selectorIjEEZNS1_11reduce_implILb1ES3_PjS7_j9plus_mod3IjEEE10hipError_tPvRmT1_T2_T3_mT4_P12ihipStream_tbEUlT_E0_NS1_11comp_targetILNS1_3genE4ELNS1_11target_archE910ELNS1_3gpuE8ELNS1_3repE0EEENS1_30default_config_static_selectorELNS0_4arch9wavefront6targetE1EEEvSD_,comdat
.Lfunc_end805:
	.size	_ZN7rocprim17ROCPRIM_400000_NS6detail17trampoline_kernelINS0_14default_configENS1_22reduce_config_selectorIjEEZNS1_11reduce_implILb1ES3_PjS7_j9plus_mod3IjEEE10hipError_tPvRmT1_T2_T3_mT4_P12ihipStream_tbEUlT_E0_NS1_11comp_targetILNS1_3genE4ELNS1_11target_archE910ELNS1_3gpuE8ELNS1_3repE0EEENS1_30default_config_static_selectorELNS0_4arch9wavefront6targetE1EEEvSD_, .Lfunc_end805-_ZN7rocprim17ROCPRIM_400000_NS6detail17trampoline_kernelINS0_14default_configENS1_22reduce_config_selectorIjEEZNS1_11reduce_implILb1ES3_PjS7_j9plus_mod3IjEEE10hipError_tPvRmT1_T2_T3_mT4_P12ihipStream_tbEUlT_E0_NS1_11comp_targetILNS1_3genE4ELNS1_11target_archE910ELNS1_3gpuE8ELNS1_3repE0EEENS1_30default_config_static_selectorELNS0_4arch9wavefront6targetE1EEEvSD_
                                        ; -- End function
	.set _ZN7rocprim17ROCPRIM_400000_NS6detail17trampoline_kernelINS0_14default_configENS1_22reduce_config_selectorIjEEZNS1_11reduce_implILb1ES3_PjS7_j9plus_mod3IjEEE10hipError_tPvRmT1_T2_T3_mT4_P12ihipStream_tbEUlT_E0_NS1_11comp_targetILNS1_3genE4ELNS1_11target_archE910ELNS1_3gpuE8ELNS1_3repE0EEENS1_30default_config_static_selectorELNS0_4arch9wavefront6targetE1EEEvSD_.num_vgpr, 0
	.set _ZN7rocprim17ROCPRIM_400000_NS6detail17trampoline_kernelINS0_14default_configENS1_22reduce_config_selectorIjEEZNS1_11reduce_implILb1ES3_PjS7_j9plus_mod3IjEEE10hipError_tPvRmT1_T2_T3_mT4_P12ihipStream_tbEUlT_E0_NS1_11comp_targetILNS1_3genE4ELNS1_11target_archE910ELNS1_3gpuE8ELNS1_3repE0EEENS1_30default_config_static_selectorELNS0_4arch9wavefront6targetE1EEEvSD_.num_agpr, 0
	.set _ZN7rocprim17ROCPRIM_400000_NS6detail17trampoline_kernelINS0_14default_configENS1_22reduce_config_selectorIjEEZNS1_11reduce_implILb1ES3_PjS7_j9plus_mod3IjEEE10hipError_tPvRmT1_T2_T3_mT4_P12ihipStream_tbEUlT_E0_NS1_11comp_targetILNS1_3genE4ELNS1_11target_archE910ELNS1_3gpuE8ELNS1_3repE0EEENS1_30default_config_static_selectorELNS0_4arch9wavefront6targetE1EEEvSD_.numbered_sgpr, 0
	.set _ZN7rocprim17ROCPRIM_400000_NS6detail17trampoline_kernelINS0_14default_configENS1_22reduce_config_selectorIjEEZNS1_11reduce_implILb1ES3_PjS7_j9plus_mod3IjEEE10hipError_tPvRmT1_T2_T3_mT4_P12ihipStream_tbEUlT_E0_NS1_11comp_targetILNS1_3genE4ELNS1_11target_archE910ELNS1_3gpuE8ELNS1_3repE0EEENS1_30default_config_static_selectorELNS0_4arch9wavefront6targetE1EEEvSD_.num_named_barrier, 0
	.set _ZN7rocprim17ROCPRIM_400000_NS6detail17trampoline_kernelINS0_14default_configENS1_22reduce_config_selectorIjEEZNS1_11reduce_implILb1ES3_PjS7_j9plus_mod3IjEEE10hipError_tPvRmT1_T2_T3_mT4_P12ihipStream_tbEUlT_E0_NS1_11comp_targetILNS1_3genE4ELNS1_11target_archE910ELNS1_3gpuE8ELNS1_3repE0EEENS1_30default_config_static_selectorELNS0_4arch9wavefront6targetE1EEEvSD_.private_seg_size, 0
	.set _ZN7rocprim17ROCPRIM_400000_NS6detail17trampoline_kernelINS0_14default_configENS1_22reduce_config_selectorIjEEZNS1_11reduce_implILb1ES3_PjS7_j9plus_mod3IjEEE10hipError_tPvRmT1_T2_T3_mT4_P12ihipStream_tbEUlT_E0_NS1_11comp_targetILNS1_3genE4ELNS1_11target_archE910ELNS1_3gpuE8ELNS1_3repE0EEENS1_30default_config_static_selectorELNS0_4arch9wavefront6targetE1EEEvSD_.uses_vcc, 0
	.set _ZN7rocprim17ROCPRIM_400000_NS6detail17trampoline_kernelINS0_14default_configENS1_22reduce_config_selectorIjEEZNS1_11reduce_implILb1ES3_PjS7_j9plus_mod3IjEEE10hipError_tPvRmT1_T2_T3_mT4_P12ihipStream_tbEUlT_E0_NS1_11comp_targetILNS1_3genE4ELNS1_11target_archE910ELNS1_3gpuE8ELNS1_3repE0EEENS1_30default_config_static_selectorELNS0_4arch9wavefront6targetE1EEEvSD_.uses_flat_scratch, 0
	.set _ZN7rocprim17ROCPRIM_400000_NS6detail17trampoline_kernelINS0_14default_configENS1_22reduce_config_selectorIjEEZNS1_11reduce_implILb1ES3_PjS7_j9plus_mod3IjEEE10hipError_tPvRmT1_T2_T3_mT4_P12ihipStream_tbEUlT_E0_NS1_11comp_targetILNS1_3genE4ELNS1_11target_archE910ELNS1_3gpuE8ELNS1_3repE0EEENS1_30default_config_static_selectorELNS0_4arch9wavefront6targetE1EEEvSD_.has_dyn_sized_stack, 0
	.set _ZN7rocprim17ROCPRIM_400000_NS6detail17trampoline_kernelINS0_14default_configENS1_22reduce_config_selectorIjEEZNS1_11reduce_implILb1ES3_PjS7_j9plus_mod3IjEEE10hipError_tPvRmT1_T2_T3_mT4_P12ihipStream_tbEUlT_E0_NS1_11comp_targetILNS1_3genE4ELNS1_11target_archE910ELNS1_3gpuE8ELNS1_3repE0EEENS1_30default_config_static_selectorELNS0_4arch9wavefront6targetE1EEEvSD_.has_recursion, 0
	.set _ZN7rocprim17ROCPRIM_400000_NS6detail17trampoline_kernelINS0_14default_configENS1_22reduce_config_selectorIjEEZNS1_11reduce_implILb1ES3_PjS7_j9plus_mod3IjEEE10hipError_tPvRmT1_T2_T3_mT4_P12ihipStream_tbEUlT_E0_NS1_11comp_targetILNS1_3genE4ELNS1_11target_archE910ELNS1_3gpuE8ELNS1_3repE0EEENS1_30default_config_static_selectorELNS0_4arch9wavefront6targetE1EEEvSD_.has_indirect_call, 0
	.section	.AMDGPU.csdata,"",@progbits
; Kernel info:
; codeLenInByte = 0
; TotalNumSgprs: 6
; NumVgprs: 0
; NumAgprs: 0
; TotalNumVgprs: 0
; ScratchSize: 0
; MemoryBound: 0
; FloatMode: 240
; IeeeMode: 1
; LDSByteSize: 0 bytes/workgroup (compile time only)
; SGPRBlocks: 0
; VGPRBlocks: 0
; NumSGPRsForWavesPerEU: 6
; NumVGPRsForWavesPerEU: 1
; AccumOffset: 4
; Occupancy: 8
; WaveLimiterHint : 0
; COMPUTE_PGM_RSRC2:SCRATCH_EN: 0
; COMPUTE_PGM_RSRC2:USER_SGPR: 2
; COMPUTE_PGM_RSRC2:TRAP_HANDLER: 0
; COMPUTE_PGM_RSRC2:TGID_X_EN: 1
; COMPUTE_PGM_RSRC2:TGID_Y_EN: 0
; COMPUTE_PGM_RSRC2:TGID_Z_EN: 0
; COMPUTE_PGM_RSRC2:TIDIG_COMP_CNT: 0
; COMPUTE_PGM_RSRC3_GFX90A:ACCUM_OFFSET: 0
; COMPUTE_PGM_RSRC3_GFX90A:TG_SPLIT: 0
	.section	.text._ZN7rocprim17ROCPRIM_400000_NS6detail17trampoline_kernelINS0_14default_configENS1_22reduce_config_selectorIjEEZNS1_11reduce_implILb1ES3_PjS7_j9plus_mod3IjEEE10hipError_tPvRmT1_T2_T3_mT4_P12ihipStream_tbEUlT_E0_NS1_11comp_targetILNS1_3genE3ELNS1_11target_archE908ELNS1_3gpuE7ELNS1_3repE0EEENS1_30default_config_static_selectorELNS0_4arch9wavefront6targetE1EEEvSD_,"axG",@progbits,_ZN7rocprim17ROCPRIM_400000_NS6detail17trampoline_kernelINS0_14default_configENS1_22reduce_config_selectorIjEEZNS1_11reduce_implILb1ES3_PjS7_j9plus_mod3IjEEE10hipError_tPvRmT1_T2_T3_mT4_P12ihipStream_tbEUlT_E0_NS1_11comp_targetILNS1_3genE3ELNS1_11target_archE908ELNS1_3gpuE7ELNS1_3repE0EEENS1_30default_config_static_selectorELNS0_4arch9wavefront6targetE1EEEvSD_,comdat
	.protected	_ZN7rocprim17ROCPRIM_400000_NS6detail17trampoline_kernelINS0_14default_configENS1_22reduce_config_selectorIjEEZNS1_11reduce_implILb1ES3_PjS7_j9plus_mod3IjEEE10hipError_tPvRmT1_T2_T3_mT4_P12ihipStream_tbEUlT_E0_NS1_11comp_targetILNS1_3genE3ELNS1_11target_archE908ELNS1_3gpuE7ELNS1_3repE0EEENS1_30default_config_static_selectorELNS0_4arch9wavefront6targetE1EEEvSD_ ; -- Begin function _ZN7rocprim17ROCPRIM_400000_NS6detail17trampoline_kernelINS0_14default_configENS1_22reduce_config_selectorIjEEZNS1_11reduce_implILb1ES3_PjS7_j9plus_mod3IjEEE10hipError_tPvRmT1_T2_T3_mT4_P12ihipStream_tbEUlT_E0_NS1_11comp_targetILNS1_3genE3ELNS1_11target_archE908ELNS1_3gpuE7ELNS1_3repE0EEENS1_30default_config_static_selectorELNS0_4arch9wavefront6targetE1EEEvSD_
	.globl	_ZN7rocprim17ROCPRIM_400000_NS6detail17trampoline_kernelINS0_14default_configENS1_22reduce_config_selectorIjEEZNS1_11reduce_implILb1ES3_PjS7_j9plus_mod3IjEEE10hipError_tPvRmT1_T2_T3_mT4_P12ihipStream_tbEUlT_E0_NS1_11comp_targetILNS1_3genE3ELNS1_11target_archE908ELNS1_3gpuE7ELNS1_3repE0EEENS1_30default_config_static_selectorELNS0_4arch9wavefront6targetE1EEEvSD_
	.p2align	8
	.type	_ZN7rocprim17ROCPRIM_400000_NS6detail17trampoline_kernelINS0_14default_configENS1_22reduce_config_selectorIjEEZNS1_11reduce_implILb1ES3_PjS7_j9plus_mod3IjEEE10hipError_tPvRmT1_T2_T3_mT4_P12ihipStream_tbEUlT_E0_NS1_11comp_targetILNS1_3genE3ELNS1_11target_archE908ELNS1_3gpuE7ELNS1_3repE0EEENS1_30default_config_static_selectorELNS0_4arch9wavefront6targetE1EEEvSD_,@function
_ZN7rocprim17ROCPRIM_400000_NS6detail17trampoline_kernelINS0_14default_configENS1_22reduce_config_selectorIjEEZNS1_11reduce_implILb1ES3_PjS7_j9plus_mod3IjEEE10hipError_tPvRmT1_T2_T3_mT4_P12ihipStream_tbEUlT_E0_NS1_11comp_targetILNS1_3genE3ELNS1_11target_archE908ELNS1_3gpuE7ELNS1_3repE0EEENS1_30default_config_static_selectorELNS0_4arch9wavefront6targetE1EEEvSD_: ; @_ZN7rocprim17ROCPRIM_400000_NS6detail17trampoline_kernelINS0_14default_configENS1_22reduce_config_selectorIjEEZNS1_11reduce_implILb1ES3_PjS7_j9plus_mod3IjEEE10hipError_tPvRmT1_T2_T3_mT4_P12ihipStream_tbEUlT_E0_NS1_11comp_targetILNS1_3genE3ELNS1_11target_archE908ELNS1_3gpuE7ELNS1_3repE0EEENS1_30default_config_static_selectorELNS0_4arch9wavefront6targetE1EEEvSD_
; %bb.0:
	.section	.rodata,"a",@progbits
	.p2align	6, 0x0
	.amdhsa_kernel _ZN7rocprim17ROCPRIM_400000_NS6detail17trampoline_kernelINS0_14default_configENS1_22reduce_config_selectorIjEEZNS1_11reduce_implILb1ES3_PjS7_j9plus_mod3IjEEE10hipError_tPvRmT1_T2_T3_mT4_P12ihipStream_tbEUlT_E0_NS1_11comp_targetILNS1_3genE3ELNS1_11target_archE908ELNS1_3gpuE7ELNS1_3repE0EEENS1_30default_config_static_selectorELNS0_4arch9wavefront6targetE1EEEvSD_
		.amdhsa_group_segment_fixed_size 0
		.amdhsa_private_segment_fixed_size 0
		.amdhsa_kernarg_size 64
		.amdhsa_user_sgpr_count 2
		.amdhsa_user_sgpr_dispatch_ptr 0
		.amdhsa_user_sgpr_queue_ptr 0
		.amdhsa_user_sgpr_kernarg_segment_ptr 1
		.amdhsa_user_sgpr_dispatch_id 0
		.amdhsa_user_sgpr_kernarg_preload_length 0
		.amdhsa_user_sgpr_kernarg_preload_offset 0
		.amdhsa_user_sgpr_private_segment_size 0
		.amdhsa_uses_dynamic_stack 0
		.amdhsa_enable_private_segment 0
		.amdhsa_system_sgpr_workgroup_id_x 1
		.amdhsa_system_sgpr_workgroup_id_y 0
		.amdhsa_system_sgpr_workgroup_id_z 0
		.amdhsa_system_sgpr_workgroup_info 0
		.amdhsa_system_vgpr_workitem_id 0
		.amdhsa_next_free_vgpr 1
		.amdhsa_next_free_sgpr 0
		.amdhsa_accum_offset 4
		.amdhsa_reserve_vcc 0
		.amdhsa_float_round_mode_32 0
		.amdhsa_float_round_mode_16_64 0
		.amdhsa_float_denorm_mode_32 3
		.amdhsa_float_denorm_mode_16_64 3
		.amdhsa_dx10_clamp 1
		.amdhsa_ieee_mode 1
		.amdhsa_fp16_overflow 0
		.amdhsa_tg_split 0
		.amdhsa_exception_fp_ieee_invalid_op 0
		.amdhsa_exception_fp_denorm_src 0
		.amdhsa_exception_fp_ieee_div_zero 0
		.amdhsa_exception_fp_ieee_overflow 0
		.amdhsa_exception_fp_ieee_underflow 0
		.amdhsa_exception_fp_ieee_inexact 0
		.amdhsa_exception_int_div_zero 0
	.end_amdhsa_kernel
	.section	.text._ZN7rocprim17ROCPRIM_400000_NS6detail17trampoline_kernelINS0_14default_configENS1_22reduce_config_selectorIjEEZNS1_11reduce_implILb1ES3_PjS7_j9plus_mod3IjEEE10hipError_tPvRmT1_T2_T3_mT4_P12ihipStream_tbEUlT_E0_NS1_11comp_targetILNS1_3genE3ELNS1_11target_archE908ELNS1_3gpuE7ELNS1_3repE0EEENS1_30default_config_static_selectorELNS0_4arch9wavefront6targetE1EEEvSD_,"axG",@progbits,_ZN7rocprim17ROCPRIM_400000_NS6detail17trampoline_kernelINS0_14default_configENS1_22reduce_config_selectorIjEEZNS1_11reduce_implILb1ES3_PjS7_j9plus_mod3IjEEE10hipError_tPvRmT1_T2_T3_mT4_P12ihipStream_tbEUlT_E0_NS1_11comp_targetILNS1_3genE3ELNS1_11target_archE908ELNS1_3gpuE7ELNS1_3repE0EEENS1_30default_config_static_selectorELNS0_4arch9wavefront6targetE1EEEvSD_,comdat
.Lfunc_end806:
	.size	_ZN7rocprim17ROCPRIM_400000_NS6detail17trampoline_kernelINS0_14default_configENS1_22reduce_config_selectorIjEEZNS1_11reduce_implILb1ES3_PjS7_j9plus_mod3IjEEE10hipError_tPvRmT1_T2_T3_mT4_P12ihipStream_tbEUlT_E0_NS1_11comp_targetILNS1_3genE3ELNS1_11target_archE908ELNS1_3gpuE7ELNS1_3repE0EEENS1_30default_config_static_selectorELNS0_4arch9wavefront6targetE1EEEvSD_, .Lfunc_end806-_ZN7rocprim17ROCPRIM_400000_NS6detail17trampoline_kernelINS0_14default_configENS1_22reduce_config_selectorIjEEZNS1_11reduce_implILb1ES3_PjS7_j9plus_mod3IjEEE10hipError_tPvRmT1_T2_T3_mT4_P12ihipStream_tbEUlT_E0_NS1_11comp_targetILNS1_3genE3ELNS1_11target_archE908ELNS1_3gpuE7ELNS1_3repE0EEENS1_30default_config_static_selectorELNS0_4arch9wavefront6targetE1EEEvSD_
                                        ; -- End function
	.set _ZN7rocprim17ROCPRIM_400000_NS6detail17trampoline_kernelINS0_14default_configENS1_22reduce_config_selectorIjEEZNS1_11reduce_implILb1ES3_PjS7_j9plus_mod3IjEEE10hipError_tPvRmT1_T2_T3_mT4_P12ihipStream_tbEUlT_E0_NS1_11comp_targetILNS1_3genE3ELNS1_11target_archE908ELNS1_3gpuE7ELNS1_3repE0EEENS1_30default_config_static_selectorELNS0_4arch9wavefront6targetE1EEEvSD_.num_vgpr, 0
	.set _ZN7rocprim17ROCPRIM_400000_NS6detail17trampoline_kernelINS0_14default_configENS1_22reduce_config_selectorIjEEZNS1_11reduce_implILb1ES3_PjS7_j9plus_mod3IjEEE10hipError_tPvRmT1_T2_T3_mT4_P12ihipStream_tbEUlT_E0_NS1_11comp_targetILNS1_3genE3ELNS1_11target_archE908ELNS1_3gpuE7ELNS1_3repE0EEENS1_30default_config_static_selectorELNS0_4arch9wavefront6targetE1EEEvSD_.num_agpr, 0
	.set _ZN7rocprim17ROCPRIM_400000_NS6detail17trampoline_kernelINS0_14default_configENS1_22reduce_config_selectorIjEEZNS1_11reduce_implILb1ES3_PjS7_j9plus_mod3IjEEE10hipError_tPvRmT1_T2_T3_mT4_P12ihipStream_tbEUlT_E0_NS1_11comp_targetILNS1_3genE3ELNS1_11target_archE908ELNS1_3gpuE7ELNS1_3repE0EEENS1_30default_config_static_selectorELNS0_4arch9wavefront6targetE1EEEvSD_.numbered_sgpr, 0
	.set _ZN7rocprim17ROCPRIM_400000_NS6detail17trampoline_kernelINS0_14default_configENS1_22reduce_config_selectorIjEEZNS1_11reduce_implILb1ES3_PjS7_j9plus_mod3IjEEE10hipError_tPvRmT1_T2_T3_mT4_P12ihipStream_tbEUlT_E0_NS1_11comp_targetILNS1_3genE3ELNS1_11target_archE908ELNS1_3gpuE7ELNS1_3repE0EEENS1_30default_config_static_selectorELNS0_4arch9wavefront6targetE1EEEvSD_.num_named_barrier, 0
	.set _ZN7rocprim17ROCPRIM_400000_NS6detail17trampoline_kernelINS0_14default_configENS1_22reduce_config_selectorIjEEZNS1_11reduce_implILb1ES3_PjS7_j9plus_mod3IjEEE10hipError_tPvRmT1_T2_T3_mT4_P12ihipStream_tbEUlT_E0_NS1_11comp_targetILNS1_3genE3ELNS1_11target_archE908ELNS1_3gpuE7ELNS1_3repE0EEENS1_30default_config_static_selectorELNS0_4arch9wavefront6targetE1EEEvSD_.private_seg_size, 0
	.set _ZN7rocprim17ROCPRIM_400000_NS6detail17trampoline_kernelINS0_14default_configENS1_22reduce_config_selectorIjEEZNS1_11reduce_implILb1ES3_PjS7_j9plus_mod3IjEEE10hipError_tPvRmT1_T2_T3_mT4_P12ihipStream_tbEUlT_E0_NS1_11comp_targetILNS1_3genE3ELNS1_11target_archE908ELNS1_3gpuE7ELNS1_3repE0EEENS1_30default_config_static_selectorELNS0_4arch9wavefront6targetE1EEEvSD_.uses_vcc, 0
	.set _ZN7rocprim17ROCPRIM_400000_NS6detail17trampoline_kernelINS0_14default_configENS1_22reduce_config_selectorIjEEZNS1_11reduce_implILb1ES3_PjS7_j9plus_mod3IjEEE10hipError_tPvRmT1_T2_T3_mT4_P12ihipStream_tbEUlT_E0_NS1_11comp_targetILNS1_3genE3ELNS1_11target_archE908ELNS1_3gpuE7ELNS1_3repE0EEENS1_30default_config_static_selectorELNS0_4arch9wavefront6targetE1EEEvSD_.uses_flat_scratch, 0
	.set _ZN7rocprim17ROCPRIM_400000_NS6detail17trampoline_kernelINS0_14default_configENS1_22reduce_config_selectorIjEEZNS1_11reduce_implILb1ES3_PjS7_j9plus_mod3IjEEE10hipError_tPvRmT1_T2_T3_mT4_P12ihipStream_tbEUlT_E0_NS1_11comp_targetILNS1_3genE3ELNS1_11target_archE908ELNS1_3gpuE7ELNS1_3repE0EEENS1_30default_config_static_selectorELNS0_4arch9wavefront6targetE1EEEvSD_.has_dyn_sized_stack, 0
	.set _ZN7rocprim17ROCPRIM_400000_NS6detail17trampoline_kernelINS0_14default_configENS1_22reduce_config_selectorIjEEZNS1_11reduce_implILb1ES3_PjS7_j9plus_mod3IjEEE10hipError_tPvRmT1_T2_T3_mT4_P12ihipStream_tbEUlT_E0_NS1_11comp_targetILNS1_3genE3ELNS1_11target_archE908ELNS1_3gpuE7ELNS1_3repE0EEENS1_30default_config_static_selectorELNS0_4arch9wavefront6targetE1EEEvSD_.has_recursion, 0
	.set _ZN7rocprim17ROCPRIM_400000_NS6detail17trampoline_kernelINS0_14default_configENS1_22reduce_config_selectorIjEEZNS1_11reduce_implILb1ES3_PjS7_j9plus_mod3IjEEE10hipError_tPvRmT1_T2_T3_mT4_P12ihipStream_tbEUlT_E0_NS1_11comp_targetILNS1_3genE3ELNS1_11target_archE908ELNS1_3gpuE7ELNS1_3repE0EEENS1_30default_config_static_selectorELNS0_4arch9wavefront6targetE1EEEvSD_.has_indirect_call, 0
	.section	.AMDGPU.csdata,"",@progbits
; Kernel info:
; codeLenInByte = 0
; TotalNumSgprs: 6
; NumVgprs: 0
; NumAgprs: 0
; TotalNumVgprs: 0
; ScratchSize: 0
; MemoryBound: 0
; FloatMode: 240
; IeeeMode: 1
; LDSByteSize: 0 bytes/workgroup (compile time only)
; SGPRBlocks: 0
; VGPRBlocks: 0
; NumSGPRsForWavesPerEU: 6
; NumVGPRsForWavesPerEU: 1
; AccumOffset: 4
; Occupancy: 8
; WaveLimiterHint : 0
; COMPUTE_PGM_RSRC2:SCRATCH_EN: 0
; COMPUTE_PGM_RSRC2:USER_SGPR: 2
; COMPUTE_PGM_RSRC2:TRAP_HANDLER: 0
; COMPUTE_PGM_RSRC2:TGID_X_EN: 1
; COMPUTE_PGM_RSRC2:TGID_Y_EN: 0
; COMPUTE_PGM_RSRC2:TGID_Z_EN: 0
; COMPUTE_PGM_RSRC2:TIDIG_COMP_CNT: 0
; COMPUTE_PGM_RSRC3_GFX90A:ACCUM_OFFSET: 0
; COMPUTE_PGM_RSRC3_GFX90A:TG_SPLIT: 0
	.section	.text._ZN7rocprim17ROCPRIM_400000_NS6detail17trampoline_kernelINS0_14default_configENS1_22reduce_config_selectorIjEEZNS1_11reduce_implILb1ES3_PjS7_j9plus_mod3IjEEE10hipError_tPvRmT1_T2_T3_mT4_P12ihipStream_tbEUlT_E0_NS1_11comp_targetILNS1_3genE2ELNS1_11target_archE906ELNS1_3gpuE6ELNS1_3repE0EEENS1_30default_config_static_selectorELNS0_4arch9wavefront6targetE1EEEvSD_,"axG",@progbits,_ZN7rocprim17ROCPRIM_400000_NS6detail17trampoline_kernelINS0_14default_configENS1_22reduce_config_selectorIjEEZNS1_11reduce_implILb1ES3_PjS7_j9plus_mod3IjEEE10hipError_tPvRmT1_T2_T3_mT4_P12ihipStream_tbEUlT_E0_NS1_11comp_targetILNS1_3genE2ELNS1_11target_archE906ELNS1_3gpuE6ELNS1_3repE0EEENS1_30default_config_static_selectorELNS0_4arch9wavefront6targetE1EEEvSD_,comdat
	.protected	_ZN7rocprim17ROCPRIM_400000_NS6detail17trampoline_kernelINS0_14default_configENS1_22reduce_config_selectorIjEEZNS1_11reduce_implILb1ES3_PjS7_j9plus_mod3IjEEE10hipError_tPvRmT1_T2_T3_mT4_P12ihipStream_tbEUlT_E0_NS1_11comp_targetILNS1_3genE2ELNS1_11target_archE906ELNS1_3gpuE6ELNS1_3repE0EEENS1_30default_config_static_selectorELNS0_4arch9wavefront6targetE1EEEvSD_ ; -- Begin function _ZN7rocprim17ROCPRIM_400000_NS6detail17trampoline_kernelINS0_14default_configENS1_22reduce_config_selectorIjEEZNS1_11reduce_implILb1ES3_PjS7_j9plus_mod3IjEEE10hipError_tPvRmT1_T2_T3_mT4_P12ihipStream_tbEUlT_E0_NS1_11comp_targetILNS1_3genE2ELNS1_11target_archE906ELNS1_3gpuE6ELNS1_3repE0EEENS1_30default_config_static_selectorELNS0_4arch9wavefront6targetE1EEEvSD_
	.globl	_ZN7rocprim17ROCPRIM_400000_NS6detail17trampoline_kernelINS0_14default_configENS1_22reduce_config_selectorIjEEZNS1_11reduce_implILb1ES3_PjS7_j9plus_mod3IjEEE10hipError_tPvRmT1_T2_T3_mT4_P12ihipStream_tbEUlT_E0_NS1_11comp_targetILNS1_3genE2ELNS1_11target_archE906ELNS1_3gpuE6ELNS1_3repE0EEENS1_30default_config_static_selectorELNS0_4arch9wavefront6targetE1EEEvSD_
	.p2align	8
	.type	_ZN7rocprim17ROCPRIM_400000_NS6detail17trampoline_kernelINS0_14default_configENS1_22reduce_config_selectorIjEEZNS1_11reduce_implILb1ES3_PjS7_j9plus_mod3IjEEE10hipError_tPvRmT1_T2_T3_mT4_P12ihipStream_tbEUlT_E0_NS1_11comp_targetILNS1_3genE2ELNS1_11target_archE906ELNS1_3gpuE6ELNS1_3repE0EEENS1_30default_config_static_selectorELNS0_4arch9wavefront6targetE1EEEvSD_,@function
_ZN7rocprim17ROCPRIM_400000_NS6detail17trampoline_kernelINS0_14default_configENS1_22reduce_config_selectorIjEEZNS1_11reduce_implILb1ES3_PjS7_j9plus_mod3IjEEE10hipError_tPvRmT1_T2_T3_mT4_P12ihipStream_tbEUlT_E0_NS1_11comp_targetILNS1_3genE2ELNS1_11target_archE906ELNS1_3gpuE6ELNS1_3repE0EEENS1_30default_config_static_selectorELNS0_4arch9wavefront6targetE1EEEvSD_: ; @_ZN7rocprim17ROCPRIM_400000_NS6detail17trampoline_kernelINS0_14default_configENS1_22reduce_config_selectorIjEEZNS1_11reduce_implILb1ES3_PjS7_j9plus_mod3IjEEE10hipError_tPvRmT1_T2_T3_mT4_P12ihipStream_tbEUlT_E0_NS1_11comp_targetILNS1_3genE2ELNS1_11target_archE906ELNS1_3gpuE6ELNS1_3repE0EEENS1_30default_config_static_selectorELNS0_4arch9wavefront6targetE1EEEvSD_
; %bb.0:
	.section	.rodata,"a",@progbits
	.p2align	6, 0x0
	.amdhsa_kernel _ZN7rocprim17ROCPRIM_400000_NS6detail17trampoline_kernelINS0_14default_configENS1_22reduce_config_selectorIjEEZNS1_11reduce_implILb1ES3_PjS7_j9plus_mod3IjEEE10hipError_tPvRmT1_T2_T3_mT4_P12ihipStream_tbEUlT_E0_NS1_11comp_targetILNS1_3genE2ELNS1_11target_archE906ELNS1_3gpuE6ELNS1_3repE0EEENS1_30default_config_static_selectorELNS0_4arch9wavefront6targetE1EEEvSD_
		.amdhsa_group_segment_fixed_size 0
		.amdhsa_private_segment_fixed_size 0
		.amdhsa_kernarg_size 64
		.amdhsa_user_sgpr_count 2
		.amdhsa_user_sgpr_dispatch_ptr 0
		.amdhsa_user_sgpr_queue_ptr 0
		.amdhsa_user_sgpr_kernarg_segment_ptr 1
		.amdhsa_user_sgpr_dispatch_id 0
		.amdhsa_user_sgpr_kernarg_preload_length 0
		.amdhsa_user_sgpr_kernarg_preload_offset 0
		.amdhsa_user_sgpr_private_segment_size 0
		.amdhsa_uses_dynamic_stack 0
		.amdhsa_enable_private_segment 0
		.amdhsa_system_sgpr_workgroup_id_x 1
		.amdhsa_system_sgpr_workgroup_id_y 0
		.amdhsa_system_sgpr_workgroup_id_z 0
		.amdhsa_system_sgpr_workgroup_info 0
		.amdhsa_system_vgpr_workitem_id 0
		.amdhsa_next_free_vgpr 1
		.amdhsa_next_free_sgpr 0
		.amdhsa_accum_offset 4
		.amdhsa_reserve_vcc 0
		.amdhsa_float_round_mode_32 0
		.amdhsa_float_round_mode_16_64 0
		.amdhsa_float_denorm_mode_32 3
		.amdhsa_float_denorm_mode_16_64 3
		.amdhsa_dx10_clamp 1
		.amdhsa_ieee_mode 1
		.amdhsa_fp16_overflow 0
		.amdhsa_tg_split 0
		.amdhsa_exception_fp_ieee_invalid_op 0
		.amdhsa_exception_fp_denorm_src 0
		.amdhsa_exception_fp_ieee_div_zero 0
		.amdhsa_exception_fp_ieee_overflow 0
		.amdhsa_exception_fp_ieee_underflow 0
		.amdhsa_exception_fp_ieee_inexact 0
		.amdhsa_exception_int_div_zero 0
	.end_amdhsa_kernel
	.section	.text._ZN7rocprim17ROCPRIM_400000_NS6detail17trampoline_kernelINS0_14default_configENS1_22reduce_config_selectorIjEEZNS1_11reduce_implILb1ES3_PjS7_j9plus_mod3IjEEE10hipError_tPvRmT1_T2_T3_mT4_P12ihipStream_tbEUlT_E0_NS1_11comp_targetILNS1_3genE2ELNS1_11target_archE906ELNS1_3gpuE6ELNS1_3repE0EEENS1_30default_config_static_selectorELNS0_4arch9wavefront6targetE1EEEvSD_,"axG",@progbits,_ZN7rocprim17ROCPRIM_400000_NS6detail17trampoline_kernelINS0_14default_configENS1_22reduce_config_selectorIjEEZNS1_11reduce_implILb1ES3_PjS7_j9plus_mod3IjEEE10hipError_tPvRmT1_T2_T3_mT4_P12ihipStream_tbEUlT_E0_NS1_11comp_targetILNS1_3genE2ELNS1_11target_archE906ELNS1_3gpuE6ELNS1_3repE0EEENS1_30default_config_static_selectorELNS0_4arch9wavefront6targetE1EEEvSD_,comdat
.Lfunc_end807:
	.size	_ZN7rocprim17ROCPRIM_400000_NS6detail17trampoline_kernelINS0_14default_configENS1_22reduce_config_selectorIjEEZNS1_11reduce_implILb1ES3_PjS7_j9plus_mod3IjEEE10hipError_tPvRmT1_T2_T3_mT4_P12ihipStream_tbEUlT_E0_NS1_11comp_targetILNS1_3genE2ELNS1_11target_archE906ELNS1_3gpuE6ELNS1_3repE0EEENS1_30default_config_static_selectorELNS0_4arch9wavefront6targetE1EEEvSD_, .Lfunc_end807-_ZN7rocprim17ROCPRIM_400000_NS6detail17trampoline_kernelINS0_14default_configENS1_22reduce_config_selectorIjEEZNS1_11reduce_implILb1ES3_PjS7_j9plus_mod3IjEEE10hipError_tPvRmT1_T2_T3_mT4_P12ihipStream_tbEUlT_E0_NS1_11comp_targetILNS1_3genE2ELNS1_11target_archE906ELNS1_3gpuE6ELNS1_3repE0EEENS1_30default_config_static_selectorELNS0_4arch9wavefront6targetE1EEEvSD_
                                        ; -- End function
	.set _ZN7rocprim17ROCPRIM_400000_NS6detail17trampoline_kernelINS0_14default_configENS1_22reduce_config_selectorIjEEZNS1_11reduce_implILb1ES3_PjS7_j9plus_mod3IjEEE10hipError_tPvRmT1_T2_T3_mT4_P12ihipStream_tbEUlT_E0_NS1_11comp_targetILNS1_3genE2ELNS1_11target_archE906ELNS1_3gpuE6ELNS1_3repE0EEENS1_30default_config_static_selectorELNS0_4arch9wavefront6targetE1EEEvSD_.num_vgpr, 0
	.set _ZN7rocprim17ROCPRIM_400000_NS6detail17trampoline_kernelINS0_14default_configENS1_22reduce_config_selectorIjEEZNS1_11reduce_implILb1ES3_PjS7_j9plus_mod3IjEEE10hipError_tPvRmT1_T2_T3_mT4_P12ihipStream_tbEUlT_E0_NS1_11comp_targetILNS1_3genE2ELNS1_11target_archE906ELNS1_3gpuE6ELNS1_3repE0EEENS1_30default_config_static_selectorELNS0_4arch9wavefront6targetE1EEEvSD_.num_agpr, 0
	.set _ZN7rocprim17ROCPRIM_400000_NS6detail17trampoline_kernelINS0_14default_configENS1_22reduce_config_selectorIjEEZNS1_11reduce_implILb1ES3_PjS7_j9plus_mod3IjEEE10hipError_tPvRmT1_T2_T3_mT4_P12ihipStream_tbEUlT_E0_NS1_11comp_targetILNS1_3genE2ELNS1_11target_archE906ELNS1_3gpuE6ELNS1_3repE0EEENS1_30default_config_static_selectorELNS0_4arch9wavefront6targetE1EEEvSD_.numbered_sgpr, 0
	.set _ZN7rocprim17ROCPRIM_400000_NS6detail17trampoline_kernelINS0_14default_configENS1_22reduce_config_selectorIjEEZNS1_11reduce_implILb1ES3_PjS7_j9plus_mod3IjEEE10hipError_tPvRmT1_T2_T3_mT4_P12ihipStream_tbEUlT_E0_NS1_11comp_targetILNS1_3genE2ELNS1_11target_archE906ELNS1_3gpuE6ELNS1_3repE0EEENS1_30default_config_static_selectorELNS0_4arch9wavefront6targetE1EEEvSD_.num_named_barrier, 0
	.set _ZN7rocprim17ROCPRIM_400000_NS6detail17trampoline_kernelINS0_14default_configENS1_22reduce_config_selectorIjEEZNS1_11reduce_implILb1ES3_PjS7_j9plus_mod3IjEEE10hipError_tPvRmT1_T2_T3_mT4_P12ihipStream_tbEUlT_E0_NS1_11comp_targetILNS1_3genE2ELNS1_11target_archE906ELNS1_3gpuE6ELNS1_3repE0EEENS1_30default_config_static_selectorELNS0_4arch9wavefront6targetE1EEEvSD_.private_seg_size, 0
	.set _ZN7rocprim17ROCPRIM_400000_NS6detail17trampoline_kernelINS0_14default_configENS1_22reduce_config_selectorIjEEZNS1_11reduce_implILb1ES3_PjS7_j9plus_mod3IjEEE10hipError_tPvRmT1_T2_T3_mT4_P12ihipStream_tbEUlT_E0_NS1_11comp_targetILNS1_3genE2ELNS1_11target_archE906ELNS1_3gpuE6ELNS1_3repE0EEENS1_30default_config_static_selectorELNS0_4arch9wavefront6targetE1EEEvSD_.uses_vcc, 0
	.set _ZN7rocprim17ROCPRIM_400000_NS6detail17trampoline_kernelINS0_14default_configENS1_22reduce_config_selectorIjEEZNS1_11reduce_implILb1ES3_PjS7_j9plus_mod3IjEEE10hipError_tPvRmT1_T2_T3_mT4_P12ihipStream_tbEUlT_E0_NS1_11comp_targetILNS1_3genE2ELNS1_11target_archE906ELNS1_3gpuE6ELNS1_3repE0EEENS1_30default_config_static_selectorELNS0_4arch9wavefront6targetE1EEEvSD_.uses_flat_scratch, 0
	.set _ZN7rocprim17ROCPRIM_400000_NS6detail17trampoline_kernelINS0_14default_configENS1_22reduce_config_selectorIjEEZNS1_11reduce_implILb1ES3_PjS7_j9plus_mod3IjEEE10hipError_tPvRmT1_T2_T3_mT4_P12ihipStream_tbEUlT_E0_NS1_11comp_targetILNS1_3genE2ELNS1_11target_archE906ELNS1_3gpuE6ELNS1_3repE0EEENS1_30default_config_static_selectorELNS0_4arch9wavefront6targetE1EEEvSD_.has_dyn_sized_stack, 0
	.set _ZN7rocprim17ROCPRIM_400000_NS6detail17trampoline_kernelINS0_14default_configENS1_22reduce_config_selectorIjEEZNS1_11reduce_implILb1ES3_PjS7_j9plus_mod3IjEEE10hipError_tPvRmT1_T2_T3_mT4_P12ihipStream_tbEUlT_E0_NS1_11comp_targetILNS1_3genE2ELNS1_11target_archE906ELNS1_3gpuE6ELNS1_3repE0EEENS1_30default_config_static_selectorELNS0_4arch9wavefront6targetE1EEEvSD_.has_recursion, 0
	.set _ZN7rocprim17ROCPRIM_400000_NS6detail17trampoline_kernelINS0_14default_configENS1_22reduce_config_selectorIjEEZNS1_11reduce_implILb1ES3_PjS7_j9plus_mod3IjEEE10hipError_tPvRmT1_T2_T3_mT4_P12ihipStream_tbEUlT_E0_NS1_11comp_targetILNS1_3genE2ELNS1_11target_archE906ELNS1_3gpuE6ELNS1_3repE0EEENS1_30default_config_static_selectorELNS0_4arch9wavefront6targetE1EEEvSD_.has_indirect_call, 0
	.section	.AMDGPU.csdata,"",@progbits
; Kernel info:
; codeLenInByte = 0
; TotalNumSgprs: 6
; NumVgprs: 0
; NumAgprs: 0
; TotalNumVgprs: 0
; ScratchSize: 0
; MemoryBound: 0
; FloatMode: 240
; IeeeMode: 1
; LDSByteSize: 0 bytes/workgroup (compile time only)
; SGPRBlocks: 0
; VGPRBlocks: 0
; NumSGPRsForWavesPerEU: 6
; NumVGPRsForWavesPerEU: 1
; AccumOffset: 4
; Occupancy: 8
; WaveLimiterHint : 0
; COMPUTE_PGM_RSRC2:SCRATCH_EN: 0
; COMPUTE_PGM_RSRC2:USER_SGPR: 2
; COMPUTE_PGM_RSRC2:TRAP_HANDLER: 0
; COMPUTE_PGM_RSRC2:TGID_X_EN: 1
; COMPUTE_PGM_RSRC2:TGID_Y_EN: 0
; COMPUTE_PGM_RSRC2:TGID_Z_EN: 0
; COMPUTE_PGM_RSRC2:TIDIG_COMP_CNT: 0
; COMPUTE_PGM_RSRC3_GFX90A:ACCUM_OFFSET: 0
; COMPUTE_PGM_RSRC3_GFX90A:TG_SPLIT: 0
	.section	.text._ZN7rocprim17ROCPRIM_400000_NS6detail17trampoline_kernelINS0_14default_configENS1_22reduce_config_selectorIjEEZNS1_11reduce_implILb1ES3_PjS7_j9plus_mod3IjEEE10hipError_tPvRmT1_T2_T3_mT4_P12ihipStream_tbEUlT_E0_NS1_11comp_targetILNS1_3genE10ELNS1_11target_archE1201ELNS1_3gpuE5ELNS1_3repE0EEENS1_30default_config_static_selectorELNS0_4arch9wavefront6targetE1EEEvSD_,"axG",@progbits,_ZN7rocprim17ROCPRIM_400000_NS6detail17trampoline_kernelINS0_14default_configENS1_22reduce_config_selectorIjEEZNS1_11reduce_implILb1ES3_PjS7_j9plus_mod3IjEEE10hipError_tPvRmT1_T2_T3_mT4_P12ihipStream_tbEUlT_E0_NS1_11comp_targetILNS1_3genE10ELNS1_11target_archE1201ELNS1_3gpuE5ELNS1_3repE0EEENS1_30default_config_static_selectorELNS0_4arch9wavefront6targetE1EEEvSD_,comdat
	.protected	_ZN7rocprim17ROCPRIM_400000_NS6detail17trampoline_kernelINS0_14default_configENS1_22reduce_config_selectorIjEEZNS1_11reduce_implILb1ES3_PjS7_j9plus_mod3IjEEE10hipError_tPvRmT1_T2_T3_mT4_P12ihipStream_tbEUlT_E0_NS1_11comp_targetILNS1_3genE10ELNS1_11target_archE1201ELNS1_3gpuE5ELNS1_3repE0EEENS1_30default_config_static_selectorELNS0_4arch9wavefront6targetE1EEEvSD_ ; -- Begin function _ZN7rocprim17ROCPRIM_400000_NS6detail17trampoline_kernelINS0_14default_configENS1_22reduce_config_selectorIjEEZNS1_11reduce_implILb1ES3_PjS7_j9plus_mod3IjEEE10hipError_tPvRmT1_T2_T3_mT4_P12ihipStream_tbEUlT_E0_NS1_11comp_targetILNS1_3genE10ELNS1_11target_archE1201ELNS1_3gpuE5ELNS1_3repE0EEENS1_30default_config_static_selectorELNS0_4arch9wavefront6targetE1EEEvSD_
	.globl	_ZN7rocprim17ROCPRIM_400000_NS6detail17trampoline_kernelINS0_14default_configENS1_22reduce_config_selectorIjEEZNS1_11reduce_implILb1ES3_PjS7_j9plus_mod3IjEEE10hipError_tPvRmT1_T2_T3_mT4_P12ihipStream_tbEUlT_E0_NS1_11comp_targetILNS1_3genE10ELNS1_11target_archE1201ELNS1_3gpuE5ELNS1_3repE0EEENS1_30default_config_static_selectorELNS0_4arch9wavefront6targetE1EEEvSD_
	.p2align	8
	.type	_ZN7rocprim17ROCPRIM_400000_NS6detail17trampoline_kernelINS0_14default_configENS1_22reduce_config_selectorIjEEZNS1_11reduce_implILb1ES3_PjS7_j9plus_mod3IjEEE10hipError_tPvRmT1_T2_T3_mT4_P12ihipStream_tbEUlT_E0_NS1_11comp_targetILNS1_3genE10ELNS1_11target_archE1201ELNS1_3gpuE5ELNS1_3repE0EEENS1_30default_config_static_selectorELNS0_4arch9wavefront6targetE1EEEvSD_,@function
_ZN7rocprim17ROCPRIM_400000_NS6detail17trampoline_kernelINS0_14default_configENS1_22reduce_config_selectorIjEEZNS1_11reduce_implILb1ES3_PjS7_j9plus_mod3IjEEE10hipError_tPvRmT1_T2_T3_mT4_P12ihipStream_tbEUlT_E0_NS1_11comp_targetILNS1_3genE10ELNS1_11target_archE1201ELNS1_3gpuE5ELNS1_3repE0EEENS1_30default_config_static_selectorELNS0_4arch9wavefront6targetE1EEEvSD_: ; @_ZN7rocprim17ROCPRIM_400000_NS6detail17trampoline_kernelINS0_14default_configENS1_22reduce_config_selectorIjEEZNS1_11reduce_implILb1ES3_PjS7_j9plus_mod3IjEEE10hipError_tPvRmT1_T2_T3_mT4_P12ihipStream_tbEUlT_E0_NS1_11comp_targetILNS1_3genE10ELNS1_11target_archE1201ELNS1_3gpuE5ELNS1_3repE0EEENS1_30default_config_static_selectorELNS0_4arch9wavefront6targetE1EEEvSD_
; %bb.0:
	.section	.rodata,"a",@progbits
	.p2align	6, 0x0
	.amdhsa_kernel _ZN7rocprim17ROCPRIM_400000_NS6detail17trampoline_kernelINS0_14default_configENS1_22reduce_config_selectorIjEEZNS1_11reduce_implILb1ES3_PjS7_j9plus_mod3IjEEE10hipError_tPvRmT1_T2_T3_mT4_P12ihipStream_tbEUlT_E0_NS1_11comp_targetILNS1_3genE10ELNS1_11target_archE1201ELNS1_3gpuE5ELNS1_3repE0EEENS1_30default_config_static_selectorELNS0_4arch9wavefront6targetE1EEEvSD_
		.amdhsa_group_segment_fixed_size 0
		.amdhsa_private_segment_fixed_size 0
		.amdhsa_kernarg_size 64
		.amdhsa_user_sgpr_count 2
		.amdhsa_user_sgpr_dispatch_ptr 0
		.amdhsa_user_sgpr_queue_ptr 0
		.amdhsa_user_sgpr_kernarg_segment_ptr 1
		.amdhsa_user_sgpr_dispatch_id 0
		.amdhsa_user_sgpr_kernarg_preload_length 0
		.amdhsa_user_sgpr_kernarg_preload_offset 0
		.amdhsa_user_sgpr_private_segment_size 0
		.amdhsa_uses_dynamic_stack 0
		.amdhsa_enable_private_segment 0
		.amdhsa_system_sgpr_workgroup_id_x 1
		.amdhsa_system_sgpr_workgroup_id_y 0
		.amdhsa_system_sgpr_workgroup_id_z 0
		.amdhsa_system_sgpr_workgroup_info 0
		.amdhsa_system_vgpr_workitem_id 0
		.amdhsa_next_free_vgpr 1
		.amdhsa_next_free_sgpr 0
		.amdhsa_accum_offset 4
		.amdhsa_reserve_vcc 0
		.amdhsa_float_round_mode_32 0
		.amdhsa_float_round_mode_16_64 0
		.amdhsa_float_denorm_mode_32 3
		.amdhsa_float_denorm_mode_16_64 3
		.amdhsa_dx10_clamp 1
		.amdhsa_ieee_mode 1
		.amdhsa_fp16_overflow 0
		.amdhsa_tg_split 0
		.amdhsa_exception_fp_ieee_invalid_op 0
		.amdhsa_exception_fp_denorm_src 0
		.amdhsa_exception_fp_ieee_div_zero 0
		.amdhsa_exception_fp_ieee_overflow 0
		.amdhsa_exception_fp_ieee_underflow 0
		.amdhsa_exception_fp_ieee_inexact 0
		.amdhsa_exception_int_div_zero 0
	.end_amdhsa_kernel
	.section	.text._ZN7rocprim17ROCPRIM_400000_NS6detail17trampoline_kernelINS0_14default_configENS1_22reduce_config_selectorIjEEZNS1_11reduce_implILb1ES3_PjS7_j9plus_mod3IjEEE10hipError_tPvRmT1_T2_T3_mT4_P12ihipStream_tbEUlT_E0_NS1_11comp_targetILNS1_3genE10ELNS1_11target_archE1201ELNS1_3gpuE5ELNS1_3repE0EEENS1_30default_config_static_selectorELNS0_4arch9wavefront6targetE1EEEvSD_,"axG",@progbits,_ZN7rocprim17ROCPRIM_400000_NS6detail17trampoline_kernelINS0_14default_configENS1_22reduce_config_selectorIjEEZNS1_11reduce_implILb1ES3_PjS7_j9plus_mod3IjEEE10hipError_tPvRmT1_T2_T3_mT4_P12ihipStream_tbEUlT_E0_NS1_11comp_targetILNS1_3genE10ELNS1_11target_archE1201ELNS1_3gpuE5ELNS1_3repE0EEENS1_30default_config_static_selectorELNS0_4arch9wavefront6targetE1EEEvSD_,comdat
.Lfunc_end808:
	.size	_ZN7rocprim17ROCPRIM_400000_NS6detail17trampoline_kernelINS0_14default_configENS1_22reduce_config_selectorIjEEZNS1_11reduce_implILb1ES3_PjS7_j9plus_mod3IjEEE10hipError_tPvRmT1_T2_T3_mT4_P12ihipStream_tbEUlT_E0_NS1_11comp_targetILNS1_3genE10ELNS1_11target_archE1201ELNS1_3gpuE5ELNS1_3repE0EEENS1_30default_config_static_selectorELNS0_4arch9wavefront6targetE1EEEvSD_, .Lfunc_end808-_ZN7rocprim17ROCPRIM_400000_NS6detail17trampoline_kernelINS0_14default_configENS1_22reduce_config_selectorIjEEZNS1_11reduce_implILb1ES3_PjS7_j9plus_mod3IjEEE10hipError_tPvRmT1_T2_T3_mT4_P12ihipStream_tbEUlT_E0_NS1_11comp_targetILNS1_3genE10ELNS1_11target_archE1201ELNS1_3gpuE5ELNS1_3repE0EEENS1_30default_config_static_selectorELNS0_4arch9wavefront6targetE1EEEvSD_
                                        ; -- End function
	.set _ZN7rocprim17ROCPRIM_400000_NS6detail17trampoline_kernelINS0_14default_configENS1_22reduce_config_selectorIjEEZNS1_11reduce_implILb1ES3_PjS7_j9plus_mod3IjEEE10hipError_tPvRmT1_T2_T3_mT4_P12ihipStream_tbEUlT_E0_NS1_11comp_targetILNS1_3genE10ELNS1_11target_archE1201ELNS1_3gpuE5ELNS1_3repE0EEENS1_30default_config_static_selectorELNS0_4arch9wavefront6targetE1EEEvSD_.num_vgpr, 0
	.set _ZN7rocprim17ROCPRIM_400000_NS6detail17trampoline_kernelINS0_14default_configENS1_22reduce_config_selectorIjEEZNS1_11reduce_implILb1ES3_PjS7_j9plus_mod3IjEEE10hipError_tPvRmT1_T2_T3_mT4_P12ihipStream_tbEUlT_E0_NS1_11comp_targetILNS1_3genE10ELNS1_11target_archE1201ELNS1_3gpuE5ELNS1_3repE0EEENS1_30default_config_static_selectorELNS0_4arch9wavefront6targetE1EEEvSD_.num_agpr, 0
	.set _ZN7rocprim17ROCPRIM_400000_NS6detail17trampoline_kernelINS0_14default_configENS1_22reduce_config_selectorIjEEZNS1_11reduce_implILb1ES3_PjS7_j9plus_mod3IjEEE10hipError_tPvRmT1_T2_T3_mT4_P12ihipStream_tbEUlT_E0_NS1_11comp_targetILNS1_3genE10ELNS1_11target_archE1201ELNS1_3gpuE5ELNS1_3repE0EEENS1_30default_config_static_selectorELNS0_4arch9wavefront6targetE1EEEvSD_.numbered_sgpr, 0
	.set _ZN7rocprim17ROCPRIM_400000_NS6detail17trampoline_kernelINS0_14default_configENS1_22reduce_config_selectorIjEEZNS1_11reduce_implILb1ES3_PjS7_j9plus_mod3IjEEE10hipError_tPvRmT1_T2_T3_mT4_P12ihipStream_tbEUlT_E0_NS1_11comp_targetILNS1_3genE10ELNS1_11target_archE1201ELNS1_3gpuE5ELNS1_3repE0EEENS1_30default_config_static_selectorELNS0_4arch9wavefront6targetE1EEEvSD_.num_named_barrier, 0
	.set _ZN7rocprim17ROCPRIM_400000_NS6detail17trampoline_kernelINS0_14default_configENS1_22reduce_config_selectorIjEEZNS1_11reduce_implILb1ES3_PjS7_j9plus_mod3IjEEE10hipError_tPvRmT1_T2_T3_mT4_P12ihipStream_tbEUlT_E0_NS1_11comp_targetILNS1_3genE10ELNS1_11target_archE1201ELNS1_3gpuE5ELNS1_3repE0EEENS1_30default_config_static_selectorELNS0_4arch9wavefront6targetE1EEEvSD_.private_seg_size, 0
	.set _ZN7rocprim17ROCPRIM_400000_NS6detail17trampoline_kernelINS0_14default_configENS1_22reduce_config_selectorIjEEZNS1_11reduce_implILb1ES3_PjS7_j9plus_mod3IjEEE10hipError_tPvRmT1_T2_T3_mT4_P12ihipStream_tbEUlT_E0_NS1_11comp_targetILNS1_3genE10ELNS1_11target_archE1201ELNS1_3gpuE5ELNS1_3repE0EEENS1_30default_config_static_selectorELNS0_4arch9wavefront6targetE1EEEvSD_.uses_vcc, 0
	.set _ZN7rocprim17ROCPRIM_400000_NS6detail17trampoline_kernelINS0_14default_configENS1_22reduce_config_selectorIjEEZNS1_11reduce_implILb1ES3_PjS7_j9plus_mod3IjEEE10hipError_tPvRmT1_T2_T3_mT4_P12ihipStream_tbEUlT_E0_NS1_11comp_targetILNS1_3genE10ELNS1_11target_archE1201ELNS1_3gpuE5ELNS1_3repE0EEENS1_30default_config_static_selectorELNS0_4arch9wavefront6targetE1EEEvSD_.uses_flat_scratch, 0
	.set _ZN7rocprim17ROCPRIM_400000_NS6detail17trampoline_kernelINS0_14default_configENS1_22reduce_config_selectorIjEEZNS1_11reduce_implILb1ES3_PjS7_j9plus_mod3IjEEE10hipError_tPvRmT1_T2_T3_mT4_P12ihipStream_tbEUlT_E0_NS1_11comp_targetILNS1_3genE10ELNS1_11target_archE1201ELNS1_3gpuE5ELNS1_3repE0EEENS1_30default_config_static_selectorELNS0_4arch9wavefront6targetE1EEEvSD_.has_dyn_sized_stack, 0
	.set _ZN7rocprim17ROCPRIM_400000_NS6detail17trampoline_kernelINS0_14default_configENS1_22reduce_config_selectorIjEEZNS1_11reduce_implILb1ES3_PjS7_j9plus_mod3IjEEE10hipError_tPvRmT1_T2_T3_mT4_P12ihipStream_tbEUlT_E0_NS1_11comp_targetILNS1_3genE10ELNS1_11target_archE1201ELNS1_3gpuE5ELNS1_3repE0EEENS1_30default_config_static_selectorELNS0_4arch9wavefront6targetE1EEEvSD_.has_recursion, 0
	.set _ZN7rocprim17ROCPRIM_400000_NS6detail17trampoline_kernelINS0_14default_configENS1_22reduce_config_selectorIjEEZNS1_11reduce_implILb1ES3_PjS7_j9plus_mod3IjEEE10hipError_tPvRmT1_T2_T3_mT4_P12ihipStream_tbEUlT_E0_NS1_11comp_targetILNS1_3genE10ELNS1_11target_archE1201ELNS1_3gpuE5ELNS1_3repE0EEENS1_30default_config_static_selectorELNS0_4arch9wavefront6targetE1EEEvSD_.has_indirect_call, 0
	.section	.AMDGPU.csdata,"",@progbits
; Kernel info:
; codeLenInByte = 0
; TotalNumSgprs: 6
; NumVgprs: 0
; NumAgprs: 0
; TotalNumVgprs: 0
; ScratchSize: 0
; MemoryBound: 0
; FloatMode: 240
; IeeeMode: 1
; LDSByteSize: 0 bytes/workgroup (compile time only)
; SGPRBlocks: 0
; VGPRBlocks: 0
; NumSGPRsForWavesPerEU: 6
; NumVGPRsForWavesPerEU: 1
; AccumOffset: 4
; Occupancy: 8
; WaveLimiterHint : 0
; COMPUTE_PGM_RSRC2:SCRATCH_EN: 0
; COMPUTE_PGM_RSRC2:USER_SGPR: 2
; COMPUTE_PGM_RSRC2:TRAP_HANDLER: 0
; COMPUTE_PGM_RSRC2:TGID_X_EN: 1
; COMPUTE_PGM_RSRC2:TGID_Y_EN: 0
; COMPUTE_PGM_RSRC2:TGID_Z_EN: 0
; COMPUTE_PGM_RSRC2:TIDIG_COMP_CNT: 0
; COMPUTE_PGM_RSRC3_GFX90A:ACCUM_OFFSET: 0
; COMPUTE_PGM_RSRC3_GFX90A:TG_SPLIT: 0
	.section	.text._ZN7rocprim17ROCPRIM_400000_NS6detail17trampoline_kernelINS0_14default_configENS1_22reduce_config_selectorIjEEZNS1_11reduce_implILb1ES3_PjS7_j9plus_mod3IjEEE10hipError_tPvRmT1_T2_T3_mT4_P12ihipStream_tbEUlT_E0_NS1_11comp_targetILNS1_3genE10ELNS1_11target_archE1200ELNS1_3gpuE4ELNS1_3repE0EEENS1_30default_config_static_selectorELNS0_4arch9wavefront6targetE1EEEvSD_,"axG",@progbits,_ZN7rocprim17ROCPRIM_400000_NS6detail17trampoline_kernelINS0_14default_configENS1_22reduce_config_selectorIjEEZNS1_11reduce_implILb1ES3_PjS7_j9plus_mod3IjEEE10hipError_tPvRmT1_T2_T3_mT4_P12ihipStream_tbEUlT_E0_NS1_11comp_targetILNS1_3genE10ELNS1_11target_archE1200ELNS1_3gpuE4ELNS1_3repE0EEENS1_30default_config_static_selectorELNS0_4arch9wavefront6targetE1EEEvSD_,comdat
	.protected	_ZN7rocprim17ROCPRIM_400000_NS6detail17trampoline_kernelINS0_14default_configENS1_22reduce_config_selectorIjEEZNS1_11reduce_implILb1ES3_PjS7_j9plus_mod3IjEEE10hipError_tPvRmT1_T2_T3_mT4_P12ihipStream_tbEUlT_E0_NS1_11comp_targetILNS1_3genE10ELNS1_11target_archE1200ELNS1_3gpuE4ELNS1_3repE0EEENS1_30default_config_static_selectorELNS0_4arch9wavefront6targetE1EEEvSD_ ; -- Begin function _ZN7rocprim17ROCPRIM_400000_NS6detail17trampoline_kernelINS0_14default_configENS1_22reduce_config_selectorIjEEZNS1_11reduce_implILb1ES3_PjS7_j9plus_mod3IjEEE10hipError_tPvRmT1_T2_T3_mT4_P12ihipStream_tbEUlT_E0_NS1_11comp_targetILNS1_3genE10ELNS1_11target_archE1200ELNS1_3gpuE4ELNS1_3repE0EEENS1_30default_config_static_selectorELNS0_4arch9wavefront6targetE1EEEvSD_
	.globl	_ZN7rocprim17ROCPRIM_400000_NS6detail17trampoline_kernelINS0_14default_configENS1_22reduce_config_selectorIjEEZNS1_11reduce_implILb1ES3_PjS7_j9plus_mod3IjEEE10hipError_tPvRmT1_T2_T3_mT4_P12ihipStream_tbEUlT_E0_NS1_11comp_targetILNS1_3genE10ELNS1_11target_archE1200ELNS1_3gpuE4ELNS1_3repE0EEENS1_30default_config_static_selectorELNS0_4arch9wavefront6targetE1EEEvSD_
	.p2align	8
	.type	_ZN7rocprim17ROCPRIM_400000_NS6detail17trampoline_kernelINS0_14default_configENS1_22reduce_config_selectorIjEEZNS1_11reduce_implILb1ES3_PjS7_j9plus_mod3IjEEE10hipError_tPvRmT1_T2_T3_mT4_P12ihipStream_tbEUlT_E0_NS1_11comp_targetILNS1_3genE10ELNS1_11target_archE1200ELNS1_3gpuE4ELNS1_3repE0EEENS1_30default_config_static_selectorELNS0_4arch9wavefront6targetE1EEEvSD_,@function
_ZN7rocprim17ROCPRIM_400000_NS6detail17trampoline_kernelINS0_14default_configENS1_22reduce_config_selectorIjEEZNS1_11reduce_implILb1ES3_PjS7_j9plus_mod3IjEEE10hipError_tPvRmT1_T2_T3_mT4_P12ihipStream_tbEUlT_E0_NS1_11comp_targetILNS1_3genE10ELNS1_11target_archE1200ELNS1_3gpuE4ELNS1_3repE0EEENS1_30default_config_static_selectorELNS0_4arch9wavefront6targetE1EEEvSD_: ; @_ZN7rocprim17ROCPRIM_400000_NS6detail17trampoline_kernelINS0_14default_configENS1_22reduce_config_selectorIjEEZNS1_11reduce_implILb1ES3_PjS7_j9plus_mod3IjEEE10hipError_tPvRmT1_T2_T3_mT4_P12ihipStream_tbEUlT_E0_NS1_11comp_targetILNS1_3genE10ELNS1_11target_archE1200ELNS1_3gpuE4ELNS1_3repE0EEENS1_30default_config_static_selectorELNS0_4arch9wavefront6targetE1EEEvSD_
; %bb.0:
	.section	.rodata,"a",@progbits
	.p2align	6, 0x0
	.amdhsa_kernel _ZN7rocprim17ROCPRIM_400000_NS6detail17trampoline_kernelINS0_14default_configENS1_22reduce_config_selectorIjEEZNS1_11reduce_implILb1ES3_PjS7_j9plus_mod3IjEEE10hipError_tPvRmT1_T2_T3_mT4_P12ihipStream_tbEUlT_E0_NS1_11comp_targetILNS1_3genE10ELNS1_11target_archE1200ELNS1_3gpuE4ELNS1_3repE0EEENS1_30default_config_static_selectorELNS0_4arch9wavefront6targetE1EEEvSD_
		.amdhsa_group_segment_fixed_size 0
		.amdhsa_private_segment_fixed_size 0
		.amdhsa_kernarg_size 64
		.amdhsa_user_sgpr_count 2
		.amdhsa_user_sgpr_dispatch_ptr 0
		.amdhsa_user_sgpr_queue_ptr 0
		.amdhsa_user_sgpr_kernarg_segment_ptr 1
		.amdhsa_user_sgpr_dispatch_id 0
		.amdhsa_user_sgpr_kernarg_preload_length 0
		.amdhsa_user_sgpr_kernarg_preload_offset 0
		.amdhsa_user_sgpr_private_segment_size 0
		.amdhsa_uses_dynamic_stack 0
		.amdhsa_enable_private_segment 0
		.amdhsa_system_sgpr_workgroup_id_x 1
		.amdhsa_system_sgpr_workgroup_id_y 0
		.amdhsa_system_sgpr_workgroup_id_z 0
		.amdhsa_system_sgpr_workgroup_info 0
		.amdhsa_system_vgpr_workitem_id 0
		.amdhsa_next_free_vgpr 1
		.amdhsa_next_free_sgpr 0
		.amdhsa_accum_offset 4
		.amdhsa_reserve_vcc 0
		.amdhsa_float_round_mode_32 0
		.amdhsa_float_round_mode_16_64 0
		.amdhsa_float_denorm_mode_32 3
		.amdhsa_float_denorm_mode_16_64 3
		.amdhsa_dx10_clamp 1
		.amdhsa_ieee_mode 1
		.amdhsa_fp16_overflow 0
		.amdhsa_tg_split 0
		.amdhsa_exception_fp_ieee_invalid_op 0
		.amdhsa_exception_fp_denorm_src 0
		.amdhsa_exception_fp_ieee_div_zero 0
		.amdhsa_exception_fp_ieee_overflow 0
		.amdhsa_exception_fp_ieee_underflow 0
		.amdhsa_exception_fp_ieee_inexact 0
		.amdhsa_exception_int_div_zero 0
	.end_amdhsa_kernel
	.section	.text._ZN7rocprim17ROCPRIM_400000_NS6detail17trampoline_kernelINS0_14default_configENS1_22reduce_config_selectorIjEEZNS1_11reduce_implILb1ES3_PjS7_j9plus_mod3IjEEE10hipError_tPvRmT1_T2_T3_mT4_P12ihipStream_tbEUlT_E0_NS1_11comp_targetILNS1_3genE10ELNS1_11target_archE1200ELNS1_3gpuE4ELNS1_3repE0EEENS1_30default_config_static_selectorELNS0_4arch9wavefront6targetE1EEEvSD_,"axG",@progbits,_ZN7rocprim17ROCPRIM_400000_NS6detail17trampoline_kernelINS0_14default_configENS1_22reduce_config_selectorIjEEZNS1_11reduce_implILb1ES3_PjS7_j9plus_mod3IjEEE10hipError_tPvRmT1_T2_T3_mT4_P12ihipStream_tbEUlT_E0_NS1_11comp_targetILNS1_3genE10ELNS1_11target_archE1200ELNS1_3gpuE4ELNS1_3repE0EEENS1_30default_config_static_selectorELNS0_4arch9wavefront6targetE1EEEvSD_,comdat
.Lfunc_end809:
	.size	_ZN7rocprim17ROCPRIM_400000_NS6detail17trampoline_kernelINS0_14default_configENS1_22reduce_config_selectorIjEEZNS1_11reduce_implILb1ES3_PjS7_j9plus_mod3IjEEE10hipError_tPvRmT1_T2_T3_mT4_P12ihipStream_tbEUlT_E0_NS1_11comp_targetILNS1_3genE10ELNS1_11target_archE1200ELNS1_3gpuE4ELNS1_3repE0EEENS1_30default_config_static_selectorELNS0_4arch9wavefront6targetE1EEEvSD_, .Lfunc_end809-_ZN7rocprim17ROCPRIM_400000_NS6detail17trampoline_kernelINS0_14default_configENS1_22reduce_config_selectorIjEEZNS1_11reduce_implILb1ES3_PjS7_j9plus_mod3IjEEE10hipError_tPvRmT1_T2_T3_mT4_P12ihipStream_tbEUlT_E0_NS1_11comp_targetILNS1_3genE10ELNS1_11target_archE1200ELNS1_3gpuE4ELNS1_3repE0EEENS1_30default_config_static_selectorELNS0_4arch9wavefront6targetE1EEEvSD_
                                        ; -- End function
	.set _ZN7rocprim17ROCPRIM_400000_NS6detail17trampoline_kernelINS0_14default_configENS1_22reduce_config_selectorIjEEZNS1_11reduce_implILb1ES3_PjS7_j9plus_mod3IjEEE10hipError_tPvRmT1_T2_T3_mT4_P12ihipStream_tbEUlT_E0_NS1_11comp_targetILNS1_3genE10ELNS1_11target_archE1200ELNS1_3gpuE4ELNS1_3repE0EEENS1_30default_config_static_selectorELNS0_4arch9wavefront6targetE1EEEvSD_.num_vgpr, 0
	.set _ZN7rocprim17ROCPRIM_400000_NS6detail17trampoline_kernelINS0_14default_configENS1_22reduce_config_selectorIjEEZNS1_11reduce_implILb1ES3_PjS7_j9plus_mod3IjEEE10hipError_tPvRmT1_T2_T3_mT4_P12ihipStream_tbEUlT_E0_NS1_11comp_targetILNS1_3genE10ELNS1_11target_archE1200ELNS1_3gpuE4ELNS1_3repE0EEENS1_30default_config_static_selectorELNS0_4arch9wavefront6targetE1EEEvSD_.num_agpr, 0
	.set _ZN7rocprim17ROCPRIM_400000_NS6detail17trampoline_kernelINS0_14default_configENS1_22reduce_config_selectorIjEEZNS1_11reduce_implILb1ES3_PjS7_j9plus_mod3IjEEE10hipError_tPvRmT1_T2_T3_mT4_P12ihipStream_tbEUlT_E0_NS1_11comp_targetILNS1_3genE10ELNS1_11target_archE1200ELNS1_3gpuE4ELNS1_3repE0EEENS1_30default_config_static_selectorELNS0_4arch9wavefront6targetE1EEEvSD_.numbered_sgpr, 0
	.set _ZN7rocprim17ROCPRIM_400000_NS6detail17trampoline_kernelINS0_14default_configENS1_22reduce_config_selectorIjEEZNS1_11reduce_implILb1ES3_PjS7_j9plus_mod3IjEEE10hipError_tPvRmT1_T2_T3_mT4_P12ihipStream_tbEUlT_E0_NS1_11comp_targetILNS1_3genE10ELNS1_11target_archE1200ELNS1_3gpuE4ELNS1_3repE0EEENS1_30default_config_static_selectorELNS0_4arch9wavefront6targetE1EEEvSD_.num_named_barrier, 0
	.set _ZN7rocprim17ROCPRIM_400000_NS6detail17trampoline_kernelINS0_14default_configENS1_22reduce_config_selectorIjEEZNS1_11reduce_implILb1ES3_PjS7_j9plus_mod3IjEEE10hipError_tPvRmT1_T2_T3_mT4_P12ihipStream_tbEUlT_E0_NS1_11comp_targetILNS1_3genE10ELNS1_11target_archE1200ELNS1_3gpuE4ELNS1_3repE0EEENS1_30default_config_static_selectorELNS0_4arch9wavefront6targetE1EEEvSD_.private_seg_size, 0
	.set _ZN7rocprim17ROCPRIM_400000_NS6detail17trampoline_kernelINS0_14default_configENS1_22reduce_config_selectorIjEEZNS1_11reduce_implILb1ES3_PjS7_j9plus_mod3IjEEE10hipError_tPvRmT1_T2_T3_mT4_P12ihipStream_tbEUlT_E0_NS1_11comp_targetILNS1_3genE10ELNS1_11target_archE1200ELNS1_3gpuE4ELNS1_3repE0EEENS1_30default_config_static_selectorELNS0_4arch9wavefront6targetE1EEEvSD_.uses_vcc, 0
	.set _ZN7rocprim17ROCPRIM_400000_NS6detail17trampoline_kernelINS0_14default_configENS1_22reduce_config_selectorIjEEZNS1_11reduce_implILb1ES3_PjS7_j9plus_mod3IjEEE10hipError_tPvRmT1_T2_T3_mT4_P12ihipStream_tbEUlT_E0_NS1_11comp_targetILNS1_3genE10ELNS1_11target_archE1200ELNS1_3gpuE4ELNS1_3repE0EEENS1_30default_config_static_selectorELNS0_4arch9wavefront6targetE1EEEvSD_.uses_flat_scratch, 0
	.set _ZN7rocprim17ROCPRIM_400000_NS6detail17trampoline_kernelINS0_14default_configENS1_22reduce_config_selectorIjEEZNS1_11reduce_implILb1ES3_PjS7_j9plus_mod3IjEEE10hipError_tPvRmT1_T2_T3_mT4_P12ihipStream_tbEUlT_E0_NS1_11comp_targetILNS1_3genE10ELNS1_11target_archE1200ELNS1_3gpuE4ELNS1_3repE0EEENS1_30default_config_static_selectorELNS0_4arch9wavefront6targetE1EEEvSD_.has_dyn_sized_stack, 0
	.set _ZN7rocprim17ROCPRIM_400000_NS6detail17trampoline_kernelINS0_14default_configENS1_22reduce_config_selectorIjEEZNS1_11reduce_implILb1ES3_PjS7_j9plus_mod3IjEEE10hipError_tPvRmT1_T2_T3_mT4_P12ihipStream_tbEUlT_E0_NS1_11comp_targetILNS1_3genE10ELNS1_11target_archE1200ELNS1_3gpuE4ELNS1_3repE0EEENS1_30default_config_static_selectorELNS0_4arch9wavefront6targetE1EEEvSD_.has_recursion, 0
	.set _ZN7rocprim17ROCPRIM_400000_NS6detail17trampoline_kernelINS0_14default_configENS1_22reduce_config_selectorIjEEZNS1_11reduce_implILb1ES3_PjS7_j9plus_mod3IjEEE10hipError_tPvRmT1_T2_T3_mT4_P12ihipStream_tbEUlT_E0_NS1_11comp_targetILNS1_3genE10ELNS1_11target_archE1200ELNS1_3gpuE4ELNS1_3repE0EEENS1_30default_config_static_selectorELNS0_4arch9wavefront6targetE1EEEvSD_.has_indirect_call, 0
	.section	.AMDGPU.csdata,"",@progbits
; Kernel info:
; codeLenInByte = 0
; TotalNumSgprs: 6
; NumVgprs: 0
; NumAgprs: 0
; TotalNumVgprs: 0
; ScratchSize: 0
; MemoryBound: 0
; FloatMode: 240
; IeeeMode: 1
; LDSByteSize: 0 bytes/workgroup (compile time only)
; SGPRBlocks: 0
; VGPRBlocks: 0
; NumSGPRsForWavesPerEU: 6
; NumVGPRsForWavesPerEU: 1
; AccumOffset: 4
; Occupancy: 8
; WaveLimiterHint : 0
; COMPUTE_PGM_RSRC2:SCRATCH_EN: 0
; COMPUTE_PGM_RSRC2:USER_SGPR: 2
; COMPUTE_PGM_RSRC2:TRAP_HANDLER: 0
; COMPUTE_PGM_RSRC2:TGID_X_EN: 1
; COMPUTE_PGM_RSRC2:TGID_Y_EN: 0
; COMPUTE_PGM_RSRC2:TGID_Z_EN: 0
; COMPUTE_PGM_RSRC2:TIDIG_COMP_CNT: 0
; COMPUTE_PGM_RSRC3_GFX90A:ACCUM_OFFSET: 0
; COMPUTE_PGM_RSRC3_GFX90A:TG_SPLIT: 0
	.section	.text._ZN7rocprim17ROCPRIM_400000_NS6detail17trampoline_kernelINS0_14default_configENS1_22reduce_config_selectorIjEEZNS1_11reduce_implILb1ES3_PjS7_j9plus_mod3IjEEE10hipError_tPvRmT1_T2_T3_mT4_P12ihipStream_tbEUlT_E0_NS1_11comp_targetILNS1_3genE9ELNS1_11target_archE1100ELNS1_3gpuE3ELNS1_3repE0EEENS1_30default_config_static_selectorELNS0_4arch9wavefront6targetE1EEEvSD_,"axG",@progbits,_ZN7rocprim17ROCPRIM_400000_NS6detail17trampoline_kernelINS0_14default_configENS1_22reduce_config_selectorIjEEZNS1_11reduce_implILb1ES3_PjS7_j9plus_mod3IjEEE10hipError_tPvRmT1_T2_T3_mT4_P12ihipStream_tbEUlT_E0_NS1_11comp_targetILNS1_3genE9ELNS1_11target_archE1100ELNS1_3gpuE3ELNS1_3repE0EEENS1_30default_config_static_selectorELNS0_4arch9wavefront6targetE1EEEvSD_,comdat
	.protected	_ZN7rocprim17ROCPRIM_400000_NS6detail17trampoline_kernelINS0_14default_configENS1_22reduce_config_selectorIjEEZNS1_11reduce_implILb1ES3_PjS7_j9plus_mod3IjEEE10hipError_tPvRmT1_T2_T3_mT4_P12ihipStream_tbEUlT_E0_NS1_11comp_targetILNS1_3genE9ELNS1_11target_archE1100ELNS1_3gpuE3ELNS1_3repE0EEENS1_30default_config_static_selectorELNS0_4arch9wavefront6targetE1EEEvSD_ ; -- Begin function _ZN7rocprim17ROCPRIM_400000_NS6detail17trampoline_kernelINS0_14default_configENS1_22reduce_config_selectorIjEEZNS1_11reduce_implILb1ES3_PjS7_j9plus_mod3IjEEE10hipError_tPvRmT1_T2_T3_mT4_P12ihipStream_tbEUlT_E0_NS1_11comp_targetILNS1_3genE9ELNS1_11target_archE1100ELNS1_3gpuE3ELNS1_3repE0EEENS1_30default_config_static_selectorELNS0_4arch9wavefront6targetE1EEEvSD_
	.globl	_ZN7rocprim17ROCPRIM_400000_NS6detail17trampoline_kernelINS0_14default_configENS1_22reduce_config_selectorIjEEZNS1_11reduce_implILb1ES3_PjS7_j9plus_mod3IjEEE10hipError_tPvRmT1_T2_T3_mT4_P12ihipStream_tbEUlT_E0_NS1_11comp_targetILNS1_3genE9ELNS1_11target_archE1100ELNS1_3gpuE3ELNS1_3repE0EEENS1_30default_config_static_selectorELNS0_4arch9wavefront6targetE1EEEvSD_
	.p2align	8
	.type	_ZN7rocprim17ROCPRIM_400000_NS6detail17trampoline_kernelINS0_14default_configENS1_22reduce_config_selectorIjEEZNS1_11reduce_implILb1ES3_PjS7_j9plus_mod3IjEEE10hipError_tPvRmT1_T2_T3_mT4_P12ihipStream_tbEUlT_E0_NS1_11comp_targetILNS1_3genE9ELNS1_11target_archE1100ELNS1_3gpuE3ELNS1_3repE0EEENS1_30default_config_static_selectorELNS0_4arch9wavefront6targetE1EEEvSD_,@function
_ZN7rocprim17ROCPRIM_400000_NS6detail17trampoline_kernelINS0_14default_configENS1_22reduce_config_selectorIjEEZNS1_11reduce_implILb1ES3_PjS7_j9plus_mod3IjEEE10hipError_tPvRmT1_T2_T3_mT4_P12ihipStream_tbEUlT_E0_NS1_11comp_targetILNS1_3genE9ELNS1_11target_archE1100ELNS1_3gpuE3ELNS1_3repE0EEENS1_30default_config_static_selectorELNS0_4arch9wavefront6targetE1EEEvSD_: ; @_ZN7rocprim17ROCPRIM_400000_NS6detail17trampoline_kernelINS0_14default_configENS1_22reduce_config_selectorIjEEZNS1_11reduce_implILb1ES3_PjS7_j9plus_mod3IjEEE10hipError_tPvRmT1_T2_T3_mT4_P12ihipStream_tbEUlT_E0_NS1_11comp_targetILNS1_3genE9ELNS1_11target_archE1100ELNS1_3gpuE3ELNS1_3repE0EEENS1_30default_config_static_selectorELNS0_4arch9wavefront6targetE1EEEvSD_
; %bb.0:
	.section	.rodata,"a",@progbits
	.p2align	6, 0x0
	.amdhsa_kernel _ZN7rocprim17ROCPRIM_400000_NS6detail17trampoline_kernelINS0_14default_configENS1_22reduce_config_selectorIjEEZNS1_11reduce_implILb1ES3_PjS7_j9plus_mod3IjEEE10hipError_tPvRmT1_T2_T3_mT4_P12ihipStream_tbEUlT_E0_NS1_11comp_targetILNS1_3genE9ELNS1_11target_archE1100ELNS1_3gpuE3ELNS1_3repE0EEENS1_30default_config_static_selectorELNS0_4arch9wavefront6targetE1EEEvSD_
		.amdhsa_group_segment_fixed_size 0
		.amdhsa_private_segment_fixed_size 0
		.amdhsa_kernarg_size 64
		.amdhsa_user_sgpr_count 2
		.amdhsa_user_sgpr_dispatch_ptr 0
		.amdhsa_user_sgpr_queue_ptr 0
		.amdhsa_user_sgpr_kernarg_segment_ptr 1
		.amdhsa_user_sgpr_dispatch_id 0
		.amdhsa_user_sgpr_kernarg_preload_length 0
		.amdhsa_user_sgpr_kernarg_preload_offset 0
		.amdhsa_user_sgpr_private_segment_size 0
		.amdhsa_uses_dynamic_stack 0
		.amdhsa_enable_private_segment 0
		.amdhsa_system_sgpr_workgroup_id_x 1
		.amdhsa_system_sgpr_workgroup_id_y 0
		.amdhsa_system_sgpr_workgroup_id_z 0
		.amdhsa_system_sgpr_workgroup_info 0
		.amdhsa_system_vgpr_workitem_id 0
		.amdhsa_next_free_vgpr 1
		.amdhsa_next_free_sgpr 0
		.amdhsa_accum_offset 4
		.amdhsa_reserve_vcc 0
		.amdhsa_float_round_mode_32 0
		.amdhsa_float_round_mode_16_64 0
		.amdhsa_float_denorm_mode_32 3
		.amdhsa_float_denorm_mode_16_64 3
		.amdhsa_dx10_clamp 1
		.amdhsa_ieee_mode 1
		.amdhsa_fp16_overflow 0
		.amdhsa_tg_split 0
		.amdhsa_exception_fp_ieee_invalid_op 0
		.amdhsa_exception_fp_denorm_src 0
		.amdhsa_exception_fp_ieee_div_zero 0
		.amdhsa_exception_fp_ieee_overflow 0
		.amdhsa_exception_fp_ieee_underflow 0
		.amdhsa_exception_fp_ieee_inexact 0
		.amdhsa_exception_int_div_zero 0
	.end_amdhsa_kernel
	.section	.text._ZN7rocprim17ROCPRIM_400000_NS6detail17trampoline_kernelINS0_14default_configENS1_22reduce_config_selectorIjEEZNS1_11reduce_implILb1ES3_PjS7_j9plus_mod3IjEEE10hipError_tPvRmT1_T2_T3_mT4_P12ihipStream_tbEUlT_E0_NS1_11comp_targetILNS1_3genE9ELNS1_11target_archE1100ELNS1_3gpuE3ELNS1_3repE0EEENS1_30default_config_static_selectorELNS0_4arch9wavefront6targetE1EEEvSD_,"axG",@progbits,_ZN7rocprim17ROCPRIM_400000_NS6detail17trampoline_kernelINS0_14default_configENS1_22reduce_config_selectorIjEEZNS1_11reduce_implILb1ES3_PjS7_j9plus_mod3IjEEE10hipError_tPvRmT1_T2_T3_mT4_P12ihipStream_tbEUlT_E0_NS1_11comp_targetILNS1_3genE9ELNS1_11target_archE1100ELNS1_3gpuE3ELNS1_3repE0EEENS1_30default_config_static_selectorELNS0_4arch9wavefront6targetE1EEEvSD_,comdat
.Lfunc_end810:
	.size	_ZN7rocprim17ROCPRIM_400000_NS6detail17trampoline_kernelINS0_14default_configENS1_22reduce_config_selectorIjEEZNS1_11reduce_implILb1ES3_PjS7_j9plus_mod3IjEEE10hipError_tPvRmT1_T2_T3_mT4_P12ihipStream_tbEUlT_E0_NS1_11comp_targetILNS1_3genE9ELNS1_11target_archE1100ELNS1_3gpuE3ELNS1_3repE0EEENS1_30default_config_static_selectorELNS0_4arch9wavefront6targetE1EEEvSD_, .Lfunc_end810-_ZN7rocprim17ROCPRIM_400000_NS6detail17trampoline_kernelINS0_14default_configENS1_22reduce_config_selectorIjEEZNS1_11reduce_implILb1ES3_PjS7_j9plus_mod3IjEEE10hipError_tPvRmT1_T2_T3_mT4_P12ihipStream_tbEUlT_E0_NS1_11comp_targetILNS1_3genE9ELNS1_11target_archE1100ELNS1_3gpuE3ELNS1_3repE0EEENS1_30default_config_static_selectorELNS0_4arch9wavefront6targetE1EEEvSD_
                                        ; -- End function
	.set _ZN7rocprim17ROCPRIM_400000_NS6detail17trampoline_kernelINS0_14default_configENS1_22reduce_config_selectorIjEEZNS1_11reduce_implILb1ES3_PjS7_j9plus_mod3IjEEE10hipError_tPvRmT1_T2_T3_mT4_P12ihipStream_tbEUlT_E0_NS1_11comp_targetILNS1_3genE9ELNS1_11target_archE1100ELNS1_3gpuE3ELNS1_3repE0EEENS1_30default_config_static_selectorELNS0_4arch9wavefront6targetE1EEEvSD_.num_vgpr, 0
	.set _ZN7rocprim17ROCPRIM_400000_NS6detail17trampoline_kernelINS0_14default_configENS1_22reduce_config_selectorIjEEZNS1_11reduce_implILb1ES3_PjS7_j9plus_mod3IjEEE10hipError_tPvRmT1_T2_T3_mT4_P12ihipStream_tbEUlT_E0_NS1_11comp_targetILNS1_3genE9ELNS1_11target_archE1100ELNS1_3gpuE3ELNS1_3repE0EEENS1_30default_config_static_selectorELNS0_4arch9wavefront6targetE1EEEvSD_.num_agpr, 0
	.set _ZN7rocprim17ROCPRIM_400000_NS6detail17trampoline_kernelINS0_14default_configENS1_22reduce_config_selectorIjEEZNS1_11reduce_implILb1ES3_PjS7_j9plus_mod3IjEEE10hipError_tPvRmT1_T2_T3_mT4_P12ihipStream_tbEUlT_E0_NS1_11comp_targetILNS1_3genE9ELNS1_11target_archE1100ELNS1_3gpuE3ELNS1_3repE0EEENS1_30default_config_static_selectorELNS0_4arch9wavefront6targetE1EEEvSD_.numbered_sgpr, 0
	.set _ZN7rocprim17ROCPRIM_400000_NS6detail17trampoline_kernelINS0_14default_configENS1_22reduce_config_selectorIjEEZNS1_11reduce_implILb1ES3_PjS7_j9plus_mod3IjEEE10hipError_tPvRmT1_T2_T3_mT4_P12ihipStream_tbEUlT_E0_NS1_11comp_targetILNS1_3genE9ELNS1_11target_archE1100ELNS1_3gpuE3ELNS1_3repE0EEENS1_30default_config_static_selectorELNS0_4arch9wavefront6targetE1EEEvSD_.num_named_barrier, 0
	.set _ZN7rocprim17ROCPRIM_400000_NS6detail17trampoline_kernelINS0_14default_configENS1_22reduce_config_selectorIjEEZNS1_11reduce_implILb1ES3_PjS7_j9plus_mod3IjEEE10hipError_tPvRmT1_T2_T3_mT4_P12ihipStream_tbEUlT_E0_NS1_11comp_targetILNS1_3genE9ELNS1_11target_archE1100ELNS1_3gpuE3ELNS1_3repE0EEENS1_30default_config_static_selectorELNS0_4arch9wavefront6targetE1EEEvSD_.private_seg_size, 0
	.set _ZN7rocprim17ROCPRIM_400000_NS6detail17trampoline_kernelINS0_14default_configENS1_22reduce_config_selectorIjEEZNS1_11reduce_implILb1ES3_PjS7_j9plus_mod3IjEEE10hipError_tPvRmT1_T2_T3_mT4_P12ihipStream_tbEUlT_E0_NS1_11comp_targetILNS1_3genE9ELNS1_11target_archE1100ELNS1_3gpuE3ELNS1_3repE0EEENS1_30default_config_static_selectorELNS0_4arch9wavefront6targetE1EEEvSD_.uses_vcc, 0
	.set _ZN7rocprim17ROCPRIM_400000_NS6detail17trampoline_kernelINS0_14default_configENS1_22reduce_config_selectorIjEEZNS1_11reduce_implILb1ES3_PjS7_j9plus_mod3IjEEE10hipError_tPvRmT1_T2_T3_mT4_P12ihipStream_tbEUlT_E0_NS1_11comp_targetILNS1_3genE9ELNS1_11target_archE1100ELNS1_3gpuE3ELNS1_3repE0EEENS1_30default_config_static_selectorELNS0_4arch9wavefront6targetE1EEEvSD_.uses_flat_scratch, 0
	.set _ZN7rocprim17ROCPRIM_400000_NS6detail17trampoline_kernelINS0_14default_configENS1_22reduce_config_selectorIjEEZNS1_11reduce_implILb1ES3_PjS7_j9plus_mod3IjEEE10hipError_tPvRmT1_T2_T3_mT4_P12ihipStream_tbEUlT_E0_NS1_11comp_targetILNS1_3genE9ELNS1_11target_archE1100ELNS1_3gpuE3ELNS1_3repE0EEENS1_30default_config_static_selectorELNS0_4arch9wavefront6targetE1EEEvSD_.has_dyn_sized_stack, 0
	.set _ZN7rocprim17ROCPRIM_400000_NS6detail17trampoline_kernelINS0_14default_configENS1_22reduce_config_selectorIjEEZNS1_11reduce_implILb1ES3_PjS7_j9plus_mod3IjEEE10hipError_tPvRmT1_T2_T3_mT4_P12ihipStream_tbEUlT_E0_NS1_11comp_targetILNS1_3genE9ELNS1_11target_archE1100ELNS1_3gpuE3ELNS1_3repE0EEENS1_30default_config_static_selectorELNS0_4arch9wavefront6targetE1EEEvSD_.has_recursion, 0
	.set _ZN7rocprim17ROCPRIM_400000_NS6detail17trampoline_kernelINS0_14default_configENS1_22reduce_config_selectorIjEEZNS1_11reduce_implILb1ES3_PjS7_j9plus_mod3IjEEE10hipError_tPvRmT1_T2_T3_mT4_P12ihipStream_tbEUlT_E0_NS1_11comp_targetILNS1_3genE9ELNS1_11target_archE1100ELNS1_3gpuE3ELNS1_3repE0EEENS1_30default_config_static_selectorELNS0_4arch9wavefront6targetE1EEEvSD_.has_indirect_call, 0
	.section	.AMDGPU.csdata,"",@progbits
; Kernel info:
; codeLenInByte = 0
; TotalNumSgprs: 6
; NumVgprs: 0
; NumAgprs: 0
; TotalNumVgprs: 0
; ScratchSize: 0
; MemoryBound: 0
; FloatMode: 240
; IeeeMode: 1
; LDSByteSize: 0 bytes/workgroup (compile time only)
; SGPRBlocks: 0
; VGPRBlocks: 0
; NumSGPRsForWavesPerEU: 6
; NumVGPRsForWavesPerEU: 1
; AccumOffset: 4
; Occupancy: 8
; WaveLimiterHint : 0
; COMPUTE_PGM_RSRC2:SCRATCH_EN: 0
; COMPUTE_PGM_RSRC2:USER_SGPR: 2
; COMPUTE_PGM_RSRC2:TRAP_HANDLER: 0
; COMPUTE_PGM_RSRC2:TGID_X_EN: 1
; COMPUTE_PGM_RSRC2:TGID_Y_EN: 0
; COMPUTE_PGM_RSRC2:TGID_Z_EN: 0
; COMPUTE_PGM_RSRC2:TIDIG_COMP_CNT: 0
; COMPUTE_PGM_RSRC3_GFX90A:ACCUM_OFFSET: 0
; COMPUTE_PGM_RSRC3_GFX90A:TG_SPLIT: 0
	.section	.text._ZN7rocprim17ROCPRIM_400000_NS6detail17trampoline_kernelINS0_14default_configENS1_22reduce_config_selectorIjEEZNS1_11reduce_implILb1ES3_PjS7_j9plus_mod3IjEEE10hipError_tPvRmT1_T2_T3_mT4_P12ihipStream_tbEUlT_E0_NS1_11comp_targetILNS1_3genE8ELNS1_11target_archE1030ELNS1_3gpuE2ELNS1_3repE0EEENS1_30default_config_static_selectorELNS0_4arch9wavefront6targetE1EEEvSD_,"axG",@progbits,_ZN7rocprim17ROCPRIM_400000_NS6detail17trampoline_kernelINS0_14default_configENS1_22reduce_config_selectorIjEEZNS1_11reduce_implILb1ES3_PjS7_j9plus_mod3IjEEE10hipError_tPvRmT1_T2_T3_mT4_P12ihipStream_tbEUlT_E0_NS1_11comp_targetILNS1_3genE8ELNS1_11target_archE1030ELNS1_3gpuE2ELNS1_3repE0EEENS1_30default_config_static_selectorELNS0_4arch9wavefront6targetE1EEEvSD_,comdat
	.protected	_ZN7rocprim17ROCPRIM_400000_NS6detail17trampoline_kernelINS0_14default_configENS1_22reduce_config_selectorIjEEZNS1_11reduce_implILb1ES3_PjS7_j9plus_mod3IjEEE10hipError_tPvRmT1_T2_T3_mT4_P12ihipStream_tbEUlT_E0_NS1_11comp_targetILNS1_3genE8ELNS1_11target_archE1030ELNS1_3gpuE2ELNS1_3repE0EEENS1_30default_config_static_selectorELNS0_4arch9wavefront6targetE1EEEvSD_ ; -- Begin function _ZN7rocprim17ROCPRIM_400000_NS6detail17trampoline_kernelINS0_14default_configENS1_22reduce_config_selectorIjEEZNS1_11reduce_implILb1ES3_PjS7_j9plus_mod3IjEEE10hipError_tPvRmT1_T2_T3_mT4_P12ihipStream_tbEUlT_E0_NS1_11comp_targetILNS1_3genE8ELNS1_11target_archE1030ELNS1_3gpuE2ELNS1_3repE0EEENS1_30default_config_static_selectorELNS0_4arch9wavefront6targetE1EEEvSD_
	.globl	_ZN7rocprim17ROCPRIM_400000_NS6detail17trampoline_kernelINS0_14default_configENS1_22reduce_config_selectorIjEEZNS1_11reduce_implILb1ES3_PjS7_j9plus_mod3IjEEE10hipError_tPvRmT1_T2_T3_mT4_P12ihipStream_tbEUlT_E0_NS1_11comp_targetILNS1_3genE8ELNS1_11target_archE1030ELNS1_3gpuE2ELNS1_3repE0EEENS1_30default_config_static_selectorELNS0_4arch9wavefront6targetE1EEEvSD_
	.p2align	8
	.type	_ZN7rocprim17ROCPRIM_400000_NS6detail17trampoline_kernelINS0_14default_configENS1_22reduce_config_selectorIjEEZNS1_11reduce_implILb1ES3_PjS7_j9plus_mod3IjEEE10hipError_tPvRmT1_T2_T3_mT4_P12ihipStream_tbEUlT_E0_NS1_11comp_targetILNS1_3genE8ELNS1_11target_archE1030ELNS1_3gpuE2ELNS1_3repE0EEENS1_30default_config_static_selectorELNS0_4arch9wavefront6targetE1EEEvSD_,@function
_ZN7rocprim17ROCPRIM_400000_NS6detail17trampoline_kernelINS0_14default_configENS1_22reduce_config_selectorIjEEZNS1_11reduce_implILb1ES3_PjS7_j9plus_mod3IjEEE10hipError_tPvRmT1_T2_T3_mT4_P12ihipStream_tbEUlT_E0_NS1_11comp_targetILNS1_3genE8ELNS1_11target_archE1030ELNS1_3gpuE2ELNS1_3repE0EEENS1_30default_config_static_selectorELNS0_4arch9wavefront6targetE1EEEvSD_: ; @_ZN7rocprim17ROCPRIM_400000_NS6detail17trampoline_kernelINS0_14default_configENS1_22reduce_config_selectorIjEEZNS1_11reduce_implILb1ES3_PjS7_j9plus_mod3IjEEE10hipError_tPvRmT1_T2_T3_mT4_P12ihipStream_tbEUlT_E0_NS1_11comp_targetILNS1_3genE8ELNS1_11target_archE1030ELNS1_3gpuE2ELNS1_3repE0EEENS1_30default_config_static_selectorELNS0_4arch9wavefront6targetE1EEEvSD_
; %bb.0:
	.section	.rodata,"a",@progbits
	.p2align	6, 0x0
	.amdhsa_kernel _ZN7rocprim17ROCPRIM_400000_NS6detail17trampoline_kernelINS0_14default_configENS1_22reduce_config_selectorIjEEZNS1_11reduce_implILb1ES3_PjS7_j9plus_mod3IjEEE10hipError_tPvRmT1_T2_T3_mT4_P12ihipStream_tbEUlT_E0_NS1_11comp_targetILNS1_3genE8ELNS1_11target_archE1030ELNS1_3gpuE2ELNS1_3repE0EEENS1_30default_config_static_selectorELNS0_4arch9wavefront6targetE1EEEvSD_
		.amdhsa_group_segment_fixed_size 0
		.amdhsa_private_segment_fixed_size 0
		.amdhsa_kernarg_size 64
		.amdhsa_user_sgpr_count 2
		.amdhsa_user_sgpr_dispatch_ptr 0
		.amdhsa_user_sgpr_queue_ptr 0
		.amdhsa_user_sgpr_kernarg_segment_ptr 1
		.amdhsa_user_sgpr_dispatch_id 0
		.amdhsa_user_sgpr_kernarg_preload_length 0
		.amdhsa_user_sgpr_kernarg_preload_offset 0
		.amdhsa_user_sgpr_private_segment_size 0
		.amdhsa_uses_dynamic_stack 0
		.amdhsa_enable_private_segment 0
		.amdhsa_system_sgpr_workgroup_id_x 1
		.amdhsa_system_sgpr_workgroup_id_y 0
		.amdhsa_system_sgpr_workgroup_id_z 0
		.amdhsa_system_sgpr_workgroup_info 0
		.amdhsa_system_vgpr_workitem_id 0
		.amdhsa_next_free_vgpr 1
		.amdhsa_next_free_sgpr 0
		.amdhsa_accum_offset 4
		.amdhsa_reserve_vcc 0
		.amdhsa_float_round_mode_32 0
		.amdhsa_float_round_mode_16_64 0
		.amdhsa_float_denorm_mode_32 3
		.amdhsa_float_denorm_mode_16_64 3
		.amdhsa_dx10_clamp 1
		.amdhsa_ieee_mode 1
		.amdhsa_fp16_overflow 0
		.amdhsa_tg_split 0
		.amdhsa_exception_fp_ieee_invalid_op 0
		.amdhsa_exception_fp_denorm_src 0
		.amdhsa_exception_fp_ieee_div_zero 0
		.amdhsa_exception_fp_ieee_overflow 0
		.amdhsa_exception_fp_ieee_underflow 0
		.amdhsa_exception_fp_ieee_inexact 0
		.amdhsa_exception_int_div_zero 0
	.end_amdhsa_kernel
	.section	.text._ZN7rocprim17ROCPRIM_400000_NS6detail17trampoline_kernelINS0_14default_configENS1_22reduce_config_selectorIjEEZNS1_11reduce_implILb1ES3_PjS7_j9plus_mod3IjEEE10hipError_tPvRmT1_T2_T3_mT4_P12ihipStream_tbEUlT_E0_NS1_11comp_targetILNS1_3genE8ELNS1_11target_archE1030ELNS1_3gpuE2ELNS1_3repE0EEENS1_30default_config_static_selectorELNS0_4arch9wavefront6targetE1EEEvSD_,"axG",@progbits,_ZN7rocprim17ROCPRIM_400000_NS6detail17trampoline_kernelINS0_14default_configENS1_22reduce_config_selectorIjEEZNS1_11reduce_implILb1ES3_PjS7_j9plus_mod3IjEEE10hipError_tPvRmT1_T2_T3_mT4_P12ihipStream_tbEUlT_E0_NS1_11comp_targetILNS1_3genE8ELNS1_11target_archE1030ELNS1_3gpuE2ELNS1_3repE0EEENS1_30default_config_static_selectorELNS0_4arch9wavefront6targetE1EEEvSD_,comdat
.Lfunc_end811:
	.size	_ZN7rocprim17ROCPRIM_400000_NS6detail17trampoline_kernelINS0_14default_configENS1_22reduce_config_selectorIjEEZNS1_11reduce_implILb1ES3_PjS7_j9plus_mod3IjEEE10hipError_tPvRmT1_T2_T3_mT4_P12ihipStream_tbEUlT_E0_NS1_11comp_targetILNS1_3genE8ELNS1_11target_archE1030ELNS1_3gpuE2ELNS1_3repE0EEENS1_30default_config_static_selectorELNS0_4arch9wavefront6targetE1EEEvSD_, .Lfunc_end811-_ZN7rocprim17ROCPRIM_400000_NS6detail17trampoline_kernelINS0_14default_configENS1_22reduce_config_selectorIjEEZNS1_11reduce_implILb1ES3_PjS7_j9plus_mod3IjEEE10hipError_tPvRmT1_T2_T3_mT4_P12ihipStream_tbEUlT_E0_NS1_11comp_targetILNS1_3genE8ELNS1_11target_archE1030ELNS1_3gpuE2ELNS1_3repE0EEENS1_30default_config_static_selectorELNS0_4arch9wavefront6targetE1EEEvSD_
                                        ; -- End function
	.set _ZN7rocprim17ROCPRIM_400000_NS6detail17trampoline_kernelINS0_14default_configENS1_22reduce_config_selectorIjEEZNS1_11reduce_implILb1ES3_PjS7_j9plus_mod3IjEEE10hipError_tPvRmT1_T2_T3_mT4_P12ihipStream_tbEUlT_E0_NS1_11comp_targetILNS1_3genE8ELNS1_11target_archE1030ELNS1_3gpuE2ELNS1_3repE0EEENS1_30default_config_static_selectorELNS0_4arch9wavefront6targetE1EEEvSD_.num_vgpr, 0
	.set _ZN7rocprim17ROCPRIM_400000_NS6detail17trampoline_kernelINS0_14default_configENS1_22reduce_config_selectorIjEEZNS1_11reduce_implILb1ES3_PjS7_j9plus_mod3IjEEE10hipError_tPvRmT1_T2_T3_mT4_P12ihipStream_tbEUlT_E0_NS1_11comp_targetILNS1_3genE8ELNS1_11target_archE1030ELNS1_3gpuE2ELNS1_3repE0EEENS1_30default_config_static_selectorELNS0_4arch9wavefront6targetE1EEEvSD_.num_agpr, 0
	.set _ZN7rocprim17ROCPRIM_400000_NS6detail17trampoline_kernelINS0_14default_configENS1_22reduce_config_selectorIjEEZNS1_11reduce_implILb1ES3_PjS7_j9plus_mod3IjEEE10hipError_tPvRmT1_T2_T3_mT4_P12ihipStream_tbEUlT_E0_NS1_11comp_targetILNS1_3genE8ELNS1_11target_archE1030ELNS1_3gpuE2ELNS1_3repE0EEENS1_30default_config_static_selectorELNS0_4arch9wavefront6targetE1EEEvSD_.numbered_sgpr, 0
	.set _ZN7rocprim17ROCPRIM_400000_NS6detail17trampoline_kernelINS0_14default_configENS1_22reduce_config_selectorIjEEZNS1_11reduce_implILb1ES3_PjS7_j9plus_mod3IjEEE10hipError_tPvRmT1_T2_T3_mT4_P12ihipStream_tbEUlT_E0_NS1_11comp_targetILNS1_3genE8ELNS1_11target_archE1030ELNS1_3gpuE2ELNS1_3repE0EEENS1_30default_config_static_selectorELNS0_4arch9wavefront6targetE1EEEvSD_.num_named_barrier, 0
	.set _ZN7rocprim17ROCPRIM_400000_NS6detail17trampoline_kernelINS0_14default_configENS1_22reduce_config_selectorIjEEZNS1_11reduce_implILb1ES3_PjS7_j9plus_mod3IjEEE10hipError_tPvRmT1_T2_T3_mT4_P12ihipStream_tbEUlT_E0_NS1_11comp_targetILNS1_3genE8ELNS1_11target_archE1030ELNS1_3gpuE2ELNS1_3repE0EEENS1_30default_config_static_selectorELNS0_4arch9wavefront6targetE1EEEvSD_.private_seg_size, 0
	.set _ZN7rocprim17ROCPRIM_400000_NS6detail17trampoline_kernelINS0_14default_configENS1_22reduce_config_selectorIjEEZNS1_11reduce_implILb1ES3_PjS7_j9plus_mod3IjEEE10hipError_tPvRmT1_T2_T3_mT4_P12ihipStream_tbEUlT_E0_NS1_11comp_targetILNS1_3genE8ELNS1_11target_archE1030ELNS1_3gpuE2ELNS1_3repE0EEENS1_30default_config_static_selectorELNS0_4arch9wavefront6targetE1EEEvSD_.uses_vcc, 0
	.set _ZN7rocprim17ROCPRIM_400000_NS6detail17trampoline_kernelINS0_14default_configENS1_22reduce_config_selectorIjEEZNS1_11reduce_implILb1ES3_PjS7_j9plus_mod3IjEEE10hipError_tPvRmT1_T2_T3_mT4_P12ihipStream_tbEUlT_E0_NS1_11comp_targetILNS1_3genE8ELNS1_11target_archE1030ELNS1_3gpuE2ELNS1_3repE0EEENS1_30default_config_static_selectorELNS0_4arch9wavefront6targetE1EEEvSD_.uses_flat_scratch, 0
	.set _ZN7rocprim17ROCPRIM_400000_NS6detail17trampoline_kernelINS0_14default_configENS1_22reduce_config_selectorIjEEZNS1_11reduce_implILb1ES3_PjS7_j9plus_mod3IjEEE10hipError_tPvRmT1_T2_T3_mT4_P12ihipStream_tbEUlT_E0_NS1_11comp_targetILNS1_3genE8ELNS1_11target_archE1030ELNS1_3gpuE2ELNS1_3repE0EEENS1_30default_config_static_selectorELNS0_4arch9wavefront6targetE1EEEvSD_.has_dyn_sized_stack, 0
	.set _ZN7rocprim17ROCPRIM_400000_NS6detail17trampoline_kernelINS0_14default_configENS1_22reduce_config_selectorIjEEZNS1_11reduce_implILb1ES3_PjS7_j9plus_mod3IjEEE10hipError_tPvRmT1_T2_T3_mT4_P12ihipStream_tbEUlT_E0_NS1_11comp_targetILNS1_3genE8ELNS1_11target_archE1030ELNS1_3gpuE2ELNS1_3repE0EEENS1_30default_config_static_selectorELNS0_4arch9wavefront6targetE1EEEvSD_.has_recursion, 0
	.set _ZN7rocprim17ROCPRIM_400000_NS6detail17trampoline_kernelINS0_14default_configENS1_22reduce_config_selectorIjEEZNS1_11reduce_implILb1ES3_PjS7_j9plus_mod3IjEEE10hipError_tPvRmT1_T2_T3_mT4_P12ihipStream_tbEUlT_E0_NS1_11comp_targetILNS1_3genE8ELNS1_11target_archE1030ELNS1_3gpuE2ELNS1_3repE0EEENS1_30default_config_static_selectorELNS0_4arch9wavefront6targetE1EEEvSD_.has_indirect_call, 0
	.section	.AMDGPU.csdata,"",@progbits
; Kernel info:
; codeLenInByte = 0
; TotalNumSgprs: 6
; NumVgprs: 0
; NumAgprs: 0
; TotalNumVgprs: 0
; ScratchSize: 0
; MemoryBound: 0
; FloatMode: 240
; IeeeMode: 1
; LDSByteSize: 0 bytes/workgroup (compile time only)
; SGPRBlocks: 0
; VGPRBlocks: 0
; NumSGPRsForWavesPerEU: 6
; NumVGPRsForWavesPerEU: 1
; AccumOffset: 4
; Occupancy: 8
; WaveLimiterHint : 0
; COMPUTE_PGM_RSRC2:SCRATCH_EN: 0
; COMPUTE_PGM_RSRC2:USER_SGPR: 2
; COMPUTE_PGM_RSRC2:TRAP_HANDLER: 0
; COMPUTE_PGM_RSRC2:TGID_X_EN: 1
; COMPUTE_PGM_RSRC2:TGID_Y_EN: 0
; COMPUTE_PGM_RSRC2:TGID_Z_EN: 0
; COMPUTE_PGM_RSRC2:TIDIG_COMP_CNT: 0
; COMPUTE_PGM_RSRC3_GFX90A:ACCUM_OFFSET: 0
; COMPUTE_PGM_RSRC3_GFX90A:TG_SPLIT: 0
	.section	.text._ZN7rocprim17ROCPRIM_400000_NS6detail17trampoline_kernelINS0_14default_configENS1_22reduce_config_selectorIjEEZNS1_11reduce_implILb1ES3_PjS7_j9plus_mod3IjEEE10hipError_tPvRmT1_T2_T3_mT4_P12ihipStream_tbEUlT_E1_NS1_11comp_targetILNS1_3genE0ELNS1_11target_archE4294967295ELNS1_3gpuE0ELNS1_3repE0EEENS1_30default_config_static_selectorELNS0_4arch9wavefront6targetE1EEEvSD_,"axG",@progbits,_ZN7rocprim17ROCPRIM_400000_NS6detail17trampoline_kernelINS0_14default_configENS1_22reduce_config_selectorIjEEZNS1_11reduce_implILb1ES3_PjS7_j9plus_mod3IjEEE10hipError_tPvRmT1_T2_T3_mT4_P12ihipStream_tbEUlT_E1_NS1_11comp_targetILNS1_3genE0ELNS1_11target_archE4294967295ELNS1_3gpuE0ELNS1_3repE0EEENS1_30default_config_static_selectorELNS0_4arch9wavefront6targetE1EEEvSD_,comdat
	.protected	_ZN7rocprim17ROCPRIM_400000_NS6detail17trampoline_kernelINS0_14default_configENS1_22reduce_config_selectorIjEEZNS1_11reduce_implILb1ES3_PjS7_j9plus_mod3IjEEE10hipError_tPvRmT1_T2_T3_mT4_P12ihipStream_tbEUlT_E1_NS1_11comp_targetILNS1_3genE0ELNS1_11target_archE4294967295ELNS1_3gpuE0ELNS1_3repE0EEENS1_30default_config_static_selectorELNS0_4arch9wavefront6targetE1EEEvSD_ ; -- Begin function _ZN7rocprim17ROCPRIM_400000_NS6detail17trampoline_kernelINS0_14default_configENS1_22reduce_config_selectorIjEEZNS1_11reduce_implILb1ES3_PjS7_j9plus_mod3IjEEE10hipError_tPvRmT1_T2_T3_mT4_P12ihipStream_tbEUlT_E1_NS1_11comp_targetILNS1_3genE0ELNS1_11target_archE4294967295ELNS1_3gpuE0ELNS1_3repE0EEENS1_30default_config_static_selectorELNS0_4arch9wavefront6targetE1EEEvSD_
	.globl	_ZN7rocprim17ROCPRIM_400000_NS6detail17trampoline_kernelINS0_14default_configENS1_22reduce_config_selectorIjEEZNS1_11reduce_implILb1ES3_PjS7_j9plus_mod3IjEEE10hipError_tPvRmT1_T2_T3_mT4_P12ihipStream_tbEUlT_E1_NS1_11comp_targetILNS1_3genE0ELNS1_11target_archE4294967295ELNS1_3gpuE0ELNS1_3repE0EEENS1_30default_config_static_selectorELNS0_4arch9wavefront6targetE1EEEvSD_
	.p2align	8
	.type	_ZN7rocprim17ROCPRIM_400000_NS6detail17trampoline_kernelINS0_14default_configENS1_22reduce_config_selectorIjEEZNS1_11reduce_implILb1ES3_PjS7_j9plus_mod3IjEEE10hipError_tPvRmT1_T2_T3_mT4_P12ihipStream_tbEUlT_E1_NS1_11comp_targetILNS1_3genE0ELNS1_11target_archE4294967295ELNS1_3gpuE0ELNS1_3repE0EEENS1_30default_config_static_selectorELNS0_4arch9wavefront6targetE1EEEvSD_,@function
_ZN7rocprim17ROCPRIM_400000_NS6detail17trampoline_kernelINS0_14default_configENS1_22reduce_config_selectorIjEEZNS1_11reduce_implILb1ES3_PjS7_j9plus_mod3IjEEE10hipError_tPvRmT1_T2_T3_mT4_P12ihipStream_tbEUlT_E1_NS1_11comp_targetILNS1_3genE0ELNS1_11target_archE4294967295ELNS1_3gpuE0ELNS1_3repE0EEENS1_30default_config_static_selectorELNS0_4arch9wavefront6targetE1EEEvSD_: ; @_ZN7rocprim17ROCPRIM_400000_NS6detail17trampoline_kernelINS0_14default_configENS1_22reduce_config_selectorIjEEZNS1_11reduce_implILb1ES3_PjS7_j9plus_mod3IjEEE10hipError_tPvRmT1_T2_T3_mT4_P12ihipStream_tbEUlT_E1_NS1_11comp_targetILNS1_3genE0ELNS1_11target_archE4294967295ELNS1_3gpuE0ELNS1_3repE0EEENS1_30default_config_static_selectorELNS0_4arch9wavefront6targetE1EEEvSD_
; %bb.0:
	s_load_dword s80, s[0:1], 0x4
	s_load_dwordx4 s[68:71], s[0:1], 0x8
	s_load_dword s33, s[0:1], 0x20
	s_load_dwordx2 s[66:67], s[0:1], 0x28
	s_waitcnt lgkmcnt(0)
	s_cmp_lt_i32 s80, 8
	s_cbranch_scc1 .LBB812_10
; %bb.1:
	s_cmp_gt_i32 s80, 15
	s_cbranch_scc0 .LBB812_11
; %bb.2:
	s_cmp_gt_i32 s80, 31
	s_cbranch_scc0 .LBB812_12
; %bb.3:
	s_cmp_eq_u32 s80, 32
	s_mov_b64 s[72:73], 0
	s_cbranch_scc0 .LBB812_13
; %bb.4:
	s_mov_b32 s3, 0
	s_lshl_b32 s4, s2, 13
	s_mov_b32 s5, s3
	s_lshr_b64 s[6:7], s[70:71], 13
	s_lshl_b64 s[8:9], s[4:5], 2
	s_add_u32 s76, s68, s8
	s_addc_u32 s77, s69, s9
	s_cmp_lg_u64 s[6:7], s[2:3]
	s_cbranch_scc0 .LBB812_22
; %bb.5:
	v_lshlrev_b32_e32 v2, 2, v0
	global_load_dword v1, v2, s[76:77]
	global_load_dword v3, v2, s[76:77] offset:1024
	global_load_dword v6, v2, s[76:77] offset:2048
	;; [unrolled: 1-line block ×3, first 2 shown]
	s_waitcnt vmcnt(2)
	v_add_u32_e32 v4, v3, v1
	v_ashrrev_i32_e32 v5, 31, v4
	v_lshl_add_u64 v[4:5], v[4:5], 2, s[66:67]
	global_load_dword v1, v[4:5], off
	v_mov_b32_e32 v3, 0
	v_lshl_add_u64 v[2:3], s[76:77], 0, v[2:3]
	s_waitcnt vmcnt(0)
	v_add_u32_e32 v4, v1, v6
	v_ashrrev_i32_e32 v5, 31, v4
	v_lshl_add_u64 v[4:5], v[4:5], 2, s[66:67]
	global_load_dword v1, v[4:5], off
	v_add_co_u32_e32 v4, vcc, 0x1000, v2
	s_waitcnt vmcnt(0)
	v_add_u32_e32 v6, v1, v7
	v_ashrrev_i32_e32 v7, 31, v6
	v_addc_co_u32_e32 v5, vcc, 0, v3, vcc
	v_lshl_add_u64 v[6:7], v[6:7], 2, s[66:67]
	global_load_dword v8, v[4:5], off
	global_load_dword v1, v[6:7], off
	v_add_co_u32_e32 v6, vcc, 0x2000, v2
	s_nop 1
	v_addc_co_u32_e32 v7, vcc, 0, v3, vcc
	global_load_dword v9, v[4:5], off offset:1024
	global_load_dword v10, v[4:5], off offset:2048
	;; [unrolled: 1-line block ×3, first 2 shown]
	global_load_dword v12, v[6:7], off
	global_load_dword v13, v[6:7], off offset:1024
	global_load_dword v14, v[6:7], off offset:2048
	;; [unrolled: 1-line block ×3, first 2 shown]
	s_waitcnt vmcnt(7)
	v_add_u32_e32 v4, v1, v8
	v_ashrrev_i32_e32 v5, 31, v4
	v_lshl_add_u64 v[4:5], v[4:5], 2, s[66:67]
	global_load_dword v1, v[4:5], off
	s_waitcnt vmcnt(0)
	v_add_u32_e32 v4, v1, v9
	v_ashrrev_i32_e32 v5, 31, v4
	v_lshl_add_u64 v[4:5], v[4:5], 2, s[66:67]
	global_load_dword v1, v[4:5], off
	;; [unrolled: 5-line block ×7, first 2 shown]
	v_add_co_u32_e32 v4, vcc, 0x3000, v2
	s_waitcnt vmcnt(0)
	v_add_u32_e32 v6, v1, v15
	v_ashrrev_i32_e32 v7, 31, v6
	v_addc_co_u32_e32 v5, vcc, 0, v3, vcc
	v_lshl_add_u64 v[6:7], v[6:7], 2, s[66:67]
	global_load_dword v8, v[4:5], off
	global_load_dword v1, v[6:7], off
	v_add_co_u32_e32 v6, vcc, 0x4000, v2
	s_nop 1
	v_addc_co_u32_e32 v7, vcc, 0, v3, vcc
	global_load_dword v9, v[4:5], off offset:1024
	global_load_dword v10, v[4:5], off offset:2048
	;; [unrolled: 1-line block ×3, first 2 shown]
	global_load_dword v12, v[6:7], off
	global_load_dword v13, v[6:7], off offset:1024
	global_load_dword v14, v[6:7], off offset:2048
	;; [unrolled: 1-line block ×3, first 2 shown]
	s_waitcnt vmcnt(7)
	v_add_u32_e32 v4, v1, v8
	v_ashrrev_i32_e32 v5, 31, v4
	v_lshl_add_u64 v[4:5], v[4:5], 2, s[66:67]
	global_load_dword v1, v[4:5], off
	s_waitcnt vmcnt(0)
	v_add_u32_e32 v4, v1, v9
	v_ashrrev_i32_e32 v5, 31, v4
	v_lshl_add_u64 v[4:5], v[4:5], 2, s[66:67]
	global_load_dword v1, v[4:5], off
	;; [unrolled: 5-line block ×7, first 2 shown]
	v_add_co_u32_e32 v4, vcc, 0x5000, v2
	s_waitcnt vmcnt(0)
	v_add_u32_e32 v6, v1, v15
	v_ashrrev_i32_e32 v7, 31, v6
	v_addc_co_u32_e32 v5, vcc, 0, v3, vcc
	v_lshl_add_u64 v[6:7], v[6:7], 2, s[66:67]
	global_load_dword v8, v[4:5], off
	global_load_dword v1, v[6:7], off
	v_add_co_u32_e32 v6, vcc, 0x6000, v2
	s_nop 1
	v_addc_co_u32_e32 v7, vcc, 0, v3, vcc
	global_load_dword v9, v[4:5], off offset:1024
	global_load_dword v10, v[4:5], off offset:2048
	global_load_dword v11, v[4:5], off offset:3072
	global_load_dword v12, v[6:7], off
	global_load_dword v13, v[6:7], off offset:1024
	global_load_dword v14, v[6:7], off offset:2048
	;; [unrolled: 1-line block ×3, first 2 shown]
	v_add_co_u32_e32 v2, vcc, 0x7000, v2
	s_waitcnt vmcnt(7)
	v_add_u32_e32 v4, v1, v8
	v_ashrrev_i32_e32 v5, 31, v4
	v_lshl_add_u64 v[4:5], v[4:5], 2, s[66:67]
	global_load_dword v1, v[4:5], off
	v_addc_co_u32_e32 v3, vcc, 0, v3, vcc
	s_waitcnt vmcnt(0)
	v_add_u32_e32 v4, v1, v9
	v_ashrrev_i32_e32 v5, 31, v4
	v_lshl_add_u64 v[4:5], v[4:5], 2, s[66:67]
	global_load_dword v1, v[4:5], off
	s_waitcnt vmcnt(0)
	v_add_u32_e32 v4, v1, v10
	v_ashrrev_i32_e32 v5, 31, v4
	v_lshl_add_u64 v[4:5], v[4:5], 2, s[66:67]
	global_load_dword v1, v[4:5], off
	;; [unrolled: 5-line block ×7, first 2 shown]
	global_load_dword v6, v[2:3], off
	global_load_dword v7, v[2:3], off offset:1024
	global_load_dword v8, v[2:3], off offset:2048
	;; [unrolled: 1-line block ×3, first 2 shown]
	s_waitcnt vmcnt(3)
	v_add_u32_e32 v2, v1, v6
	v_ashrrev_i32_e32 v3, 31, v2
	v_lshl_add_u64 v[2:3], v[2:3], 2, s[66:67]
	global_load_dword v1, v[2:3], off
	s_waitcnt vmcnt(0)
	v_add_u32_e32 v2, v1, v7
	v_ashrrev_i32_e32 v3, 31, v2
	v_lshl_add_u64 v[2:3], v[2:3], 2, s[66:67]
	global_load_dword v1, v[2:3], off
	s_waitcnt vmcnt(0)
	v_add_u32_e32 v2, v1, v8
	v_ashrrev_i32_e32 v3, 31, v2
	v_lshl_add_u64 v[2:3], v[2:3], 2, s[66:67]
	global_load_dword v1, v[2:3], off
	s_waitcnt vmcnt(0)
	v_add_u32_e32 v2, v1, v9
	v_ashrrev_i32_e32 v3, 31, v2
	v_lshl_add_u64 v[2:3], v[2:3], 2, s[66:67]
	global_load_dword v1, v[2:3], off
	s_waitcnt vmcnt(0)
	s_nop 0
	v_add_u32_dpp v2, v1, v1 quad_perm:[1,0,3,2] row_mask:0xf bank_mask:0xf bound_ctrl:1
	v_ashrrev_i32_e32 v3, 31, v2
	v_lshl_add_u64 v[2:3], v[2:3], 2, s[66:67]
	global_load_dword v1, v[2:3], off
	s_waitcnt vmcnt(0)
	s_nop 0
	v_add_u32_dpp v2, v1, v1 quad_perm:[2,3,0,1] row_mask:0xf bank_mask:0xf bound_ctrl:1
	v_ashrrev_i32_e32 v3, 31, v2
	v_lshl_add_u64 v[2:3], v[2:3], 2, s[66:67]
	global_load_dword v1, v[2:3], off
	s_waitcnt vmcnt(0)
	s_nop 0
	v_add_u32_dpp v2, v1, v1 row_ror:4 row_mask:0xf bank_mask:0xf bound_ctrl:1
	v_ashrrev_i32_e32 v3, 31, v2
	v_lshl_add_u64 v[2:3], v[2:3], 2, s[66:67]
	global_load_dword v1, v[2:3], off
	s_waitcnt vmcnt(0)
	s_nop 0
	v_add_u32_dpp v2, v1, v1 row_ror:8 row_mask:0xf bank_mask:0xf bound_ctrl:1
	v_ashrrev_i32_e32 v3, 31, v2
	v_lshl_add_u64 v[2:3], v[2:3], 2, s[66:67]
	global_load_dword v1, v[2:3], off
	s_waitcnt vmcnt(0)
	s_nop 0
	v_add_u32_dpp v2, v1, v1 row_bcast:15 row_mask:0xf bank_mask:0xf bound_ctrl:1
	v_ashrrev_i32_e32 v3, 31, v2
	v_lshl_add_u64 v[2:3], v[2:3], 2, s[66:67]
	global_load_dword v1, v[2:3], off
	s_waitcnt vmcnt(0)
	s_nop 0
	v_add_u32_dpp v2, v1, v1 row_bcast:31 row_mask:0xf bank_mask:0xf bound_ctrl:1
	v_ashrrev_i32_e32 v3, 31, v2
	v_lshl_add_u64 v[2:3], v[2:3], 2, s[66:67]
	global_load_dword v2, v[2:3], off
	v_mbcnt_lo_u32_b32 v1, -1, 0
	v_mbcnt_hi_u32_b32 v3, -1, v1
	v_lshlrev_b32_e32 v1, 2, v3
	v_or_b32_e32 v4, 0xfc, v1
	v_cmp_eq_u32_e32 vcc, 0, v3
	s_waitcnt vmcnt(0)
	ds_bpermute_b32 v2, v4, v2
	s_and_saveexec_b64 s[6:7], vcc
	s_cbranch_execz .LBB812_7
; %bb.6:
	v_lshrrev_b32_e32 v4, 4, v0
	v_and_b32_e32 v4, 12, v4
	s_waitcnt lgkmcnt(0)
	ds_write_b32 v4, v2 offset:64
.LBB812_7:
	s_or_b64 exec, exec, s[6:7]
	v_cmp_gt_u32_e32 vcc, 64, v0
	s_mov_b64 s[6:7], 0
	s_mov_b64 s[74:75], 0
	s_waitcnt lgkmcnt(0)
	s_barrier
                                        ; implicit-def: $vgpr4
	s_and_saveexec_b64 s[8:9], vcc
	s_xor_b64 s[8:9], exec, s[8:9]
	s_cbranch_execz .LBB812_9
; %bb.8:
	v_and_b32_e32 v4, 3, v3
	v_lshlrev_b32_e32 v5, 2, v4
	ds_read_b32 v5, v5 offset:64
	v_cmp_ne_u32_e32 vcc, 3, v4
	v_or_b32_e32 v1, 8, v1
	s_mov_b64 s[74:75], exec
	v_addc_co_u32_e32 v3, vcc, 0, v3, vcc
	v_lshlrev_b32_e32 v3, 2, v3
	s_waitcnt lgkmcnt(0)
	ds_bpermute_b32 v3, v3, v5
	s_waitcnt lgkmcnt(0)
	v_add_u32_e32 v4, v3, v5
	v_ashrrev_i32_e32 v5, 31, v4
	v_lshl_add_u64 v[4:5], v[4:5], 2, s[66:67]
	global_load_dword v3, v[4:5], off
	s_waitcnt vmcnt(0)
	ds_bpermute_b32 v1, v1, v3
	s_waitcnt lgkmcnt(0)
	v_add_u32_e32 v4, v1, v3
.LBB812_9:
	s_or_b64 exec, exec, s[8:9]
	s_branch .LBB812_23
.LBB812_10:
	s_mov_b64 s[36:37], 0
	s_mov_b64 s[34:35], 0
                                        ; implicit-def: $vgpr2
	s_cbranch_execnz .LBB812_280
	s_branch .LBB812_389
.LBB812_11:
	s_mov_b64 s[36:37], 0
	s_mov_b64 s[34:35], 0
                                        ; implicit-def: $vgpr2
	s_cbranch_execnz .LBB812_221
	s_branch .LBB812_229
.LBB812_12:
	s_mov_b64 s[72:73], -1
.LBB812_13:
	s_mov_b64 s[36:37], 0
	s_mov_b64 s[34:35], 0
                                        ; implicit-def: $vgpr2
	s_and_b64 vcc, exec, s[72:73]
	s_cbranch_vccz .LBB812_145
.LBB812_14:
	s_cmp_eq_u32 s80, 16
	s_cbranch_scc0 .LBB812_21
; %bb.15:
	s_mov_b32 s3, 0
	s_lshl_b32 s4, s2, 12
	s_mov_b32 s5, s3
	s_lshr_b64 s[6:7], s[70:71], 12
	s_lshl_b64 s[8:9], s[4:5], 2
	s_add_u32 s40, s68, s8
	s_addc_u32 s41, s69, s9
	s_cmp_lg_u64 s[6:7], s[2:3]
	s_cbranch_scc0 .LBB812_146
; %bb.16:
	s_waitcnt vmcnt(0)
	v_lshlrev_b32_e32 v2, 2, v0
	s_waitcnt lgkmcnt(0)
	global_load_dword v1, v2, s[40:41]
	global_load_dword v3, v2, s[40:41] offset:1024
	global_load_dword v6, v2, s[40:41] offset:2048
	;; [unrolled: 1-line block ×3, first 2 shown]
	s_waitcnt vmcnt(2)
	v_add_u32_e32 v4, v3, v1
	v_ashrrev_i32_e32 v5, 31, v4
	v_lshl_add_u64 v[4:5], v[4:5], 2, s[66:67]
	global_load_dword v1, v[4:5], off
	v_mov_b32_e32 v3, 0
	v_lshl_add_u64 v[2:3], s[40:41], 0, v[2:3]
	s_waitcnt vmcnt(0)
	v_add_u32_e32 v4, v1, v6
	v_ashrrev_i32_e32 v5, 31, v4
	v_lshl_add_u64 v[4:5], v[4:5], 2, s[66:67]
	global_load_dword v1, v[4:5], off
	v_add_co_u32_e32 v4, vcc, 0x1000, v2
	s_waitcnt vmcnt(0)
	v_add_u32_e32 v6, v1, v7
	v_ashrrev_i32_e32 v7, 31, v6
	v_addc_co_u32_e32 v5, vcc, 0, v3, vcc
	v_lshl_add_u64 v[6:7], v[6:7], 2, s[66:67]
	global_load_dword v8, v[4:5], off
	global_load_dword v1, v[6:7], off
	v_add_co_u32_e32 v6, vcc, 0x2000, v2
	s_nop 1
	v_addc_co_u32_e32 v7, vcc, 0, v3, vcc
	global_load_dword v9, v[4:5], off offset:1024
	global_load_dword v10, v[4:5], off offset:2048
	;; [unrolled: 1-line block ×3, first 2 shown]
	global_load_dword v12, v[6:7], off
	global_load_dword v13, v[6:7], off offset:1024
	global_load_dword v14, v[6:7], off offset:2048
	;; [unrolled: 1-line block ×3, first 2 shown]
	v_add_co_u32_e32 v2, vcc, 0x3000, v2
	s_waitcnt vmcnt(7)
	v_add_u32_e32 v4, v1, v8
	v_ashrrev_i32_e32 v5, 31, v4
	v_lshl_add_u64 v[4:5], v[4:5], 2, s[66:67]
	global_load_dword v1, v[4:5], off
	v_addc_co_u32_e32 v3, vcc, 0, v3, vcc
	s_waitcnt vmcnt(0)
	v_add_u32_e32 v4, v1, v9
	v_ashrrev_i32_e32 v5, 31, v4
	v_lshl_add_u64 v[4:5], v[4:5], 2, s[66:67]
	global_load_dword v1, v[4:5], off
	s_waitcnt vmcnt(0)
	v_add_u32_e32 v4, v1, v10
	v_ashrrev_i32_e32 v5, 31, v4
	v_lshl_add_u64 v[4:5], v[4:5], 2, s[66:67]
	global_load_dword v1, v[4:5], off
	;; [unrolled: 5-line block ×7, first 2 shown]
	global_load_dword v6, v[2:3], off
	global_load_dword v7, v[2:3], off offset:1024
	global_load_dword v8, v[2:3], off offset:2048
	;; [unrolled: 1-line block ×3, first 2 shown]
	s_waitcnt vmcnt(3)
	v_add_u32_e32 v2, v1, v6
	v_ashrrev_i32_e32 v3, 31, v2
	v_lshl_add_u64 v[2:3], v[2:3], 2, s[66:67]
	global_load_dword v1, v[2:3], off
	s_waitcnt vmcnt(0)
	v_add_u32_e32 v2, v1, v7
	v_ashrrev_i32_e32 v3, 31, v2
	v_lshl_add_u64 v[2:3], v[2:3], 2, s[66:67]
	global_load_dword v1, v[2:3], off
	;; [unrolled: 5-line block ×4, first 2 shown]
	s_waitcnt vmcnt(0)
	s_nop 0
	v_add_u32_dpp v2, v1, v1 quad_perm:[1,0,3,2] row_mask:0xf bank_mask:0xf bound_ctrl:1
	v_ashrrev_i32_e32 v3, 31, v2
	v_lshl_add_u64 v[2:3], v[2:3], 2, s[66:67]
	global_load_dword v1, v[2:3], off
	s_waitcnt vmcnt(0)
	s_nop 0
	v_add_u32_dpp v2, v1, v1 quad_perm:[2,3,0,1] row_mask:0xf bank_mask:0xf bound_ctrl:1
	v_ashrrev_i32_e32 v3, 31, v2
	v_lshl_add_u64 v[2:3], v[2:3], 2, s[66:67]
	global_load_dword v1, v[2:3], off
	s_waitcnt vmcnt(0)
	s_nop 0
	v_add_u32_dpp v2, v1, v1 row_ror:4 row_mask:0xf bank_mask:0xf bound_ctrl:1
	v_ashrrev_i32_e32 v3, 31, v2
	v_lshl_add_u64 v[2:3], v[2:3], 2, s[66:67]
	global_load_dword v1, v[2:3], off
	s_waitcnt vmcnt(0)
	s_nop 0
	v_add_u32_dpp v2, v1, v1 row_ror:8 row_mask:0xf bank_mask:0xf bound_ctrl:1
	v_ashrrev_i32_e32 v3, 31, v2
	v_lshl_add_u64 v[2:3], v[2:3], 2, s[66:67]
	global_load_dword v1, v[2:3], off
	s_waitcnt vmcnt(0)
	s_nop 0
	v_add_u32_dpp v2, v1, v1 row_bcast:15 row_mask:0xf bank_mask:0xf bound_ctrl:1
	v_ashrrev_i32_e32 v3, 31, v2
	v_lshl_add_u64 v[2:3], v[2:3], 2, s[66:67]
	global_load_dword v1, v[2:3], off
	s_waitcnt vmcnt(0)
	s_nop 0
	v_add_u32_dpp v2, v1, v1 row_bcast:31 row_mask:0xf bank_mask:0xf bound_ctrl:1
	v_ashrrev_i32_e32 v3, 31, v2
	v_lshl_add_u64 v[2:3], v[2:3], 2, s[66:67]
	global_load_dword v2, v[2:3], off
	v_mbcnt_lo_u32_b32 v1, -1, 0
	v_mbcnt_hi_u32_b32 v3, -1, v1
	v_lshlrev_b32_e32 v1, 2, v3
	v_or_b32_e32 v4, 0xfc, v1
	v_cmp_eq_u32_e32 vcc, 0, v3
	s_waitcnt vmcnt(0)
	ds_bpermute_b32 v2, v4, v2
	s_and_saveexec_b64 s[6:7], vcc
	s_cbranch_execz .LBB812_18
; %bb.17:
	v_lshrrev_b32_e32 v4, 4, v0
	v_and_b32_e32 v4, 12, v4
	s_waitcnt lgkmcnt(0)
	ds_write_b32 v4, v2 offset:16
.LBB812_18:
	s_or_b64 exec, exec, s[6:7]
	v_cmp_gt_u32_e32 vcc, 64, v0
	s_mov_b64 s[6:7], 0
	s_mov_b64 s[38:39], 0
	s_waitcnt lgkmcnt(0)
	s_barrier
                                        ; implicit-def: $vgpr4
	s_and_saveexec_b64 s[8:9], vcc
	s_xor_b64 s[8:9], exec, s[8:9]
	s_cbranch_execz .LBB812_20
; %bb.19:
	v_and_b32_e32 v4, 3, v3
	v_lshlrev_b32_e32 v5, 2, v4
	ds_read_b32 v5, v5 offset:16
	v_cmp_ne_u32_e32 vcc, 3, v4
	v_or_b32_e32 v1, 8, v1
	s_mov_b64 s[38:39], exec
	v_addc_co_u32_e32 v3, vcc, 0, v3, vcc
	v_lshlrev_b32_e32 v3, 2, v3
	s_waitcnt lgkmcnt(0)
	ds_bpermute_b32 v3, v3, v5
	s_waitcnt lgkmcnt(0)
	v_add_u32_e32 v4, v3, v5
	v_ashrrev_i32_e32 v5, 31, v4
	v_lshl_add_u64 v[4:5], v[4:5], 2, s[66:67]
	global_load_dword v3, v[4:5], off
	s_waitcnt vmcnt(0)
	ds_bpermute_b32 v1, v1, v3
	s_waitcnt lgkmcnt(0)
	v_add_u32_e32 v4, v1, v3
.LBB812_20:
	s_or_b64 exec, exec, s[8:9]
	s_branch .LBB812_147
.LBB812_21:
                                        ; implicit-def: $vgpr2
	s_branch .LBB812_229
.LBB812_22:
	s_mov_b64 s[6:7], -1
	s_mov_b64 s[74:75], 0
                                        ; implicit-def: $vgpr4
                                        ; implicit-def: $vgpr2
.LBB812_23:
	s_and_b64 vcc, exec, s[6:7]
	s_cbranch_vccz .LBB812_140
; %bb.24:
	s_sub_i32 s81, s70, s4
	v_mov_b32_e32 v2, 0
	v_cmp_gt_u32_e32 vcc, s81, v0
	v_mov_b32_e32 v3, v2
	v_mov_b32_e32 v4, v2
	;; [unrolled: 1-line block ×31, first 2 shown]
	s_and_saveexec_b64 s[4:5], vcc
	s_cbranch_execz .LBB812_26
; %bb.25:
	v_lshlrev_b32_e32 v1, 2, v0
	global_load_dword v4, v1, s[76:77]
	v_mov_b32_e32 v5, v2
	v_mov_b32_e32 v6, v2
	;; [unrolled: 1-line block ×31, first 2 shown]
	s_waitcnt vmcnt(0)
	v_mov_b64_e32 v[2:3], v[4:5]
	v_mov_b64_e32 v[4:5], v[6:7]
	;; [unrolled: 1-line block ×16, first 2 shown]
.LBB812_26:
	s_or_b64 exec, exec, s[4:5]
	v_or_b32_e32 v1, 0x100, v0
	v_cmp_gt_u32_e32 vcc, s81, v1
	s_and_saveexec_b64 s[4:5], vcc
	s_cbranch_execz .LBB812_28
; %bb.27:
	v_lshlrev_b32_e32 v1, 2, v0
	global_load_dword v3, v1, s[76:77] offset:1024
.LBB812_28:
	s_or_b64 exec, exec, s[4:5]
	v_or_b32_e32 v1, 0x200, v0
	v_cmp_gt_u32_e64 s[4:5], s81, v1
	s_and_saveexec_b64 s[6:7], s[4:5]
	s_cbranch_execz .LBB812_30
; %bb.29:
	v_lshlrev_b32_e32 v1, 2, v0
	global_load_dword v4, v1, s[76:77] offset:2048
.LBB812_30:
	s_or_b64 exec, exec, s[6:7]
	v_or_b32_e32 v1, 0x300, v0
	v_cmp_gt_u32_e64 s[6:7], s81, v1
	s_and_saveexec_b64 s[8:9], s[6:7]
	;; [unrolled: 9-line block ×3, first 2 shown]
	s_cbranch_execz .LBB812_34
; %bb.33:
	v_lshlrev_b32_e32 v1, 2, v1
	global_load_dword v6, v1, s[76:77]
.LBB812_34:
	s_or_b64 exec, exec, s[10:11]
	v_or_b32_e32 v1, 0x500, v0
	v_cmp_gt_u32_e64 s[10:11], s81, v1
	s_and_saveexec_b64 s[12:13], s[10:11]
	s_cbranch_execz .LBB812_36
; %bb.35:
	v_lshlrev_b32_e32 v1, 2, v1
	global_load_dword v7, v1, s[76:77]
.LBB812_36:
	s_or_b64 exec, exec, s[12:13]
	v_or_b32_e32 v1, 0x600, v0
	v_cmp_gt_u32_e64 s[12:13], s81, v1
	s_and_saveexec_b64 s[14:15], s[12:13]
	;; [unrolled: 9-line block ×27, first 2 shown]
	s_cbranch_execnz .LBB812_423
; %bb.87:
	s_or_b64 exec, exec, s[78:79]
	s_and_saveexec_b64 s[76:77], vcc
	s_cbranch_execnz .LBB812_424
.LBB812_88:
	s_or_b64 exec, exec, s[76:77]
	s_and_saveexec_b64 s[76:77], s[4:5]
	s_cbranch_execnz .LBB812_425
.LBB812_89:
	s_or_b64 exec, exec, s[76:77]
	s_and_saveexec_b64 s[4:5], s[6:7]
	s_cbranch_execnz .LBB812_426
.LBB812_90:
	s_or_b64 exec, exec, s[4:5]
	s_and_saveexec_b64 s[4:5], s[8:9]
	s_cbranch_execnz .LBB812_427
.LBB812_91:
	s_or_b64 exec, exec, s[4:5]
	s_and_saveexec_b64 s[4:5], s[10:11]
	s_cbranch_execnz .LBB812_428
.LBB812_92:
	s_or_b64 exec, exec, s[4:5]
	s_and_saveexec_b64 s[4:5], s[12:13]
	s_cbranch_execnz .LBB812_429
.LBB812_93:
	s_or_b64 exec, exec, s[4:5]
	s_and_saveexec_b64 s[4:5], s[14:15]
	s_cbranch_execnz .LBB812_430
.LBB812_94:
	s_or_b64 exec, exec, s[4:5]
	s_and_saveexec_b64 s[4:5], s[16:17]
	s_cbranch_execnz .LBB812_431
.LBB812_95:
	s_or_b64 exec, exec, s[4:5]
	s_and_saveexec_b64 s[4:5], s[18:19]
	s_cbranch_execnz .LBB812_432
.LBB812_96:
	s_or_b64 exec, exec, s[4:5]
	s_and_saveexec_b64 s[4:5], s[20:21]
	s_cbranch_execnz .LBB812_433
.LBB812_97:
	s_or_b64 exec, exec, s[4:5]
	s_and_saveexec_b64 s[4:5], s[22:23]
	s_cbranch_execnz .LBB812_434
.LBB812_98:
	s_or_b64 exec, exec, s[4:5]
	s_and_saveexec_b64 s[4:5], s[24:25]
	s_cbranch_execnz .LBB812_435
.LBB812_99:
	s_or_b64 exec, exec, s[4:5]
	s_and_saveexec_b64 s[4:5], s[26:27]
	s_cbranch_execnz .LBB812_436
.LBB812_100:
	s_or_b64 exec, exec, s[4:5]
	s_and_saveexec_b64 s[4:5], s[28:29]
	s_cbranch_execnz .LBB812_437
.LBB812_101:
	s_or_b64 exec, exec, s[4:5]
	s_and_saveexec_b64 s[4:5], s[30:31]
	s_cbranch_execnz .LBB812_438
.LBB812_102:
	s_or_b64 exec, exec, s[4:5]
	s_and_saveexec_b64 s[4:5], s[34:35]
	s_cbranch_execnz .LBB812_439
.LBB812_103:
	s_or_b64 exec, exec, s[4:5]
	s_and_saveexec_b64 s[4:5], s[36:37]
	s_cbranch_execnz .LBB812_440
.LBB812_104:
	s_or_b64 exec, exec, s[4:5]
	s_and_saveexec_b64 s[4:5], s[38:39]
	s_cbranch_execnz .LBB812_441
.LBB812_105:
	s_or_b64 exec, exec, s[4:5]
	s_and_saveexec_b64 s[4:5], s[40:41]
	s_cbranch_execnz .LBB812_442
.LBB812_106:
	s_or_b64 exec, exec, s[4:5]
	s_and_saveexec_b64 s[4:5], s[42:43]
	s_cbranch_execnz .LBB812_443
.LBB812_107:
	s_or_b64 exec, exec, s[4:5]
	s_and_saveexec_b64 s[4:5], s[44:45]
	s_cbranch_execnz .LBB812_444
.LBB812_108:
	s_or_b64 exec, exec, s[4:5]
	s_and_saveexec_b64 s[4:5], s[46:47]
	s_cbranch_execnz .LBB812_445
.LBB812_109:
	s_or_b64 exec, exec, s[4:5]
	s_and_saveexec_b64 s[4:5], s[48:49]
	s_cbranch_execnz .LBB812_446
.LBB812_110:
	s_or_b64 exec, exec, s[4:5]
	s_and_saveexec_b64 s[4:5], s[50:51]
	s_cbranch_execnz .LBB812_447
.LBB812_111:
	s_or_b64 exec, exec, s[4:5]
	s_and_saveexec_b64 s[4:5], s[52:53]
	s_cbranch_execnz .LBB812_448
.LBB812_112:
	s_or_b64 exec, exec, s[4:5]
	s_and_saveexec_b64 s[4:5], s[54:55]
	s_cbranch_execnz .LBB812_449
.LBB812_113:
	s_or_b64 exec, exec, s[4:5]
	s_and_saveexec_b64 s[4:5], s[56:57]
	s_cbranch_execnz .LBB812_450
.LBB812_114:
	s_or_b64 exec, exec, s[4:5]
	s_and_saveexec_b64 s[4:5], s[58:59]
	s_cbranch_execnz .LBB812_451
.LBB812_115:
	s_or_b64 exec, exec, s[4:5]
	s_and_saveexec_b64 s[4:5], s[60:61]
	s_cbranch_execnz .LBB812_452
.LBB812_116:
	s_or_b64 exec, exec, s[4:5]
	s_and_saveexec_b64 s[4:5], s[62:63]
	s_cbranch_execnz .LBB812_453
.LBB812_117:
	s_or_b64 exec, exec, s[4:5]
	s_and_saveexec_b64 s[4:5], s[64:65]
	s_cbranch_execz .LBB812_119
.LBB812_118:
	s_waitcnt vmcnt(0)
	v_add_u32_e32 v2, v2, v33
	v_ashrrev_i32_e32 v3, 31, v2
	v_lshl_add_u64 v[2:3], v[2:3], 2, s[66:67]
	global_load_dword v2, v[2:3], off
.LBB812_119:
	s_or_b64 exec, exec, s[4:5]
	v_mbcnt_lo_u32_b32 v1, -1, 0
	v_mbcnt_hi_u32_b32 v1, -1, v1
	s_waitcnt vmcnt(0)
	v_and_b32_e32 v3, 63, v1
	v_cmp_ne_u32_e32 vcc, 63, v3
	s_min_u32 s6, s81, 0x100
	v_add_u32_e32 v6, 1, v3
	v_addc_co_u32_e32 v4, vcc, 0, v1, vcc
	v_lshlrev_b32_e32 v4, 2, v4
	ds_bpermute_b32 v5, v4, v2
	v_and_b32_e32 v4, 0xc0, v0
	v_sub_u32_e64 v4, s6, v4 clamp
	v_cmp_lt_u32_e32 vcc, v6, v4
	s_and_saveexec_b64 s[4:5], vcc
	s_xor_b64 s[4:5], exec, s[4:5]
	s_cbranch_execz .LBB812_121
; %bb.120:
	s_waitcnt lgkmcnt(0)
	v_add_u32_e32 v6, v5, v2
	v_ashrrev_i32_e32 v7, 31, v6
	v_lshl_add_u64 v[6:7], v[6:7], 2, s[66:67]
	global_load_dword v2, v[6:7], off
.LBB812_121:
	s_or_b64 exec, exec, s[4:5]
	v_cmp_gt_u32_e32 vcc, 62, v3
	v_add_u32_e32 v6, 2, v3
	s_waitcnt lgkmcnt(0)
	v_cndmask_b32_e64 v5, 0, 2, vcc
	v_add_lshl_u32 v5, v5, v1, 2
	s_waitcnt vmcnt(0)
	ds_bpermute_b32 v5, v5, v2
	v_cmp_lt_u32_e32 vcc, v6, v4
	s_and_saveexec_b64 s[4:5], vcc
	s_cbranch_execz .LBB812_123
; %bb.122:
	s_waitcnt lgkmcnt(0)
	v_add_u32_e32 v6, v5, v2
	v_ashrrev_i32_e32 v7, 31, v6
	v_lshl_add_u64 v[6:7], v[6:7], 2, s[66:67]
	global_load_dword v2, v[6:7], off
.LBB812_123:
	s_or_b64 exec, exec, s[4:5]
	v_cmp_gt_u32_e32 vcc, 60, v3
	v_add_u32_e32 v6, 4, v3
	s_waitcnt lgkmcnt(0)
	v_cndmask_b32_e64 v5, 0, 4, vcc
	v_add_lshl_u32 v5, v5, v1, 2
	s_waitcnt vmcnt(0)
	ds_bpermute_b32 v5, v5, v2
	v_cmp_lt_u32_e32 vcc, v6, v4
	s_and_saveexec_b64 s[4:5], vcc
	s_cbranch_execz .LBB812_125
; %bb.124:
	s_waitcnt lgkmcnt(0)
	v_add_u32_e32 v6, v5, v2
	v_ashrrev_i32_e32 v7, 31, v6
	v_lshl_add_u64 v[6:7], v[6:7], 2, s[66:67]
	global_load_dword v2, v[6:7], off
.LBB812_125:
	s_or_b64 exec, exec, s[4:5]
	v_cmp_gt_u32_e32 vcc, 56, v3
	v_add_u32_e32 v6, 8, v3
	s_waitcnt lgkmcnt(0)
	v_cndmask_b32_e64 v5, 0, 8, vcc
	v_add_lshl_u32 v5, v5, v1, 2
	s_waitcnt vmcnt(0)
	ds_bpermute_b32 v5, v5, v2
	v_cmp_lt_u32_e32 vcc, v6, v4
	s_and_saveexec_b64 s[4:5], vcc
	s_cbranch_execz .LBB812_127
; %bb.126:
	s_waitcnt lgkmcnt(0)
	v_add_u32_e32 v6, v5, v2
	v_ashrrev_i32_e32 v7, 31, v6
	v_lshl_add_u64 v[6:7], v[6:7], 2, s[66:67]
	global_load_dword v2, v[6:7], off
.LBB812_127:
	s_or_b64 exec, exec, s[4:5]
	v_cmp_gt_u32_e32 vcc, 48, v3
	v_add_u32_e32 v6, 16, v3
	s_waitcnt lgkmcnt(0)
	v_cndmask_b32_e64 v5, 0, 16, vcc
	v_add_lshl_u32 v5, v5, v1, 2
	s_waitcnt vmcnt(0)
	ds_bpermute_b32 v5, v5, v2
	v_cmp_lt_u32_e32 vcc, v6, v4
	s_and_saveexec_b64 s[4:5], vcc
	s_cbranch_execz .LBB812_129
; %bb.128:
	s_waitcnt lgkmcnt(0)
	v_add_u32_e32 v6, v5, v2
	v_ashrrev_i32_e32 v7, 31, v6
	v_lshl_add_u64 v[6:7], v[6:7], 2, s[66:67]
	global_load_dword v2, v[6:7], off
.LBB812_129:
	s_or_b64 exec, exec, s[4:5]
	s_waitcnt lgkmcnt(0)
	v_lshlrev_b32_e32 v5, 2, v1
	v_or_b32_e32 v6, 0x80, v5
	s_waitcnt vmcnt(0)
	ds_bpermute_b32 v6, v6, v2
	v_add_u32_e32 v3, 32, v3
	v_cmp_lt_u32_e32 vcc, v3, v4
	s_and_saveexec_b64 s[4:5], vcc
	s_cbranch_execz .LBB812_131
; %bb.130:
	s_waitcnt lgkmcnt(0)
	v_add_u32_e32 v2, v6, v2
	v_ashrrev_i32_e32 v3, 31, v2
	v_lshl_add_u64 v[2:3], v[2:3], 2, s[66:67]
	global_load_dword v2, v[2:3], off
.LBB812_131:
	s_or_b64 exec, exec, s[4:5]
	v_cmp_eq_u32_e32 vcc, 0, v1
	s_and_saveexec_b64 s[4:5], vcc
	s_cbranch_execz .LBB812_133
; %bb.132:
	v_lshrrev_b32_e32 v3, 4, v0
	v_and_b32_e32 v3, 12, v3
	s_waitcnt vmcnt(0)
	ds_write_b32 v3, v2
.LBB812_133:
	s_or_b64 exec, exec, s[4:5]
	v_cmp_gt_u32_e32 vcc, 4, v0
	s_waitcnt lgkmcnt(0)
	s_barrier
                                        ; implicit-def: $vgpr4
	s_and_saveexec_b64 s[4:5], vcc
	s_cbranch_execz .LBB812_139
; %bb.134:
	s_waitcnt vmcnt(0)
	ds_read_b32 v2, v5
	v_and_b32_e32 v3, 3, v1
	v_cmp_ne_u32_e32 vcc, 3, v3
	s_add_i32 s6, s6, 63
	s_lshr_b32 s8, s6, 6
	v_addc_co_u32_e32 v1, vcc, 0, v1, vcc
	v_lshlrev_b32_e32 v1, 2, v1
	s_waitcnt lgkmcnt(0)
	ds_bpermute_b32 v1, v1, v2
	v_add_u32_e32 v4, 1, v3
	v_cmp_gt_u32_e32 vcc, s8, v4
	s_and_saveexec_b64 s[6:7], vcc
	s_cbranch_execz .LBB812_136
; %bb.135:
	s_waitcnt lgkmcnt(0)
	v_add_u32_e32 v6, v1, v2
	v_ashrrev_i32_e32 v7, 31, v6
	v_lshl_add_u64 v[6:7], v[6:7], 2, s[66:67]
	global_load_dword v2, v[6:7], off
.LBB812_136:
	s_or_b64 exec, exec, s[6:7]
	s_waitcnt lgkmcnt(0)
	v_or_b32_e32 v1, 8, v5
	s_waitcnt vmcnt(0)
	ds_bpermute_b32 v1, v1, v2
	v_add_u32_e32 v3, 2, v3
	v_cmp_gt_u32_e32 vcc, s8, v3
	s_mov_b64 s[6:7], s[74:75]
                                        ; implicit-def: $vgpr4
	s_and_saveexec_b64 s[8:9], vcc
	s_cbranch_execz .LBB812_138
; %bb.137:
	s_waitcnt lgkmcnt(0)
	v_add_u32_e32 v4, v1, v2
	s_or_b64 s[6:7], s[74:75], exec
.LBB812_138:
	s_or_b64 exec, exec, s[8:9]
	s_andn2_b64 s[8:9], s[74:75], exec
	s_and_b64 s[6:7], s[6:7], exec
	s_or_b64 s[74:75], s[8:9], s[6:7]
.LBB812_139:
	s_or_b64 exec, exec, s[4:5]
.LBB812_140:
	s_and_saveexec_b64 s[4:5], s[74:75]
	s_cbranch_execz .LBB812_142
; %bb.141:
	v_ashrrev_i32_e32 v5, 31, v4
	s_waitcnt vmcnt(0)
	v_lshl_add_u64 v[2:3], v[4:5], 2, s[66:67]
	global_load_dword v2, v[2:3], off
.LBB812_142:
	s_or_b64 exec, exec, s[4:5]
	v_cmp_eq_u32_e32 vcc, 0, v0
	s_mov_b64 s[36:37], 0
	s_mov_b64 s[34:35], 0
	s_and_saveexec_b64 s[4:5], vcc
	s_xor_b64 s[4:5], exec, s[4:5]
; %bb.143:
	s_cmp_eq_u64 s[70:71], 0
	s_cselect_b64 s[6:7], -1, 0
	s_cmp_lg_u64 s[70:71], 0
	s_cselect_b64 s[8:9], -1, 0
	s_and_b64 s[34:35], s[6:7], exec
	s_and_b64 s[36:37], s[8:9], exec
; %bb.144:
	s_or_b64 exec, exec, s[4:5]
	s_and_b64 vcc, exec, s[72:73]
	s_cbranch_vccnz .LBB812_14
.LBB812_145:
	s_branch .LBB812_229
.LBB812_146:
	s_mov_b64 s[6:7], -1
	s_mov_b64 s[38:39], 0
                                        ; implicit-def: $vgpr4
                                        ; implicit-def: $vgpr2
.LBB812_147:
	s_and_b64 vcc, exec, s[6:7]
	s_cbranch_vccz .LBB812_216
; %bb.148:
	s_sub_i32 s44, s70, s4
	s_waitcnt vmcnt(0)
	v_mov_b32_e32 v2, 0
	v_cmp_gt_u32_e32 vcc, s44, v0
	v_mov_b32_e32 v3, v2
	v_mov_b32_e32 v4, v2
	;; [unrolled: 1-line block ×15, first 2 shown]
	s_and_saveexec_b64 s[4:5], vcc
	s_cbranch_execz .LBB812_150
; %bb.149:
	s_waitcnt lgkmcnt(0)
	v_lshlrev_b32_e32 v1, 2, v0
	global_load_dword v4, v1, s[40:41]
	v_mov_b32_e32 v5, v2
	v_mov_b32_e32 v6, v2
	v_mov_b32_e32 v7, v2
	v_mov_b32_e32 v8, v2
	v_mov_b32_e32 v9, v2
	v_mov_b32_e32 v10, v2
	v_mov_b32_e32 v11, v2
	v_mov_b32_e32 v12, v2
	v_mov_b32_e32 v13, v2
	v_mov_b32_e32 v14, v2
	v_mov_b32_e32 v15, v2
	v_mov_b32_e32 v16, v2
	v_mov_b32_e32 v17, v2
	v_mov_b32_e32 v18, v2
	v_mov_b32_e32 v19, v2
	s_waitcnt vmcnt(0)
	v_mov_b64_e32 v[2:3], v[4:5]
	v_mov_b64_e32 v[4:5], v[6:7]
	;; [unrolled: 1-line block ×8, first 2 shown]
.LBB812_150:
	s_or_b64 exec, exec, s[4:5]
	s_waitcnt lgkmcnt(0)
	v_or_b32_e32 v1, 0x100, v0
	v_cmp_gt_u32_e32 vcc, s44, v1
	s_and_saveexec_b64 s[4:5], vcc
	s_cbranch_execz .LBB812_152
; %bb.151:
	v_lshlrev_b32_e32 v1, 2, v0
	global_load_dword v3, v1, s[40:41] offset:1024
.LBB812_152:
	s_or_b64 exec, exec, s[4:5]
	v_or_b32_e32 v1, 0x200, v0
	v_cmp_gt_u32_e64 s[4:5], s44, v1
	s_and_saveexec_b64 s[6:7], s[4:5]
	s_cbranch_execz .LBB812_154
; %bb.153:
	v_lshlrev_b32_e32 v1, 2, v0
	global_load_dword v4, v1, s[40:41] offset:2048
.LBB812_154:
	s_or_b64 exec, exec, s[6:7]
	v_or_b32_e32 v1, 0x300, v0
	v_cmp_gt_u32_e64 s[6:7], s44, v1
	s_and_saveexec_b64 s[8:9], s[6:7]
	;; [unrolled: 9-line block ×3, first 2 shown]
	s_cbranch_execz .LBB812_158
; %bb.157:
	v_lshlrev_b32_e32 v1, 2, v1
	global_load_dword v6, v1, s[40:41]
.LBB812_158:
	s_or_b64 exec, exec, s[10:11]
	v_or_b32_e32 v1, 0x500, v0
	v_cmp_gt_u32_e64 s[10:11], s44, v1
	s_and_saveexec_b64 s[12:13], s[10:11]
	s_cbranch_execz .LBB812_160
; %bb.159:
	v_lshlrev_b32_e32 v1, 2, v1
	global_load_dword v7, v1, s[40:41]
.LBB812_160:
	s_or_b64 exec, exec, s[12:13]
	v_or_b32_e32 v1, 0x600, v0
	v_cmp_gt_u32_e64 s[12:13], s44, v1
	s_and_saveexec_b64 s[14:15], s[12:13]
	;; [unrolled: 9-line block ×11, first 2 shown]
	s_cbranch_execnz .LBB812_454
; %bb.179:
	s_or_b64 exec, exec, s[42:43]
	s_and_saveexec_b64 s[40:41], vcc
	s_cbranch_execnz .LBB812_455
.LBB812_180:
	s_or_b64 exec, exec, s[40:41]
	s_and_saveexec_b64 s[40:41], s[4:5]
	s_cbranch_execnz .LBB812_456
.LBB812_181:
	s_or_b64 exec, exec, s[40:41]
	s_and_saveexec_b64 s[4:5], s[6:7]
	s_cbranch_execnz .LBB812_457
.LBB812_182:
	s_or_b64 exec, exec, s[4:5]
	s_and_saveexec_b64 s[4:5], s[8:9]
	s_cbranch_execnz .LBB812_458
.LBB812_183:
	s_or_b64 exec, exec, s[4:5]
	s_and_saveexec_b64 s[4:5], s[10:11]
	s_cbranch_execnz .LBB812_459
.LBB812_184:
	s_or_b64 exec, exec, s[4:5]
	s_and_saveexec_b64 s[4:5], s[12:13]
	s_cbranch_execnz .LBB812_460
.LBB812_185:
	s_or_b64 exec, exec, s[4:5]
	s_and_saveexec_b64 s[4:5], s[14:15]
	s_cbranch_execnz .LBB812_461
.LBB812_186:
	s_or_b64 exec, exec, s[4:5]
	s_and_saveexec_b64 s[4:5], s[16:17]
	s_cbranch_execnz .LBB812_462
.LBB812_187:
	s_or_b64 exec, exec, s[4:5]
	s_and_saveexec_b64 s[4:5], s[18:19]
	s_cbranch_execnz .LBB812_463
.LBB812_188:
	s_or_b64 exec, exec, s[4:5]
	s_and_saveexec_b64 s[4:5], s[20:21]
	s_cbranch_execnz .LBB812_464
.LBB812_189:
	s_or_b64 exec, exec, s[4:5]
	s_and_saveexec_b64 s[4:5], s[22:23]
	s_cbranch_execnz .LBB812_465
.LBB812_190:
	s_or_b64 exec, exec, s[4:5]
	s_and_saveexec_b64 s[4:5], s[24:25]
	s_cbranch_execnz .LBB812_466
.LBB812_191:
	s_or_b64 exec, exec, s[4:5]
	s_and_saveexec_b64 s[4:5], s[26:27]
	s_cbranch_execnz .LBB812_467
.LBB812_192:
	s_or_b64 exec, exec, s[4:5]
	s_and_saveexec_b64 s[4:5], s[28:29]
	s_cbranch_execnz .LBB812_468
.LBB812_193:
	s_or_b64 exec, exec, s[4:5]
	s_and_saveexec_b64 s[4:5], s[30:31]
	s_cbranch_execz .LBB812_195
.LBB812_194:
	s_waitcnt vmcnt(0)
	v_add_u32_e32 v2, v2, v17
	v_ashrrev_i32_e32 v3, 31, v2
	v_lshl_add_u64 v[2:3], v[2:3], 2, s[66:67]
	global_load_dword v2, v[2:3], off
.LBB812_195:
	s_or_b64 exec, exec, s[4:5]
	v_mbcnt_lo_u32_b32 v1, -1, 0
	v_mbcnt_hi_u32_b32 v1, -1, v1
	s_waitcnt vmcnt(0)
	v_and_b32_e32 v3, 63, v1
	v_cmp_ne_u32_e32 vcc, 63, v3
	s_min_u32 s6, s44, 0x100
	v_add_u32_e32 v6, 1, v3
	v_addc_co_u32_e32 v4, vcc, 0, v1, vcc
	v_lshlrev_b32_e32 v4, 2, v4
	ds_bpermute_b32 v5, v4, v2
	v_and_b32_e32 v4, 0xc0, v0
	v_sub_u32_e64 v4, s6, v4 clamp
	v_cmp_lt_u32_e32 vcc, v6, v4
	s_and_saveexec_b64 s[4:5], vcc
	s_xor_b64 s[4:5], exec, s[4:5]
	s_cbranch_execz .LBB812_197
; %bb.196:
	s_waitcnt lgkmcnt(0)
	v_add_u32_e32 v6, v5, v2
	v_ashrrev_i32_e32 v7, 31, v6
	v_lshl_add_u64 v[6:7], v[6:7], 2, s[66:67]
	global_load_dword v2, v[6:7], off
.LBB812_197:
	s_or_b64 exec, exec, s[4:5]
	v_cmp_gt_u32_e32 vcc, 62, v3
	v_add_u32_e32 v6, 2, v3
	s_waitcnt lgkmcnt(0)
	v_cndmask_b32_e64 v5, 0, 2, vcc
	v_add_lshl_u32 v5, v5, v1, 2
	s_waitcnt vmcnt(0)
	ds_bpermute_b32 v5, v5, v2
	v_cmp_lt_u32_e32 vcc, v6, v4
	s_and_saveexec_b64 s[4:5], vcc
	s_cbranch_execz .LBB812_199
; %bb.198:
	s_waitcnt lgkmcnt(0)
	v_add_u32_e32 v6, v5, v2
	v_ashrrev_i32_e32 v7, 31, v6
	v_lshl_add_u64 v[6:7], v[6:7], 2, s[66:67]
	global_load_dword v2, v[6:7], off
.LBB812_199:
	s_or_b64 exec, exec, s[4:5]
	v_cmp_gt_u32_e32 vcc, 60, v3
	v_add_u32_e32 v6, 4, v3
	s_waitcnt lgkmcnt(0)
	v_cndmask_b32_e64 v5, 0, 4, vcc
	v_add_lshl_u32 v5, v5, v1, 2
	s_waitcnt vmcnt(0)
	ds_bpermute_b32 v5, v5, v2
	v_cmp_lt_u32_e32 vcc, v6, v4
	s_and_saveexec_b64 s[4:5], vcc
	;; [unrolled: 18-line block ×4, first 2 shown]
	s_cbranch_execz .LBB812_205
; %bb.204:
	s_waitcnt lgkmcnt(0)
	v_add_u32_e32 v6, v5, v2
	v_ashrrev_i32_e32 v7, 31, v6
	v_lshl_add_u64 v[6:7], v[6:7], 2, s[66:67]
	global_load_dword v2, v[6:7], off
.LBB812_205:
	s_or_b64 exec, exec, s[4:5]
	s_waitcnt lgkmcnt(0)
	v_lshlrev_b32_e32 v5, 2, v1
	v_or_b32_e32 v6, 0x80, v5
	s_waitcnt vmcnt(0)
	ds_bpermute_b32 v6, v6, v2
	v_add_u32_e32 v3, 32, v3
	v_cmp_lt_u32_e32 vcc, v3, v4
	s_and_saveexec_b64 s[4:5], vcc
	s_cbranch_execz .LBB812_207
; %bb.206:
	s_waitcnt lgkmcnt(0)
	v_add_u32_e32 v2, v6, v2
	v_ashrrev_i32_e32 v3, 31, v2
	v_lshl_add_u64 v[2:3], v[2:3], 2, s[66:67]
	global_load_dword v2, v[2:3], off
.LBB812_207:
	s_or_b64 exec, exec, s[4:5]
	v_cmp_eq_u32_e32 vcc, 0, v1
	s_and_saveexec_b64 s[4:5], vcc
	s_cbranch_execz .LBB812_209
; %bb.208:
	v_lshrrev_b32_e32 v3, 4, v0
	v_and_b32_e32 v3, 12, v3
	s_waitcnt vmcnt(0)
	ds_write_b32 v3, v2
.LBB812_209:
	s_or_b64 exec, exec, s[4:5]
	v_cmp_gt_u32_e32 vcc, 4, v0
	s_waitcnt lgkmcnt(0)
	s_barrier
                                        ; implicit-def: $vgpr4
	s_and_saveexec_b64 s[4:5], vcc
	s_cbranch_execz .LBB812_215
; %bb.210:
	s_waitcnt vmcnt(0)
	ds_read_b32 v2, v5
	v_and_b32_e32 v3, 3, v1
	v_cmp_ne_u32_e32 vcc, 3, v3
	s_add_i32 s6, s6, 63
	s_lshr_b32 s8, s6, 6
	v_addc_co_u32_e32 v1, vcc, 0, v1, vcc
	v_lshlrev_b32_e32 v1, 2, v1
	s_waitcnt lgkmcnt(0)
	ds_bpermute_b32 v1, v1, v2
	v_add_u32_e32 v4, 1, v3
	v_cmp_gt_u32_e32 vcc, s8, v4
	s_and_saveexec_b64 s[6:7], vcc
	s_cbranch_execz .LBB812_212
; %bb.211:
	s_waitcnt lgkmcnt(0)
	v_add_u32_e32 v6, v1, v2
	v_ashrrev_i32_e32 v7, 31, v6
	v_lshl_add_u64 v[6:7], v[6:7], 2, s[66:67]
	global_load_dword v2, v[6:7], off
.LBB812_212:
	s_or_b64 exec, exec, s[6:7]
	s_waitcnt lgkmcnt(0)
	v_or_b32_e32 v1, 8, v5
	s_waitcnt vmcnt(0)
	ds_bpermute_b32 v1, v1, v2
	v_add_u32_e32 v3, 2, v3
	v_cmp_gt_u32_e32 vcc, s8, v3
	s_mov_b64 s[6:7], s[38:39]
                                        ; implicit-def: $vgpr4
	s_and_saveexec_b64 s[8:9], vcc
	s_cbranch_execz .LBB812_214
; %bb.213:
	s_waitcnt lgkmcnt(0)
	v_add_u32_e32 v4, v1, v2
	s_or_b64 s[6:7], s[38:39], exec
.LBB812_214:
	s_or_b64 exec, exec, s[8:9]
	s_andn2_b64 s[8:9], s[38:39], exec
	s_and_b64 s[6:7], s[6:7], exec
	s_or_b64 s[38:39], s[8:9], s[6:7]
.LBB812_215:
	s_or_b64 exec, exec, s[4:5]
.LBB812_216:
	s_and_saveexec_b64 s[4:5], s[38:39]
	s_cbranch_execz .LBB812_218
; %bb.217:
	v_ashrrev_i32_e32 v5, 31, v4
	s_waitcnt vmcnt(0)
	v_lshl_add_u64 v[2:3], v[4:5], 2, s[66:67]
	global_load_dword v2, v[2:3], off
.LBB812_218:
	s_or_b64 exec, exec, s[4:5]
	v_cmp_eq_u32_e32 vcc, 0, v0
	s_and_saveexec_b64 s[4:5], vcc
	s_xor_b64 s[4:5], exec, s[4:5]
	s_cbranch_execz .LBB812_220
; %bb.219:
	s_cmp_eq_u64 s[70:71], 0
	s_cselect_b64 s[6:7], -1, 0
	s_cmp_lg_u64 s[70:71], 0
	s_cselect_b64 s[8:9], -1, 0
	s_andn2_b64 s[10:11], s[34:35], exec
	s_and_b64 s[6:7], s[6:7], exec
	s_or_b64 s[34:35], s[10:11], s[6:7]
	s_andn2_b64 s[6:7], s[36:37], exec
	s_and_b64 s[8:9], s[8:9], exec
	s_or_b64 s[36:37], s[6:7], s[8:9]
.LBB812_220:
	s_or_b64 exec, exec, s[4:5]
	s_branch .LBB812_229
.LBB812_221:
	s_cmp_eq_u32 s80, 8
	s_cbranch_scc0 .LBB812_228
; %bb.222:
	s_mov_b32 s3, 0
	s_lshl_b32 s4, s2, 11
	s_mov_b32 s5, s3
	s_lshr_b64 s[6:7], s[70:71], 11
	s_lshl_b64 s[8:9], s[4:5], 2
	s_add_u32 s18, s68, s8
	s_addc_u32 s19, s69, s9
	s_cmp_lg_u64 s[6:7], s[2:3]
	s_cbranch_scc0 .LBB812_230
; %bb.223:
	s_waitcnt vmcnt(0)
	v_lshlrev_b32_e32 v2, 2, v0
	s_waitcnt lgkmcnt(0)
	global_load_dword v1, v2, s[18:19]
	global_load_dword v3, v2, s[18:19] offset:1024
	global_load_dword v6, v2, s[18:19] offset:2048
	;; [unrolled: 1-line block ×3, first 2 shown]
	s_waitcnt vmcnt(2)
	v_add_u32_e32 v4, v3, v1
	v_ashrrev_i32_e32 v5, 31, v4
	v_lshl_add_u64 v[4:5], v[4:5], 2, s[66:67]
	global_load_dword v1, v[4:5], off
	v_mov_b32_e32 v3, 0
	v_lshl_add_u64 v[2:3], s[18:19], 0, v[2:3]
	v_add_co_u32_e32 v2, vcc, 0x1000, v2
	s_waitcnt vmcnt(0)
	v_add_u32_e32 v4, v1, v6
	v_ashrrev_i32_e32 v5, 31, v4
	v_lshl_add_u64 v[4:5], v[4:5], 2, s[66:67]
	global_load_dword v1, v[4:5], off
	v_addc_co_u32_e32 v3, vcc, 0, v3, vcc
	s_waitcnt vmcnt(0)
	v_add_u32_e32 v4, v1, v7
	v_ashrrev_i32_e32 v5, 31, v4
	v_lshl_add_u64 v[4:5], v[4:5], 2, s[66:67]
	global_load_dword v1, v[4:5], off
	global_load_dword v6, v[2:3], off
	global_load_dword v7, v[2:3], off offset:1024
	global_load_dword v8, v[2:3], off offset:2048
	;; [unrolled: 1-line block ×3, first 2 shown]
	s_waitcnt vmcnt(3)
	v_add_u32_e32 v2, v1, v6
	v_ashrrev_i32_e32 v3, 31, v2
	v_lshl_add_u64 v[2:3], v[2:3], 2, s[66:67]
	global_load_dword v1, v[2:3], off
	s_waitcnt vmcnt(0)
	v_add_u32_e32 v2, v1, v7
	v_ashrrev_i32_e32 v3, 31, v2
	v_lshl_add_u64 v[2:3], v[2:3], 2, s[66:67]
	global_load_dword v1, v[2:3], off
	;; [unrolled: 5-line block ×4, first 2 shown]
	s_waitcnt vmcnt(0)
	s_nop 0
	v_add_u32_dpp v2, v1, v1 quad_perm:[1,0,3,2] row_mask:0xf bank_mask:0xf bound_ctrl:1
	v_ashrrev_i32_e32 v3, 31, v2
	v_lshl_add_u64 v[2:3], v[2:3], 2, s[66:67]
	global_load_dword v1, v[2:3], off
	s_waitcnt vmcnt(0)
	s_nop 0
	v_add_u32_dpp v2, v1, v1 quad_perm:[2,3,0,1] row_mask:0xf bank_mask:0xf bound_ctrl:1
	v_ashrrev_i32_e32 v3, 31, v2
	v_lshl_add_u64 v[2:3], v[2:3], 2, s[66:67]
	global_load_dword v1, v[2:3], off
	s_waitcnt vmcnt(0)
	s_nop 0
	v_add_u32_dpp v2, v1, v1 row_ror:4 row_mask:0xf bank_mask:0xf bound_ctrl:1
	v_ashrrev_i32_e32 v3, 31, v2
	v_lshl_add_u64 v[2:3], v[2:3], 2, s[66:67]
	global_load_dword v1, v[2:3], off
	s_waitcnt vmcnt(0)
	s_nop 0
	v_add_u32_dpp v2, v1, v1 row_ror:8 row_mask:0xf bank_mask:0xf bound_ctrl:1
	v_ashrrev_i32_e32 v3, 31, v2
	v_lshl_add_u64 v[2:3], v[2:3], 2, s[66:67]
	global_load_dword v1, v[2:3], off
	s_waitcnt vmcnt(0)
	s_nop 0
	v_add_u32_dpp v2, v1, v1 row_bcast:15 row_mask:0xf bank_mask:0xf bound_ctrl:1
	v_ashrrev_i32_e32 v3, 31, v2
	v_lshl_add_u64 v[2:3], v[2:3], 2, s[66:67]
	global_load_dword v1, v[2:3], off
	s_waitcnt vmcnt(0)
	s_nop 0
	v_add_u32_dpp v2, v1, v1 row_bcast:31 row_mask:0xf bank_mask:0xf bound_ctrl:1
	v_ashrrev_i32_e32 v3, 31, v2
	v_lshl_add_u64 v[2:3], v[2:3], 2, s[66:67]
	global_load_dword v2, v[2:3], off
	v_mbcnt_lo_u32_b32 v1, -1, 0
	v_mbcnt_hi_u32_b32 v3, -1, v1
	v_lshlrev_b32_e32 v1, 2, v3
	v_or_b32_e32 v4, 0xfc, v1
	v_cmp_eq_u32_e32 vcc, 0, v3
	s_waitcnt vmcnt(0)
	ds_bpermute_b32 v2, v4, v2
	s_and_saveexec_b64 s[6:7], vcc
	s_cbranch_execz .LBB812_225
; %bb.224:
	v_lshrrev_b32_e32 v4, 4, v0
	v_and_b32_e32 v4, 12, v4
	s_waitcnt lgkmcnt(0)
	ds_write_b32 v4, v2 offset:96
.LBB812_225:
	s_or_b64 exec, exec, s[6:7]
	v_cmp_gt_u32_e32 vcc, 64, v0
	s_mov_b64 s[6:7], 0
	s_mov_b64 s[16:17], 0
	s_waitcnt lgkmcnt(0)
	s_barrier
                                        ; implicit-def: $vgpr4
	s_and_saveexec_b64 s[8:9], vcc
	s_xor_b64 s[8:9], exec, s[8:9]
	s_cbranch_execz .LBB812_227
; %bb.226:
	v_and_b32_e32 v4, 3, v3
	v_lshlrev_b32_e32 v5, 2, v4
	ds_read_b32 v5, v5 offset:96
	v_cmp_ne_u32_e32 vcc, 3, v4
	v_or_b32_e32 v1, 8, v1
	s_mov_b64 s[16:17], exec
	v_addc_co_u32_e32 v3, vcc, 0, v3, vcc
	v_lshlrev_b32_e32 v3, 2, v3
	s_waitcnt lgkmcnt(0)
	ds_bpermute_b32 v3, v3, v5
	s_waitcnt lgkmcnt(0)
	v_add_u32_e32 v4, v3, v5
	v_ashrrev_i32_e32 v5, 31, v4
	v_lshl_add_u64 v[4:5], v[4:5], 2, s[66:67]
	global_load_dword v3, v[4:5], off
	s_waitcnt vmcnt(0)
	ds_bpermute_b32 v1, v1, v3
	s_waitcnt lgkmcnt(0)
	v_add_u32_e32 v4, v1, v3
.LBB812_227:
	s_or_b64 exec, exec, s[8:9]
	s_and_b64 vcc, exec, s[6:7]
	s_cbranch_vccnz .LBB812_231
	s_branch .LBB812_275
.LBB812_228:
                                        ; implicit-def: $vgpr2
.LBB812_229:
	s_branch .LBB812_389
.LBB812_230:
	s_mov_b64 s[16:17], 0
                                        ; implicit-def: $vgpr4
                                        ; implicit-def: $vgpr2
	s_cbranch_execz .LBB812_275
.LBB812_231:
	s_sub_i32 s22, s70, s4
	s_waitcnt vmcnt(0)
	v_mov_b32_e32 v2, 0
	v_cmp_gt_u32_e32 vcc, s22, v0
	v_mov_b32_e32 v3, v2
	v_mov_b32_e32 v4, v2
	;; [unrolled: 1-line block ×7, first 2 shown]
	s_and_saveexec_b64 s[4:5], vcc
	s_cbranch_execz .LBB812_233
; %bb.232:
	s_waitcnt lgkmcnt(0)
	v_lshlrev_b32_e32 v1, 2, v0
	global_load_dword v4, v1, s[18:19]
	v_mov_b32_e32 v5, v2
	v_mov_b32_e32 v6, v2
	;; [unrolled: 1-line block ×7, first 2 shown]
	s_waitcnt vmcnt(0)
	v_mov_b64_e32 v[2:3], v[4:5]
	v_mov_b64_e32 v[4:5], v[6:7]
	;; [unrolled: 1-line block ×4, first 2 shown]
.LBB812_233:
	s_or_b64 exec, exec, s[4:5]
	s_waitcnt lgkmcnt(0)
	v_or_b32_e32 v1, 0x100, v0
	v_cmp_gt_u32_e32 vcc, s22, v1
	s_and_saveexec_b64 s[4:5], vcc
	s_cbranch_execz .LBB812_235
; %bb.234:
	v_lshlrev_b32_e32 v1, 2, v0
	global_load_dword v3, v1, s[18:19] offset:1024
.LBB812_235:
	s_or_b64 exec, exec, s[4:5]
	v_or_b32_e32 v1, 0x200, v0
	v_cmp_gt_u32_e64 s[4:5], s22, v1
	s_and_saveexec_b64 s[6:7], s[4:5]
	s_cbranch_execz .LBB812_237
; %bb.236:
	v_lshlrev_b32_e32 v1, 2, v0
	global_load_dword v4, v1, s[18:19] offset:2048
.LBB812_237:
	s_or_b64 exec, exec, s[6:7]
	v_or_b32_e32 v1, 0x300, v0
	v_cmp_gt_u32_e64 s[6:7], s22, v1
	s_and_saveexec_b64 s[8:9], s[6:7]
	s_cbranch_execz .LBB812_239
; %bb.238:
	v_lshlrev_b32_e32 v1, 2, v0
	global_load_dword v5, v1, s[18:19] offset:3072
.LBB812_239:
	s_or_b64 exec, exec, s[8:9]
	v_or_b32_e32 v1, 0x400, v0
	v_cmp_gt_u32_e64 s[8:9], s22, v1
	s_and_saveexec_b64 s[10:11], s[8:9]
	s_cbranch_execz .LBB812_241
; %bb.240:
	v_lshlrev_b32_e32 v1, 2, v1
	global_load_dword v6, v1, s[18:19]
.LBB812_241:
	s_or_b64 exec, exec, s[10:11]
	v_or_b32_e32 v1, 0x500, v0
	v_cmp_gt_u32_e64 s[10:11], s22, v1
	s_and_saveexec_b64 s[12:13], s[10:11]
	s_cbranch_execz .LBB812_243
; %bb.242:
	v_lshlrev_b32_e32 v1, 2, v1
	global_load_dword v7, v1, s[18:19]
.LBB812_243:
	s_or_b64 exec, exec, s[12:13]
	v_or_b32_e32 v1, 0x600, v0
	v_cmp_gt_u32_e64 s[12:13], s22, v1
	s_and_saveexec_b64 s[14:15], s[12:13]
	;; [unrolled: 9-line block ×3, first 2 shown]
	s_cbranch_execnz .LBB812_293
; %bb.246:
	s_or_b64 exec, exec, s[20:21]
	s_and_saveexec_b64 s[18:19], vcc
	s_cbranch_execnz .LBB812_294
.LBB812_247:
	s_or_b64 exec, exec, s[18:19]
	s_and_saveexec_b64 s[18:19], s[4:5]
	s_cbranch_execnz .LBB812_295
.LBB812_248:
	s_or_b64 exec, exec, s[18:19]
	s_and_saveexec_b64 s[4:5], s[6:7]
	s_cbranch_execnz .LBB812_296
.LBB812_249:
	s_or_b64 exec, exec, s[4:5]
	s_and_saveexec_b64 s[4:5], s[8:9]
	s_cbranch_execnz .LBB812_297
.LBB812_250:
	s_or_b64 exec, exec, s[4:5]
	s_and_saveexec_b64 s[4:5], s[10:11]
	s_cbranch_execnz .LBB812_298
.LBB812_251:
	s_or_b64 exec, exec, s[4:5]
	s_and_saveexec_b64 s[4:5], s[12:13]
	s_cbranch_execnz .LBB812_299
.LBB812_252:
	s_or_b64 exec, exec, s[4:5]
	s_and_saveexec_b64 s[4:5], s[14:15]
	s_cbranch_execz .LBB812_254
.LBB812_253:
	s_waitcnt vmcnt(0)
	v_add_u32_e32 v2, v2, v9
	v_ashrrev_i32_e32 v3, 31, v2
	v_lshl_add_u64 v[2:3], v[2:3], 2, s[66:67]
	global_load_dword v2, v[2:3], off
.LBB812_254:
	s_or_b64 exec, exec, s[4:5]
	v_mbcnt_lo_u32_b32 v1, -1, 0
	v_mbcnt_hi_u32_b32 v1, -1, v1
	s_waitcnt vmcnt(0)
	v_and_b32_e32 v3, 63, v1
	v_cmp_ne_u32_e32 vcc, 63, v3
	s_min_u32 s6, s22, 0x100
	v_add_u32_e32 v6, 1, v3
	v_addc_co_u32_e32 v4, vcc, 0, v1, vcc
	v_lshlrev_b32_e32 v4, 2, v4
	ds_bpermute_b32 v5, v4, v2
	v_and_b32_e32 v4, 0xc0, v0
	v_sub_u32_e64 v4, s6, v4 clamp
	v_cmp_lt_u32_e32 vcc, v6, v4
	s_and_saveexec_b64 s[4:5], vcc
	s_xor_b64 s[4:5], exec, s[4:5]
	s_cbranch_execz .LBB812_256
; %bb.255:
	s_waitcnt lgkmcnt(0)
	v_add_u32_e32 v6, v5, v2
	v_ashrrev_i32_e32 v7, 31, v6
	v_lshl_add_u64 v[6:7], v[6:7], 2, s[66:67]
	global_load_dword v2, v[6:7], off
.LBB812_256:
	s_or_b64 exec, exec, s[4:5]
	v_cmp_gt_u32_e32 vcc, 62, v3
	v_add_u32_e32 v6, 2, v3
	s_waitcnt lgkmcnt(0)
	v_cndmask_b32_e64 v5, 0, 2, vcc
	v_add_lshl_u32 v5, v5, v1, 2
	s_waitcnt vmcnt(0)
	ds_bpermute_b32 v5, v5, v2
	v_cmp_lt_u32_e32 vcc, v6, v4
	s_and_saveexec_b64 s[4:5], vcc
	s_cbranch_execz .LBB812_258
; %bb.257:
	s_waitcnt lgkmcnt(0)
	v_add_u32_e32 v6, v5, v2
	v_ashrrev_i32_e32 v7, 31, v6
	v_lshl_add_u64 v[6:7], v[6:7], 2, s[66:67]
	global_load_dword v2, v[6:7], off
.LBB812_258:
	s_or_b64 exec, exec, s[4:5]
	v_cmp_gt_u32_e32 vcc, 60, v3
	v_add_u32_e32 v6, 4, v3
	s_waitcnt lgkmcnt(0)
	v_cndmask_b32_e64 v5, 0, 4, vcc
	v_add_lshl_u32 v5, v5, v1, 2
	s_waitcnt vmcnt(0)
	ds_bpermute_b32 v5, v5, v2
	v_cmp_lt_u32_e32 vcc, v6, v4
	s_and_saveexec_b64 s[4:5], vcc
	;; [unrolled: 18-line block ×4, first 2 shown]
	s_cbranch_execz .LBB812_264
; %bb.263:
	s_waitcnt lgkmcnt(0)
	v_add_u32_e32 v6, v5, v2
	v_ashrrev_i32_e32 v7, 31, v6
	v_lshl_add_u64 v[6:7], v[6:7], 2, s[66:67]
	global_load_dword v2, v[6:7], off
.LBB812_264:
	s_or_b64 exec, exec, s[4:5]
	s_waitcnt lgkmcnt(0)
	v_lshlrev_b32_e32 v5, 2, v1
	v_or_b32_e32 v6, 0x80, v5
	s_waitcnt vmcnt(0)
	ds_bpermute_b32 v6, v6, v2
	v_add_u32_e32 v3, 32, v3
	v_cmp_lt_u32_e32 vcc, v3, v4
	s_and_saveexec_b64 s[4:5], vcc
	s_cbranch_execz .LBB812_266
; %bb.265:
	s_waitcnt lgkmcnt(0)
	v_add_u32_e32 v2, v6, v2
	v_ashrrev_i32_e32 v3, 31, v2
	v_lshl_add_u64 v[2:3], v[2:3], 2, s[66:67]
	global_load_dword v2, v[2:3], off
.LBB812_266:
	s_or_b64 exec, exec, s[4:5]
	v_cmp_eq_u32_e32 vcc, 0, v1
	s_and_saveexec_b64 s[4:5], vcc
	s_cbranch_execz .LBB812_268
; %bb.267:
	v_lshrrev_b32_e32 v3, 4, v0
	v_and_b32_e32 v3, 12, v3
	s_waitcnt vmcnt(0)
	ds_write_b32 v3, v2
.LBB812_268:
	s_or_b64 exec, exec, s[4:5]
	v_cmp_gt_u32_e32 vcc, 4, v0
	s_waitcnt lgkmcnt(0)
	s_barrier
                                        ; implicit-def: $vgpr4
	s_and_saveexec_b64 s[4:5], vcc
	s_cbranch_execz .LBB812_274
; %bb.269:
	s_waitcnt vmcnt(0)
	ds_read_b32 v2, v5
	v_and_b32_e32 v3, 3, v1
	v_cmp_ne_u32_e32 vcc, 3, v3
	s_add_i32 s6, s6, 63
	s_lshr_b32 s8, s6, 6
	v_addc_co_u32_e32 v1, vcc, 0, v1, vcc
	v_lshlrev_b32_e32 v1, 2, v1
	s_waitcnt lgkmcnt(0)
	ds_bpermute_b32 v1, v1, v2
	v_add_u32_e32 v4, 1, v3
	v_cmp_gt_u32_e32 vcc, s8, v4
	s_and_saveexec_b64 s[6:7], vcc
	s_cbranch_execz .LBB812_271
; %bb.270:
	s_waitcnt lgkmcnt(0)
	v_add_u32_e32 v6, v1, v2
	v_ashrrev_i32_e32 v7, 31, v6
	v_lshl_add_u64 v[6:7], v[6:7], 2, s[66:67]
	global_load_dword v2, v[6:7], off
.LBB812_271:
	s_or_b64 exec, exec, s[6:7]
	s_waitcnt lgkmcnt(0)
	v_or_b32_e32 v1, 8, v5
	s_waitcnt vmcnt(0)
	ds_bpermute_b32 v1, v1, v2
	v_add_u32_e32 v3, 2, v3
	v_cmp_gt_u32_e32 vcc, s8, v3
	s_mov_b64 s[6:7], s[16:17]
                                        ; implicit-def: $vgpr4
	s_and_saveexec_b64 s[8:9], vcc
	s_cbranch_execz .LBB812_273
; %bb.272:
	s_waitcnt lgkmcnt(0)
	v_add_u32_e32 v4, v1, v2
	s_or_b64 s[6:7], s[16:17], exec
.LBB812_273:
	s_or_b64 exec, exec, s[8:9]
	s_andn2_b64 s[8:9], s[16:17], exec
	s_and_b64 s[6:7], s[6:7], exec
	s_or_b64 s[16:17], s[8:9], s[6:7]
.LBB812_274:
	s_or_b64 exec, exec, s[4:5]
.LBB812_275:
	s_and_saveexec_b64 s[4:5], s[16:17]
	s_cbranch_execz .LBB812_277
; %bb.276:
	v_ashrrev_i32_e32 v5, 31, v4
	s_waitcnt vmcnt(0)
	v_lshl_add_u64 v[2:3], v[4:5], 2, s[66:67]
	global_load_dword v2, v[2:3], off
.LBB812_277:
	s_or_b64 exec, exec, s[4:5]
	v_cmp_eq_u32_e32 vcc, 0, v0
	s_and_saveexec_b64 s[4:5], vcc
	s_xor_b64 s[4:5], exec, s[4:5]
	s_cbranch_execz .LBB812_279
; %bb.278:
	s_cmp_eq_u64 s[70:71], 0
	s_cselect_b64 s[6:7], -1, 0
	s_cmp_lg_u64 s[70:71], 0
	s_cselect_b64 s[8:9], -1, 0
	s_andn2_b64 s[10:11], s[34:35], exec
	s_and_b64 s[6:7], s[6:7], exec
	s_or_b64 s[34:35], s[10:11], s[6:7]
	s_andn2_b64 s[6:7], s[36:37], exec
	s_and_b64 s[8:9], s[8:9], exec
	s_or_b64 s[36:37], s[6:7], s[8:9]
.LBB812_279:
	s_or_b64 exec, exec, s[4:5]
	s_branch .LBB812_389
.LBB812_280:
	s_cmp_gt_i32 s80, 1
	s_cbranch_scc0 .LBB812_289
; %bb.281:
	s_cmp_gt_i32 s80, 3
	s_cbranch_scc0 .LBB812_290
; %bb.282:
	s_cmp_eq_u32 s80, 4
	s_cbranch_scc0 .LBB812_291
; %bb.283:
	s_mov_b32 s3, 0
	s_lshl_b32 s4, s2, 10
	s_mov_b32 s5, s3
	s_lshr_b64 s[6:7], s[70:71], 10
	s_lshl_b64 s[8:9], s[4:5], 2
	s_add_u32 s10, s68, s8
	s_addc_u32 s11, s69, s9
	s_cmp_lg_u64 s[6:7], s[2:3]
	s_cbranch_scc0 .LBB812_300
; %bb.284:
	s_waitcnt lgkmcnt(0)
	v_lshlrev_b32_e32 v1, 2, v0
	global_load_dword v2, v1, s[10:11]
	global_load_dword v3, v1, s[10:11] offset:1024
	global_load_dword v4, v1, s[10:11] offset:2048
	;; [unrolled: 1-line block ×3, first 2 shown]
	s_waitcnt vmcnt(2)
	v_add_u32_e32 v2, v3, v2
	v_ashrrev_i32_e32 v3, 31, v2
	v_lshl_add_u64 v[2:3], v[2:3], 2, s[66:67]
	global_load_dword v1, v[2:3], off
	s_waitcnt vmcnt(0)
	v_add_u32_e32 v2, v1, v4
	v_ashrrev_i32_e32 v3, 31, v2
	v_lshl_add_u64 v[2:3], v[2:3], 2, s[66:67]
	global_load_dword v1, v[2:3], off
	;; [unrolled: 5-line block ×3, first 2 shown]
	s_waitcnt vmcnt(0)
	s_nop 0
	v_add_u32_dpp v2, v1, v1 quad_perm:[1,0,3,2] row_mask:0xf bank_mask:0xf bound_ctrl:1
	v_ashrrev_i32_e32 v3, 31, v2
	v_lshl_add_u64 v[2:3], v[2:3], 2, s[66:67]
	global_load_dword v1, v[2:3], off
	s_waitcnt vmcnt(0)
	s_nop 0
	v_add_u32_dpp v2, v1, v1 quad_perm:[2,3,0,1] row_mask:0xf bank_mask:0xf bound_ctrl:1
	v_ashrrev_i32_e32 v3, 31, v2
	v_lshl_add_u64 v[2:3], v[2:3], 2, s[66:67]
	global_load_dword v1, v[2:3], off
	s_waitcnt vmcnt(0)
	s_nop 0
	v_add_u32_dpp v2, v1, v1 row_ror:4 row_mask:0xf bank_mask:0xf bound_ctrl:1
	v_ashrrev_i32_e32 v3, 31, v2
	v_lshl_add_u64 v[2:3], v[2:3], 2, s[66:67]
	global_load_dword v1, v[2:3], off
	s_waitcnt vmcnt(0)
	s_nop 0
	v_add_u32_dpp v2, v1, v1 row_ror:8 row_mask:0xf bank_mask:0xf bound_ctrl:1
	v_ashrrev_i32_e32 v3, 31, v2
	v_lshl_add_u64 v[2:3], v[2:3], 2, s[66:67]
	global_load_dword v1, v[2:3], off
	s_waitcnt vmcnt(0)
	s_nop 0
	v_add_u32_dpp v2, v1, v1 row_bcast:15 row_mask:0xf bank_mask:0xf bound_ctrl:1
	v_ashrrev_i32_e32 v3, 31, v2
	v_lshl_add_u64 v[2:3], v[2:3], 2, s[66:67]
	global_load_dword v1, v[2:3], off
	s_waitcnt vmcnt(0)
	s_nop 0
	v_add_u32_dpp v2, v1, v1 row_bcast:31 row_mask:0xf bank_mask:0xf bound_ctrl:1
	v_ashrrev_i32_e32 v3, 31, v2
	v_lshl_add_u64 v[2:3], v[2:3], 2, s[66:67]
	global_load_dword v2, v[2:3], off
	v_mbcnt_lo_u32_b32 v1, -1, 0
	v_mbcnt_hi_u32_b32 v3, -1, v1
	v_lshlrev_b32_e32 v1, 2, v3
	v_or_b32_e32 v4, 0xfc, v1
	v_cmp_eq_u32_e32 vcc, 0, v3
	s_waitcnt vmcnt(0)
	ds_bpermute_b32 v2, v4, v2
	s_and_saveexec_b64 s[6:7], vcc
	s_cbranch_execz .LBB812_286
; %bb.285:
	v_lshrrev_b32_e32 v4, 4, v0
	v_and_b32_e32 v4, 12, v4
	s_waitcnt lgkmcnt(0)
	ds_write_b32 v4, v2 offset:80
.LBB812_286:
	s_or_b64 exec, exec, s[6:7]
	v_cmp_gt_u32_e32 vcc, 64, v0
	s_mov_b64 s[6:7], 0
	s_mov_b64 s[8:9], 0
	s_waitcnt lgkmcnt(0)
	s_barrier
                                        ; implicit-def: $vgpr4
	s_and_saveexec_b64 s[12:13], vcc
	s_xor_b64 s[12:13], exec, s[12:13]
	s_cbranch_execz .LBB812_288
; %bb.287:
	v_and_b32_e32 v4, 3, v3
	v_lshlrev_b32_e32 v5, 2, v4
	ds_read_b32 v5, v5 offset:80
	v_cmp_ne_u32_e32 vcc, 3, v4
	v_or_b32_e32 v1, 8, v1
	s_mov_b64 s[8:9], exec
	v_addc_co_u32_e32 v3, vcc, 0, v3, vcc
	v_lshlrev_b32_e32 v3, 2, v3
	s_waitcnt lgkmcnt(0)
	ds_bpermute_b32 v3, v3, v5
	s_waitcnt lgkmcnt(0)
	v_add_u32_e32 v4, v3, v5
	v_ashrrev_i32_e32 v5, 31, v4
	v_lshl_add_u64 v[4:5], v[4:5], 2, s[66:67]
	global_load_dword v3, v[4:5], off
	s_waitcnt vmcnt(0)
	ds_bpermute_b32 v1, v1, v3
	s_waitcnt lgkmcnt(0)
	v_add_u32_e32 v4, v1, v3
.LBB812_288:
	s_or_b64 exec, exec, s[12:13]
	s_branch .LBB812_301
.LBB812_289:
                                        ; implicit-def: $vgpr2
	s_cbranch_execnz .LBB812_381
	s_branch .LBB812_389
.LBB812_290:
                                        ; implicit-def: $vgpr2
	s_cbranch_execz .LBB812_292
	s_branch .LBB812_339
.LBB812_291:
                                        ; implicit-def: $vgpr2
.LBB812_292:
	s_branch .LBB812_389
.LBB812_293:
	v_lshlrev_b32_e32 v1, 2, v1
	global_load_dword v9, v1, s[18:19]
	s_or_b64 exec, exec, s[20:21]
	s_and_saveexec_b64 s[18:19], vcc
	s_cbranch_execz .LBB812_247
.LBB812_294:
	s_waitcnt vmcnt(0)
	v_add_u32_e32 v2, v3, v2
	v_ashrrev_i32_e32 v3, 31, v2
	v_lshl_add_u64 v[2:3], v[2:3], 2, s[66:67]
	global_load_dword v2, v[2:3], off
	s_or_b64 exec, exec, s[18:19]
	s_and_saveexec_b64 s[18:19], s[4:5]
	s_cbranch_execz .LBB812_248
.LBB812_295:
	s_waitcnt vmcnt(0)
	v_add_u32_e32 v2, v2, v4
	v_ashrrev_i32_e32 v3, 31, v2
	v_lshl_add_u64 v[2:3], v[2:3], 2, s[66:67]
	global_load_dword v2, v[2:3], off
	s_or_b64 exec, exec, s[18:19]
	s_and_saveexec_b64 s[4:5], s[6:7]
	s_cbranch_execz .LBB812_249
.LBB812_296:
	s_waitcnt vmcnt(0)
	v_add_u32_e32 v2, v2, v5
	v_ashrrev_i32_e32 v3, 31, v2
	v_lshl_add_u64 v[2:3], v[2:3], 2, s[66:67]
	global_load_dword v2, v[2:3], off
	s_or_b64 exec, exec, s[4:5]
	s_and_saveexec_b64 s[4:5], s[8:9]
	s_cbranch_execz .LBB812_250
.LBB812_297:
	s_waitcnt vmcnt(0)
	v_add_u32_e32 v2, v2, v6
	v_ashrrev_i32_e32 v3, 31, v2
	v_lshl_add_u64 v[2:3], v[2:3], 2, s[66:67]
	global_load_dword v2, v[2:3], off
	s_or_b64 exec, exec, s[4:5]
	s_and_saveexec_b64 s[4:5], s[10:11]
	s_cbranch_execz .LBB812_251
.LBB812_298:
	s_waitcnt vmcnt(0)
	v_add_u32_e32 v2, v2, v7
	v_ashrrev_i32_e32 v3, 31, v2
	v_lshl_add_u64 v[2:3], v[2:3], 2, s[66:67]
	global_load_dword v2, v[2:3], off
	s_or_b64 exec, exec, s[4:5]
	s_and_saveexec_b64 s[4:5], s[12:13]
	s_cbranch_execz .LBB812_252
.LBB812_299:
	s_waitcnt vmcnt(0)
	v_add_u32_e32 v2, v2, v8
	v_ashrrev_i32_e32 v3, 31, v2
	v_lshl_add_u64 v[2:3], v[2:3], 2, s[66:67]
	global_load_dword v2, v[2:3], off
	s_or_b64 exec, exec, s[4:5]
	s_and_saveexec_b64 s[4:5], s[14:15]
	s_cbranch_execnz .LBB812_253
	s_branch .LBB812_254
.LBB812_300:
	s_mov_b64 s[6:7], -1
	s_mov_b64 s[8:9], 0
                                        ; implicit-def: $vgpr4
                                        ; implicit-def: $vgpr2
.LBB812_301:
	s_and_b64 vcc, exec, s[6:7]
	s_cbranch_vccz .LBB812_334
; %bb.302:
	s_sub_i32 s14, s70, s4
	s_waitcnt vmcnt(0)
	v_mov_b32_e32 v2, 0
	v_cmp_gt_u32_e32 vcc, s14, v0
	v_mov_b32_e32 v3, v2
	v_mov_b32_e32 v4, v2
	;; [unrolled: 1-line block ×3, first 2 shown]
	s_and_saveexec_b64 s[4:5], vcc
	s_cbranch_execz .LBB812_304
; %bb.303:
	s_waitcnt lgkmcnt(0)
	v_lshlrev_b32_e32 v1, 2, v0
	global_load_dword v4, v1, s[10:11]
	v_mov_b32_e32 v5, v2
	v_mov_b32_e32 v6, v2
	;; [unrolled: 1-line block ×3, first 2 shown]
	s_waitcnt vmcnt(0)
	v_mov_b64_e32 v[2:3], v[4:5]
	v_mov_b64_e32 v[4:5], v[6:7]
.LBB812_304:
	s_or_b64 exec, exec, s[4:5]
	s_waitcnt lgkmcnt(0)
	v_or_b32_e32 v1, 0x100, v0
	v_cmp_gt_u32_e32 vcc, s14, v1
	s_and_saveexec_b64 s[4:5], vcc
	s_cbranch_execz .LBB812_306
; %bb.305:
	v_lshlrev_b32_e32 v1, 2, v0
	global_load_dword v3, v1, s[10:11] offset:1024
.LBB812_306:
	s_or_b64 exec, exec, s[4:5]
	v_or_b32_e32 v1, 0x200, v0
	v_cmp_gt_u32_e64 s[4:5], s14, v1
	s_and_saveexec_b64 s[6:7], s[4:5]
	s_cbranch_execz .LBB812_308
; %bb.307:
	v_lshlrev_b32_e32 v1, 2, v0
	global_load_dword v4, v1, s[10:11] offset:2048
.LBB812_308:
	s_or_b64 exec, exec, s[6:7]
	v_or_b32_e32 v1, 0x300, v0
	v_cmp_gt_u32_e64 s[6:7], s14, v1
	s_and_saveexec_b64 s[12:13], s[6:7]
	s_cbranch_execnz .LBB812_469
; %bb.309:
	s_or_b64 exec, exec, s[12:13]
	s_and_saveexec_b64 s[10:11], vcc
	s_cbranch_execnz .LBB812_470
.LBB812_310:
	s_or_b64 exec, exec, s[10:11]
	s_and_saveexec_b64 s[10:11], s[4:5]
	s_cbranch_execnz .LBB812_471
.LBB812_311:
	s_or_b64 exec, exec, s[10:11]
	s_and_saveexec_b64 s[4:5], s[6:7]
	s_cbranch_execz .LBB812_313
.LBB812_312:
	s_waitcnt vmcnt(0)
	v_add_u32_e32 v2, v2, v5
	v_ashrrev_i32_e32 v3, 31, v2
	v_lshl_add_u64 v[2:3], v[2:3], 2, s[66:67]
	global_load_dword v2, v[2:3], off
.LBB812_313:
	s_or_b64 exec, exec, s[4:5]
	v_mbcnt_lo_u32_b32 v1, -1, 0
	v_mbcnt_hi_u32_b32 v1, -1, v1
	s_waitcnt vmcnt(0)
	v_and_b32_e32 v3, 63, v1
	v_cmp_ne_u32_e32 vcc, 63, v3
	s_min_u32 s6, s14, 0x100
	v_add_u32_e32 v6, 1, v3
	v_addc_co_u32_e32 v4, vcc, 0, v1, vcc
	v_lshlrev_b32_e32 v4, 2, v4
	ds_bpermute_b32 v5, v4, v2
	v_and_b32_e32 v4, 0xc0, v0
	v_sub_u32_e64 v4, s6, v4 clamp
	v_cmp_lt_u32_e32 vcc, v6, v4
	s_and_saveexec_b64 s[4:5], vcc
	s_xor_b64 s[4:5], exec, s[4:5]
	s_cbranch_execz .LBB812_315
; %bb.314:
	s_waitcnt lgkmcnt(0)
	v_add_u32_e32 v6, v5, v2
	v_ashrrev_i32_e32 v7, 31, v6
	v_lshl_add_u64 v[6:7], v[6:7], 2, s[66:67]
	global_load_dword v2, v[6:7], off
.LBB812_315:
	s_or_b64 exec, exec, s[4:5]
	v_cmp_gt_u32_e32 vcc, 62, v3
	v_add_u32_e32 v6, 2, v3
	s_waitcnt lgkmcnt(0)
	v_cndmask_b32_e64 v5, 0, 2, vcc
	v_add_lshl_u32 v5, v5, v1, 2
	s_waitcnt vmcnt(0)
	ds_bpermute_b32 v5, v5, v2
	v_cmp_lt_u32_e32 vcc, v6, v4
	s_and_saveexec_b64 s[4:5], vcc
	s_cbranch_execz .LBB812_317
; %bb.316:
	s_waitcnt lgkmcnt(0)
	v_add_u32_e32 v6, v5, v2
	v_ashrrev_i32_e32 v7, 31, v6
	v_lshl_add_u64 v[6:7], v[6:7], 2, s[66:67]
	global_load_dword v2, v[6:7], off
.LBB812_317:
	s_or_b64 exec, exec, s[4:5]
	v_cmp_gt_u32_e32 vcc, 60, v3
	v_add_u32_e32 v6, 4, v3
	s_waitcnt lgkmcnt(0)
	v_cndmask_b32_e64 v5, 0, 4, vcc
	v_add_lshl_u32 v5, v5, v1, 2
	s_waitcnt vmcnt(0)
	ds_bpermute_b32 v5, v5, v2
	v_cmp_lt_u32_e32 vcc, v6, v4
	s_and_saveexec_b64 s[4:5], vcc
	;; [unrolled: 18-line block ×4, first 2 shown]
	s_cbranch_execz .LBB812_323
; %bb.322:
	s_waitcnt lgkmcnt(0)
	v_add_u32_e32 v6, v5, v2
	v_ashrrev_i32_e32 v7, 31, v6
	v_lshl_add_u64 v[6:7], v[6:7], 2, s[66:67]
	global_load_dword v2, v[6:7], off
.LBB812_323:
	s_or_b64 exec, exec, s[4:5]
	s_waitcnt lgkmcnt(0)
	v_lshlrev_b32_e32 v5, 2, v1
	v_or_b32_e32 v6, 0x80, v5
	s_waitcnt vmcnt(0)
	ds_bpermute_b32 v6, v6, v2
	v_add_u32_e32 v3, 32, v3
	v_cmp_lt_u32_e32 vcc, v3, v4
	s_and_saveexec_b64 s[4:5], vcc
	s_cbranch_execz .LBB812_325
; %bb.324:
	s_waitcnt lgkmcnt(0)
	v_add_u32_e32 v2, v6, v2
	v_ashrrev_i32_e32 v3, 31, v2
	v_lshl_add_u64 v[2:3], v[2:3], 2, s[66:67]
	global_load_dword v2, v[2:3], off
.LBB812_325:
	s_or_b64 exec, exec, s[4:5]
	v_cmp_eq_u32_e32 vcc, 0, v1
	s_and_saveexec_b64 s[4:5], vcc
	s_cbranch_execz .LBB812_327
; %bb.326:
	v_lshrrev_b32_e32 v3, 4, v0
	v_and_b32_e32 v3, 12, v3
	s_waitcnt vmcnt(0)
	ds_write_b32 v3, v2
.LBB812_327:
	s_or_b64 exec, exec, s[4:5]
	v_cmp_gt_u32_e32 vcc, 4, v0
	s_waitcnt lgkmcnt(0)
	s_barrier
                                        ; implicit-def: $vgpr4
	s_and_saveexec_b64 s[4:5], vcc
	s_cbranch_execz .LBB812_333
; %bb.328:
	s_waitcnt vmcnt(0)
	ds_read_b32 v2, v5
	v_and_b32_e32 v3, 3, v1
	v_cmp_ne_u32_e32 vcc, 3, v3
	s_add_i32 s6, s6, 63
	s_lshr_b32 s10, s6, 6
	v_addc_co_u32_e32 v1, vcc, 0, v1, vcc
	v_lshlrev_b32_e32 v1, 2, v1
	s_waitcnt lgkmcnt(0)
	ds_bpermute_b32 v1, v1, v2
	v_add_u32_e32 v4, 1, v3
	v_cmp_gt_u32_e32 vcc, s10, v4
	s_and_saveexec_b64 s[6:7], vcc
	s_cbranch_execz .LBB812_330
; %bb.329:
	s_waitcnt lgkmcnt(0)
	v_add_u32_e32 v6, v1, v2
	v_ashrrev_i32_e32 v7, 31, v6
	v_lshl_add_u64 v[6:7], v[6:7], 2, s[66:67]
	global_load_dword v2, v[6:7], off
.LBB812_330:
	s_or_b64 exec, exec, s[6:7]
	s_waitcnt lgkmcnt(0)
	v_or_b32_e32 v1, 8, v5
	s_waitcnt vmcnt(0)
	ds_bpermute_b32 v1, v1, v2
	v_add_u32_e32 v3, 2, v3
	v_cmp_gt_u32_e32 vcc, s10, v3
	s_mov_b64 s[6:7], s[8:9]
                                        ; implicit-def: $vgpr4
	s_and_saveexec_b64 s[10:11], vcc
	s_cbranch_execz .LBB812_332
; %bb.331:
	s_waitcnt lgkmcnt(0)
	v_add_u32_e32 v4, v1, v2
	s_or_b64 s[6:7], s[8:9], exec
.LBB812_332:
	s_or_b64 exec, exec, s[10:11]
	s_andn2_b64 s[8:9], s[8:9], exec
	s_and_b64 s[6:7], s[6:7], exec
	s_or_b64 s[8:9], s[8:9], s[6:7]
.LBB812_333:
	s_or_b64 exec, exec, s[4:5]
.LBB812_334:
	s_and_saveexec_b64 s[4:5], s[8:9]
	s_cbranch_execz .LBB812_336
; %bb.335:
	v_ashrrev_i32_e32 v5, 31, v4
	s_waitcnt vmcnt(0)
	v_lshl_add_u64 v[2:3], v[4:5], 2, s[66:67]
	global_load_dword v2, v[2:3], off
.LBB812_336:
	s_or_b64 exec, exec, s[4:5]
	v_cmp_eq_u32_e32 vcc, 0, v0
	s_and_saveexec_b64 s[4:5], vcc
	s_xor_b64 s[4:5], exec, s[4:5]
	s_cbranch_execz .LBB812_338
; %bb.337:
	s_cmp_eq_u64 s[70:71], 0
	s_cselect_b64 s[6:7], -1, 0
	s_cmp_lg_u64 s[70:71], 0
	s_cselect_b64 s[8:9], -1, 0
	s_andn2_b64 s[10:11], s[34:35], exec
	s_and_b64 s[6:7], s[6:7], exec
	s_or_b64 s[34:35], s[10:11], s[6:7]
	s_andn2_b64 s[6:7], s[36:37], exec
	s_and_b64 s[8:9], s[8:9], exec
	s_or_b64 s[36:37], s[6:7], s[8:9]
.LBB812_338:
	s_or_b64 exec, exec, s[4:5]
	s_branch .LBB812_292
.LBB812_339:
	s_cmp_eq_u32 s80, 2
	s_cbranch_scc0 .LBB812_346
; %bb.340:
	s_mov_b32 s3, 0
	s_lshl_b32 s8, s2, 9
	s_mov_b32 s9, s3
	s_lshr_b64 s[4:5], s[70:71], 9
	s_lshl_b64 s[6:7], s[8:9], 2
	s_add_u32 s6, s68, s6
	s_addc_u32 s7, s69, s7
	s_cmp_lg_u64 s[4:5], s[2:3]
	s_cbranch_scc0 .LBB812_347
; %bb.341:
	s_waitcnt lgkmcnt(0)
	v_lshlrev_b32_e32 v1, 2, v0
	global_load_dword v2, v1, s[6:7]
	global_load_dword v3, v1, s[6:7] offset:1024
	s_waitcnt vmcnt(0)
	v_add_u32_e32 v2, v3, v2
	v_ashrrev_i32_e32 v3, 31, v2
	v_lshl_add_u64 v[2:3], v[2:3], 2, s[66:67]
	global_load_dword v1, v[2:3], off
	s_waitcnt vmcnt(0)
	s_nop 0
	v_add_u32_dpp v2, v1, v1 quad_perm:[1,0,3,2] row_mask:0xf bank_mask:0xf bound_ctrl:1
	v_ashrrev_i32_e32 v3, 31, v2
	v_lshl_add_u64 v[2:3], v[2:3], 2, s[66:67]
	global_load_dword v1, v[2:3], off
	s_waitcnt vmcnt(0)
	s_nop 0
	v_add_u32_dpp v2, v1, v1 quad_perm:[2,3,0,1] row_mask:0xf bank_mask:0xf bound_ctrl:1
	v_ashrrev_i32_e32 v3, 31, v2
	v_lshl_add_u64 v[2:3], v[2:3], 2, s[66:67]
	global_load_dword v1, v[2:3], off
	s_waitcnt vmcnt(0)
	s_nop 0
	v_add_u32_dpp v2, v1, v1 row_ror:4 row_mask:0xf bank_mask:0xf bound_ctrl:1
	v_ashrrev_i32_e32 v3, 31, v2
	v_lshl_add_u64 v[2:3], v[2:3], 2, s[66:67]
	global_load_dword v1, v[2:3], off
	s_waitcnt vmcnt(0)
	s_nop 0
	v_add_u32_dpp v2, v1, v1 row_ror:8 row_mask:0xf bank_mask:0xf bound_ctrl:1
	v_ashrrev_i32_e32 v3, 31, v2
	v_lshl_add_u64 v[2:3], v[2:3], 2, s[66:67]
	global_load_dword v1, v[2:3], off
	s_waitcnt vmcnt(0)
	s_nop 0
	v_add_u32_dpp v2, v1, v1 row_bcast:15 row_mask:0xf bank_mask:0xf bound_ctrl:1
	v_ashrrev_i32_e32 v3, 31, v2
	v_lshl_add_u64 v[2:3], v[2:3], 2, s[66:67]
	global_load_dword v1, v[2:3], off
	s_waitcnt vmcnt(0)
	s_nop 0
	v_add_u32_dpp v2, v1, v1 row_bcast:31 row_mask:0xf bank_mask:0xf bound_ctrl:1
	v_ashrrev_i32_e32 v3, 31, v2
	v_lshl_add_u64 v[2:3], v[2:3], 2, s[66:67]
	global_load_dword v2, v[2:3], off
	v_mbcnt_lo_u32_b32 v1, -1, 0
	v_mbcnt_hi_u32_b32 v3, -1, v1
	v_lshlrev_b32_e32 v1, 2, v3
	v_or_b32_e32 v4, 0xfc, v1
	v_cmp_eq_u32_e32 vcc, 0, v3
	s_waitcnt vmcnt(0)
	ds_bpermute_b32 v2, v4, v2
	s_and_saveexec_b64 s[4:5], vcc
	s_cbranch_execz .LBB812_343
; %bb.342:
	v_lshrrev_b32_e32 v4, 4, v0
	v_and_b32_e32 v4, 12, v4
	s_waitcnt lgkmcnt(0)
	ds_write_b32 v4, v2 offset:48
.LBB812_343:
	s_or_b64 exec, exec, s[4:5]
	v_cmp_gt_u32_e32 vcc, 64, v0
	s_mov_b64 s[10:11], 0
	s_mov_b64 s[4:5], 0
	s_waitcnt lgkmcnt(0)
	s_barrier
                                        ; implicit-def: $vgpr4
	s_and_saveexec_b64 s[12:13], vcc
	s_xor_b64 s[12:13], exec, s[12:13]
	s_cbranch_execz .LBB812_345
; %bb.344:
	v_and_b32_e32 v4, 3, v3
	v_lshlrev_b32_e32 v5, 2, v4
	ds_read_b32 v5, v5 offset:48
	v_cmp_ne_u32_e32 vcc, 3, v4
	v_or_b32_e32 v1, 8, v1
	s_mov_b64 s[4:5], exec
	v_addc_co_u32_e32 v3, vcc, 0, v3, vcc
	v_lshlrev_b32_e32 v3, 2, v3
	s_waitcnt lgkmcnt(0)
	ds_bpermute_b32 v3, v3, v5
	s_waitcnt lgkmcnt(0)
	v_add_u32_e32 v4, v3, v5
	v_ashrrev_i32_e32 v5, 31, v4
	v_lshl_add_u64 v[4:5], v[4:5], 2, s[66:67]
	global_load_dword v3, v[4:5], off
	s_waitcnt vmcnt(0)
	ds_bpermute_b32 v1, v1, v3
	s_waitcnt lgkmcnt(0)
	v_add_u32_e32 v4, v1, v3
.LBB812_345:
	s_or_b64 exec, exec, s[12:13]
	s_branch .LBB812_348
.LBB812_346:
                                        ; implicit-def: $vgpr2
	s_branch .LBB812_389
.LBB812_347:
	s_mov_b64 s[10:11], -1
	s_mov_b64 s[4:5], 0
                                        ; implicit-def: $vgpr4
                                        ; implicit-def: $vgpr2
.LBB812_348:
	s_and_b64 vcc, exec, s[10:11]
	s_cbranch_vccz .LBB812_376
; %bb.349:
	s_sub_i32 s10, s70, s8
	s_waitcnt vmcnt(0)
	v_mov_b32_e32 v2, 0
	v_cmp_gt_u32_e32 vcc, s10, v0
	v_mov_b32_e32 v3, v2
	s_and_saveexec_b64 s[8:9], vcc
	s_cbranch_execz .LBB812_351
; %bb.350:
	s_waitcnt lgkmcnt(0)
	v_lshlrev_b32_e32 v1, 2, v0
	global_load_dword v4, v1, s[6:7]
	v_mov_b32_e32 v5, v2
	s_waitcnt vmcnt(0)
	v_mov_b64_e32 v[2:3], v[4:5]
.LBB812_351:
	s_or_b64 exec, exec, s[8:9]
	s_waitcnt lgkmcnt(0)
	v_or_b32_e32 v1, 0x100, v0
	v_cmp_gt_u32_e32 vcc, s10, v1
	s_and_saveexec_b64 s[8:9], vcc
	s_cbranch_execz .LBB812_353
; %bb.352:
	v_lshlrev_b32_e32 v1, 2, v0
	global_load_dword v3, v1, s[6:7] offset:1024
.LBB812_353:
	s_or_b64 exec, exec, s[8:9]
	s_and_saveexec_b64 s[6:7], vcc
	s_cbranch_execz .LBB812_355
; %bb.354:
	s_waitcnt vmcnt(0)
	v_add_u32_e32 v2, v2, v3
	v_ashrrev_i32_e32 v3, 31, v2
	v_lshl_add_u64 v[2:3], v[2:3], 2, s[66:67]
	global_load_dword v2, v[2:3], off
.LBB812_355:
	s_or_b64 exec, exec, s[6:7]
	v_mbcnt_lo_u32_b32 v1, -1, 0
	v_mbcnt_hi_u32_b32 v1, -1, v1
	s_waitcnt vmcnt(0)
	v_and_b32_e32 v3, 63, v1
	v_cmp_ne_u32_e32 vcc, 63, v3
	s_min_u32 s8, s10, 0x100
	v_add_u32_e32 v6, 1, v3
	v_addc_co_u32_e32 v4, vcc, 0, v1, vcc
	v_lshlrev_b32_e32 v4, 2, v4
	ds_bpermute_b32 v5, v4, v2
	v_and_b32_e32 v4, 0xc0, v0
	v_sub_u32_e64 v4, s8, v4 clamp
	v_cmp_lt_u32_e32 vcc, v6, v4
	s_and_saveexec_b64 s[6:7], vcc
	s_xor_b64 s[6:7], exec, s[6:7]
	s_cbranch_execz .LBB812_357
; %bb.356:
	s_waitcnt lgkmcnt(0)
	v_add_u32_e32 v6, v5, v2
	v_ashrrev_i32_e32 v7, 31, v6
	v_lshl_add_u64 v[6:7], v[6:7], 2, s[66:67]
	global_load_dword v2, v[6:7], off
.LBB812_357:
	s_or_b64 exec, exec, s[6:7]
	v_cmp_gt_u32_e32 vcc, 62, v3
	v_add_u32_e32 v6, 2, v3
	s_waitcnt lgkmcnt(0)
	v_cndmask_b32_e64 v5, 0, 2, vcc
	v_add_lshl_u32 v5, v5, v1, 2
	s_waitcnt vmcnt(0)
	ds_bpermute_b32 v5, v5, v2
	v_cmp_lt_u32_e32 vcc, v6, v4
	s_and_saveexec_b64 s[6:7], vcc
	s_cbranch_execz .LBB812_359
; %bb.358:
	s_waitcnt lgkmcnt(0)
	v_add_u32_e32 v6, v5, v2
	v_ashrrev_i32_e32 v7, 31, v6
	v_lshl_add_u64 v[6:7], v[6:7], 2, s[66:67]
	global_load_dword v2, v[6:7], off
.LBB812_359:
	s_or_b64 exec, exec, s[6:7]
	v_cmp_gt_u32_e32 vcc, 60, v3
	v_add_u32_e32 v6, 4, v3
	s_waitcnt lgkmcnt(0)
	v_cndmask_b32_e64 v5, 0, 4, vcc
	v_add_lshl_u32 v5, v5, v1, 2
	s_waitcnt vmcnt(0)
	ds_bpermute_b32 v5, v5, v2
	v_cmp_lt_u32_e32 vcc, v6, v4
	s_and_saveexec_b64 s[6:7], vcc
	;; [unrolled: 18-line block ×4, first 2 shown]
	s_cbranch_execz .LBB812_365
; %bb.364:
	s_waitcnt lgkmcnt(0)
	v_add_u32_e32 v6, v5, v2
	v_ashrrev_i32_e32 v7, 31, v6
	v_lshl_add_u64 v[6:7], v[6:7], 2, s[66:67]
	global_load_dword v2, v[6:7], off
.LBB812_365:
	s_or_b64 exec, exec, s[6:7]
	s_waitcnt lgkmcnt(0)
	v_lshlrev_b32_e32 v5, 2, v1
	v_or_b32_e32 v6, 0x80, v5
	s_waitcnt vmcnt(0)
	ds_bpermute_b32 v6, v6, v2
	v_add_u32_e32 v3, 32, v3
	v_cmp_lt_u32_e32 vcc, v3, v4
	s_and_saveexec_b64 s[6:7], vcc
	s_cbranch_execz .LBB812_367
; %bb.366:
	s_waitcnt lgkmcnt(0)
	v_add_u32_e32 v2, v6, v2
	v_ashrrev_i32_e32 v3, 31, v2
	v_lshl_add_u64 v[2:3], v[2:3], 2, s[66:67]
	global_load_dword v2, v[2:3], off
.LBB812_367:
	s_or_b64 exec, exec, s[6:7]
	v_cmp_eq_u32_e32 vcc, 0, v1
	s_and_saveexec_b64 s[6:7], vcc
	s_cbranch_execz .LBB812_369
; %bb.368:
	v_lshrrev_b32_e32 v3, 4, v0
	v_and_b32_e32 v3, 12, v3
	s_waitcnt vmcnt(0)
	ds_write_b32 v3, v2
.LBB812_369:
	s_or_b64 exec, exec, s[6:7]
	v_cmp_gt_u32_e32 vcc, 4, v0
	s_waitcnt lgkmcnt(0)
	s_barrier
                                        ; implicit-def: $vgpr4
	s_and_saveexec_b64 s[6:7], vcc
	s_cbranch_execz .LBB812_375
; %bb.370:
	s_waitcnt vmcnt(0)
	ds_read_b32 v2, v5
	v_and_b32_e32 v3, 3, v1
	v_cmp_ne_u32_e32 vcc, 3, v3
	s_add_i32 s8, s8, 63
	s_lshr_b32 s10, s8, 6
	v_addc_co_u32_e32 v1, vcc, 0, v1, vcc
	v_lshlrev_b32_e32 v1, 2, v1
	s_waitcnt lgkmcnt(0)
	ds_bpermute_b32 v1, v1, v2
	v_add_u32_e32 v4, 1, v3
	v_cmp_gt_u32_e32 vcc, s10, v4
	s_and_saveexec_b64 s[8:9], vcc
	s_cbranch_execz .LBB812_372
; %bb.371:
	s_waitcnt lgkmcnt(0)
	v_add_u32_e32 v6, v1, v2
	v_ashrrev_i32_e32 v7, 31, v6
	v_lshl_add_u64 v[6:7], v[6:7], 2, s[66:67]
	global_load_dword v2, v[6:7], off
.LBB812_372:
	s_or_b64 exec, exec, s[8:9]
	s_waitcnt lgkmcnt(0)
	v_or_b32_e32 v1, 8, v5
	s_waitcnt vmcnt(0)
	ds_bpermute_b32 v1, v1, v2
	v_add_u32_e32 v3, 2, v3
	v_cmp_gt_u32_e32 vcc, s10, v3
	s_mov_b64 s[8:9], s[4:5]
                                        ; implicit-def: $vgpr4
	s_and_saveexec_b64 s[10:11], vcc
	s_cbranch_execz .LBB812_374
; %bb.373:
	s_waitcnt lgkmcnt(0)
	v_add_u32_e32 v4, v1, v2
	s_or_b64 s[8:9], s[4:5], exec
.LBB812_374:
	s_or_b64 exec, exec, s[10:11]
	s_andn2_b64 s[4:5], s[4:5], exec
	s_and_b64 s[8:9], s[8:9], exec
	s_or_b64 s[4:5], s[4:5], s[8:9]
.LBB812_375:
	s_or_b64 exec, exec, s[6:7]
.LBB812_376:
	s_and_saveexec_b64 s[6:7], s[4:5]
	s_cbranch_execz .LBB812_378
; %bb.377:
	v_ashrrev_i32_e32 v5, 31, v4
	s_waitcnt vmcnt(0)
	v_lshl_add_u64 v[2:3], v[4:5], 2, s[66:67]
	global_load_dword v2, v[2:3], off
.LBB812_378:
	s_or_b64 exec, exec, s[6:7]
	v_cmp_eq_u32_e32 vcc, 0, v0
	s_and_saveexec_b64 s[4:5], vcc
	s_xor_b64 s[4:5], exec, s[4:5]
	s_cbranch_execz .LBB812_380
; %bb.379:
	s_cmp_eq_u64 s[70:71], 0
	s_cselect_b64 s[6:7], -1, 0
	s_cmp_lg_u64 s[70:71], 0
	s_cselect_b64 s[8:9], -1, 0
	s_andn2_b64 s[10:11], s[34:35], exec
	s_and_b64 s[6:7], s[6:7], exec
	s_or_b64 s[34:35], s[10:11], s[6:7]
	s_andn2_b64 s[6:7], s[36:37], exec
	s_and_b64 s[8:9], s[8:9], exec
	s_or_b64 s[36:37], s[6:7], s[8:9]
.LBB812_380:
	s_or_b64 exec, exec, s[4:5]
	s_branch .LBB812_389
.LBB812_381:
	s_cmp_eq_u32 s80, 1
	s_cbranch_scc0 .LBB812_388
; %bb.382:
	s_mov_b32 s7, 0
	s_lshl_b32 s6, s2, 8
	s_mov_b32 s3, s7
	s_lshr_b64 s[4:5], s[70:71], 8
	s_cmp_lg_u64 s[4:5], s[2:3]
	s_waitcnt lgkmcnt(0)
	v_mbcnt_lo_u32_b32 v1, -1, 0
	s_cbranch_scc0 .LBB812_392
; %bb.383:
	s_lshl_b64 s[4:5], s[6:7], 2
	s_add_u32 s4, s68, s4
	s_addc_u32 s5, s69, s5
	s_waitcnt vmcnt(0)
	v_lshlrev_b32_e32 v2, 2, v0
	global_load_dword v2, v2, s[4:5]
	v_mbcnt_hi_u32_b32 v5, -1, v1
	v_cmp_eq_u32_e32 vcc, 0, v5
	s_waitcnt vmcnt(0)
	v_add_u32_dpp v2, v2, v2 quad_perm:[1,0,3,2] row_mask:0xf bank_mask:0xf bound_ctrl:1
	v_ashrrev_i32_e32 v3, 31, v2
	v_lshl_add_u64 v[2:3], v[2:3], 2, s[66:67]
	global_load_dword v2, v[2:3], off
	s_waitcnt vmcnt(0)
	s_nop 0
	v_add_u32_dpp v2, v2, v2 quad_perm:[2,3,0,1] row_mask:0xf bank_mask:0xf bound_ctrl:1
	v_ashrrev_i32_e32 v3, 31, v2
	v_lshl_add_u64 v[2:3], v[2:3], 2, s[66:67]
	global_load_dword v2, v[2:3], off
	s_waitcnt vmcnt(0)
	s_nop 0
	v_add_u32_dpp v2, v2, v2 row_ror:4 row_mask:0xf bank_mask:0xf bound_ctrl:1
	v_ashrrev_i32_e32 v3, 31, v2
	v_lshl_add_u64 v[2:3], v[2:3], 2, s[66:67]
	global_load_dword v2, v[2:3], off
	s_waitcnt vmcnt(0)
	s_nop 0
	v_add_u32_dpp v2, v2, v2 row_ror:8 row_mask:0xf bank_mask:0xf bound_ctrl:1
	v_ashrrev_i32_e32 v3, 31, v2
	v_lshl_add_u64 v[2:3], v[2:3], 2, s[66:67]
	global_load_dword v2, v[2:3], off
	s_waitcnt vmcnt(0)
	s_nop 0
	v_add_u32_dpp v2, v2, v2 row_bcast:15 row_mask:0xf bank_mask:0xf bound_ctrl:1
	v_ashrrev_i32_e32 v3, 31, v2
	v_lshl_add_u64 v[2:3], v[2:3], 2, s[66:67]
	global_load_dword v2, v[2:3], off
	s_waitcnt vmcnt(0)
	s_nop 0
	v_add_u32_dpp v2, v2, v2 row_bcast:31 row_mask:0xf bank_mask:0xf bound_ctrl:1
	v_ashrrev_i32_e32 v3, 31, v2
	v_lshl_add_u64 v[2:3], v[2:3], 2, s[66:67]
	global_load_dword v2, v[2:3], off
	v_lshlrev_b32_e32 v3, 2, v5
	v_or_b32_e32 v4, 0xfc, v3
	s_waitcnt vmcnt(0)
	ds_bpermute_b32 v2, v4, v2
	s_and_saveexec_b64 s[4:5], vcc
	s_cbranch_execz .LBB812_385
; %bb.384:
	v_lshrrev_b32_e32 v4, 4, v0
	v_and_b32_e32 v4, 12, v4
	s_waitcnt lgkmcnt(0)
	ds_write_b32 v4, v2 offset:32
.LBB812_385:
	s_or_b64 exec, exec, s[4:5]
	v_cmp_gt_u32_e32 vcc, 64, v0
	s_mov_b64 s[8:9], 0
	s_mov_b64 s[4:5], 0
	s_waitcnt lgkmcnt(0)
	s_barrier
                                        ; implicit-def: $vgpr4
	s_and_saveexec_b64 s[10:11], vcc
	s_xor_b64 s[10:11], exec, s[10:11]
	s_cbranch_execz .LBB812_387
; %bb.386:
	v_and_b32_e32 v4, 3, v5
	v_lshlrev_b32_e32 v6, 2, v4
	ds_read_b32 v6, v6 offset:32
	v_cmp_ne_u32_e32 vcc, 3, v4
	v_or_b32_e32 v3, 8, v3
	s_mov_b64 s[4:5], exec
	v_addc_co_u32_e32 v4, vcc, 0, v5, vcc
	v_lshlrev_b32_e32 v4, 2, v4
	s_waitcnt lgkmcnt(0)
	ds_bpermute_b32 v4, v4, v6
	s_waitcnt lgkmcnt(0)
	v_add_u32_e32 v4, v4, v6
	v_ashrrev_i32_e32 v5, 31, v4
	v_lshl_add_u64 v[4:5], v[4:5], 2, s[66:67]
	global_load_dword v4, v[4:5], off
	s_waitcnt vmcnt(0)
	ds_bpermute_b32 v3, v3, v4
	s_waitcnt lgkmcnt(0)
	v_add_u32_e32 v4, v3, v4
.LBB812_387:
	s_or_b64 exec, exec, s[10:11]
	s_and_b64 vcc, exec, s[8:9]
	s_cbranch_vccnz .LBB812_393
	s_branch .LBB812_416
.LBB812_388:
                                        ; implicit-def: $sgpr2_sgpr3
                                        ; implicit-def: $vgpr2
.LBB812_389:
	v_mov_b32_e32 v0, s33
	s_and_saveexec_b64 s[4:5], s[36:37]
	s_cbranch_execnz .LBB812_421
.LBB812_390:
	s_or_b64 exec, exec, s[4:5]
	s_and_saveexec_b64 s[4:5], s[34:35]
	s_cbranch_execnz .LBB812_422
.LBB812_391:
	s_endpgm
.LBB812_392:
	s_mov_b64 s[4:5], 0
                                        ; implicit-def: $vgpr4
                                        ; implicit-def: $vgpr2
	s_cbranch_execz .LBB812_416
.LBB812_393:
	s_sub_i32 s10, s70, s6
	v_cmp_gt_u32_e32 vcc, s10, v0
                                        ; implicit-def: $vgpr2
	s_and_saveexec_b64 s[8:9], vcc
	s_cbranch_execz .LBB812_395
; %bb.394:
	s_lshl_b64 s[6:7], s[6:7], 2
	s_add_u32 s6, s68, s6
	s_addc_u32 s7, s69, s7
	s_waitcnt vmcnt(0)
	v_lshlrev_b32_e32 v2, 2, v0
	global_load_dword v2, v2, s[6:7]
.LBB812_395:
	s_or_b64 exec, exec, s[8:9]
	v_mbcnt_hi_u32_b32 v1, -1, v1
	v_and_b32_e32 v3, 63, v1
	v_cmp_ne_u32_e32 vcc, 63, v3
	s_min_u32 s8, s10, 0x100
	v_add_u32_e32 v6, 1, v3
	v_addc_co_u32_e32 v4, vcc, 0, v1, vcc
	v_lshlrev_b32_e32 v4, 2, v4
	s_waitcnt vmcnt(0)
	ds_bpermute_b32 v5, v4, v2
	v_and_b32_e32 v4, 0xc0, v0
	v_sub_u32_e64 v4, s8, v4 clamp
	v_cmp_lt_u32_e32 vcc, v6, v4
	s_and_saveexec_b64 s[6:7], vcc
	s_cbranch_execz .LBB812_397
; %bb.396:
	s_waitcnt lgkmcnt(0)
	v_add_u32_e32 v6, v5, v2
	v_ashrrev_i32_e32 v7, 31, v6
	v_lshl_add_u64 v[6:7], v[6:7], 2, s[66:67]
	global_load_dword v2, v[6:7], off
.LBB812_397:
	s_or_b64 exec, exec, s[6:7]
	v_cmp_gt_u32_e32 vcc, 62, v3
	v_add_u32_e32 v6, 2, v3
	s_waitcnt lgkmcnt(0)
	v_cndmask_b32_e64 v5, 0, 2, vcc
	v_add_lshl_u32 v5, v5, v1, 2
	s_waitcnt vmcnt(0)
	ds_bpermute_b32 v5, v5, v2
	v_cmp_lt_u32_e32 vcc, v6, v4
	s_and_saveexec_b64 s[6:7], vcc
	s_cbranch_execz .LBB812_399
; %bb.398:
	s_waitcnt lgkmcnt(0)
	v_add_u32_e32 v6, v5, v2
	v_ashrrev_i32_e32 v7, 31, v6
	v_lshl_add_u64 v[6:7], v[6:7], 2, s[66:67]
	global_load_dword v2, v[6:7], off
.LBB812_399:
	s_or_b64 exec, exec, s[6:7]
	v_cmp_gt_u32_e32 vcc, 60, v3
	v_add_u32_e32 v6, 4, v3
	s_waitcnt lgkmcnt(0)
	v_cndmask_b32_e64 v5, 0, 4, vcc
	v_add_lshl_u32 v5, v5, v1, 2
	s_waitcnt vmcnt(0)
	ds_bpermute_b32 v5, v5, v2
	;; [unrolled: 18-line block ×4, first 2 shown]
	v_cmp_lt_u32_e32 vcc, v6, v4
	s_and_saveexec_b64 s[6:7], vcc
	s_cbranch_execz .LBB812_405
; %bb.404:
	s_waitcnt lgkmcnt(0)
	v_add_u32_e32 v6, v5, v2
	v_ashrrev_i32_e32 v7, 31, v6
	v_lshl_add_u64 v[6:7], v[6:7], 2, s[66:67]
	global_load_dword v2, v[6:7], off
.LBB812_405:
	s_or_b64 exec, exec, s[6:7]
	s_waitcnt lgkmcnt(0)
	v_lshlrev_b32_e32 v5, 2, v1
	v_or_b32_e32 v6, 0x80, v5
	s_waitcnt vmcnt(0)
	ds_bpermute_b32 v6, v6, v2
	v_add_u32_e32 v3, 32, v3
	v_cmp_lt_u32_e32 vcc, v3, v4
	s_and_saveexec_b64 s[6:7], vcc
	s_cbranch_execz .LBB812_407
; %bb.406:
	s_waitcnt lgkmcnt(0)
	v_add_u32_e32 v2, v6, v2
	v_ashrrev_i32_e32 v3, 31, v2
	v_lshl_add_u64 v[2:3], v[2:3], 2, s[66:67]
	global_load_dword v2, v[2:3], off
.LBB812_407:
	s_or_b64 exec, exec, s[6:7]
	v_cmp_eq_u32_e32 vcc, 0, v1
	s_and_saveexec_b64 s[6:7], vcc
	s_cbranch_execz .LBB812_409
; %bb.408:
	v_lshrrev_b32_e32 v3, 4, v0
	v_and_b32_e32 v3, 12, v3
	s_waitcnt vmcnt(0)
	ds_write_b32 v3, v2
.LBB812_409:
	s_or_b64 exec, exec, s[6:7]
	v_cmp_gt_u32_e32 vcc, 4, v0
	s_waitcnt lgkmcnt(0)
	s_barrier
                                        ; implicit-def: $vgpr4
	s_and_saveexec_b64 s[6:7], vcc
	s_cbranch_execz .LBB812_415
; %bb.410:
	s_waitcnt vmcnt(0)
	ds_read_b32 v2, v5
	v_and_b32_e32 v3, 3, v1
	v_cmp_ne_u32_e32 vcc, 3, v3
	s_add_i32 s8, s8, 63
	s_lshr_b32 s10, s8, 6
	v_addc_co_u32_e32 v1, vcc, 0, v1, vcc
	v_lshlrev_b32_e32 v1, 2, v1
	s_waitcnt lgkmcnt(0)
	ds_bpermute_b32 v1, v1, v2
	v_add_u32_e32 v4, 1, v3
	v_cmp_gt_u32_e32 vcc, s10, v4
	s_and_saveexec_b64 s[8:9], vcc
	s_cbranch_execz .LBB812_412
; %bb.411:
	s_waitcnt lgkmcnt(0)
	v_add_u32_e32 v6, v1, v2
	v_ashrrev_i32_e32 v7, 31, v6
	v_lshl_add_u64 v[6:7], v[6:7], 2, s[66:67]
	global_load_dword v2, v[6:7], off
.LBB812_412:
	s_or_b64 exec, exec, s[8:9]
	s_waitcnt lgkmcnt(0)
	v_or_b32_e32 v1, 8, v5
	s_waitcnt vmcnt(0)
	ds_bpermute_b32 v1, v1, v2
	v_add_u32_e32 v3, 2, v3
	v_cmp_gt_u32_e32 vcc, s10, v3
	s_mov_b64 s[8:9], s[4:5]
                                        ; implicit-def: $vgpr4
	s_and_saveexec_b64 s[10:11], vcc
	s_cbranch_execz .LBB812_414
; %bb.413:
	s_waitcnt lgkmcnt(0)
	v_add_u32_e32 v4, v1, v2
	s_or_b64 s[8:9], s[4:5], exec
.LBB812_414:
	s_or_b64 exec, exec, s[10:11]
	s_andn2_b64 s[4:5], s[4:5], exec
	s_and_b64 s[8:9], s[8:9], exec
	s_or_b64 s[4:5], s[4:5], s[8:9]
.LBB812_415:
	s_or_b64 exec, exec, s[6:7]
.LBB812_416:
	s_and_saveexec_b64 s[6:7], s[4:5]
	s_cbranch_execz .LBB812_418
; %bb.417:
	v_ashrrev_i32_e32 v5, 31, v4
	s_waitcnt vmcnt(0)
	v_lshl_add_u64 v[2:3], v[4:5], 2, s[66:67]
	global_load_dword v2, v[2:3], off
.LBB812_418:
	s_or_b64 exec, exec, s[6:7]
	v_cmp_eq_u32_e32 vcc, 0, v0
	s_and_saveexec_b64 s[4:5], vcc
	s_cbranch_execz .LBB812_420
; %bb.419:
	s_cmp_eq_u64 s[70:71], 0
	s_cselect_b64 s[6:7], -1, 0
	s_cmp_lg_u64 s[70:71], 0
	s_cselect_b64 s[8:9], -1, 0
	s_andn2_b64 s[10:11], s[34:35], exec
	s_and_b64 s[6:7], s[6:7], exec
	s_or_b64 s[34:35], s[10:11], s[6:7]
	s_andn2_b64 s[6:7], s[36:37], exec
	s_and_b64 s[8:9], s[8:9], exec
	s_or_b64 s[36:37], s[6:7], s[8:9]
.LBB812_420:
	s_or_b64 exec, exec, s[4:5]
	v_mov_b32_e32 v0, s33
	s_and_saveexec_b64 s[4:5], s[36:37]
	s_cbranch_execz .LBB812_390
.LBB812_421:
	s_waitcnt vmcnt(0)
	v_add_u32_e32 v0, s33, v2
	s_waitcnt lgkmcnt(0)
	v_ashrrev_i32_e32 v1, 31, v0
	v_lshl_add_u64 v[0:1], v[0:1], 2, s[66:67]
	global_load_dword v0, v[0:1], off
	s_or_b64 s[34:35], s[34:35], exec
	s_or_b64 exec, exec, s[4:5]
	s_and_saveexec_b64 s[4:5], s[34:35]
	s_cbranch_execz .LBB812_391
.LBB812_422:
	s_load_dwordx2 s[0:1], s[0:1], 0x18
	s_lshl_b64 s[2:3], s[2:3], 2
	s_waitcnt lgkmcnt(0)
	v_mov_b32_e32 v1, 0
	s_add_u32 s0, s0, s2
	s_addc_u32 s1, s1, s3
	s_waitcnt vmcnt(0)
	global_store_dword v1, v0, s[0:1]
	s_endpgm
.LBB812_423:
	v_lshlrev_b32_e32 v1, 2, v1
	global_load_dword v33, v1, s[76:77]
	s_or_b64 exec, exec, s[78:79]
	s_and_saveexec_b64 s[76:77], vcc
	s_cbranch_execz .LBB812_88
.LBB812_424:
	s_waitcnt vmcnt(0)
	v_add_u32_e32 v2, v3, v2
	v_ashrrev_i32_e32 v3, 31, v2
	v_lshl_add_u64 v[2:3], v[2:3], 2, s[66:67]
	global_load_dword v2, v[2:3], off
	s_or_b64 exec, exec, s[76:77]
	s_and_saveexec_b64 s[76:77], s[4:5]
	s_cbranch_execz .LBB812_89
.LBB812_425:
	s_waitcnt vmcnt(0)
	v_add_u32_e32 v2, v2, v4
	v_ashrrev_i32_e32 v3, 31, v2
	v_lshl_add_u64 v[2:3], v[2:3], 2, s[66:67]
	global_load_dword v2, v[2:3], off
	s_or_b64 exec, exec, s[76:77]
	s_and_saveexec_b64 s[4:5], s[6:7]
	s_cbranch_execz .LBB812_90
.LBB812_426:
	s_waitcnt vmcnt(0)
	v_add_u32_e32 v2, v2, v5
	v_ashrrev_i32_e32 v3, 31, v2
	v_lshl_add_u64 v[2:3], v[2:3], 2, s[66:67]
	global_load_dword v2, v[2:3], off
	s_or_b64 exec, exec, s[4:5]
	s_and_saveexec_b64 s[4:5], s[8:9]
	s_cbranch_execz .LBB812_91
.LBB812_427:
	s_waitcnt vmcnt(0)
	v_add_u32_e32 v2, v2, v6
	v_ashrrev_i32_e32 v3, 31, v2
	v_lshl_add_u64 v[2:3], v[2:3], 2, s[66:67]
	global_load_dword v2, v[2:3], off
	s_or_b64 exec, exec, s[4:5]
	s_and_saveexec_b64 s[4:5], s[10:11]
	s_cbranch_execz .LBB812_92
.LBB812_428:
	s_waitcnt vmcnt(0)
	v_add_u32_e32 v2, v2, v7
	v_ashrrev_i32_e32 v3, 31, v2
	v_lshl_add_u64 v[2:3], v[2:3], 2, s[66:67]
	global_load_dword v2, v[2:3], off
	s_or_b64 exec, exec, s[4:5]
	s_and_saveexec_b64 s[4:5], s[12:13]
	s_cbranch_execz .LBB812_93
.LBB812_429:
	s_waitcnt vmcnt(0)
	v_add_u32_e32 v2, v2, v8
	v_ashrrev_i32_e32 v3, 31, v2
	v_lshl_add_u64 v[2:3], v[2:3], 2, s[66:67]
	global_load_dword v2, v[2:3], off
	s_or_b64 exec, exec, s[4:5]
	s_and_saveexec_b64 s[4:5], s[14:15]
	s_cbranch_execz .LBB812_94
.LBB812_430:
	s_waitcnt vmcnt(0)
	v_add_u32_e32 v2, v2, v9
	v_ashrrev_i32_e32 v3, 31, v2
	v_lshl_add_u64 v[2:3], v[2:3], 2, s[66:67]
	global_load_dword v2, v[2:3], off
	s_or_b64 exec, exec, s[4:5]
	s_and_saveexec_b64 s[4:5], s[16:17]
	s_cbranch_execz .LBB812_95
.LBB812_431:
	s_waitcnt vmcnt(0)
	v_add_u32_e32 v2, v2, v10
	v_ashrrev_i32_e32 v3, 31, v2
	v_lshl_add_u64 v[2:3], v[2:3], 2, s[66:67]
	global_load_dword v2, v[2:3], off
	s_or_b64 exec, exec, s[4:5]
	s_and_saveexec_b64 s[4:5], s[18:19]
	s_cbranch_execz .LBB812_96
.LBB812_432:
	s_waitcnt vmcnt(0)
	v_add_u32_e32 v2, v2, v11
	v_ashrrev_i32_e32 v3, 31, v2
	v_lshl_add_u64 v[2:3], v[2:3], 2, s[66:67]
	global_load_dword v2, v[2:3], off
	s_or_b64 exec, exec, s[4:5]
	s_and_saveexec_b64 s[4:5], s[20:21]
	s_cbranch_execz .LBB812_97
.LBB812_433:
	s_waitcnt vmcnt(0)
	v_add_u32_e32 v2, v2, v12
	v_ashrrev_i32_e32 v3, 31, v2
	v_lshl_add_u64 v[2:3], v[2:3], 2, s[66:67]
	global_load_dword v2, v[2:3], off
	s_or_b64 exec, exec, s[4:5]
	s_and_saveexec_b64 s[4:5], s[22:23]
	s_cbranch_execz .LBB812_98
.LBB812_434:
	s_waitcnt vmcnt(0)
	v_add_u32_e32 v2, v2, v13
	v_ashrrev_i32_e32 v3, 31, v2
	v_lshl_add_u64 v[2:3], v[2:3], 2, s[66:67]
	global_load_dword v2, v[2:3], off
	s_or_b64 exec, exec, s[4:5]
	s_and_saveexec_b64 s[4:5], s[24:25]
	s_cbranch_execz .LBB812_99
.LBB812_435:
	s_waitcnt vmcnt(0)
	v_add_u32_e32 v2, v2, v14
	v_ashrrev_i32_e32 v3, 31, v2
	v_lshl_add_u64 v[2:3], v[2:3], 2, s[66:67]
	global_load_dword v2, v[2:3], off
	s_or_b64 exec, exec, s[4:5]
	s_and_saveexec_b64 s[4:5], s[26:27]
	s_cbranch_execz .LBB812_100
.LBB812_436:
	s_waitcnt vmcnt(0)
	v_add_u32_e32 v2, v2, v15
	v_ashrrev_i32_e32 v3, 31, v2
	v_lshl_add_u64 v[2:3], v[2:3], 2, s[66:67]
	global_load_dword v2, v[2:3], off
	s_or_b64 exec, exec, s[4:5]
	s_and_saveexec_b64 s[4:5], s[28:29]
	s_cbranch_execz .LBB812_101
.LBB812_437:
	s_waitcnt vmcnt(0)
	v_add_u32_e32 v2, v2, v16
	v_ashrrev_i32_e32 v3, 31, v2
	v_lshl_add_u64 v[2:3], v[2:3], 2, s[66:67]
	global_load_dword v2, v[2:3], off
	s_or_b64 exec, exec, s[4:5]
	s_and_saveexec_b64 s[4:5], s[30:31]
	s_cbranch_execz .LBB812_102
.LBB812_438:
	s_waitcnt vmcnt(0)
	v_add_u32_e32 v2, v2, v17
	v_ashrrev_i32_e32 v3, 31, v2
	v_lshl_add_u64 v[2:3], v[2:3], 2, s[66:67]
	global_load_dword v2, v[2:3], off
	s_or_b64 exec, exec, s[4:5]
	s_and_saveexec_b64 s[4:5], s[34:35]
	s_cbranch_execz .LBB812_103
.LBB812_439:
	s_waitcnt vmcnt(0)
	v_add_u32_e32 v2, v2, v18
	v_ashrrev_i32_e32 v3, 31, v2
	v_lshl_add_u64 v[2:3], v[2:3], 2, s[66:67]
	global_load_dword v2, v[2:3], off
	s_or_b64 exec, exec, s[4:5]
	s_and_saveexec_b64 s[4:5], s[36:37]
	s_cbranch_execz .LBB812_104
.LBB812_440:
	s_waitcnt vmcnt(0)
	v_add_u32_e32 v2, v2, v19
	v_ashrrev_i32_e32 v3, 31, v2
	v_lshl_add_u64 v[2:3], v[2:3], 2, s[66:67]
	global_load_dword v2, v[2:3], off
	s_or_b64 exec, exec, s[4:5]
	s_and_saveexec_b64 s[4:5], s[38:39]
	s_cbranch_execz .LBB812_105
.LBB812_441:
	s_waitcnt vmcnt(0)
	v_add_u32_e32 v2, v2, v20
	v_ashrrev_i32_e32 v3, 31, v2
	v_lshl_add_u64 v[2:3], v[2:3], 2, s[66:67]
	global_load_dword v2, v[2:3], off
	s_or_b64 exec, exec, s[4:5]
	s_and_saveexec_b64 s[4:5], s[40:41]
	s_cbranch_execz .LBB812_106
.LBB812_442:
	s_waitcnt vmcnt(0)
	v_add_u32_e32 v2, v2, v21
	v_ashrrev_i32_e32 v3, 31, v2
	v_lshl_add_u64 v[2:3], v[2:3], 2, s[66:67]
	global_load_dword v2, v[2:3], off
	s_or_b64 exec, exec, s[4:5]
	s_and_saveexec_b64 s[4:5], s[42:43]
	s_cbranch_execz .LBB812_107
.LBB812_443:
	s_waitcnt vmcnt(0)
	v_add_u32_e32 v2, v2, v22
	v_ashrrev_i32_e32 v3, 31, v2
	v_lshl_add_u64 v[2:3], v[2:3], 2, s[66:67]
	global_load_dword v2, v[2:3], off
	s_or_b64 exec, exec, s[4:5]
	s_and_saveexec_b64 s[4:5], s[44:45]
	s_cbranch_execz .LBB812_108
.LBB812_444:
	s_waitcnt vmcnt(0)
	v_add_u32_e32 v2, v2, v23
	v_ashrrev_i32_e32 v3, 31, v2
	v_lshl_add_u64 v[2:3], v[2:3], 2, s[66:67]
	global_load_dword v2, v[2:3], off
	s_or_b64 exec, exec, s[4:5]
	s_and_saveexec_b64 s[4:5], s[46:47]
	s_cbranch_execz .LBB812_109
.LBB812_445:
	s_waitcnt vmcnt(0)
	v_add_u32_e32 v2, v2, v24
	v_ashrrev_i32_e32 v3, 31, v2
	v_lshl_add_u64 v[2:3], v[2:3], 2, s[66:67]
	global_load_dword v2, v[2:3], off
	s_or_b64 exec, exec, s[4:5]
	s_and_saveexec_b64 s[4:5], s[48:49]
	s_cbranch_execz .LBB812_110
.LBB812_446:
	s_waitcnt vmcnt(0)
	v_add_u32_e32 v2, v2, v25
	v_ashrrev_i32_e32 v3, 31, v2
	v_lshl_add_u64 v[2:3], v[2:3], 2, s[66:67]
	global_load_dword v2, v[2:3], off
	s_or_b64 exec, exec, s[4:5]
	s_and_saveexec_b64 s[4:5], s[50:51]
	s_cbranch_execz .LBB812_111
.LBB812_447:
	s_waitcnt vmcnt(0)
	v_add_u32_e32 v2, v2, v26
	v_ashrrev_i32_e32 v3, 31, v2
	v_lshl_add_u64 v[2:3], v[2:3], 2, s[66:67]
	global_load_dword v2, v[2:3], off
	s_or_b64 exec, exec, s[4:5]
	s_and_saveexec_b64 s[4:5], s[52:53]
	s_cbranch_execz .LBB812_112
.LBB812_448:
	s_waitcnt vmcnt(0)
	v_add_u32_e32 v2, v2, v27
	v_ashrrev_i32_e32 v3, 31, v2
	v_lshl_add_u64 v[2:3], v[2:3], 2, s[66:67]
	global_load_dword v2, v[2:3], off
	s_or_b64 exec, exec, s[4:5]
	s_and_saveexec_b64 s[4:5], s[54:55]
	s_cbranch_execz .LBB812_113
.LBB812_449:
	s_waitcnt vmcnt(0)
	v_add_u32_e32 v2, v2, v28
	v_ashrrev_i32_e32 v3, 31, v2
	v_lshl_add_u64 v[2:3], v[2:3], 2, s[66:67]
	global_load_dword v2, v[2:3], off
	s_or_b64 exec, exec, s[4:5]
	s_and_saveexec_b64 s[4:5], s[56:57]
	s_cbranch_execz .LBB812_114
.LBB812_450:
	s_waitcnt vmcnt(0)
	v_add_u32_e32 v2, v2, v29
	v_ashrrev_i32_e32 v3, 31, v2
	v_lshl_add_u64 v[2:3], v[2:3], 2, s[66:67]
	global_load_dword v2, v[2:3], off
	s_or_b64 exec, exec, s[4:5]
	s_and_saveexec_b64 s[4:5], s[58:59]
	s_cbranch_execz .LBB812_115
.LBB812_451:
	s_waitcnt vmcnt(0)
	v_add_u32_e32 v2, v2, v30
	v_ashrrev_i32_e32 v3, 31, v2
	v_lshl_add_u64 v[2:3], v[2:3], 2, s[66:67]
	global_load_dword v2, v[2:3], off
	s_or_b64 exec, exec, s[4:5]
	s_and_saveexec_b64 s[4:5], s[60:61]
	s_cbranch_execz .LBB812_116
.LBB812_452:
	s_waitcnt vmcnt(0)
	v_add_u32_e32 v2, v2, v31
	v_ashrrev_i32_e32 v3, 31, v2
	v_lshl_add_u64 v[2:3], v[2:3], 2, s[66:67]
	global_load_dword v2, v[2:3], off
	s_or_b64 exec, exec, s[4:5]
	s_and_saveexec_b64 s[4:5], s[62:63]
	s_cbranch_execz .LBB812_117
.LBB812_453:
	s_waitcnt vmcnt(0)
	v_add_u32_e32 v2, v2, v32
	v_ashrrev_i32_e32 v3, 31, v2
	v_lshl_add_u64 v[2:3], v[2:3], 2, s[66:67]
	global_load_dword v2, v[2:3], off
	s_or_b64 exec, exec, s[4:5]
	s_and_saveexec_b64 s[4:5], s[64:65]
	s_cbranch_execnz .LBB812_118
	s_branch .LBB812_119
.LBB812_454:
	v_lshlrev_b32_e32 v1, 2, v1
	global_load_dword v17, v1, s[40:41]
	s_or_b64 exec, exec, s[42:43]
	s_and_saveexec_b64 s[40:41], vcc
	s_cbranch_execz .LBB812_180
.LBB812_455:
	s_waitcnt vmcnt(0)
	v_add_u32_e32 v2, v3, v2
	v_ashrrev_i32_e32 v3, 31, v2
	v_lshl_add_u64 v[2:3], v[2:3], 2, s[66:67]
	global_load_dword v2, v[2:3], off
	s_or_b64 exec, exec, s[40:41]
	s_and_saveexec_b64 s[40:41], s[4:5]
	s_cbranch_execz .LBB812_181
.LBB812_456:
	s_waitcnt vmcnt(0)
	v_add_u32_e32 v2, v2, v4
	v_ashrrev_i32_e32 v3, 31, v2
	v_lshl_add_u64 v[2:3], v[2:3], 2, s[66:67]
	global_load_dword v2, v[2:3], off
	s_or_b64 exec, exec, s[40:41]
	s_and_saveexec_b64 s[4:5], s[6:7]
	s_cbranch_execz .LBB812_182
.LBB812_457:
	s_waitcnt vmcnt(0)
	v_add_u32_e32 v2, v2, v5
	v_ashrrev_i32_e32 v3, 31, v2
	v_lshl_add_u64 v[2:3], v[2:3], 2, s[66:67]
	global_load_dword v2, v[2:3], off
	s_or_b64 exec, exec, s[4:5]
	s_and_saveexec_b64 s[4:5], s[8:9]
	s_cbranch_execz .LBB812_183
.LBB812_458:
	s_waitcnt vmcnt(0)
	v_add_u32_e32 v2, v2, v6
	v_ashrrev_i32_e32 v3, 31, v2
	v_lshl_add_u64 v[2:3], v[2:3], 2, s[66:67]
	global_load_dword v2, v[2:3], off
	s_or_b64 exec, exec, s[4:5]
	s_and_saveexec_b64 s[4:5], s[10:11]
	s_cbranch_execz .LBB812_184
.LBB812_459:
	s_waitcnt vmcnt(0)
	v_add_u32_e32 v2, v2, v7
	v_ashrrev_i32_e32 v3, 31, v2
	v_lshl_add_u64 v[2:3], v[2:3], 2, s[66:67]
	global_load_dword v2, v[2:3], off
	s_or_b64 exec, exec, s[4:5]
	s_and_saveexec_b64 s[4:5], s[12:13]
	s_cbranch_execz .LBB812_185
.LBB812_460:
	s_waitcnt vmcnt(0)
	v_add_u32_e32 v2, v2, v8
	v_ashrrev_i32_e32 v3, 31, v2
	v_lshl_add_u64 v[2:3], v[2:3], 2, s[66:67]
	global_load_dword v2, v[2:3], off
	s_or_b64 exec, exec, s[4:5]
	s_and_saveexec_b64 s[4:5], s[14:15]
	s_cbranch_execz .LBB812_186
.LBB812_461:
	s_waitcnt vmcnt(0)
	v_add_u32_e32 v2, v2, v9
	v_ashrrev_i32_e32 v3, 31, v2
	v_lshl_add_u64 v[2:3], v[2:3], 2, s[66:67]
	global_load_dword v2, v[2:3], off
	s_or_b64 exec, exec, s[4:5]
	s_and_saveexec_b64 s[4:5], s[16:17]
	s_cbranch_execz .LBB812_187
.LBB812_462:
	s_waitcnt vmcnt(0)
	v_add_u32_e32 v2, v2, v10
	v_ashrrev_i32_e32 v3, 31, v2
	v_lshl_add_u64 v[2:3], v[2:3], 2, s[66:67]
	global_load_dword v2, v[2:3], off
	s_or_b64 exec, exec, s[4:5]
	s_and_saveexec_b64 s[4:5], s[18:19]
	s_cbranch_execz .LBB812_188
.LBB812_463:
	s_waitcnt vmcnt(0)
	v_add_u32_e32 v2, v2, v11
	v_ashrrev_i32_e32 v3, 31, v2
	v_lshl_add_u64 v[2:3], v[2:3], 2, s[66:67]
	global_load_dword v2, v[2:3], off
	s_or_b64 exec, exec, s[4:5]
	s_and_saveexec_b64 s[4:5], s[20:21]
	s_cbranch_execz .LBB812_189
.LBB812_464:
	s_waitcnt vmcnt(0)
	v_add_u32_e32 v2, v2, v12
	v_ashrrev_i32_e32 v3, 31, v2
	v_lshl_add_u64 v[2:3], v[2:3], 2, s[66:67]
	global_load_dword v2, v[2:3], off
	s_or_b64 exec, exec, s[4:5]
	s_and_saveexec_b64 s[4:5], s[22:23]
	s_cbranch_execz .LBB812_190
.LBB812_465:
	s_waitcnt vmcnt(0)
	v_add_u32_e32 v2, v2, v13
	v_ashrrev_i32_e32 v3, 31, v2
	v_lshl_add_u64 v[2:3], v[2:3], 2, s[66:67]
	global_load_dword v2, v[2:3], off
	s_or_b64 exec, exec, s[4:5]
	s_and_saveexec_b64 s[4:5], s[24:25]
	s_cbranch_execz .LBB812_191
.LBB812_466:
	s_waitcnt vmcnt(0)
	v_add_u32_e32 v2, v2, v14
	v_ashrrev_i32_e32 v3, 31, v2
	v_lshl_add_u64 v[2:3], v[2:3], 2, s[66:67]
	global_load_dword v2, v[2:3], off
	s_or_b64 exec, exec, s[4:5]
	s_and_saveexec_b64 s[4:5], s[26:27]
	s_cbranch_execz .LBB812_192
.LBB812_467:
	s_waitcnt vmcnt(0)
	v_add_u32_e32 v2, v2, v15
	v_ashrrev_i32_e32 v3, 31, v2
	v_lshl_add_u64 v[2:3], v[2:3], 2, s[66:67]
	global_load_dword v2, v[2:3], off
	s_or_b64 exec, exec, s[4:5]
	s_and_saveexec_b64 s[4:5], s[28:29]
	s_cbranch_execz .LBB812_193
.LBB812_468:
	s_waitcnt vmcnt(0)
	v_add_u32_e32 v2, v2, v16
	v_ashrrev_i32_e32 v3, 31, v2
	v_lshl_add_u64 v[2:3], v[2:3], 2, s[66:67]
	global_load_dword v2, v[2:3], off
	s_or_b64 exec, exec, s[4:5]
	s_and_saveexec_b64 s[4:5], s[30:31]
	s_cbranch_execnz .LBB812_194
	s_branch .LBB812_195
.LBB812_469:
	v_lshlrev_b32_e32 v1, 2, v0
	global_load_dword v5, v1, s[10:11] offset:3072
	s_or_b64 exec, exec, s[12:13]
	s_and_saveexec_b64 s[10:11], vcc
	s_cbranch_execz .LBB812_310
.LBB812_470:
	s_waitcnt vmcnt(0)
	v_add_u32_e32 v2, v3, v2
	v_ashrrev_i32_e32 v3, 31, v2
	v_lshl_add_u64 v[2:3], v[2:3], 2, s[66:67]
	global_load_dword v2, v[2:3], off
	s_or_b64 exec, exec, s[10:11]
	s_and_saveexec_b64 s[10:11], s[4:5]
	s_cbranch_execz .LBB812_311
.LBB812_471:
	s_waitcnt vmcnt(0)
	v_add_u32_e32 v2, v2, v4
	v_ashrrev_i32_e32 v3, 31, v2
	v_lshl_add_u64 v[2:3], v[2:3], 2, s[66:67]
	global_load_dword v2, v[2:3], off
	s_or_b64 exec, exec, s[10:11]
	s_and_saveexec_b64 s[4:5], s[6:7]
	s_cbranch_execnz .LBB812_312
	s_branch .LBB812_313
	.section	.rodata,"a",@progbits
	.p2align	6, 0x0
	.amdhsa_kernel _ZN7rocprim17ROCPRIM_400000_NS6detail17trampoline_kernelINS0_14default_configENS1_22reduce_config_selectorIjEEZNS1_11reduce_implILb1ES3_PjS7_j9plus_mod3IjEEE10hipError_tPvRmT1_T2_T3_mT4_P12ihipStream_tbEUlT_E1_NS1_11comp_targetILNS1_3genE0ELNS1_11target_archE4294967295ELNS1_3gpuE0ELNS1_3repE0EEENS1_30default_config_static_selectorELNS0_4arch9wavefront6targetE1EEEvSD_
		.amdhsa_group_segment_fixed_size 112
		.amdhsa_private_segment_fixed_size 0
		.amdhsa_kernarg_size 48
		.amdhsa_user_sgpr_count 2
		.amdhsa_user_sgpr_dispatch_ptr 0
		.amdhsa_user_sgpr_queue_ptr 0
		.amdhsa_user_sgpr_kernarg_segment_ptr 1
		.amdhsa_user_sgpr_dispatch_id 0
		.amdhsa_user_sgpr_kernarg_preload_length 0
		.amdhsa_user_sgpr_kernarg_preload_offset 0
		.amdhsa_user_sgpr_private_segment_size 0
		.amdhsa_uses_dynamic_stack 0
		.amdhsa_enable_private_segment 0
		.amdhsa_system_sgpr_workgroup_id_x 1
		.amdhsa_system_sgpr_workgroup_id_y 0
		.amdhsa_system_sgpr_workgroup_id_z 0
		.amdhsa_system_sgpr_workgroup_info 0
		.amdhsa_system_vgpr_workitem_id 0
		.amdhsa_next_free_vgpr 36
		.amdhsa_next_free_sgpr 82
		.amdhsa_accum_offset 36
		.amdhsa_reserve_vcc 1
		.amdhsa_float_round_mode_32 0
		.amdhsa_float_round_mode_16_64 0
		.amdhsa_float_denorm_mode_32 3
		.amdhsa_float_denorm_mode_16_64 3
		.amdhsa_dx10_clamp 1
		.amdhsa_ieee_mode 1
		.amdhsa_fp16_overflow 0
		.amdhsa_tg_split 0
		.amdhsa_exception_fp_ieee_invalid_op 0
		.amdhsa_exception_fp_denorm_src 0
		.amdhsa_exception_fp_ieee_div_zero 0
		.amdhsa_exception_fp_ieee_overflow 0
		.amdhsa_exception_fp_ieee_underflow 0
		.amdhsa_exception_fp_ieee_inexact 0
		.amdhsa_exception_int_div_zero 0
	.end_amdhsa_kernel
	.section	.text._ZN7rocprim17ROCPRIM_400000_NS6detail17trampoline_kernelINS0_14default_configENS1_22reduce_config_selectorIjEEZNS1_11reduce_implILb1ES3_PjS7_j9plus_mod3IjEEE10hipError_tPvRmT1_T2_T3_mT4_P12ihipStream_tbEUlT_E1_NS1_11comp_targetILNS1_3genE0ELNS1_11target_archE4294967295ELNS1_3gpuE0ELNS1_3repE0EEENS1_30default_config_static_selectorELNS0_4arch9wavefront6targetE1EEEvSD_,"axG",@progbits,_ZN7rocprim17ROCPRIM_400000_NS6detail17trampoline_kernelINS0_14default_configENS1_22reduce_config_selectorIjEEZNS1_11reduce_implILb1ES3_PjS7_j9plus_mod3IjEEE10hipError_tPvRmT1_T2_T3_mT4_P12ihipStream_tbEUlT_E1_NS1_11comp_targetILNS1_3genE0ELNS1_11target_archE4294967295ELNS1_3gpuE0ELNS1_3repE0EEENS1_30default_config_static_selectorELNS0_4arch9wavefront6targetE1EEEvSD_,comdat
.Lfunc_end812:
	.size	_ZN7rocprim17ROCPRIM_400000_NS6detail17trampoline_kernelINS0_14default_configENS1_22reduce_config_selectorIjEEZNS1_11reduce_implILb1ES3_PjS7_j9plus_mod3IjEEE10hipError_tPvRmT1_T2_T3_mT4_P12ihipStream_tbEUlT_E1_NS1_11comp_targetILNS1_3genE0ELNS1_11target_archE4294967295ELNS1_3gpuE0ELNS1_3repE0EEENS1_30default_config_static_selectorELNS0_4arch9wavefront6targetE1EEEvSD_, .Lfunc_end812-_ZN7rocprim17ROCPRIM_400000_NS6detail17trampoline_kernelINS0_14default_configENS1_22reduce_config_selectorIjEEZNS1_11reduce_implILb1ES3_PjS7_j9plus_mod3IjEEE10hipError_tPvRmT1_T2_T3_mT4_P12ihipStream_tbEUlT_E1_NS1_11comp_targetILNS1_3genE0ELNS1_11target_archE4294967295ELNS1_3gpuE0ELNS1_3repE0EEENS1_30default_config_static_selectorELNS0_4arch9wavefront6targetE1EEEvSD_
                                        ; -- End function
	.set _ZN7rocprim17ROCPRIM_400000_NS6detail17trampoline_kernelINS0_14default_configENS1_22reduce_config_selectorIjEEZNS1_11reduce_implILb1ES3_PjS7_j9plus_mod3IjEEE10hipError_tPvRmT1_T2_T3_mT4_P12ihipStream_tbEUlT_E1_NS1_11comp_targetILNS1_3genE0ELNS1_11target_archE4294967295ELNS1_3gpuE0ELNS1_3repE0EEENS1_30default_config_static_selectorELNS0_4arch9wavefront6targetE1EEEvSD_.num_vgpr, 36
	.set _ZN7rocprim17ROCPRIM_400000_NS6detail17trampoline_kernelINS0_14default_configENS1_22reduce_config_selectorIjEEZNS1_11reduce_implILb1ES3_PjS7_j9plus_mod3IjEEE10hipError_tPvRmT1_T2_T3_mT4_P12ihipStream_tbEUlT_E1_NS1_11comp_targetILNS1_3genE0ELNS1_11target_archE4294967295ELNS1_3gpuE0ELNS1_3repE0EEENS1_30default_config_static_selectorELNS0_4arch9wavefront6targetE1EEEvSD_.num_agpr, 0
	.set _ZN7rocprim17ROCPRIM_400000_NS6detail17trampoline_kernelINS0_14default_configENS1_22reduce_config_selectorIjEEZNS1_11reduce_implILb1ES3_PjS7_j9plus_mod3IjEEE10hipError_tPvRmT1_T2_T3_mT4_P12ihipStream_tbEUlT_E1_NS1_11comp_targetILNS1_3genE0ELNS1_11target_archE4294967295ELNS1_3gpuE0ELNS1_3repE0EEENS1_30default_config_static_selectorELNS0_4arch9wavefront6targetE1EEEvSD_.numbered_sgpr, 82
	.set _ZN7rocprim17ROCPRIM_400000_NS6detail17trampoline_kernelINS0_14default_configENS1_22reduce_config_selectorIjEEZNS1_11reduce_implILb1ES3_PjS7_j9plus_mod3IjEEE10hipError_tPvRmT1_T2_T3_mT4_P12ihipStream_tbEUlT_E1_NS1_11comp_targetILNS1_3genE0ELNS1_11target_archE4294967295ELNS1_3gpuE0ELNS1_3repE0EEENS1_30default_config_static_selectorELNS0_4arch9wavefront6targetE1EEEvSD_.num_named_barrier, 0
	.set _ZN7rocprim17ROCPRIM_400000_NS6detail17trampoline_kernelINS0_14default_configENS1_22reduce_config_selectorIjEEZNS1_11reduce_implILb1ES3_PjS7_j9plus_mod3IjEEE10hipError_tPvRmT1_T2_T3_mT4_P12ihipStream_tbEUlT_E1_NS1_11comp_targetILNS1_3genE0ELNS1_11target_archE4294967295ELNS1_3gpuE0ELNS1_3repE0EEENS1_30default_config_static_selectorELNS0_4arch9wavefront6targetE1EEEvSD_.private_seg_size, 0
	.set _ZN7rocprim17ROCPRIM_400000_NS6detail17trampoline_kernelINS0_14default_configENS1_22reduce_config_selectorIjEEZNS1_11reduce_implILb1ES3_PjS7_j9plus_mod3IjEEE10hipError_tPvRmT1_T2_T3_mT4_P12ihipStream_tbEUlT_E1_NS1_11comp_targetILNS1_3genE0ELNS1_11target_archE4294967295ELNS1_3gpuE0ELNS1_3repE0EEENS1_30default_config_static_selectorELNS0_4arch9wavefront6targetE1EEEvSD_.uses_vcc, 1
	.set _ZN7rocprim17ROCPRIM_400000_NS6detail17trampoline_kernelINS0_14default_configENS1_22reduce_config_selectorIjEEZNS1_11reduce_implILb1ES3_PjS7_j9plus_mod3IjEEE10hipError_tPvRmT1_T2_T3_mT4_P12ihipStream_tbEUlT_E1_NS1_11comp_targetILNS1_3genE0ELNS1_11target_archE4294967295ELNS1_3gpuE0ELNS1_3repE0EEENS1_30default_config_static_selectorELNS0_4arch9wavefront6targetE1EEEvSD_.uses_flat_scratch, 0
	.set _ZN7rocprim17ROCPRIM_400000_NS6detail17trampoline_kernelINS0_14default_configENS1_22reduce_config_selectorIjEEZNS1_11reduce_implILb1ES3_PjS7_j9plus_mod3IjEEE10hipError_tPvRmT1_T2_T3_mT4_P12ihipStream_tbEUlT_E1_NS1_11comp_targetILNS1_3genE0ELNS1_11target_archE4294967295ELNS1_3gpuE0ELNS1_3repE0EEENS1_30default_config_static_selectorELNS0_4arch9wavefront6targetE1EEEvSD_.has_dyn_sized_stack, 0
	.set _ZN7rocprim17ROCPRIM_400000_NS6detail17trampoline_kernelINS0_14default_configENS1_22reduce_config_selectorIjEEZNS1_11reduce_implILb1ES3_PjS7_j9plus_mod3IjEEE10hipError_tPvRmT1_T2_T3_mT4_P12ihipStream_tbEUlT_E1_NS1_11comp_targetILNS1_3genE0ELNS1_11target_archE4294967295ELNS1_3gpuE0ELNS1_3repE0EEENS1_30default_config_static_selectorELNS0_4arch9wavefront6targetE1EEEvSD_.has_recursion, 0
	.set _ZN7rocprim17ROCPRIM_400000_NS6detail17trampoline_kernelINS0_14default_configENS1_22reduce_config_selectorIjEEZNS1_11reduce_implILb1ES3_PjS7_j9plus_mod3IjEEE10hipError_tPvRmT1_T2_T3_mT4_P12ihipStream_tbEUlT_E1_NS1_11comp_targetILNS1_3genE0ELNS1_11target_archE4294967295ELNS1_3gpuE0ELNS1_3repE0EEENS1_30default_config_static_selectorELNS0_4arch9wavefront6targetE1EEEvSD_.has_indirect_call, 0
	.section	.AMDGPU.csdata,"",@progbits
; Kernel info:
; codeLenInByte = 16776
; TotalNumSgprs: 88
; NumVgprs: 36
; NumAgprs: 0
; TotalNumVgprs: 36
; ScratchSize: 0
; MemoryBound: 0
; FloatMode: 240
; IeeeMode: 1
; LDSByteSize: 112 bytes/workgroup (compile time only)
; SGPRBlocks: 10
; VGPRBlocks: 4
; NumSGPRsForWavesPerEU: 88
; NumVGPRsForWavesPerEU: 36
; AccumOffset: 36
; Occupancy: 8
; WaveLimiterHint : 1
; COMPUTE_PGM_RSRC2:SCRATCH_EN: 0
; COMPUTE_PGM_RSRC2:USER_SGPR: 2
; COMPUTE_PGM_RSRC2:TRAP_HANDLER: 0
; COMPUTE_PGM_RSRC2:TGID_X_EN: 1
; COMPUTE_PGM_RSRC2:TGID_Y_EN: 0
; COMPUTE_PGM_RSRC2:TGID_Z_EN: 0
; COMPUTE_PGM_RSRC2:TIDIG_COMP_CNT: 0
; COMPUTE_PGM_RSRC3_GFX90A:ACCUM_OFFSET: 8
; COMPUTE_PGM_RSRC3_GFX90A:TG_SPLIT: 0
	.section	.text._ZN7rocprim17ROCPRIM_400000_NS6detail17trampoline_kernelINS0_14default_configENS1_22reduce_config_selectorIjEEZNS1_11reduce_implILb1ES3_PjS7_j9plus_mod3IjEEE10hipError_tPvRmT1_T2_T3_mT4_P12ihipStream_tbEUlT_E1_NS1_11comp_targetILNS1_3genE5ELNS1_11target_archE942ELNS1_3gpuE9ELNS1_3repE0EEENS1_30default_config_static_selectorELNS0_4arch9wavefront6targetE1EEEvSD_,"axG",@progbits,_ZN7rocprim17ROCPRIM_400000_NS6detail17trampoline_kernelINS0_14default_configENS1_22reduce_config_selectorIjEEZNS1_11reduce_implILb1ES3_PjS7_j9plus_mod3IjEEE10hipError_tPvRmT1_T2_T3_mT4_P12ihipStream_tbEUlT_E1_NS1_11comp_targetILNS1_3genE5ELNS1_11target_archE942ELNS1_3gpuE9ELNS1_3repE0EEENS1_30default_config_static_selectorELNS0_4arch9wavefront6targetE1EEEvSD_,comdat
	.protected	_ZN7rocprim17ROCPRIM_400000_NS6detail17trampoline_kernelINS0_14default_configENS1_22reduce_config_selectorIjEEZNS1_11reduce_implILb1ES3_PjS7_j9plus_mod3IjEEE10hipError_tPvRmT1_T2_T3_mT4_P12ihipStream_tbEUlT_E1_NS1_11comp_targetILNS1_3genE5ELNS1_11target_archE942ELNS1_3gpuE9ELNS1_3repE0EEENS1_30default_config_static_selectorELNS0_4arch9wavefront6targetE1EEEvSD_ ; -- Begin function _ZN7rocprim17ROCPRIM_400000_NS6detail17trampoline_kernelINS0_14default_configENS1_22reduce_config_selectorIjEEZNS1_11reduce_implILb1ES3_PjS7_j9plus_mod3IjEEE10hipError_tPvRmT1_T2_T3_mT4_P12ihipStream_tbEUlT_E1_NS1_11comp_targetILNS1_3genE5ELNS1_11target_archE942ELNS1_3gpuE9ELNS1_3repE0EEENS1_30default_config_static_selectorELNS0_4arch9wavefront6targetE1EEEvSD_
	.globl	_ZN7rocprim17ROCPRIM_400000_NS6detail17trampoline_kernelINS0_14default_configENS1_22reduce_config_selectorIjEEZNS1_11reduce_implILb1ES3_PjS7_j9plus_mod3IjEEE10hipError_tPvRmT1_T2_T3_mT4_P12ihipStream_tbEUlT_E1_NS1_11comp_targetILNS1_3genE5ELNS1_11target_archE942ELNS1_3gpuE9ELNS1_3repE0EEENS1_30default_config_static_selectorELNS0_4arch9wavefront6targetE1EEEvSD_
	.p2align	8
	.type	_ZN7rocprim17ROCPRIM_400000_NS6detail17trampoline_kernelINS0_14default_configENS1_22reduce_config_selectorIjEEZNS1_11reduce_implILb1ES3_PjS7_j9plus_mod3IjEEE10hipError_tPvRmT1_T2_T3_mT4_P12ihipStream_tbEUlT_E1_NS1_11comp_targetILNS1_3genE5ELNS1_11target_archE942ELNS1_3gpuE9ELNS1_3repE0EEENS1_30default_config_static_selectorELNS0_4arch9wavefront6targetE1EEEvSD_,@function
_ZN7rocprim17ROCPRIM_400000_NS6detail17trampoline_kernelINS0_14default_configENS1_22reduce_config_selectorIjEEZNS1_11reduce_implILb1ES3_PjS7_j9plus_mod3IjEEE10hipError_tPvRmT1_T2_T3_mT4_P12ihipStream_tbEUlT_E1_NS1_11comp_targetILNS1_3genE5ELNS1_11target_archE942ELNS1_3gpuE9ELNS1_3repE0EEENS1_30default_config_static_selectorELNS0_4arch9wavefront6targetE1EEEvSD_: ; @_ZN7rocprim17ROCPRIM_400000_NS6detail17trampoline_kernelINS0_14default_configENS1_22reduce_config_selectorIjEEZNS1_11reduce_implILb1ES3_PjS7_j9plus_mod3IjEEE10hipError_tPvRmT1_T2_T3_mT4_P12ihipStream_tbEUlT_E1_NS1_11comp_targetILNS1_3genE5ELNS1_11target_archE942ELNS1_3gpuE9ELNS1_3repE0EEENS1_30default_config_static_selectorELNS0_4arch9wavefront6targetE1EEEvSD_
; %bb.0:
	.section	.rodata,"a",@progbits
	.p2align	6, 0x0
	.amdhsa_kernel _ZN7rocprim17ROCPRIM_400000_NS6detail17trampoline_kernelINS0_14default_configENS1_22reduce_config_selectorIjEEZNS1_11reduce_implILb1ES3_PjS7_j9plus_mod3IjEEE10hipError_tPvRmT1_T2_T3_mT4_P12ihipStream_tbEUlT_E1_NS1_11comp_targetILNS1_3genE5ELNS1_11target_archE942ELNS1_3gpuE9ELNS1_3repE0EEENS1_30default_config_static_selectorELNS0_4arch9wavefront6targetE1EEEvSD_
		.amdhsa_group_segment_fixed_size 0
		.amdhsa_private_segment_fixed_size 0
		.amdhsa_kernarg_size 48
		.amdhsa_user_sgpr_count 2
		.amdhsa_user_sgpr_dispatch_ptr 0
		.amdhsa_user_sgpr_queue_ptr 0
		.amdhsa_user_sgpr_kernarg_segment_ptr 1
		.amdhsa_user_sgpr_dispatch_id 0
		.amdhsa_user_sgpr_kernarg_preload_length 0
		.amdhsa_user_sgpr_kernarg_preload_offset 0
		.amdhsa_user_sgpr_private_segment_size 0
		.amdhsa_uses_dynamic_stack 0
		.amdhsa_enable_private_segment 0
		.amdhsa_system_sgpr_workgroup_id_x 1
		.amdhsa_system_sgpr_workgroup_id_y 0
		.amdhsa_system_sgpr_workgroup_id_z 0
		.amdhsa_system_sgpr_workgroup_info 0
		.amdhsa_system_vgpr_workitem_id 0
		.amdhsa_next_free_vgpr 1
		.amdhsa_next_free_sgpr 0
		.amdhsa_accum_offset 4
		.amdhsa_reserve_vcc 0
		.amdhsa_float_round_mode_32 0
		.amdhsa_float_round_mode_16_64 0
		.amdhsa_float_denorm_mode_32 3
		.amdhsa_float_denorm_mode_16_64 3
		.amdhsa_dx10_clamp 1
		.amdhsa_ieee_mode 1
		.amdhsa_fp16_overflow 0
		.amdhsa_tg_split 0
		.amdhsa_exception_fp_ieee_invalid_op 0
		.amdhsa_exception_fp_denorm_src 0
		.amdhsa_exception_fp_ieee_div_zero 0
		.amdhsa_exception_fp_ieee_overflow 0
		.amdhsa_exception_fp_ieee_underflow 0
		.amdhsa_exception_fp_ieee_inexact 0
		.amdhsa_exception_int_div_zero 0
	.end_amdhsa_kernel
	.section	.text._ZN7rocprim17ROCPRIM_400000_NS6detail17trampoline_kernelINS0_14default_configENS1_22reduce_config_selectorIjEEZNS1_11reduce_implILb1ES3_PjS7_j9plus_mod3IjEEE10hipError_tPvRmT1_T2_T3_mT4_P12ihipStream_tbEUlT_E1_NS1_11comp_targetILNS1_3genE5ELNS1_11target_archE942ELNS1_3gpuE9ELNS1_3repE0EEENS1_30default_config_static_selectorELNS0_4arch9wavefront6targetE1EEEvSD_,"axG",@progbits,_ZN7rocprim17ROCPRIM_400000_NS6detail17trampoline_kernelINS0_14default_configENS1_22reduce_config_selectorIjEEZNS1_11reduce_implILb1ES3_PjS7_j9plus_mod3IjEEE10hipError_tPvRmT1_T2_T3_mT4_P12ihipStream_tbEUlT_E1_NS1_11comp_targetILNS1_3genE5ELNS1_11target_archE942ELNS1_3gpuE9ELNS1_3repE0EEENS1_30default_config_static_selectorELNS0_4arch9wavefront6targetE1EEEvSD_,comdat
.Lfunc_end813:
	.size	_ZN7rocprim17ROCPRIM_400000_NS6detail17trampoline_kernelINS0_14default_configENS1_22reduce_config_selectorIjEEZNS1_11reduce_implILb1ES3_PjS7_j9plus_mod3IjEEE10hipError_tPvRmT1_T2_T3_mT4_P12ihipStream_tbEUlT_E1_NS1_11comp_targetILNS1_3genE5ELNS1_11target_archE942ELNS1_3gpuE9ELNS1_3repE0EEENS1_30default_config_static_selectorELNS0_4arch9wavefront6targetE1EEEvSD_, .Lfunc_end813-_ZN7rocprim17ROCPRIM_400000_NS6detail17trampoline_kernelINS0_14default_configENS1_22reduce_config_selectorIjEEZNS1_11reduce_implILb1ES3_PjS7_j9plus_mod3IjEEE10hipError_tPvRmT1_T2_T3_mT4_P12ihipStream_tbEUlT_E1_NS1_11comp_targetILNS1_3genE5ELNS1_11target_archE942ELNS1_3gpuE9ELNS1_3repE0EEENS1_30default_config_static_selectorELNS0_4arch9wavefront6targetE1EEEvSD_
                                        ; -- End function
	.set _ZN7rocprim17ROCPRIM_400000_NS6detail17trampoline_kernelINS0_14default_configENS1_22reduce_config_selectorIjEEZNS1_11reduce_implILb1ES3_PjS7_j9plus_mod3IjEEE10hipError_tPvRmT1_T2_T3_mT4_P12ihipStream_tbEUlT_E1_NS1_11comp_targetILNS1_3genE5ELNS1_11target_archE942ELNS1_3gpuE9ELNS1_3repE0EEENS1_30default_config_static_selectorELNS0_4arch9wavefront6targetE1EEEvSD_.num_vgpr, 0
	.set _ZN7rocprim17ROCPRIM_400000_NS6detail17trampoline_kernelINS0_14default_configENS1_22reduce_config_selectorIjEEZNS1_11reduce_implILb1ES3_PjS7_j9plus_mod3IjEEE10hipError_tPvRmT1_T2_T3_mT4_P12ihipStream_tbEUlT_E1_NS1_11comp_targetILNS1_3genE5ELNS1_11target_archE942ELNS1_3gpuE9ELNS1_3repE0EEENS1_30default_config_static_selectorELNS0_4arch9wavefront6targetE1EEEvSD_.num_agpr, 0
	.set _ZN7rocprim17ROCPRIM_400000_NS6detail17trampoline_kernelINS0_14default_configENS1_22reduce_config_selectorIjEEZNS1_11reduce_implILb1ES3_PjS7_j9plus_mod3IjEEE10hipError_tPvRmT1_T2_T3_mT4_P12ihipStream_tbEUlT_E1_NS1_11comp_targetILNS1_3genE5ELNS1_11target_archE942ELNS1_3gpuE9ELNS1_3repE0EEENS1_30default_config_static_selectorELNS0_4arch9wavefront6targetE1EEEvSD_.numbered_sgpr, 0
	.set _ZN7rocprim17ROCPRIM_400000_NS6detail17trampoline_kernelINS0_14default_configENS1_22reduce_config_selectorIjEEZNS1_11reduce_implILb1ES3_PjS7_j9plus_mod3IjEEE10hipError_tPvRmT1_T2_T3_mT4_P12ihipStream_tbEUlT_E1_NS1_11comp_targetILNS1_3genE5ELNS1_11target_archE942ELNS1_3gpuE9ELNS1_3repE0EEENS1_30default_config_static_selectorELNS0_4arch9wavefront6targetE1EEEvSD_.num_named_barrier, 0
	.set _ZN7rocprim17ROCPRIM_400000_NS6detail17trampoline_kernelINS0_14default_configENS1_22reduce_config_selectorIjEEZNS1_11reduce_implILb1ES3_PjS7_j9plus_mod3IjEEE10hipError_tPvRmT1_T2_T3_mT4_P12ihipStream_tbEUlT_E1_NS1_11comp_targetILNS1_3genE5ELNS1_11target_archE942ELNS1_3gpuE9ELNS1_3repE0EEENS1_30default_config_static_selectorELNS0_4arch9wavefront6targetE1EEEvSD_.private_seg_size, 0
	.set _ZN7rocprim17ROCPRIM_400000_NS6detail17trampoline_kernelINS0_14default_configENS1_22reduce_config_selectorIjEEZNS1_11reduce_implILb1ES3_PjS7_j9plus_mod3IjEEE10hipError_tPvRmT1_T2_T3_mT4_P12ihipStream_tbEUlT_E1_NS1_11comp_targetILNS1_3genE5ELNS1_11target_archE942ELNS1_3gpuE9ELNS1_3repE0EEENS1_30default_config_static_selectorELNS0_4arch9wavefront6targetE1EEEvSD_.uses_vcc, 0
	.set _ZN7rocprim17ROCPRIM_400000_NS6detail17trampoline_kernelINS0_14default_configENS1_22reduce_config_selectorIjEEZNS1_11reduce_implILb1ES3_PjS7_j9plus_mod3IjEEE10hipError_tPvRmT1_T2_T3_mT4_P12ihipStream_tbEUlT_E1_NS1_11comp_targetILNS1_3genE5ELNS1_11target_archE942ELNS1_3gpuE9ELNS1_3repE0EEENS1_30default_config_static_selectorELNS0_4arch9wavefront6targetE1EEEvSD_.uses_flat_scratch, 0
	.set _ZN7rocprim17ROCPRIM_400000_NS6detail17trampoline_kernelINS0_14default_configENS1_22reduce_config_selectorIjEEZNS1_11reduce_implILb1ES3_PjS7_j9plus_mod3IjEEE10hipError_tPvRmT1_T2_T3_mT4_P12ihipStream_tbEUlT_E1_NS1_11comp_targetILNS1_3genE5ELNS1_11target_archE942ELNS1_3gpuE9ELNS1_3repE0EEENS1_30default_config_static_selectorELNS0_4arch9wavefront6targetE1EEEvSD_.has_dyn_sized_stack, 0
	.set _ZN7rocprim17ROCPRIM_400000_NS6detail17trampoline_kernelINS0_14default_configENS1_22reduce_config_selectorIjEEZNS1_11reduce_implILb1ES3_PjS7_j9plus_mod3IjEEE10hipError_tPvRmT1_T2_T3_mT4_P12ihipStream_tbEUlT_E1_NS1_11comp_targetILNS1_3genE5ELNS1_11target_archE942ELNS1_3gpuE9ELNS1_3repE0EEENS1_30default_config_static_selectorELNS0_4arch9wavefront6targetE1EEEvSD_.has_recursion, 0
	.set _ZN7rocprim17ROCPRIM_400000_NS6detail17trampoline_kernelINS0_14default_configENS1_22reduce_config_selectorIjEEZNS1_11reduce_implILb1ES3_PjS7_j9plus_mod3IjEEE10hipError_tPvRmT1_T2_T3_mT4_P12ihipStream_tbEUlT_E1_NS1_11comp_targetILNS1_3genE5ELNS1_11target_archE942ELNS1_3gpuE9ELNS1_3repE0EEENS1_30default_config_static_selectorELNS0_4arch9wavefront6targetE1EEEvSD_.has_indirect_call, 0
	.section	.AMDGPU.csdata,"",@progbits
; Kernel info:
; codeLenInByte = 0
; TotalNumSgprs: 6
; NumVgprs: 0
; NumAgprs: 0
; TotalNumVgprs: 0
; ScratchSize: 0
; MemoryBound: 0
; FloatMode: 240
; IeeeMode: 1
; LDSByteSize: 0 bytes/workgroup (compile time only)
; SGPRBlocks: 0
; VGPRBlocks: 0
; NumSGPRsForWavesPerEU: 6
; NumVGPRsForWavesPerEU: 1
; AccumOffset: 4
; Occupancy: 8
; WaveLimiterHint : 0
; COMPUTE_PGM_RSRC2:SCRATCH_EN: 0
; COMPUTE_PGM_RSRC2:USER_SGPR: 2
; COMPUTE_PGM_RSRC2:TRAP_HANDLER: 0
; COMPUTE_PGM_RSRC2:TGID_X_EN: 1
; COMPUTE_PGM_RSRC2:TGID_Y_EN: 0
; COMPUTE_PGM_RSRC2:TGID_Z_EN: 0
; COMPUTE_PGM_RSRC2:TIDIG_COMP_CNT: 0
; COMPUTE_PGM_RSRC3_GFX90A:ACCUM_OFFSET: 0
; COMPUTE_PGM_RSRC3_GFX90A:TG_SPLIT: 0
	.section	.text._ZN7rocprim17ROCPRIM_400000_NS6detail17trampoline_kernelINS0_14default_configENS1_22reduce_config_selectorIjEEZNS1_11reduce_implILb1ES3_PjS7_j9plus_mod3IjEEE10hipError_tPvRmT1_T2_T3_mT4_P12ihipStream_tbEUlT_E1_NS1_11comp_targetILNS1_3genE4ELNS1_11target_archE910ELNS1_3gpuE8ELNS1_3repE0EEENS1_30default_config_static_selectorELNS0_4arch9wavefront6targetE1EEEvSD_,"axG",@progbits,_ZN7rocprim17ROCPRIM_400000_NS6detail17trampoline_kernelINS0_14default_configENS1_22reduce_config_selectorIjEEZNS1_11reduce_implILb1ES3_PjS7_j9plus_mod3IjEEE10hipError_tPvRmT1_T2_T3_mT4_P12ihipStream_tbEUlT_E1_NS1_11comp_targetILNS1_3genE4ELNS1_11target_archE910ELNS1_3gpuE8ELNS1_3repE0EEENS1_30default_config_static_selectorELNS0_4arch9wavefront6targetE1EEEvSD_,comdat
	.protected	_ZN7rocprim17ROCPRIM_400000_NS6detail17trampoline_kernelINS0_14default_configENS1_22reduce_config_selectorIjEEZNS1_11reduce_implILb1ES3_PjS7_j9plus_mod3IjEEE10hipError_tPvRmT1_T2_T3_mT4_P12ihipStream_tbEUlT_E1_NS1_11comp_targetILNS1_3genE4ELNS1_11target_archE910ELNS1_3gpuE8ELNS1_3repE0EEENS1_30default_config_static_selectorELNS0_4arch9wavefront6targetE1EEEvSD_ ; -- Begin function _ZN7rocprim17ROCPRIM_400000_NS6detail17trampoline_kernelINS0_14default_configENS1_22reduce_config_selectorIjEEZNS1_11reduce_implILb1ES3_PjS7_j9plus_mod3IjEEE10hipError_tPvRmT1_T2_T3_mT4_P12ihipStream_tbEUlT_E1_NS1_11comp_targetILNS1_3genE4ELNS1_11target_archE910ELNS1_3gpuE8ELNS1_3repE0EEENS1_30default_config_static_selectorELNS0_4arch9wavefront6targetE1EEEvSD_
	.globl	_ZN7rocprim17ROCPRIM_400000_NS6detail17trampoline_kernelINS0_14default_configENS1_22reduce_config_selectorIjEEZNS1_11reduce_implILb1ES3_PjS7_j9plus_mod3IjEEE10hipError_tPvRmT1_T2_T3_mT4_P12ihipStream_tbEUlT_E1_NS1_11comp_targetILNS1_3genE4ELNS1_11target_archE910ELNS1_3gpuE8ELNS1_3repE0EEENS1_30default_config_static_selectorELNS0_4arch9wavefront6targetE1EEEvSD_
	.p2align	8
	.type	_ZN7rocprim17ROCPRIM_400000_NS6detail17trampoline_kernelINS0_14default_configENS1_22reduce_config_selectorIjEEZNS1_11reduce_implILb1ES3_PjS7_j9plus_mod3IjEEE10hipError_tPvRmT1_T2_T3_mT4_P12ihipStream_tbEUlT_E1_NS1_11comp_targetILNS1_3genE4ELNS1_11target_archE910ELNS1_3gpuE8ELNS1_3repE0EEENS1_30default_config_static_selectorELNS0_4arch9wavefront6targetE1EEEvSD_,@function
_ZN7rocprim17ROCPRIM_400000_NS6detail17trampoline_kernelINS0_14default_configENS1_22reduce_config_selectorIjEEZNS1_11reduce_implILb1ES3_PjS7_j9plus_mod3IjEEE10hipError_tPvRmT1_T2_T3_mT4_P12ihipStream_tbEUlT_E1_NS1_11comp_targetILNS1_3genE4ELNS1_11target_archE910ELNS1_3gpuE8ELNS1_3repE0EEENS1_30default_config_static_selectorELNS0_4arch9wavefront6targetE1EEEvSD_: ; @_ZN7rocprim17ROCPRIM_400000_NS6detail17trampoline_kernelINS0_14default_configENS1_22reduce_config_selectorIjEEZNS1_11reduce_implILb1ES3_PjS7_j9plus_mod3IjEEE10hipError_tPvRmT1_T2_T3_mT4_P12ihipStream_tbEUlT_E1_NS1_11comp_targetILNS1_3genE4ELNS1_11target_archE910ELNS1_3gpuE8ELNS1_3repE0EEENS1_30default_config_static_selectorELNS0_4arch9wavefront6targetE1EEEvSD_
; %bb.0:
	.section	.rodata,"a",@progbits
	.p2align	6, 0x0
	.amdhsa_kernel _ZN7rocprim17ROCPRIM_400000_NS6detail17trampoline_kernelINS0_14default_configENS1_22reduce_config_selectorIjEEZNS1_11reduce_implILb1ES3_PjS7_j9plus_mod3IjEEE10hipError_tPvRmT1_T2_T3_mT4_P12ihipStream_tbEUlT_E1_NS1_11comp_targetILNS1_3genE4ELNS1_11target_archE910ELNS1_3gpuE8ELNS1_3repE0EEENS1_30default_config_static_selectorELNS0_4arch9wavefront6targetE1EEEvSD_
		.amdhsa_group_segment_fixed_size 0
		.amdhsa_private_segment_fixed_size 0
		.amdhsa_kernarg_size 48
		.amdhsa_user_sgpr_count 2
		.amdhsa_user_sgpr_dispatch_ptr 0
		.amdhsa_user_sgpr_queue_ptr 0
		.amdhsa_user_sgpr_kernarg_segment_ptr 1
		.amdhsa_user_sgpr_dispatch_id 0
		.amdhsa_user_sgpr_kernarg_preload_length 0
		.amdhsa_user_sgpr_kernarg_preload_offset 0
		.amdhsa_user_sgpr_private_segment_size 0
		.amdhsa_uses_dynamic_stack 0
		.amdhsa_enable_private_segment 0
		.amdhsa_system_sgpr_workgroup_id_x 1
		.amdhsa_system_sgpr_workgroup_id_y 0
		.amdhsa_system_sgpr_workgroup_id_z 0
		.amdhsa_system_sgpr_workgroup_info 0
		.amdhsa_system_vgpr_workitem_id 0
		.amdhsa_next_free_vgpr 1
		.amdhsa_next_free_sgpr 0
		.amdhsa_accum_offset 4
		.amdhsa_reserve_vcc 0
		.amdhsa_float_round_mode_32 0
		.amdhsa_float_round_mode_16_64 0
		.amdhsa_float_denorm_mode_32 3
		.amdhsa_float_denorm_mode_16_64 3
		.amdhsa_dx10_clamp 1
		.amdhsa_ieee_mode 1
		.amdhsa_fp16_overflow 0
		.amdhsa_tg_split 0
		.amdhsa_exception_fp_ieee_invalid_op 0
		.amdhsa_exception_fp_denorm_src 0
		.amdhsa_exception_fp_ieee_div_zero 0
		.amdhsa_exception_fp_ieee_overflow 0
		.amdhsa_exception_fp_ieee_underflow 0
		.amdhsa_exception_fp_ieee_inexact 0
		.amdhsa_exception_int_div_zero 0
	.end_amdhsa_kernel
	.section	.text._ZN7rocprim17ROCPRIM_400000_NS6detail17trampoline_kernelINS0_14default_configENS1_22reduce_config_selectorIjEEZNS1_11reduce_implILb1ES3_PjS7_j9plus_mod3IjEEE10hipError_tPvRmT1_T2_T3_mT4_P12ihipStream_tbEUlT_E1_NS1_11comp_targetILNS1_3genE4ELNS1_11target_archE910ELNS1_3gpuE8ELNS1_3repE0EEENS1_30default_config_static_selectorELNS0_4arch9wavefront6targetE1EEEvSD_,"axG",@progbits,_ZN7rocprim17ROCPRIM_400000_NS6detail17trampoline_kernelINS0_14default_configENS1_22reduce_config_selectorIjEEZNS1_11reduce_implILb1ES3_PjS7_j9plus_mod3IjEEE10hipError_tPvRmT1_T2_T3_mT4_P12ihipStream_tbEUlT_E1_NS1_11comp_targetILNS1_3genE4ELNS1_11target_archE910ELNS1_3gpuE8ELNS1_3repE0EEENS1_30default_config_static_selectorELNS0_4arch9wavefront6targetE1EEEvSD_,comdat
.Lfunc_end814:
	.size	_ZN7rocprim17ROCPRIM_400000_NS6detail17trampoline_kernelINS0_14default_configENS1_22reduce_config_selectorIjEEZNS1_11reduce_implILb1ES3_PjS7_j9plus_mod3IjEEE10hipError_tPvRmT1_T2_T3_mT4_P12ihipStream_tbEUlT_E1_NS1_11comp_targetILNS1_3genE4ELNS1_11target_archE910ELNS1_3gpuE8ELNS1_3repE0EEENS1_30default_config_static_selectorELNS0_4arch9wavefront6targetE1EEEvSD_, .Lfunc_end814-_ZN7rocprim17ROCPRIM_400000_NS6detail17trampoline_kernelINS0_14default_configENS1_22reduce_config_selectorIjEEZNS1_11reduce_implILb1ES3_PjS7_j9plus_mod3IjEEE10hipError_tPvRmT1_T2_T3_mT4_P12ihipStream_tbEUlT_E1_NS1_11comp_targetILNS1_3genE4ELNS1_11target_archE910ELNS1_3gpuE8ELNS1_3repE0EEENS1_30default_config_static_selectorELNS0_4arch9wavefront6targetE1EEEvSD_
                                        ; -- End function
	.set _ZN7rocprim17ROCPRIM_400000_NS6detail17trampoline_kernelINS0_14default_configENS1_22reduce_config_selectorIjEEZNS1_11reduce_implILb1ES3_PjS7_j9plus_mod3IjEEE10hipError_tPvRmT1_T2_T3_mT4_P12ihipStream_tbEUlT_E1_NS1_11comp_targetILNS1_3genE4ELNS1_11target_archE910ELNS1_3gpuE8ELNS1_3repE0EEENS1_30default_config_static_selectorELNS0_4arch9wavefront6targetE1EEEvSD_.num_vgpr, 0
	.set _ZN7rocprim17ROCPRIM_400000_NS6detail17trampoline_kernelINS0_14default_configENS1_22reduce_config_selectorIjEEZNS1_11reduce_implILb1ES3_PjS7_j9plus_mod3IjEEE10hipError_tPvRmT1_T2_T3_mT4_P12ihipStream_tbEUlT_E1_NS1_11comp_targetILNS1_3genE4ELNS1_11target_archE910ELNS1_3gpuE8ELNS1_3repE0EEENS1_30default_config_static_selectorELNS0_4arch9wavefront6targetE1EEEvSD_.num_agpr, 0
	.set _ZN7rocprim17ROCPRIM_400000_NS6detail17trampoline_kernelINS0_14default_configENS1_22reduce_config_selectorIjEEZNS1_11reduce_implILb1ES3_PjS7_j9plus_mod3IjEEE10hipError_tPvRmT1_T2_T3_mT4_P12ihipStream_tbEUlT_E1_NS1_11comp_targetILNS1_3genE4ELNS1_11target_archE910ELNS1_3gpuE8ELNS1_3repE0EEENS1_30default_config_static_selectorELNS0_4arch9wavefront6targetE1EEEvSD_.numbered_sgpr, 0
	.set _ZN7rocprim17ROCPRIM_400000_NS6detail17trampoline_kernelINS0_14default_configENS1_22reduce_config_selectorIjEEZNS1_11reduce_implILb1ES3_PjS7_j9plus_mod3IjEEE10hipError_tPvRmT1_T2_T3_mT4_P12ihipStream_tbEUlT_E1_NS1_11comp_targetILNS1_3genE4ELNS1_11target_archE910ELNS1_3gpuE8ELNS1_3repE0EEENS1_30default_config_static_selectorELNS0_4arch9wavefront6targetE1EEEvSD_.num_named_barrier, 0
	.set _ZN7rocprim17ROCPRIM_400000_NS6detail17trampoline_kernelINS0_14default_configENS1_22reduce_config_selectorIjEEZNS1_11reduce_implILb1ES3_PjS7_j9plus_mod3IjEEE10hipError_tPvRmT1_T2_T3_mT4_P12ihipStream_tbEUlT_E1_NS1_11comp_targetILNS1_3genE4ELNS1_11target_archE910ELNS1_3gpuE8ELNS1_3repE0EEENS1_30default_config_static_selectorELNS0_4arch9wavefront6targetE1EEEvSD_.private_seg_size, 0
	.set _ZN7rocprim17ROCPRIM_400000_NS6detail17trampoline_kernelINS0_14default_configENS1_22reduce_config_selectorIjEEZNS1_11reduce_implILb1ES3_PjS7_j9plus_mod3IjEEE10hipError_tPvRmT1_T2_T3_mT4_P12ihipStream_tbEUlT_E1_NS1_11comp_targetILNS1_3genE4ELNS1_11target_archE910ELNS1_3gpuE8ELNS1_3repE0EEENS1_30default_config_static_selectorELNS0_4arch9wavefront6targetE1EEEvSD_.uses_vcc, 0
	.set _ZN7rocprim17ROCPRIM_400000_NS6detail17trampoline_kernelINS0_14default_configENS1_22reduce_config_selectorIjEEZNS1_11reduce_implILb1ES3_PjS7_j9plus_mod3IjEEE10hipError_tPvRmT1_T2_T3_mT4_P12ihipStream_tbEUlT_E1_NS1_11comp_targetILNS1_3genE4ELNS1_11target_archE910ELNS1_3gpuE8ELNS1_3repE0EEENS1_30default_config_static_selectorELNS0_4arch9wavefront6targetE1EEEvSD_.uses_flat_scratch, 0
	.set _ZN7rocprim17ROCPRIM_400000_NS6detail17trampoline_kernelINS0_14default_configENS1_22reduce_config_selectorIjEEZNS1_11reduce_implILb1ES3_PjS7_j9plus_mod3IjEEE10hipError_tPvRmT1_T2_T3_mT4_P12ihipStream_tbEUlT_E1_NS1_11comp_targetILNS1_3genE4ELNS1_11target_archE910ELNS1_3gpuE8ELNS1_3repE0EEENS1_30default_config_static_selectorELNS0_4arch9wavefront6targetE1EEEvSD_.has_dyn_sized_stack, 0
	.set _ZN7rocprim17ROCPRIM_400000_NS6detail17trampoline_kernelINS0_14default_configENS1_22reduce_config_selectorIjEEZNS1_11reduce_implILb1ES3_PjS7_j9plus_mod3IjEEE10hipError_tPvRmT1_T2_T3_mT4_P12ihipStream_tbEUlT_E1_NS1_11comp_targetILNS1_3genE4ELNS1_11target_archE910ELNS1_3gpuE8ELNS1_3repE0EEENS1_30default_config_static_selectorELNS0_4arch9wavefront6targetE1EEEvSD_.has_recursion, 0
	.set _ZN7rocprim17ROCPRIM_400000_NS6detail17trampoline_kernelINS0_14default_configENS1_22reduce_config_selectorIjEEZNS1_11reduce_implILb1ES3_PjS7_j9plus_mod3IjEEE10hipError_tPvRmT1_T2_T3_mT4_P12ihipStream_tbEUlT_E1_NS1_11comp_targetILNS1_3genE4ELNS1_11target_archE910ELNS1_3gpuE8ELNS1_3repE0EEENS1_30default_config_static_selectorELNS0_4arch9wavefront6targetE1EEEvSD_.has_indirect_call, 0
	.section	.AMDGPU.csdata,"",@progbits
; Kernel info:
; codeLenInByte = 0
; TotalNumSgprs: 6
; NumVgprs: 0
; NumAgprs: 0
; TotalNumVgprs: 0
; ScratchSize: 0
; MemoryBound: 0
; FloatMode: 240
; IeeeMode: 1
; LDSByteSize: 0 bytes/workgroup (compile time only)
; SGPRBlocks: 0
; VGPRBlocks: 0
; NumSGPRsForWavesPerEU: 6
; NumVGPRsForWavesPerEU: 1
; AccumOffset: 4
; Occupancy: 8
; WaveLimiterHint : 0
; COMPUTE_PGM_RSRC2:SCRATCH_EN: 0
; COMPUTE_PGM_RSRC2:USER_SGPR: 2
; COMPUTE_PGM_RSRC2:TRAP_HANDLER: 0
; COMPUTE_PGM_RSRC2:TGID_X_EN: 1
; COMPUTE_PGM_RSRC2:TGID_Y_EN: 0
; COMPUTE_PGM_RSRC2:TGID_Z_EN: 0
; COMPUTE_PGM_RSRC2:TIDIG_COMP_CNT: 0
; COMPUTE_PGM_RSRC3_GFX90A:ACCUM_OFFSET: 0
; COMPUTE_PGM_RSRC3_GFX90A:TG_SPLIT: 0
	.section	.text._ZN7rocprim17ROCPRIM_400000_NS6detail17trampoline_kernelINS0_14default_configENS1_22reduce_config_selectorIjEEZNS1_11reduce_implILb1ES3_PjS7_j9plus_mod3IjEEE10hipError_tPvRmT1_T2_T3_mT4_P12ihipStream_tbEUlT_E1_NS1_11comp_targetILNS1_3genE3ELNS1_11target_archE908ELNS1_3gpuE7ELNS1_3repE0EEENS1_30default_config_static_selectorELNS0_4arch9wavefront6targetE1EEEvSD_,"axG",@progbits,_ZN7rocprim17ROCPRIM_400000_NS6detail17trampoline_kernelINS0_14default_configENS1_22reduce_config_selectorIjEEZNS1_11reduce_implILb1ES3_PjS7_j9plus_mod3IjEEE10hipError_tPvRmT1_T2_T3_mT4_P12ihipStream_tbEUlT_E1_NS1_11comp_targetILNS1_3genE3ELNS1_11target_archE908ELNS1_3gpuE7ELNS1_3repE0EEENS1_30default_config_static_selectorELNS0_4arch9wavefront6targetE1EEEvSD_,comdat
	.protected	_ZN7rocprim17ROCPRIM_400000_NS6detail17trampoline_kernelINS0_14default_configENS1_22reduce_config_selectorIjEEZNS1_11reduce_implILb1ES3_PjS7_j9plus_mod3IjEEE10hipError_tPvRmT1_T2_T3_mT4_P12ihipStream_tbEUlT_E1_NS1_11comp_targetILNS1_3genE3ELNS1_11target_archE908ELNS1_3gpuE7ELNS1_3repE0EEENS1_30default_config_static_selectorELNS0_4arch9wavefront6targetE1EEEvSD_ ; -- Begin function _ZN7rocprim17ROCPRIM_400000_NS6detail17trampoline_kernelINS0_14default_configENS1_22reduce_config_selectorIjEEZNS1_11reduce_implILb1ES3_PjS7_j9plus_mod3IjEEE10hipError_tPvRmT1_T2_T3_mT4_P12ihipStream_tbEUlT_E1_NS1_11comp_targetILNS1_3genE3ELNS1_11target_archE908ELNS1_3gpuE7ELNS1_3repE0EEENS1_30default_config_static_selectorELNS0_4arch9wavefront6targetE1EEEvSD_
	.globl	_ZN7rocprim17ROCPRIM_400000_NS6detail17trampoline_kernelINS0_14default_configENS1_22reduce_config_selectorIjEEZNS1_11reduce_implILb1ES3_PjS7_j9plus_mod3IjEEE10hipError_tPvRmT1_T2_T3_mT4_P12ihipStream_tbEUlT_E1_NS1_11comp_targetILNS1_3genE3ELNS1_11target_archE908ELNS1_3gpuE7ELNS1_3repE0EEENS1_30default_config_static_selectorELNS0_4arch9wavefront6targetE1EEEvSD_
	.p2align	8
	.type	_ZN7rocprim17ROCPRIM_400000_NS6detail17trampoline_kernelINS0_14default_configENS1_22reduce_config_selectorIjEEZNS1_11reduce_implILb1ES3_PjS7_j9plus_mod3IjEEE10hipError_tPvRmT1_T2_T3_mT4_P12ihipStream_tbEUlT_E1_NS1_11comp_targetILNS1_3genE3ELNS1_11target_archE908ELNS1_3gpuE7ELNS1_3repE0EEENS1_30default_config_static_selectorELNS0_4arch9wavefront6targetE1EEEvSD_,@function
_ZN7rocprim17ROCPRIM_400000_NS6detail17trampoline_kernelINS0_14default_configENS1_22reduce_config_selectorIjEEZNS1_11reduce_implILb1ES3_PjS7_j9plus_mod3IjEEE10hipError_tPvRmT1_T2_T3_mT4_P12ihipStream_tbEUlT_E1_NS1_11comp_targetILNS1_3genE3ELNS1_11target_archE908ELNS1_3gpuE7ELNS1_3repE0EEENS1_30default_config_static_selectorELNS0_4arch9wavefront6targetE1EEEvSD_: ; @_ZN7rocprim17ROCPRIM_400000_NS6detail17trampoline_kernelINS0_14default_configENS1_22reduce_config_selectorIjEEZNS1_11reduce_implILb1ES3_PjS7_j9plus_mod3IjEEE10hipError_tPvRmT1_T2_T3_mT4_P12ihipStream_tbEUlT_E1_NS1_11comp_targetILNS1_3genE3ELNS1_11target_archE908ELNS1_3gpuE7ELNS1_3repE0EEENS1_30default_config_static_selectorELNS0_4arch9wavefront6targetE1EEEvSD_
; %bb.0:
	.section	.rodata,"a",@progbits
	.p2align	6, 0x0
	.amdhsa_kernel _ZN7rocprim17ROCPRIM_400000_NS6detail17trampoline_kernelINS0_14default_configENS1_22reduce_config_selectorIjEEZNS1_11reduce_implILb1ES3_PjS7_j9plus_mod3IjEEE10hipError_tPvRmT1_T2_T3_mT4_P12ihipStream_tbEUlT_E1_NS1_11comp_targetILNS1_3genE3ELNS1_11target_archE908ELNS1_3gpuE7ELNS1_3repE0EEENS1_30default_config_static_selectorELNS0_4arch9wavefront6targetE1EEEvSD_
		.amdhsa_group_segment_fixed_size 0
		.amdhsa_private_segment_fixed_size 0
		.amdhsa_kernarg_size 48
		.amdhsa_user_sgpr_count 2
		.amdhsa_user_sgpr_dispatch_ptr 0
		.amdhsa_user_sgpr_queue_ptr 0
		.amdhsa_user_sgpr_kernarg_segment_ptr 1
		.amdhsa_user_sgpr_dispatch_id 0
		.amdhsa_user_sgpr_kernarg_preload_length 0
		.amdhsa_user_sgpr_kernarg_preload_offset 0
		.amdhsa_user_sgpr_private_segment_size 0
		.amdhsa_uses_dynamic_stack 0
		.amdhsa_enable_private_segment 0
		.amdhsa_system_sgpr_workgroup_id_x 1
		.amdhsa_system_sgpr_workgroup_id_y 0
		.amdhsa_system_sgpr_workgroup_id_z 0
		.amdhsa_system_sgpr_workgroup_info 0
		.amdhsa_system_vgpr_workitem_id 0
		.amdhsa_next_free_vgpr 1
		.amdhsa_next_free_sgpr 0
		.amdhsa_accum_offset 4
		.amdhsa_reserve_vcc 0
		.amdhsa_float_round_mode_32 0
		.amdhsa_float_round_mode_16_64 0
		.amdhsa_float_denorm_mode_32 3
		.amdhsa_float_denorm_mode_16_64 3
		.amdhsa_dx10_clamp 1
		.amdhsa_ieee_mode 1
		.amdhsa_fp16_overflow 0
		.amdhsa_tg_split 0
		.amdhsa_exception_fp_ieee_invalid_op 0
		.amdhsa_exception_fp_denorm_src 0
		.amdhsa_exception_fp_ieee_div_zero 0
		.amdhsa_exception_fp_ieee_overflow 0
		.amdhsa_exception_fp_ieee_underflow 0
		.amdhsa_exception_fp_ieee_inexact 0
		.amdhsa_exception_int_div_zero 0
	.end_amdhsa_kernel
	.section	.text._ZN7rocprim17ROCPRIM_400000_NS6detail17trampoline_kernelINS0_14default_configENS1_22reduce_config_selectorIjEEZNS1_11reduce_implILb1ES3_PjS7_j9plus_mod3IjEEE10hipError_tPvRmT1_T2_T3_mT4_P12ihipStream_tbEUlT_E1_NS1_11comp_targetILNS1_3genE3ELNS1_11target_archE908ELNS1_3gpuE7ELNS1_3repE0EEENS1_30default_config_static_selectorELNS0_4arch9wavefront6targetE1EEEvSD_,"axG",@progbits,_ZN7rocprim17ROCPRIM_400000_NS6detail17trampoline_kernelINS0_14default_configENS1_22reduce_config_selectorIjEEZNS1_11reduce_implILb1ES3_PjS7_j9plus_mod3IjEEE10hipError_tPvRmT1_T2_T3_mT4_P12ihipStream_tbEUlT_E1_NS1_11comp_targetILNS1_3genE3ELNS1_11target_archE908ELNS1_3gpuE7ELNS1_3repE0EEENS1_30default_config_static_selectorELNS0_4arch9wavefront6targetE1EEEvSD_,comdat
.Lfunc_end815:
	.size	_ZN7rocprim17ROCPRIM_400000_NS6detail17trampoline_kernelINS0_14default_configENS1_22reduce_config_selectorIjEEZNS1_11reduce_implILb1ES3_PjS7_j9plus_mod3IjEEE10hipError_tPvRmT1_T2_T3_mT4_P12ihipStream_tbEUlT_E1_NS1_11comp_targetILNS1_3genE3ELNS1_11target_archE908ELNS1_3gpuE7ELNS1_3repE0EEENS1_30default_config_static_selectorELNS0_4arch9wavefront6targetE1EEEvSD_, .Lfunc_end815-_ZN7rocprim17ROCPRIM_400000_NS6detail17trampoline_kernelINS0_14default_configENS1_22reduce_config_selectorIjEEZNS1_11reduce_implILb1ES3_PjS7_j9plus_mod3IjEEE10hipError_tPvRmT1_T2_T3_mT4_P12ihipStream_tbEUlT_E1_NS1_11comp_targetILNS1_3genE3ELNS1_11target_archE908ELNS1_3gpuE7ELNS1_3repE0EEENS1_30default_config_static_selectorELNS0_4arch9wavefront6targetE1EEEvSD_
                                        ; -- End function
	.set _ZN7rocprim17ROCPRIM_400000_NS6detail17trampoline_kernelINS0_14default_configENS1_22reduce_config_selectorIjEEZNS1_11reduce_implILb1ES3_PjS7_j9plus_mod3IjEEE10hipError_tPvRmT1_T2_T3_mT4_P12ihipStream_tbEUlT_E1_NS1_11comp_targetILNS1_3genE3ELNS1_11target_archE908ELNS1_3gpuE7ELNS1_3repE0EEENS1_30default_config_static_selectorELNS0_4arch9wavefront6targetE1EEEvSD_.num_vgpr, 0
	.set _ZN7rocprim17ROCPRIM_400000_NS6detail17trampoline_kernelINS0_14default_configENS1_22reduce_config_selectorIjEEZNS1_11reduce_implILb1ES3_PjS7_j9plus_mod3IjEEE10hipError_tPvRmT1_T2_T3_mT4_P12ihipStream_tbEUlT_E1_NS1_11comp_targetILNS1_3genE3ELNS1_11target_archE908ELNS1_3gpuE7ELNS1_3repE0EEENS1_30default_config_static_selectorELNS0_4arch9wavefront6targetE1EEEvSD_.num_agpr, 0
	.set _ZN7rocprim17ROCPRIM_400000_NS6detail17trampoline_kernelINS0_14default_configENS1_22reduce_config_selectorIjEEZNS1_11reduce_implILb1ES3_PjS7_j9plus_mod3IjEEE10hipError_tPvRmT1_T2_T3_mT4_P12ihipStream_tbEUlT_E1_NS1_11comp_targetILNS1_3genE3ELNS1_11target_archE908ELNS1_3gpuE7ELNS1_3repE0EEENS1_30default_config_static_selectorELNS0_4arch9wavefront6targetE1EEEvSD_.numbered_sgpr, 0
	.set _ZN7rocprim17ROCPRIM_400000_NS6detail17trampoline_kernelINS0_14default_configENS1_22reduce_config_selectorIjEEZNS1_11reduce_implILb1ES3_PjS7_j9plus_mod3IjEEE10hipError_tPvRmT1_T2_T3_mT4_P12ihipStream_tbEUlT_E1_NS1_11comp_targetILNS1_3genE3ELNS1_11target_archE908ELNS1_3gpuE7ELNS1_3repE0EEENS1_30default_config_static_selectorELNS0_4arch9wavefront6targetE1EEEvSD_.num_named_barrier, 0
	.set _ZN7rocprim17ROCPRIM_400000_NS6detail17trampoline_kernelINS0_14default_configENS1_22reduce_config_selectorIjEEZNS1_11reduce_implILb1ES3_PjS7_j9plus_mod3IjEEE10hipError_tPvRmT1_T2_T3_mT4_P12ihipStream_tbEUlT_E1_NS1_11comp_targetILNS1_3genE3ELNS1_11target_archE908ELNS1_3gpuE7ELNS1_3repE0EEENS1_30default_config_static_selectorELNS0_4arch9wavefront6targetE1EEEvSD_.private_seg_size, 0
	.set _ZN7rocprim17ROCPRIM_400000_NS6detail17trampoline_kernelINS0_14default_configENS1_22reduce_config_selectorIjEEZNS1_11reduce_implILb1ES3_PjS7_j9plus_mod3IjEEE10hipError_tPvRmT1_T2_T3_mT4_P12ihipStream_tbEUlT_E1_NS1_11comp_targetILNS1_3genE3ELNS1_11target_archE908ELNS1_3gpuE7ELNS1_3repE0EEENS1_30default_config_static_selectorELNS0_4arch9wavefront6targetE1EEEvSD_.uses_vcc, 0
	.set _ZN7rocprim17ROCPRIM_400000_NS6detail17trampoline_kernelINS0_14default_configENS1_22reduce_config_selectorIjEEZNS1_11reduce_implILb1ES3_PjS7_j9plus_mod3IjEEE10hipError_tPvRmT1_T2_T3_mT4_P12ihipStream_tbEUlT_E1_NS1_11comp_targetILNS1_3genE3ELNS1_11target_archE908ELNS1_3gpuE7ELNS1_3repE0EEENS1_30default_config_static_selectorELNS0_4arch9wavefront6targetE1EEEvSD_.uses_flat_scratch, 0
	.set _ZN7rocprim17ROCPRIM_400000_NS6detail17trampoline_kernelINS0_14default_configENS1_22reduce_config_selectorIjEEZNS1_11reduce_implILb1ES3_PjS7_j9plus_mod3IjEEE10hipError_tPvRmT1_T2_T3_mT4_P12ihipStream_tbEUlT_E1_NS1_11comp_targetILNS1_3genE3ELNS1_11target_archE908ELNS1_3gpuE7ELNS1_3repE0EEENS1_30default_config_static_selectorELNS0_4arch9wavefront6targetE1EEEvSD_.has_dyn_sized_stack, 0
	.set _ZN7rocprim17ROCPRIM_400000_NS6detail17trampoline_kernelINS0_14default_configENS1_22reduce_config_selectorIjEEZNS1_11reduce_implILb1ES3_PjS7_j9plus_mod3IjEEE10hipError_tPvRmT1_T2_T3_mT4_P12ihipStream_tbEUlT_E1_NS1_11comp_targetILNS1_3genE3ELNS1_11target_archE908ELNS1_3gpuE7ELNS1_3repE0EEENS1_30default_config_static_selectorELNS0_4arch9wavefront6targetE1EEEvSD_.has_recursion, 0
	.set _ZN7rocprim17ROCPRIM_400000_NS6detail17trampoline_kernelINS0_14default_configENS1_22reduce_config_selectorIjEEZNS1_11reduce_implILb1ES3_PjS7_j9plus_mod3IjEEE10hipError_tPvRmT1_T2_T3_mT4_P12ihipStream_tbEUlT_E1_NS1_11comp_targetILNS1_3genE3ELNS1_11target_archE908ELNS1_3gpuE7ELNS1_3repE0EEENS1_30default_config_static_selectorELNS0_4arch9wavefront6targetE1EEEvSD_.has_indirect_call, 0
	.section	.AMDGPU.csdata,"",@progbits
; Kernel info:
; codeLenInByte = 0
; TotalNumSgprs: 6
; NumVgprs: 0
; NumAgprs: 0
; TotalNumVgprs: 0
; ScratchSize: 0
; MemoryBound: 0
; FloatMode: 240
; IeeeMode: 1
; LDSByteSize: 0 bytes/workgroup (compile time only)
; SGPRBlocks: 0
; VGPRBlocks: 0
; NumSGPRsForWavesPerEU: 6
; NumVGPRsForWavesPerEU: 1
; AccumOffset: 4
; Occupancy: 8
; WaveLimiterHint : 0
; COMPUTE_PGM_RSRC2:SCRATCH_EN: 0
; COMPUTE_PGM_RSRC2:USER_SGPR: 2
; COMPUTE_PGM_RSRC2:TRAP_HANDLER: 0
; COMPUTE_PGM_RSRC2:TGID_X_EN: 1
; COMPUTE_PGM_RSRC2:TGID_Y_EN: 0
; COMPUTE_PGM_RSRC2:TGID_Z_EN: 0
; COMPUTE_PGM_RSRC2:TIDIG_COMP_CNT: 0
; COMPUTE_PGM_RSRC3_GFX90A:ACCUM_OFFSET: 0
; COMPUTE_PGM_RSRC3_GFX90A:TG_SPLIT: 0
	.section	.text._ZN7rocprim17ROCPRIM_400000_NS6detail17trampoline_kernelINS0_14default_configENS1_22reduce_config_selectorIjEEZNS1_11reduce_implILb1ES3_PjS7_j9plus_mod3IjEEE10hipError_tPvRmT1_T2_T3_mT4_P12ihipStream_tbEUlT_E1_NS1_11comp_targetILNS1_3genE2ELNS1_11target_archE906ELNS1_3gpuE6ELNS1_3repE0EEENS1_30default_config_static_selectorELNS0_4arch9wavefront6targetE1EEEvSD_,"axG",@progbits,_ZN7rocprim17ROCPRIM_400000_NS6detail17trampoline_kernelINS0_14default_configENS1_22reduce_config_selectorIjEEZNS1_11reduce_implILb1ES3_PjS7_j9plus_mod3IjEEE10hipError_tPvRmT1_T2_T3_mT4_P12ihipStream_tbEUlT_E1_NS1_11comp_targetILNS1_3genE2ELNS1_11target_archE906ELNS1_3gpuE6ELNS1_3repE0EEENS1_30default_config_static_selectorELNS0_4arch9wavefront6targetE1EEEvSD_,comdat
	.protected	_ZN7rocprim17ROCPRIM_400000_NS6detail17trampoline_kernelINS0_14default_configENS1_22reduce_config_selectorIjEEZNS1_11reduce_implILb1ES3_PjS7_j9plus_mod3IjEEE10hipError_tPvRmT1_T2_T3_mT4_P12ihipStream_tbEUlT_E1_NS1_11comp_targetILNS1_3genE2ELNS1_11target_archE906ELNS1_3gpuE6ELNS1_3repE0EEENS1_30default_config_static_selectorELNS0_4arch9wavefront6targetE1EEEvSD_ ; -- Begin function _ZN7rocprim17ROCPRIM_400000_NS6detail17trampoline_kernelINS0_14default_configENS1_22reduce_config_selectorIjEEZNS1_11reduce_implILb1ES3_PjS7_j9plus_mod3IjEEE10hipError_tPvRmT1_T2_T3_mT4_P12ihipStream_tbEUlT_E1_NS1_11comp_targetILNS1_3genE2ELNS1_11target_archE906ELNS1_3gpuE6ELNS1_3repE0EEENS1_30default_config_static_selectorELNS0_4arch9wavefront6targetE1EEEvSD_
	.globl	_ZN7rocprim17ROCPRIM_400000_NS6detail17trampoline_kernelINS0_14default_configENS1_22reduce_config_selectorIjEEZNS1_11reduce_implILb1ES3_PjS7_j9plus_mod3IjEEE10hipError_tPvRmT1_T2_T3_mT4_P12ihipStream_tbEUlT_E1_NS1_11comp_targetILNS1_3genE2ELNS1_11target_archE906ELNS1_3gpuE6ELNS1_3repE0EEENS1_30default_config_static_selectorELNS0_4arch9wavefront6targetE1EEEvSD_
	.p2align	8
	.type	_ZN7rocprim17ROCPRIM_400000_NS6detail17trampoline_kernelINS0_14default_configENS1_22reduce_config_selectorIjEEZNS1_11reduce_implILb1ES3_PjS7_j9plus_mod3IjEEE10hipError_tPvRmT1_T2_T3_mT4_P12ihipStream_tbEUlT_E1_NS1_11comp_targetILNS1_3genE2ELNS1_11target_archE906ELNS1_3gpuE6ELNS1_3repE0EEENS1_30default_config_static_selectorELNS0_4arch9wavefront6targetE1EEEvSD_,@function
_ZN7rocprim17ROCPRIM_400000_NS6detail17trampoline_kernelINS0_14default_configENS1_22reduce_config_selectorIjEEZNS1_11reduce_implILb1ES3_PjS7_j9plus_mod3IjEEE10hipError_tPvRmT1_T2_T3_mT4_P12ihipStream_tbEUlT_E1_NS1_11comp_targetILNS1_3genE2ELNS1_11target_archE906ELNS1_3gpuE6ELNS1_3repE0EEENS1_30default_config_static_selectorELNS0_4arch9wavefront6targetE1EEEvSD_: ; @_ZN7rocprim17ROCPRIM_400000_NS6detail17trampoline_kernelINS0_14default_configENS1_22reduce_config_selectorIjEEZNS1_11reduce_implILb1ES3_PjS7_j9plus_mod3IjEEE10hipError_tPvRmT1_T2_T3_mT4_P12ihipStream_tbEUlT_E1_NS1_11comp_targetILNS1_3genE2ELNS1_11target_archE906ELNS1_3gpuE6ELNS1_3repE0EEENS1_30default_config_static_selectorELNS0_4arch9wavefront6targetE1EEEvSD_
; %bb.0:
	.section	.rodata,"a",@progbits
	.p2align	6, 0x0
	.amdhsa_kernel _ZN7rocprim17ROCPRIM_400000_NS6detail17trampoline_kernelINS0_14default_configENS1_22reduce_config_selectorIjEEZNS1_11reduce_implILb1ES3_PjS7_j9plus_mod3IjEEE10hipError_tPvRmT1_T2_T3_mT4_P12ihipStream_tbEUlT_E1_NS1_11comp_targetILNS1_3genE2ELNS1_11target_archE906ELNS1_3gpuE6ELNS1_3repE0EEENS1_30default_config_static_selectorELNS0_4arch9wavefront6targetE1EEEvSD_
		.amdhsa_group_segment_fixed_size 0
		.amdhsa_private_segment_fixed_size 0
		.amdhsa_kernarg_size 48
		.amdhsa_user_sgpr_count 2
		.amdhsa_user_sgpr_dispatch_ptr 0
		.amdhsa_user_sgpr_queue_ptr 0
		.amdhsa_user_sgpr_kernarg_segment_ptr 1
		.amdhsa_user_sgpr_dispatch_id 0
		.amdhsa_user_sgpr_kernarg_preload_length 0
		.amdhsa_user_sgpr_kernarg_preload_offset 0
		.amdhsa_user_sgpr_private_segment_size 0
		.amdhsa_uses_dynamic_stack 0
		.amdhsa_enable_private_segment 0
		.amdhsa_system_sgpr_workgroup_id_x 1
		.amdhsa_system_sgpr_workgroup_id_y 0
		.amdhsa_system_sgpr_workgroup_id_z 0
		.amdhsa_system_sgpr_workgroup_info 0
		.amdhsa_system_vgpr_workitem_id 0
		.amdhsa_next_free_vgpr 1
		.amdhsa_next_free_sgpr 0
		.amdhsa_accum_offset 4
		.amdhsa_reserve_vcc 0
		.amdhsa_float_round_mode_32 0
		.amdhsa_float_round_mode_16_64 0
		.amdhsa_float_denorm_mode_32 3
		.amdhsa_float_denorm_mode_16_64 3
		.amdhsa_dx10_clamp 1
		.amdhsa_ieee_mode 1
		.amdhsa_fp16_overflow 0
		.amdhsa_tg_split 0
		.amdhsa_exception_fp_ieee_invalid_op 0
		.amdhsa_exception_fp_denorm_src 0
		.amdhsa_exception_fp_ieee_div_zero 0
		.amdhsa_exception_fp_ieee_overflow 0
		.amdhsa_exception_fp_ieee_underflow 0
		.amdhsa_exception_fp_ieee_inexact 0
		.amdhsa_exception_int_div_zero 0
	.end_amdhsa_kernel
	.section	.text._ZN7rocprim17ROCPRIM_400000_NS6detail17trampoline_kernelINS0_14default_configENS1_22reduce_config_selectorIjEEZNS1_11reduce_implILb1ES3_PjS7_j9plus_mod3IjEEE10hipError_tPvRmT1_T2_T3_mT4_P12ihipStream_tbEUlT_E1_NS1_11comp_targetILNS1_3genE2ELNS1_11target_archE906ELNS1_3gpuE6ELNS1_3repE0EEENS1_30default_config_static_selectorELNS0_4arch9wavefront6targetE1EEEvSD_,"axG",@progbits,_ZN7rocprim17ROCPRIM_400000_NS6detail17trampoline_kernelINS0_14default_configENS1_22reduce_config_selectorIjEEZNS1_11reduce_implILb1ES3_PjS7_j9plus_mod3IjEEE10hipError_tPvRmT1_T2_T3_mT4_P12ihipStream_tbEUlT_E1_NS1_11comp_targetILNS1_3genE2ELNS1_11target_archE906ELNS1_3gpuE6ELNS1_3repE0EEENS1_30default_config_static_selectorELNS0_4arch9wavefront6targetE1EEEvSD_,comdat
.Lfunc_end816:
	.size	_ZN7rocprim17ROCPRIM_400000_NS6detail17trampoline_kernelINS0_14default_configENS1_22reduce_config_selectorIjEEZNS1_11reduce_implILb1ES3_PjS7_j9plus_mod3IjEEE10hipError_tPvRmT1_T2_T3_mT4_P12ihipStream_tbEUlT_E1_NS1_11comp_targetILNS1_3genE2ELNS1_11target_archE906ELNS1_3gpuE6ELNS1_3repE0EEENS1_30default_config_static_selectorELNS0_4arch9wavefront6targetE1EEEvSD_, .Lfunc_end816-_ZN7rocprim17ROCPRIM_400000_NS6detail17trampoline_kernelINS0_14default_configENS1_22reduce_config_selectorIjEEZNS1_11reduce_implILb1ES3_PjS7_j9plus_mod3IjEEE10hipError_tPvRmT1_T2_T3_mT4_P12ihipStream_tbEUlT_E1_NS1_11comp_targetILNS1_3genE2ELNS1_11target_archE906ELNS1_3gpuE6ELNS1_3repE0EEENS1_30default_config_static_selectorELNS0_4arch9wavefront6targetE1EEEvSD_
                                        ; -- End function
	.set _ZN7rocprim17ROCPRIM_400000_NS6detail17trampoline_kernelINS0_14default_configENS1_22reduce_config_selectorIjEEZNS1_11reduce_implILb1ES3_PjS7_j9plus_mod3IjEEE10hipError_tPvRmT1_T2_T3_mT4_P12ihipStream_tbEUlT_E1_NS1_11comp_targetILNS1_3genE2ELNS1_11target_archE906ELNS1_3gpuE6ELNS1_3repE0EEENS1_30default_config_static_selectorELNS0_4arch9wavefront6targetE1EEEvSD_.num_vgpr, 0
	.set _ZN7rocprim17ROCPRIM_400000_NS6detail17trampoline_kernelINS0_14default_configENS1_22reduce_config_selectorIjEEZNS1_11reduce_implILb1ES3_PjS7_j9plus_mod3IjEEE10hipError_tPvRmT1_T2_T3_mT4_P12ihipStream_tbEUlT_E1_NS1_11comp_targetILNS1_3genE2ELNS1_11target_archE906ELNS1_3gpuE6ELNS1_3repE0EEENS1_30default_config_static_selectorELNS0_4arch9wavefront6targetE1EEEvSD_.num_agpr, 0
	.set _ZN7rocprim17ROCPRIM_400000_NS6detail17trampoline_kernelINS0_14default_configENS1_22reduce_config_selectorIjEEZNS1_11reduce_implILb1ES3_PjS7_j9plus_mod3IjEEE10hipError_tPvRmT1_T2_T3_mT4_P12ihipStream_tbEUlT_E1_NS1_11comp_targetILNS1_3genE2ELNS1_11target_archE906ELNS1_3gpuE6ELNS1_3repE0EEENS1_30default_config_static_selectorELNS0_4arch9wavefront6targetE1EEEvSD_.numbered_sgpr, 0
	.set _ZN7rocprim17ROCPRIM_400000_NS6detail17trampoline_kernelINS0_14default_configENS1_22reduce_config_selectorIjEEZNS1_11reduce_implILb1ES3_PjS7_j9plus_mod3IjEEE10hipError_tPvRmT1_T2_T3_mT4_P12ihipStream_tbEUlT_E1_NS1_11comp_targetILNS1_3genE2ELNS1_11target_archE906ELNS1_3gpuE6ELNS1_3repE0EEENS1_30default_config_static_selectorELNS0_4arch9wavefront6targetE1EEEvSD_.num_named_barrier, 0
	.set _ZN7rocprim17ROCPRIM_400000_NS6detail17trampoline_kernelINS0_14default_configENS1_22reduce_config_selectorIjEEZNS1_11reduce_implILb1ES3_PjS7_j9plus_mod3IjEEE10hipError_tPvRmT1_T2_T3_mT4_P12ihipStream_tbEUlT_E1_NS1_11comp_targetILNS1_3genE2ELNS1_11target_archE906ELNS1_3gpuE6ELNS1_3repE0EEENS1_30default_config_static_selectorELNS0_4arch9wavefront6targetE1EEEvSD_.private_seg_size, 0
	.set _ZN7rocprim17ROCPRIM_400000_NS6detail17trampoline_kernelINS0_14default_configENS1_22reduce_config_selectorIjEEZNS1_11reduce_implILb1ES3_PjS7_j9plus_mod3IjEEE10hipError_tPvRmT1_T2_T3_mT4_P12ihipStream_tbEUlT_E1_NS1_11comp_targetILNS1_3genE2ELNS1_11target_archE906ELNS1_3gpuE6ELNS1_3repE0EEENS1_30default_config_static_selectorELNS0_4arch9wavefront6targetE1EEEvSD_.uses_vcc, 0
	.set _ZN7rocprim17ROCPRIM_400000_NS6detail17trampoline_kernelINS0_14default_configENS1_22reduce_config_selectorIjEEZNS1_11reduce_implILb1ES3_PjS7_j9plus_mod3IjEEE10hipError_tPvRmT1_T2_T3_mT4_P12ihipStream_tbEUlT_E1_NS1_11comp_targetILNS1_3genE2ELNS1_11target_archE906ELNS1_3gpuE6ELNS1_3repE0EEENS1_30default_config_static_selectorELNS0_4arch9wavefront6targetE1EEEvSD_.uses_flat_scratch, 0
	.set _ZN7rocprim17ROCPRIM_400000_NS6detail17trampoline_kernelINS0_14default_configENS1_22reduce_config_selectorIjEEZNS1_11reduce_implILb1ES3_PjS7_j9plus_mod3IjEEE10hipError_tPvRmT1_T2_T3_mT4_P12ihipStream_tbEUlT_E1_NS1_11comp_targetILNS1_3genE2ELNS1_11target_archE906ELNS1_3gpuE6ELNS1_3repE0EEENS1_30default_config_static_selectorELNS0_4arch9wavefront6targetE1EEEvSD_.has_dyn_sized_stack, 0
	.set _ZN7rocprim17ROCPRIM_400000_NS6detail17trampoline_kernelINS0_14default_configENS1_22reduce_config_selectorIjEEZNS1_11reduce_implILb1ES3_PjS7_j9plus_mod3IjEEE10hipError_tPvRmT1_T2_T3_mT4_P12ihipStream_tbEUlT_E1_NS1_11comp_targetILNS1_3genE2ELNS1_11target_archE906ELNS1_3gpuE6ELNS1_3repE0EEENS1_30default_config_static_selectorELNS0_4arch9wavefront6targetE1EEEvSD_.has_recursion, 0
	.set _ZN7rocprim17ROCPRIM_400000_NS6detail17trampoline_kernelINS0_14default_configENS1_22reduce_config_selectorIjEEZNS1_11reduce_implILb1ES3_PjS7_j9plus_mod3IjEEE10hipError_tPvRmT1_T2_T3_mT4_P12ihipStream_tbEUlT_E1_NS1_11comp_targetILNS1_3genE2ELNS1_11target_archE906ELNS1_3gpuE6ELNS1_3repE0EEENS1_30default_config_static_selectorELNS0_4arch9wavefront6targetE1EEEvSD_.has_indirect_call, 0
	.section	.AMDGPU.csdata,"",@progbits
; Kernel info:
; codeLenInByte = 0
; TotalNumSgprs: 6
; NumVgprs: 0
; NumAgprs: 0
; TotalNumVgprs: 0
; ScratchSize: 0
; MemoryBound: 0
; FloatMode: 240
; IeeeMode: 1
; LDSByteSize: 0 bytes/workgroup (compile time only)
; SGPRBlocks: 0
; VGPRBlocks: 0
; NumSGPRsForWavesPerEU: 6
; NumVGPRsForWavesPerEU: 1
; AccumOffset: 4
; Occupancy: 8
; WaveLimiterHint : 0
; COMPUTE_PGM_RSRC2:SCRATCH_EN: 0
; COMPUTE_PGM_RSRC2:USER_SGPR: 2
; COMPUTE_PGM_RSRC2:TRAP_HANDLER: 0
; COMPUTE_PGM_RSRC2:TGID_X_EN: 1
; COMPUTE_PGM_RSRC2:TGID_Y_EN: 0
; COMPUTE_PGM_RSRC2:TGID_Z_EN: 0
; COMPUTE_PGM_RSRC2:TIDIG_COMP_CNT: 0
; COMPUTE_PGM_RSRC3_GFX90A:ACCUM_OFFSET: 0
; COMPUTE_PGM_RSRC3_GFX90A:TG_SPLIT: 0
	.section	.text._ZN7rocprim17ROCPRIM_400000_NS6detail17trampoline_kernelINS0_14default_configENS1_22reduce_config_selectorIjEEZNS1_11reduce_implILb1ES3_PjS7_j9plus_mod3IjEEE10hipError_tPvRmT1_T2_T3_mT4_P12ihipStream_tbEUlT_E1_NS1_11comp_targetILNS1_3genE10ELNS1_11target_archE1201ELNS1_3gpuE5ELNS1_3repE0EEENS1_30default_config_static_selectorELNS0_4arch9wavefront6targetE1EEEvSD_,"axG",@progbits,_ZN7rocprim17ROCPRIM_400000_NS6detail17trampoline_kernelINS0_14default_configENS1_22reduce_config_selectorIjEEZNS1_11reduce_implILb1ES3_PjS7_j9plus_mod3IjEEE10hipError_tPvRmT1_T2_T3_mT4_P12ihipStream_tbEUlT_E1_NS1_11comp_targetILNS1_3genE10ELNS1_11target_archE1201ELNS1_3gpuE5ELNS1_3repE0EEENS1_30default_config_static_selectorELNS0_4arch9wavefront6targetE1EEEvSD_,comdat
	.protected	_ZN7rocprim17ROCPRIM_400000_NS6detail17trampoline_kernelINS0_14default_configENS1_22reduce_config_selectorIjEEZNS1_11reduce_implILb1ES3_PjS7_j9plus_mod3IjEEE10hipError_tPvRmT1_T2_T3_mT4_P12ihipStream_tbEUlT_E1_NS1_11comp_targetILNS1_3genE10ELNS1_11target_archE1201ELNS1_3gpuE5ELNS1_3repE0EEENS1_30default_config_static_selectorELNS0_4arch9wavefront6targetE1EEEvSD_ ; -- Begin function _ZN7rocprim17ROCPRIM_400000_NS6detail17trampoline_kernelINS0_14default_configENS1_22reduce_config_selectorIjEEZNS1_11reduce_implILb1ES3_PjS7_j9plus_mod3IjEEE10hipError_tPvRmT1_T2_T3_mT4_P12ihipStream_tbEUlT_E1_NS1_11comp_targetILNS1_3genE10ELNS1_11target_archE1201ELNS1_3gpuE5ELNS1_3repE0EEENS1_30default_config_static_selectorELNS0_4arch9wavefront6targetE1EEEvSD_
	.globl	_ZN7rocprim17ROCPRIM_400000_NS6detail17trampoline_kernelINS0_14default_configENS1_22reduce_config_selectorIjEEZNS1_11reduce_implILb1ES3_PjS7_j9plus_mod3IjEEE10hipError_tPvRmT1_T2_T3_mT4_P12ihipStream_tbEUlT_E1_NS1_11comp_targetILNS1_3genE10ELNS1_11target_archE1201ELNS1_3gpuE5ELNS1_3repE0EEENS1_30default_config_static_selectorELNS0_4arch9wavefront6targetE1EEEvSD_
	.p2align	8
	.type	_ZN7rocprim17ROCPRIM_400000_NS6detail17trampoline_kernelINS0_14default_configENS1_22reduce_config_selectorIjEEZNS1_11reduce_implILb1ES3_PjS7_j9plus_mod3IjEEE10hipError_tPvRmT1_T2_T3_mT4_P12ihipStream_tbEUlT_E1_NS1_11comp_targetILNS1_3genE10ELNS1_11target_archE1201ELNS1_3gpuE5ELNS1_3repE0EEENS1_30default_config_static_selectorELNS0_4arch9wavefront6targetE1EEEvSD_,@function
_ZN7rocprim17ROCPRIM_400000_NS6detail17trampoline_kernelINS0_14default_configENS1_22reduce_config_selectorIjEEZNS1_11reduce_implILb1ES3_PjS7_j9plus_mod3IjEEE10hipError_tPvRmT1_T2_T3_mT4_P12ihipStream_tbEUlT_E1_NS1_11comp_targetILNS1_3genE10ELNS1_11target_archE1201ELNS1_3gpuE5ELNS1_3repE0EEENS1_30default_config_static_selectorELNS0_4arch9wavefront6targetE1EEEvSD_: ; @_ZN7rocprim17ROCPRIM_400000_NS6detail17trampoline_kernelINS0_14default_configENS1_22reduce_config_selectorIjEEZNS1_11reduce_implILb1ES3_PjS7_j9plus_mod3IjEEE10hipError_tPvRmT1_T2_T3_mT4_P12ihipStream_tbEUlT_E1_NS1_11comp_targetILNS1_3genE10ELNS1_11target_archE1201ELNS1_3gpuE5ELNS1_3repE0EEENS1_30default_config_static_selectorELNS0_4arch9wavefront6targetE1EEEvSD_
; %bb.0:
	.section	.rodata,"a",@progbits
	.p2align	6, 0x0
	.amdhsa_kernel _ZN7rocprim17ROCPRIM_400000_NS6detail17trampoline_kernelINS0_14default_configENS1_22reduce_config_selectorIjEEZNS1_11reduce_implILb1ES3_PjS7_j9plus_mod3IjEEE10hipError_tPvRmT1_T2_T3_mT4_P12ihipStream_tbEUlT_E1_NS1_11comp_targetILNS1_3genE10ELNS1_11target_archE1201ELNS1_3gpuE5ELNS1_3repE0EEENS1_30default_config_static_selectorELNS0_4arch9wavefront6targetE1EEEvSD_
		.amdhsa_group_segment_fixed_size 0
		.amdhsa_private_segment_fixed_size 0
		.amdhsa_kernarg_size 48
		.amdhsa_user_sgpr_count 2
		.amdhsa_user_sgpr_dispatch_ptr 0
		.amdhsa_user_sgpr_queue_ptr 0
		.amdhsa_user_sgpr_kernarg_segment_ptr 1
		.amdhsa_user_sgpr_dispatch_id 0
		.amdhsa_user_sgpr_kernarg_preload_length 0
		.amdhsa_user_sgpr_kernarg_preload_offset 0
		.amdhsa_user_sgpr_private_segment_size 0
		.amdhsa_uses_dynamic_stack 0
		.amdhsa_enable_private_segment 0
		.amdhsa_system_sgpr_workgroup_id_x 1
		.amdhsa_system_sgpr_workgroup_id_y 0
		.amdhsa_system_sgpr_workgroup_id_z 0
		.amdhsa_system_sgpr_workgroup_info 0
		.amdhsa_system_vgpr_workitem_id 0
		.amdhsa_next_free_vgpr 1
		.amdhsa_next_free_sgpr 0
		.amdhsa_accum_offset 4
		.amdhsa_reserve_vcc 0
		.amdhsa_float_round_mode_32 0
		.amdhsa_float_round_mode_16_64 0
		.amdhsa_float_denorm_mode_32 3
		.amdhsa_float_denorm_mode_16_64 3
		.amdhsa_dx10_clamp 1
		.amdhsa_ieee_mode 1
		.amdhsa_fp16_overflow 0
		.amdhsa_tg_split 0
		.amdhsa_exception_fp_ieee_invalid_op 0
		.amdhsa_exception_fp_denorm_src 0
		.amdhsa_exception_fp_ieee_div_zero 0
		.amdhsa_exception_fp_ieee_overflow 0
		.amdhsa_exception_fp_ieee_underflow 0
		.amdhsa_exception_fp_ieee_inexact 0
		.amdhsa_exception_int_div_zero 0
	.end_amdhsa_kernel
	.section	.text._ZN7rocprim17ROCPRIM_400000_NS6detail17trampoline_kernelINS0_14default_configENS1_22reduce_config_selectorIjEEZNS1_11reduce_implILb1ES3_PjS7_j9plus_mod3IjEEE10hipError_tPvRmT1_T2_T3_mT4_P12ihipStream_tbEUlT_E1_NS1_11comp_targetILNS1_3genE10ELNS1_11target_archE1201ELNS1_3gpuE5ELNS1_3repE0EEENS1_30default_config_static_selectorELNS0_4arch9wavefront6targetE1EEEvSD_,"axG",@progbits,_ZN7rocprim17ROCPRIM_400000_NS6detail17trampoline_kernelINS0_14default_configENS1_22reduce_config_selectorIjEEZNS1_11reduce_implILb1ES3_PjS7_j9plus_mod3IjEEE10hipError_tPvRmT1_T2_T3_mT4_P12ihipStream_tbEUlT_E1_NS1_11comp_targetILNS1_3genE10ELNS1_11target_archE1201ELNS1_3gpuE5ELNS1_3repE0EEENS1_30default_config_static_selectorELNS0_4arch9wavefront6targetE1EEEvSD_,comdat
.Lfunc_end817:
	.size	_ZN7rocprim17ROCPRIM_400000_NS6detail17trampoline_kernelINS0_14default_configENS1_22reduce_config_selectorIjEEZNS1_11reduce_implILb1ES3_PjS7_j9plus_mod3IjEEE10hipError_tPvRmT1_T2_T3_mT4_P12ihipStream_tbEUlT_E1_NS1_11comp_targetILNS1_3genE10ELNS1_11target_archE1201ELNS1_3gpuE5ELNS1_3repE0EEENS1_30default_config_static_selectorELNS0_4arch9wavefront6targetE1EEEvSD_, .Lfunc_end817-_ZN7rocprim17ROCPRIM_400000_NS6detail17trampoline_kernelINS0_14default_configENS1_22reduce_config_selectorIjEEZNS1_11reduce_implILb1ES3_PjS7_j9plus_mod3IjEEE10hipError_tPvRmT1_T2_T3_mT4_P12ihipStream_tbEUlT_E1_NS1_11comp_targetILNS1_3genE10ELNS1_11target_archE1201ELNS1_3gpuE5ELNS1_3repE0EEENS1_30default_config_static_selectorELNS0_4arch9wavefront6targetE1EEEvSD_
                                        ; -- End function
	.set _ZN7rocprim17ROCPRIM_400000_NS6detail17trampoline_kernelINS0_14default_configENS1_22reduce_config_selectorIjEEZNS1_11reduce_implILb1ES3_PjS7_j9plus_mod3IjEEE10hipError_tPvRmT1_T2_T3_mT4_P12ihipStream_tbEUlT_E1_NS1_11comp_targetILNS1_3genE10ELNS1_11target_archE1201ELNS1_3gpuE5ELNS1_3repE0EEENS1_30default_config_static_selectorELNS0_4arch9wavefront6targetE1EEEvSD_.num_vgpr, 0
	.set _ZN7rocprim17ROCPRIM_400000_NS6detail17trampoline_kernelINS0_14default_configENS1_22reduce_config_selectorIjEEZNS1_11reduce_implILb1ES3_PjS7_j9plus_mod3IjEEE10hipError_tPvRmT1_T2_T3_mT4_P12ihipStream_tbEUlT_E1_NS1_11comp_targetILNS1_3genE10ELNS1_11target_archE1201ELNS1_3gpuE5ELNS1_3repE0EEENS1_30default_config_static_selectorELNS0_4arch9wavefront6targetE1EEEvSD_.num_agpr, 0
	.set _ZN7rocprim17ROCPRIM_400000_NS6detail17trampoline_kernelINS0_14default_configENS1_22reduce_config_selectorIjEEZNS1_11reduce_implILb1ES3_PjS7_j9plus_mod3IjEEE10hipError_tPvRmT1_T2_T3_mT4_P12ihipStream_tbEUlT_E1_NS1_11comp_targetILNS1_3genE10ELNS1_11target_archE1201ELNS1_3gpuE5ELNS1_3repE0EEENS1_30default_config_static_selectorELNS0_4arch9wavefront6targetE1EEEvSD_.numbered_sgpr, 0
	.set _ZN7rocprim17ROCPRIM_400000_NS6detail17trampoline_kernelINS0_14default_configENS1_22reduce_config_selectorIjEEZNS1_11reduce_implILb1ES3_PjS7_j9plus_mod3IjEEE10hipError_tPvRmT1_T2_T3_mT4_P12ihipStream_tbEUlT_E1_NS1_11comp_targetILNS1_3genE10ELNS1_11target_archE1201ELNS1_3gpuE5ELNS1_3repE0EEENS1_30default_config_static_selectorELNS0_4arch9wavefront6targetE1EEEvSD_.num_named_barrier, 0
	.set _ZN7rocprim17ROCPRIM_400000_NS6detail17trampoline_kernelINS0_14default_configENS1_22reduce_config_selectorIjEEZNS1_11reduce_implILb1ES3_PjS7_j9plus_mod3IjEEE10hipError_tPvRmT1_T2_T3_mT4_P12ihipStream_tbEUlT_E1_NS1_11comp_targetILNS1_3genE10ELNS1_11target_archE1201ELNS1_3gpuE5ELNS1_3repE0EEENS1_30default_config_static_selectorELNS0_4arch9wavefront6targetE1EEEvSD_.private_seg_size, 0
	.set _ZN7rocprim17ROCPRIM_400000_NS6detail17trampoline_kernelINS0_14default_configENS1_22reduce_config_selectorIjEEZNS1_11reduce_implILb1ES3_PjS7_j9plus_mod3IjEEE10hipError_tPvRmT1_T2_T3_mT4_P12ihipStream_tbEUlT_E1_NS1_11comp_targetILNS1_3genE10ELNS1_11target_archE1201ELNS1_3gpuE5ELNS1_3repE0EEENS1_30default_config_static_selectorELNS0_4arch9wavefront6targetE1EEEvSD_.uses_vcc, 0
	.set _ZN7rocprim17ROCPRIM_400000_NS6detail17trampoline_kernelINS0_14default_configENS1_22reduce_config_selectorIjEEZNS1_11reduce_implILb1ES3_PjS7_j9plus_mod3IjEEE10hipError_tPvRmT1_T2_T3_mT4_P12ihipStream_tbEUlT_E1_NS1_11comp_targetILNS1_3genE10ELNS1_11target_archE1201ELNS1_3gpuE5ELNS1_3repE0EEENS1_30default_config_static_selectorELNS0_4arch9wavefront6targetE1EEEvSD_.uses_flat_scratch, 0
	.set _ZN7rocprim17ROCPRIM_400000_NS6detail17trampoline_kernelINS0_14default_configENS1_22reduce_config_selectorIjEEZNS1_11reduce_implILb1ES3_PjS7_j9plus_mod3IjEEE10hipError_tPvRmT1_T2_T3_mT4_P12ihipStream_tbEUlT_E1_NS1_11comp_targetILNS1_3genE10ELNS1_11target_archE1201ELNS1_3gpuE5ELNS1_3repE0EEENS1_30default_config_static_selectorELNS0_4arch9wavefront6targetE1EEEvSD_.has_dyn_sized_stack, 0
	.set _ZN7rocprim17ROCPRIM_400000_NS6detail17trampoline_kernelINS0_14default_configENS1_22reduce_config_selectorIjEEZNS1_11reduce_implILb1ES3_PjS7_j9plus_mod3IjEEE10hipError_tPvRmT1_T2_T3_mT4_P12ihipStream_tbEUlT_E1_NS1_11comp_targetILNS1_3genE10ELNS1_11target_archE1201ELNS1_3gpuE5ELNS1_3repE0EEENS1_30default_config_static_selectorELNS0_4arch9wavefront6targetE1EEEvSD_.has_recursion, 0
	.set _ZN7rocprim17ROCPRIM_400000_NS6detail17trampoline_kernelINS0_14default_configENS1_22reduce_config_selectorIjEEZNS1_11reduce_implILb1ES3_PjS7_j9plus_mod3IjEEE10hipError_tPvRmT1_T2_T3_mT4_P12ihipStream_tbEUlT_E1_NS1_11comp_targetILNS1_3genE10ELNS1_11target_archE1201ELNS1_3gpuE5ELNS1_3repE0EEENS1_30default_config_static_selectorELNS0_4arch9wavefront6targetE1EEEvSD_.has_indirect_call, 0
	.section	.AMDGPU.csdata,"",@progbits
; Kernel info:
; codeLenInByte = 0
; TotalNumSgprs: 6
; NumVgprs: 0
; NumAgprs: 0
; TotalNumVgprs: 0
; ScratchSize: 0
; MemoryBound: 0
; FloatMode: 240
; IeeeMode: 1
; LDSByteSize: 0 bytes/workgroup (compile time only)
; SGPRBlocks: 0
; VGPRBlocks: 0
; NumSGPRsForWavesPerEU: 6
; NumVGPRsForWavesPerEU: 1
; AccumOffset: 4
; Occupancy: 8
; WaveLimiterHint : 0
; COMPUTE_PGM_RSRC2:SCRATCH_EN: 0
; COMPUTE_PGM_RSRC2:USER_SGPR: 2
; COMPUTE_PGM_RSRC2:TRAP_HANDLER: 0
; COMPUTE_PGM_RSRC2:TGID_X_EN: 1
; COMPUTE_PGM_RSRC2:TGID_Y_EN: 0
; COMPUTE_PGM_RSRC2:TGID_Z_EN: 0
; COMPUTE_PGM_RSRC2:TIDIG_COMP_CNT: 0
; COMPUTE_PGM_RSRC3_GFX90A:ACCUM_OFFSET: 0
; COMPUTE_PGM_RSRC3_GFX90A:TG_SPLIT: 0
	.section	.text._ZN7rocprim17ROCPRIM_400000_NS6detail17trampoline_kernelINS0_14default_configENS1_22reduce_config_selectorIjEEZNS1_11reduce_implILb1ES3_PjS7_j9plus_mod3IjEEE10hipError_tPvRmT1_T2_T3_mT4_P12ihipStream_tbEUlT_E1_NS1_11comp_targetILNS1_3genE10ELNS1_11target_archE1200ELNS1_3gpuE4ELNS1_3repE0EEENS1_30default_config_static_selectorELNS0_4arch9wavefront6targetE1EEEvSD_,"axG",@progbits,_ZN7rocprim17ROCPRIM_400000_NS6detail17trampoline_kernelINS0_14default_configENS1_22reduce_config_selectorIjEEZNS1_11reduce_implILb1ES3_PjS7_j9plus_mod3IjEEE10hipError_tPvRmT1_T2_T3_mT4_P12ihipStream_tbEUlT_E1_NS1_11comp_targetILNS1_3genE10ELNS1_11target_archE1200ELNS1_3gpuE4ELNS1_3repE0EEENS1_30default_config_static_selectorELNS0_4arch9wavefront6targetE1EEEvSD_,comdat
	.protected	_ZN7rocprim17ROCPRIM_400000_NS6detail17trampoline_kernelINS0_14default_configENS1_22reduce_config_selectorIjEEZNS1_11reduce_implILb1ES3_PjS7_j9plus_mod3IjEEE10hipError_tPvRmT1_T2_T3_mT4_P12ihipStream_tbEUlT_E1_NS1_11comp_targetILNS1_3genE10ELNS1_11target_archE1200ELNS1_3gpuE4ELNS1_3repE0EEENS1_30default_config_static_selectorELNS0_4arch9wavefront6targetE1EEEvSD_ ; -- Begin function _ZN7rocprim17ROCPRIM_400000_NS6detail17trampoline_kernelINS0_14default_configENS1_22reduce_config_selectorIjEEZNS1_11reduce_implILb1ES3_PjS7_j9plus_mod3IjEEE10hipError_tPvRmT1_T2_T3_mT4_P12ihipStream_tbEUlT_E1_NS1_11comp_targetILNS1_3genE10ELNS1_11target_archE1200ELNS1_3gpuE4ELNS1_3repE0EEENS1_30default_config_static_selectorELNS0_4arch9wavefront6targetE1EEEvSD_
	.globl	_ZN7rocprim17ROCPRIM_400000_NS6detail17trampoline_kernelINS0_14default_configENS1_22reduce_config_selectorIjEEZNS1_11reduce_implILb1ES3_PjS7_j9plus_mod3IjEEE10hipError_tPvRmT1_T2_T3_mT4_P12ihipStream_tbEUlT_E1_NS1_11comp_targetILNS1_3genE10ELNS1_11target_archE1200ELNS1_3gpuE4ELNS1_3repE0EEENS1_30default_config_static_selectorELNS0_4arch9wavefront6targetE1EEEvSD_
	.p2align	8
	.type	_ZN7rocprim17ROCPRIM_400000_NS6detail17trampoline_kernelINS0_14default_configENS1_22reduce_config_selectorIjEEZNS1_11reduce_implILb1ES3_PjS7_j9plus_mod3IjEEE10hipError_tPvRmT1_T2_T3_mT4_P12ihipStream_tbEUlT_E1_NS1_11comp_targetILNS1_3genE10ELNS1_11target_archE1200ELNS1_3gpuE4ELNS1_3repE0EEENS1_30default_config_static_selectorELNS0_4arch9wavefront6targetE1EEEvSD_,@function
_ZN7rocprim17ROCPRIM_400000_NS6detail17trampoline_kernelINS0_14default_configENS1_22reduce_config_selectorIjEEZNS1_11reduce_implILb1ES3_PjS7_j9plus_mod3IjEEE10hipError_tPvRmT1_T2_T3_mT4_P12ihipStream_tbEUlT_E1_NS1_11comp_targetILNS1_3genE10ELNS1_11target_archE1200ELNS1_3gpuE4ELNS1_3repE0EEENS1_30default_config_static_selectorELNS0_4arch9wavefront6targetE1EEEvSD_: ; @_ZN7rocprim17ROCPRIM_400000_NS6detail17trampoline_kernelINS0_14default_configENS1_22reduce_config_selectorIjEEZNS1_11reduce_implILb1ES3_PjS7_j9plus_mod3IjEEE10hipError_tPvRmT1_T2_T3_mT4_P12ihipStream_tbEUlT_E1_NS1_11comp_targetILNS1_3genE10ELNS1_11target_archE1200ELNS1_3gpuE4ELNS1_3repE0EEENS1_30default_config_static_selectorELNS0_4arch9wavefront6targetE1EEEvSD_
; %bb.0:
	.section	.rodata,"a",@progbits
	.p2align	6, 0x0
	.amdhsa_kernel _ZN7rocprim17ROCPRIM_400000_NS6detail17trampoline_kernelINS0_14default_configENS1_22reduce_config_selectorIjEEZNS1_11reduce_implILb1ES3_PjS7_j9plus_mod3IjEEE10hipError_tPvRmT1_T2_T3_mT4_P12ihipStream_tbEUlT_E1_NS1_11comp_targetILNS1_3genE10ELNS1_11target_archE1200ELNS1_3gpuE4ELNS1_3repE0EEENS1_30default_config_static_selectorELNS0_4arch9wavefront6targetE1EEEvSD_
		.amdhsa_group_segment_fixed_size 0
		.amdhsa_private_segment_fixed_size 0
		.amdhsa_kernarg_size 48
		.amdhsa_user_sgpr_count 2
		.amdhsa_user_sgpr_dispatch_ptr 0
		.amdhsa_user_sgpr_queue_ptr 0
		.amdhsa_user_sgpr_kernarg_segment_ptr 1
		.amdhsa_user_sgpr_dispatch_id 0
		.amdhsa_user_sgpr_kernarg_preload_length 0
		.amdhsa_user_sgpr_kernarg_preload_offset 0
		.amdhsa_user_sgpr_private_segment_size 0
		.amdhsa_uses_dynamic_stack 0
		.amdhsa_enable_private_segment 0
		.amdhsa_system_sgpr_workgroup_id_x 1
		.amdhsa_system_sgpr_workgroup_id_y 0
		.amdhsa_system_sgpr_workgroup_id_z 0
		.amdhsa_system_sgpr_workgroup_info 0
		.amdhsa_system_vgpr_workitem_id 0
		.amdhsa_next_free_vgpr 1
		.amdhsa_next_free_sgpr 0
		.amdhsa_accum_offset 4
		.amdhsa_reserve_vcc 0
		.amdhsa_float_round_mode_32 0
		.amdhsa_float_round_mode_16_64 0
		.amdhsa_float_denorm_mode_32 3
		.amdhsa_float_denorm_mode_16_64 3
		.amdhsa_dx10_clamp 1
		.amdhsa_ieee_mode 1
		.amdhsa_fp16_overflow 0
		.amdhsa_tg_split 0
		.amdhsa_exception_fp_ieee_invalid_op 0
		.amdhsa_exception_fp_denorm_src 0
		.amdhsa_exception_fp_ieee_div_zero 0
		.amdhsa_exception_fp_ieee_overflow 0
		.amdhsa_exception_fp_ieee_underflow 0
		.amdhsa_exception_fp_ieee_inexact 0
		.amdhsa_exception_int_div_zero 0
	.end_amdhsa_kernel
	.section	.text._ZN7rocprim17ROCPRIM_400000_NS6detail17trampoline_kernelINS0_14default_configENS1_22reduce_config_selectorIjEEZNS1_11reduce_implILb1ES3_PjS7_j9plus_mod3IjEEE10hipError_tPvRmT1_T2_T3_mT4_P12ihipStream_tbEUlT_E1_NS1_11comp_targetILNS1_3genE10ELNS1_11target_archE1200ELNS1_3gpuE4ELNS1_3repE0EEENS1_30default_config_static_selectorELNS0_4arch9wavefront6targetE1EEEvSD_,"axG",@progbits,_ZN7rocprim17ROCPRIM_400000_NS6detail17trampoline_kernelINS0_14default_configENS1_22reduce_config_selectorIjEEZNS1_11reduce_implILb1ES3_PjS7_j9plus_mod3IjEEE10hipError_tPvRmT1_T2_T3_mT4_P12ihipStream_tbEUlT_E1_NS1_11comp_targetILNS1_3genE10ELNS1_11target_archE1200ELNS1_3gpuE4ELNS1_3repE0EEENS1_30default_config_static_selectorELNS0_4arch9wavefront6targetE1EEEvSD_,comdat
.Lfunc_end818:
	.size	_ZN7rocprim17ROCPRIM_400000_NS6detail17trampoline_kernelINS0_14default_configENS1_22reduce_config_selectorIjEEZNS1_11reduce_implILb1ES3_PjS7_j9plus_mod3IjEEE10hipError_tPvRmT1_T2_T3_mT4_P12ihipStream_tbEUlT_E1_NS1_11comp_targetILNS1_3genE10ELNS1_11target_archE1200ELNS1_3gpuE4ELNS1_3repE0EEENS1_30default_config_static_selectorELNS0_4arch9wavefront6targetE1EEEvSD_, .Lfunc_end818-_ZN7rocprim17ROCPRIM_400000_NS6detail17trampoline_kernelINS0_14default_configENS1_22reduce_config_selectorIjEEZNS1_11reduce_implILb1ES3_PjS7_j9plus_mod3IjEEE10hipError_tPvRmT1_T2_T3_mT4_P12ihipStream_tbEUlT_E1_NS1_11comp_targetILNS1_3genE10ELNS1_11target_archE1200ELNS1_3gpuE4ELNS1_3repE0EEENS1_30default_config_static_selectorELNS0_4arch9wavefront6targetE1EEEvSD_
                                        ; -- End function
	.set _ZN7rocprim17ROCPRIM_400000_NS6detail17trampoline_kernelINS0_14default_configENS1_22reduce_config_selectorIjEEZNS1_11reduce_implILb1ES3_PjS7_j9plus_mod3IjEEE10hipError_tPvRmT1_T2_T3_mT4_P12ihipStream_tbEUlT_E1_NS1_11comp_targetILNS1_3genE10ELNS1_11target_archE1200ELNS1_3gpuE4ELNS1_3repE0EEENS1_30default_config_static_selectorELNS0_4arch9wavefront6targetE1EEEvSD_.num_vgpr, 0
	.set _ZN7rocprim17ROCPRIM_400000_NS6detail17trampoline_kernelINS0_14default_configENS1_22reduce_config_selectorIjEEZNS1_11reduce_implILb1ES3_PjS7_j9plus_mod3IjEEE10hipError_tPvRmT1_T2_T3_mT4_P12ihipStream_tbEUlT_E1_NS1_11comp_targetILNS1_3genE10ELNS1_11target_archE1200ELNS1_3gpuE4ELNS1_3repE0EEENS1_30default_config_static_selectorELNS0_4arch9wavefront6targetE1EEEvSD_.num_agpr, 0
	.set _ZN7rocprim17ROCPRIM_400000_NS6detail17trampoline_kernelINS0_14default_configENS1_22reduce_config_selectorIjEEZNS1_11reduce_implILb1ES3_PjS7_j9plus_mod3IjEEE10hipError_tPvRmT1_T2_T3_mT4_P12ihipStream_tbEUlT_E1_NS1_11comp_targetILNS1_3genE10ELNS1_11target_archE1200ELNS1_3gpuE4ELNS1_3repE0EEENS1_30default_config_static_selectorELNS0_4arch9wavefront6targetE1EEEvSD_.numbered_sgpr, 0
	.set _ZN7rocprim17ROCPRIM_400000_NS6detail17trampoline_kernelINS0_14default_configENS1_22reduce_config_selectorIjEEZNS1_11reduce_implILb1ES3_PjS7_j9plus_mod3IjEEE10hipError_tPvRmT1_T2_T3_mT4_P12ihipStream_tbEUlT_E1_NS1_11comp_targetILNS1_3genE10ELNS1_11target_archE1200ELNS1_3gpuE4ELNS1_3repE0EEENS1_30default_config_static_selectorELNS0_4arch9wavefront6targetE1EEEvSD_.num_named_barrier, 0
	.set _ZN7rocprim17ROCPRIM_400000_NS6detail17trampoline_kernelINS0_14default_configENS1_22reduce_config_selectorIjEEZNS1_11reduce_implILb1ES3_PjS7_j9plus_mod3IjEEE10hipError_tPvRmT1_T2_T3_mT4_P12ihipStream_tbEUlT_E1_NS1_11comp_targetILNS1_3genE10ELNS1_11target_archE1200ELNS1_3gpuE4ELNS1_3repE0EEENS1_30default_config_static_selectorELNS0_4arch9wavefront6targetE1EEEvSD_.private_seg_size, 0
	.set _ZN7rocprim17ROCPRIM_400000_NS6detail17trampoline_kernelINS0_14default_configENS1_22reduce_config_selectorIjEEZNS1_11reduce_implILb1ES3_PjS7_j9plus_mod3IjEEE10hipError_tPvRmT1_T2_T3_mT4_P12ihipStream_tbEUlT_E1_NS1_11comp_targetILNS1_3genE10ELNS1_11target_archE1200ELNS1_3gpuE4ELNS1_3repE0EEENS1_30default_config_static_selectorELNS0_4arch9wavefront6targetE1EEEvSD_.uses_vcc, 0
	.set _ZN7rocprim17ROCPRIM_400000_NS6detail17trampoline_kernelINS0_14default_configENS1_22reduce_config_selectorIjEEZNS1_11reduce_implILb1ES3_PjS7_j9plus_mod3IjEEE10hipError_tPvRmT1_T2_T3_mT4_P12ihipStream_tbEUlT_E1_NS1_11comp_targetILNS1_3genE10ELNS1_11target_archE1200ELNS1_3gpuE4ELNS1_3repE0EEENS1_30default_config_static_selectorELNS0_4arch9wavefront6targetE1EEEvSD_.uses_flat_scratch, 0
	.set _ZN7rocprim17ROCPRIM_400000_NS6detail17trampoline_kernelINS0_14default_configENS1_22reduce_config_selectorIjEEZNS1_11reduce_implILb1ES3_PjS7_j9plus_mod3IjEEE10hipError_tPvRmT1_T2_T3_mT4_P12ihipStream_tbEUlT_E1_NS1_11comp_targetILNS1_3genE10ELNS1_11target_archE1200ELNS1_3gpuE4ELNS1_3repE0EEENS1_30default_config_static_selectorELNS0_4arch9wavefront6targetE1EEEvSD_.has_dyn_sized_stack, 0
	.set _ZN7rocprim17ROCPRIM_400000_NS6detail17trampoline_kernelINS0_14default_configENS1_22reduce_config_selectorIjEEZNS1_11reduce_implILb1ES3_PjS7_j9plus_mod3IjEEE10hipError_tPvRmT1_T2_T3_mT4_P12ihipStream_tbEUlT_E1_NS1_11comp_targetILNS1_3genE10ELNS1_11target_archE1200ELNS1_3gpuE4ELNS1_3repE0EEENS1_30default_config_static_selectorELNS0_4arch9wavefront6targetE1EEEvSD_.has_recursion, 0
	.set _ZN7rocprim17ROCPRIM_400000_NS6detail17trampoline_kernelINS0_14default_configENS1_22reduce_config_selectorIjEEZNS1_11reduce_implILb1ES3_PjS7_j9plus_mod3IjEEE10hipError_tPvRmT1_T2_T3_mT4_P12ihipStream_tbEUlT_E1_NS1_11comp_targetILNS1_3genE10ELNS1_11target_archE1200ELNS1_3gpuE4ELNS1_3repE0EEENS1_30default_config_static_selectorELNS0_4arch9wavefront6targetE1EEEvSD_.has_indirect_call, 0
	.section	.AMDGPU.csdata,"",@progbits
; Kernel info:
; codeLenInByte = 0
; TotalNumSgprs: 6
; NumVgprs: 0
; NumAgprs: 0
; TotalNumVgprs: 0
; ScratchSize: 0
; MemoryBound: 0
; FloatMode: 240
; IeeeMode: 1
; LDSByteSize: 0 bytes/workgroup (compile time only)
; SGPRBlocks: 0
; VGPRBlocks: 0
; NumSGPRsForWavesPerEU: 6
; NumVGPRsForWavesPerEU: 1
; AccumOffset: 4
; Occupancy: 8
; WaveLimiterHint : 0
; COMPUTE_PGM_RSRC2:SCRATCH_EN: 0
; COMPUTE_PGM_RSRC2:USER_SGPR: 2
; COMPUTE_PGM_RSRC2:TRAP_HANDLER: 0
; COMPUTE_PGM_RSRC2:TGID_X_EN: 1
; COMPUTE_PGM_RSRC2:TGID_Y_EN: 0
; COMPUTE_PGM_RSRC2:TGID_Z_EN: 0
; COMPUTE_PGM_RSRC2:TIDIG_COMP_CNT: 0
; COMPUTE_PGM_RSRC3_GFX90A:ACCUM_OFFSET: 0
; COMPUTE_PGM_RSRC3_GFX90A:TG_SPLIT: 0
	.section	.text._ZN7rocprim17ROCPRIM_400000_NS6detail17trampoline_kernelINS0_14default_configENS1_22reduce_config_selectorIjEEZNS1_11reduce_implILb1ES3_PjS7_j9plus_mod3IjEEE10hipError_tPvRmT1_T2_T3_mT4_P12ihipStream_tbEUlT_E1_NS1_11comp_targetILNS1_3genE9ELNS1_11target_archE1100ELNS1_3gpuE3ELNS1_3repE0EEENS1_30default_config_static_selectorELNS0_4arch9wavefront6targetE1EEEvSD_,"axG",@progbits,_ZN7rocprim17ROCPRIM_400000_NS6detail17trampoline_kernelINS0_14default_configENS1_22reduce_config_selectorIjEEZNS1_11reduce_implILb1ES3_PjS7_j9plus_mod3IjEEE10hipError_tPvRmT1_T2_T3_mT4_P12ihipStream_tbEUlT_E1_NS1_11comp_targetILNS1_3genE9ELNS1_11target_archE1100ELNS1_3gpuE3ELNS1_3repE0EEENS1_30default_config_static_selectorELNS0_4arch9wavefront6targetE1EEEvSD_,comdat
	.protected	_ZN7rocprim17ROCPRIM_400000_NS6detail17trampoline_kernelINS0_14default_configENS1_22reduce_config_selectorIjEEZNS1_11reduce_implILb1ES3_PjS7_j9plus_mod3IjEEE10hipError_tPvRmT1_T2_T3_mT4_P12ihipStream_tbEUlT_E1_NS1_11comp_targetILNS1_3genE9ELNS1_11target_archE1100ELNS1_3gpuE3ELNS1_3repE0EEENS1_30default_config_static_selectorELNS0_4arch9wavefront6targetE1EEEvSD_ ; -- Begin function _ZN7rocprim17ROCPRIM_400000_NS6detail17trampoline_kernelINS0_14default_configENS1_22reduce_config_selectorIjEEZNS1_11reduce_implILb1ES3_PjS7_j9plus_mod3IjEEE10hipError_tPvRmT1_T2_T3_mT4_P12ihipStream_tbEUlT_E1_NS1_11comp_targetILNS1_3genE9ELNS1_11target_archE1100ELNS1_3gpuE3ELNS1_3repE0EEENS1_30default_config_static_selectorELNS0_4arch9wavefront6targetE1EEEvSD_
	.globl	_ZN7rocprim17ROCPRIM_400000_NS6detail17trampoline_kernelINS0_14default_configENS1_22reduce_config_selectorIjEEZNS1_11reduce_implILb1ES3_PjS7_j9plus_mod3IjEEE10hipError_tPvRmT1_T2_T3_mT4_P12ihipStream_tbEUlT_E1_NS1_11comp_targetILNS1_3genE9ELNS1_11target_archE1100ELNS1_3gpuE3ELNS1_3repE0EEENS1_30default_config_static_selectorELNS0_4arch9wavefront6targetE1EEEvSD_
	.p2align	8
	.type	_ZN7rocprim17ROCPRIM_400000_NS6detail17trampoline_kernelINS0_14default_configENS1_22reduce_config_selectorIjEEZNS1_11reduce_implILb1ES3_PjS7_j9plus_mod3IjEEE10hipError_tPvRmT1_T2_T3_mT4_P12ihipStream_tbEUlT_E1_NS1_11comp_targetILNS1_3genE9ELNS1_11target_archE1100ELNS1_3gpuE3ELNS1_3repE0EEENS1_30default_config_static_selectorELNS0_4arch9wavefront6targetE1EEEvSD_,@function
_ZN7rocprim17ROCPRIM_400000_NS6detail17trampoline_kernelINS0_14default_configENS1_22reduce_config_selectorIjEEZNS1_11reduce_implILb1ES3_PjS7_j9plus_mod3IjEEE10hipError_tPvRmT1_T2_T3_mT4_P12ihipStream_tbEUlT_E1_NS1_11comp_targetILNS1_3genE9ELNS1_11target_archE1100ELNS1_3gpuE3ELNS1_3repE0EEENS1_30default_config_static_selectorELNS0_4arch9wavefront6targetE1EEEvSD_: ; @_ZN7rocprim17ROCPRIM_400000_NS6detail17trampoline_kernelINS0_14default_configENS1_22reduce_config_selectorIjEEZNS1_11reduce_implILb1ES3_PjS7_j9plus_mod3IjEEE10hipError_tPvRmT1_T2_T3_mT4_P12ihipStream_tbEUlT_E1_NS1_11comp_targetILNS1_3genE9ELNS1_11target_archE1100ELNS1_3gpuE3ELNS1_3repE0EEENS1_30default_config_static_selectorELNS0_4arch9wavefront6targetE1EEEvSD_
; %bb.0:
	.section	.rodata,"a",@progbits
	.p2align	6, 0x0
	.amdhsa_kernel _ZN7rocprim17ROCPRIM_400000_NS6detail17trampoline_kernelINS0_14default_configENS1_22reduce_config_selectorIjEEZNS1_11reduce_implILb1ES3_PjS7_j9plus_mod3IjEEE10hipError_tPvRmT1_T2_T3_mT4_P12ihipStream_tbEUlT_E1_NS1_11comp_targetILNS1_3genE9ELNS1_11target_archE1100ELNS1_3gpuE3ELNS1_3repE0EEENS1_30default_config_static_selectorELNS0_4arch9wavefront6targetE1EEEvSD_
		.amdhsa_group_segment_fixed_size 0
		.amdhsa_private_segment_fixed_size 0
		.amdhsa_kernarg_size 48
		.amdhsa_user_sgpr_count 2
		.amdhsa_user_sgpr_dispatch_ptr 0
		.amdhsa_user_sgpr_queue_ptr 0
		.amdhsa_user_sgpr_kernarg_segment_ptr 1
		.amdhsa_user_sgpr_dispatch_id 0
		.amdhsa_user_sgpr_kernarg_preload_length 0
		.amdhsa_user_sgpr_kernarg_preload_offset 0
		.amdhsa_user_sgpr_private_segment_size 0
		.amdhsa_uses_dynamic_stack 0
		.amdhsa_enable_private_segment 0
		.amdhsa_system_sgpr_workgroup_id_x 1
		.amdhsa_system_sgpr_workgroup_id_y 0
		.amdhsa_system_sgpr_workgroup_id_z 0
		.amdhsa_system_sgpr_workgroup_info 0
		.amdhsa_system_vgpr_workitem_id 0
		.amdhsa_next_free_vgpr 1
		.amdhsa_next_free_sgpr 0
		.amdhsa_accum_offset 4
		.amdhsa_reserve_vcc 0
		.amdhsa_float_round_mode_32 0
		.amdhsa_float_round_mode_16_64 0
		.amdhsa_float_denorm_mode_32 3
		.amdhsa_float_denorm_mode_16_64 3
		.amdhsa_dx10_clamp 1
		.amdhsa_ieee_mode 1
		.amdhsa_fp16_overflow 0
		.amdhsa_tg_split 0
		.amdhsa_exception_fp_ieee_invalid_op 0
		.amdhsa_exception_fp_denorm_src 0
		.amdhsa_exception_fp_ieee_div_zero 0
		.amdhsa_exception_fp_ieee_overflow 0
		.amdhsa_exception_fp_ieee_underflow 0
		.amdhsa_exception_fp_ieee_inexact 0
		.amdhsa_exception_int_div_zero 0
	.end_amdhsa_kernel
	.section	.text._ZN7rocprim17ROCPRIM_400000_NS6detail17trampoline_kernelINS0_14default_configENS1_22reduce_config_selectorIjEEZNS1_11reduce_implILb1ES3_PjS7_j9plus_mod3IjEEE10hipError_tPvRmT1_T2_T3_mT4_P12ihipStream_tbEUlT_E1_NS1_11comp_targetILNS1_3genE9ELNS1_11target_archE1100ELNS1_3gpuE3ELNS1_3repE0EEENS1_30default_config_static_selectorELNS0_4arch9wavefront6targetE1EEEvSD_,"axG",@progbits,_ZN7rocprim17ROCPRIM_400000_NS6detail17trampoline_kernelINS0_14default_configENS1_22reduce_config_selectorIjEEZNS1_11reduce_implILb1ES3_PjS7_j9plus_mod3IjEEE10hipError_tPvRmT1_T2_T3_mT4_P12ihipStream_tbEUlT_E1_NS1_11comp_targetILNS1_3genE9ELNS1_11target_archE1100ELNS1_3gpuE3ELNS1_3repE0EEENS1_30default_config_static_selectorELNS0_4arch9wavefront6targetE1EEEvSD_,comdat
.Lfunc_end819:
	.size	_ZN7rocprim17ROCPRIM_400000_NS6detail17trampoline_kernelINS0_14default_configENS1_22reduce_config_selectorIjEEZNS1_11reduce_implILb1ES3_PjS7_j9plus_mod3IjEEE10hipError_tPvRmT1_T2_T3_mT4_P12ihipStream_tbEUlT_E1_NS1_11comp_targetILNS1_3genE9ELNS1_11target_archE1100ELNS1_3gpuE3ELNS1_3repE0EEENS1_30default_config_static_selectorELNS0_4arch9wavefront6targetE1EEEvSD_, .Lfunc_end819-_ZN7rocprim17ROCPRIM_400000_NS6detail17trampoline_kernelINS0_14default_configENS1_22reduce_config_selectorIjEEZNS1_11reduce_implILb1ES3_PjS7_j9plus_mod3IjEEE10hipError_tPvRmT1_T2_T3_mT4_P12ihipStream_tbEUlT_E1_NS1_11comp_targetILNS1_3genE9ELNS1_11target_archE1100ELNS1_3gpuE3ELNS1_3repE0EEENS1_30default_config_static_selectorELNS0_4arch9wavefront6targetE1EEEvSD_
                                        ; -- End function
	.set _ZN7rocprim17ROCPRIM_400000_NS6detail17trampoline_kernelINS0_14default_configENS1_22reduce_config_selectorIjEEZNS1_11reduce_implILb1ES3_PjS7_j9plus_mod3IjEEE10hipError_tPvRmT1_T2_T3_mT4_P12ihipStream_tbEUlT_E1_NS1_11comp_targetILNS1_3genE9ELNS1_11target_archE1100ELNS1_3gpuE3ELNS1_3repE0EEENS1_30default_config_static_selectorELNS0_4arch9wavefront6targetE1EEEvSD_.num_vgpr, 0
	.set _ZN7rocprim17ROCPRIM_400000_NS6detail17trampoline_kernelINS0_14default_configENS1_22reduce_config_selectorIjEEZNS1_11reduce_implILb1ES3_PjS7_j9plus_mod3IjEEE10hipError_tPvRmT1_T2_T3_mT4_P12ihipStream_tbEUlT_E1_NS1_11comp_targetILNS1_3genE9ELNS1_11target_archE1100ELNS1_3gpuE3ELNS1_3repE0EEENS1_30default_config_static_selectorELNS0_4arch9wavefront6targetE1EEEvSD_.num_agpr, 0
	.set _ZN7rocprim17ROCPRIM_400000_NS6detail17trampoline_kernelINS0_14default_configENS1_22reduce_config_selectorIjEEZNS1_11reduce_implILb1ES3_PjS7_j9plus_mod3IjEEE10hipError_tPvRmT1_T2_T3_mT4_P12ihipStream_tbEUlT_E1_NS1_11comp_targetILNS1_3genE9ELNS1_11target_archE1100ELNS1_3gpuE3ELNS1_3repE0EEENS1_30default_config_static_selectorELNS0_4arch9wavefront6targetE1EEEvSD_.numbered_sgpr, 0
	.set _ZN7rocprim17ROCPRIM_400000_NS6detail17trampoline_kernelINS0_14default_configENS1_22reduce_config_selectorIjEEZNS1_11reduce_implILb1ES3_PjS7_j9plus_mod3IjEEE10hipError_tPvRmT1_T2_T3_mT4_P12ihipStream_tbEUlT_E1_NS1_11comp_targetILNS1_3genE9ELNS1_11target_archE1100ELNS1_3gpuE3ELNS1_3repE0EEENS1_30default_config_static_selectorELNS0_4arch9wavefront6targetE1EEEvSD_.num_named_barrier, 0
	.set _ZN7rocprim17ROCPRIM_400000_NS6detail17trampoline_kernelINS0_14default_configENS1_22reduce_config_selectorIjEEZNS1_11reduce_implILb1ES3_PjS7_j9plus_mod3IjEEE10hipError_tPvRmT1_T2_T3_mT4_P12ihipStream_tbEUlT_E1_NS1_11comp_targetILNS1_3genE9ELNS1_11target_archE1100ELNS1_3gpuE3ELNS1_3repE0EEENS1_30default_config_static_selectorELNS0_4arch9wavefront6targetE1EEEvSD_.private_seg_size, 0
	.set _ZN7rocprim17ROCPRIM_400000_NS6detail17trampoline_kernelINS0_14default_configENS1_22reduce_config_selectorIjEEZNS1_11reduce_implILb1ES3_PjS7_j9plus_mod3IjEEE10hipError_tPvRmT1_T2_T3_mT4_P12ihipStream_tbEUlT_E1_NS1_11comp_targetILNS1_3genE9ELNS1_11target_archE1100ELNS1_3gpuE3ELNS1_3repE0EEENS1_30default_config_static_selectorELNS0_4arch9wavefront6targetE1EEEvSD_.uses_vcc, 0
	.set _ZN7rocprim17ROCPRIM_400000_NS6detail17trampoline_kernelINS0_14default_configENS1_22reduce_config_selectorIjEEZNS1_11reduce_implILb1ES3_PjS7_j9plus_mod3IjEEE10hipError_tPvRmT1_T2_T3_mT4_P12ihipStream_tbEUlT_E1_NS1_11comp_targetILNS1_3genE9ELNS1_11target_archE1100ELNS1_3gpuE3ELNS1_3repE0EEENS1_30default_config_static_selectorELNS0_4arch9wavefront6targetE1EEEvSD_.uses_flat_scratch, 0
	.set _ZN7rocprim17ROCPRIM_400000_NS6detail17trampoline_kernelINS0_14default_configENS1_22reduce_config_selectorIjEEZNS1_11reduce_implILb1ES3_PjS7_j9plus_mod3IjEEE10hipError_tPvRmT1_T2_T3_mT4_P12ihipStream_tbEUlT_E1_NS1_11comp_targetILNS1_3genE9ELNS1_11target_archE1100ELNS1_3gpuE3ELNS1_3repE0EEENS1_30default_config_static_selectorELNS0_4arch9wavefront6targetE1EEEvSD_.has_dyn_sized_stack, 0
	.set _ZN7rocprim17ROCPRIM_400000_NS6detail17trampoline_kernelINS0_14default_configENS1_22reduce_config_selectorIjEEZNS1_11reduce_implILb1ES3_PjS7_j9plus_mod3IjEEE10hipError_tPvRmT1_T2_T3_mT4_P12ihipStream_tbEUlT_E1_NS1_11comp_targetILNS1_3genE9ELNS1_11target_archE1100ELNS1_3gpuE3ELNS1_3repE0EEENS1_30default_config_static_selectorELNS0_4arch9wavefront6targetE1EEEvSD_.has_recursion, 0
	.set _ZN7rocprim17ROCPRIM_400000_NS6detail17trampoline_kernelINS0_14default_configENS1_22reduce_config_selectorIjEEZNS1_11reduce_implILb1ES3_PjS7_j9plus_mod3IjEEE10hipError_tPvRmT1_T2_T3_mT4_P12ihipStream_tbEUlT_E1_NS1_11comp_targetILNS1_3genE9ELNS1_11target_archE1100ELNS1_3gpuE3ELNS1_3repE0EEENS1_30default_config_static_selectorELNS0_4arch9wavefront6targetE1EEEvSD_.has_indirect_call, 0
	.section	.AMDGPU.csdata,"",@progbits
; Kernel info:
; codeLenInByte = 0
; TotalNumSgprs: 6
; NumVgprs: 0
; NumAgprs: 0
; TotalNumVgprs: 0
; ScratchSize: 0
; MemoryBound: 0
; FloatMode: 240
; IeeeMode: 1
; LDSByteSize: 0 bytes/workgroup (compile time only)
; SGPRBlocks: 0
; VGPRBlocks: 0
; NumSGPRsForWavesPerEU: 6
; NumVGPRsForWavesPerEU: 1
; AccumOffset: 4
; Occupancy: 8
; WaveLimiterHint : 0
; COMPUTE_PGM_RSRC2:SCRATCH_EN: 0
; COMPUTE_PGM_RSRC2:USER_SGPR: 2
; COMPUTE_PGM_RSRC2:TRAP_HANDLER: 0
; COMPUTE_PGM_RSRC2:TGID_X_EN: 1
; COMPUTE_PGM_RSRC2:TGID_Y_EN: 0
; COMPUTE_PGM_RSRC2:TGID_Z_EN: 0
; COMPUTE_PGM_RSRC2:TIDIG_COMP_CNT: 0
; COMPUTE_PGM_RSRC3_GFX90A:ACCUM_OFFSET: 0
; COMPUTE_PGM_RSRC3_GFX90A:TG_SPLIT: 0
	.section	.text._ZN7rocprim17ROCPRIM_400000_NS6detail17trampoline_kernelINS0_14default_configENS1_22reduce_config_selectorIjEEZNS1_11reduce_implILb1ES3_PjS7_j9plus_mod3IjEEE10hipError_tPvRmT1_T2_T3_mT4_P12ihipStream_tbEUlT_E1_NS1_11comp_targetILNS1_3genE8ELNS1_11target_archE1030ELNS1_3gpuE2ELNS1_3repE0EEENS1_30default_config_static_selectorELNS0_4arch9wavefront6targetE1EEEvSD_,"axG",@progbits,_ZN7rocprim17ROCPRIM_400000_NS6detail17trampoline_kernelINS0_14default_configENS1_22reduce_config_selectorIjEEZNS1_11reduce_implILb1ES3_PjS7_j9plus_mod3IjEEE10hipError_tPvRmT1_T2_T3_mT4_P12ihipStream_tbEUlT_E1_NS1_11comp_targetILNS1_3genE8ELNS1_11target_archE1030ELNS1_3gpuE2ELNS1_3repE0EEENS1_30default_config_static_selectorELNS0_4arch9wavefront6targetE1EEEvSD_,comdat
	.protected	_ZN7rocprim17ROCPRIM_400000_NS6detail17trampoline_kernelINS0_14default_configENS1_22reduce_config_selectorIjEEZNS1_11reduce_implILb1ES3_PjS7_j9plus_mod3IjEEE10hipError_tPvRmT1_T2_T3_mT4_P12ihipStream_tbEUlT_E1_NS1_11comp_targetILNS1_3genE8ELNS1_11target_archE1030ELNS1_3gpuE2ELNS1_3repE0EEENS1_30default_config_static_selectorELNS0_4arch9wavefront6targetE1EEEvSD_ ; -- Begin function _ZN7rocprim17ROCPRIM_400000_NS6detail17trampoline_kernelINS0_14default_configENS1_22reduce_config_selectorIjEEZNS1_11reduce_implILb1ES3_PjS7_j9plus_mod3IjEEE10hipError_tPvRmT1_T2_T3_mT4_P12ihipStream_tbEUlT_E1_NS1_11comp_targetILNS1_3genE8ELNS1_11target_archE1030ELNS1_3gpuE2ELNS1_3repE0EEENS1_30default_config_static_selectorELNS0_4arch9wavefront6targetE1EEEvSD_
	.globl	_ZN7rocprim17ROCPRIM_400000_NS6detail17trampoline_kernelINS0_14default_configENS1_22reduce_config_selectorIjEEZNS1_11reduce_implILb1ES3_PjS7_j9plus_mod3IjEEE10hipError_tPvRmT1_T2_T3_mT4_P12ihipStream_tbEUlT_E1_NS1_11comp_targetILNS1_3genE8ELNS1_11target_archE1030ELNS1_3gpuE2ELNS1_3repE0EEENS1_30default_config_static_selectorELNS0_4arch9wavefront6targetE1EEEvSD_
	.p2align	8
	.type	_ZN7rocprim17ROCPRIM_400000_NS6detail17trampoline_kernelINS0_14default_configENS1_22reduce_config_selectorIjEEZNS1_11reduce_implILb1ES3_PjS7_j9plus_mod3IjEEE10hipError_tPvRmT1_T2_T3_mT4_P12ihipStream_tbEUlT_E1_NS1_11comp_targetILNS1_3genE8ELNS1_11target_archE1030ELNS1_3gpuE2ELNS1_3repE0EEENS1_30default_config_static_selectorELNS0_4arch9wavefront6targetE1EEEvSD_,@function
_ZN7rocprim17ROCPRIM_400000_NS6detail17trampoline_kernelINS0_14default_configENS1_22reduce_config_selectorIjEEZNS1_11reduce_implILb1ES3_PjS7_j9plus_mod3IjEEE10hipError_tPvRmT1_T2_T3_mT4_P12ihipStream_tbEUlT_E1_NS1_11comp_targetILNS1_3genE8ELNS1_11target_archE1030ELNS1_3gpuE2ELNS1_3repE0EEENS1_30default_config_static_selectorELNS0_4arch9wavefront6targetE1EEEvSD_: ; @_ZN7rocprim17ROCPRIM_400000_NS6detail17trampoline_kernelINS0_14default_configENS1_22reduce_config_selectorIjEEZNS1_11reduce_implILb1ES3_PjS7_j9plus_mod3IjEEE10hipError_tPvRmT1_T2_T3_mT4_P12ihipStream_tbEUlT_E1_NS1_11comp_targetILNS1_3genE8ELNS1_11target_archE1030ELNS1_3gpuE2ELNS1_3repE0EEENS1_30default_config_static_selectorELNS0_4arch9wavefront6targetE1EEEvSD_
; %bb.0:
	.section	.rodata,"a",@progbits
	.p2align	6, 0x0
	.amdhsa_kernel _ZN7rocprim17ROCPRIM_400000_NS6detail17trampoline_kernelINS0_14default_configENS1_22reduce_config_selectorIjEEZNS1_11reduce_implILb1ES3_PjS7_j9plus_mod3IjEEE10hipError_tPvRmT1_T2_T3_mT4_P12ihipStream_tbEUlT_E1_NS1_11comp_targetILNS1_3genE8ELNS1_11target_archE1030ELNS1_3gpuE2ELNS1_3repE0EEENS1_30default_config_static_selectorELNS0_4arch9wavefront6targetE1EEEvSD_
		.amdhsa_group_segment_fixed_size 0
		.amdhsa_private_segment_fixed_size 0
		.amdhsa_kernarg_size 48
		.amdhsa_user_sgpr_count 2
		.amdhsa_user_sgpr_dispatch_ptr 0
		.amdhsa_user_sgpr_queue_ptr 0
		.amdhsa_user_sgpr_kernarg_segment_ptr 1
		.amdhsa_user_sgpr_dispatch_id 0
		.amdhsa_user_sgpr_kernarg_preload_length 0
		.amdhsa_user_sgpr_kernarg_preload_offset 0
		.amdhsa_user_sgpr_private_segment_size 0
		.amdhsa_uses_dynamic_stack 0
		.amdhsa_enable_private_segment 0
		.amdhsa_system_sgpr_workgroup_id_x 1
		.amdhsa_system_sgpr_workgroup_id_y 0
		.amdhsa_system_sgpr_workgroup_id_z 0
		.amdhsa_system_sgpr_workgroup_info 0
		.amdhsa_system_vgpr_workitem_id 0
		.amdhsa_next_free_vgpr 1
		.amdhsa_next_free_sgpr 0
		.amdhsa_accum_offset 4
		.amdhsa_reserve_vcc 0
		.amdhsa_float_round_mode_32 0
		.amdhsa_float_round_mode_16_64 0
		.amdhsa_float_denorm_mode_32 3
		.amdhsa_float_denorm_mode_16_64 3
		.amdhsa_dx10_clamp 1
		.amdhsa_ieee_mode 1
		.amdhsa_fp16_overflow 0
		.amdhsa_tg_split 0
		.amdhsa_exception_fp_ieee_invalid_op 0
		.amdhsa_exception_fp_denorm_src 0
		.amdhsa_exception_fp_ieee_div_zero 0
		.amdhsa_exception_fp_ieee_overflow 0
		.amdhsa_exception_fp_ieee_underflow 0
		.amdhsa_exception_fp_ieee_inexact 0
		.amdhsa_exception_int_div_zero 0
	.end_amdhsa_kernel
	.section	.text._ZN7rocprim17ROCPRIM_400000_NS6detail17trampoline_kernelINS0_14default_configENS1_22reduce_config_selectorIjEEZNS1_11reduce_implILb1ES3_PjS7_j9plus_mod3IjEEE10hipError_tPvRmT1_T2_T3_mT4_P12ihipStream_tbEUlT_E1_NS1_11comp_targetILNS1_3genE8ELNS1_11target_archE1030ELNS1_3gpuE2ELNS1_3repE0EEENS1_30default_config_static_selectorELNS0_4arch9wavefront6targetE1EEEvSD_,"axG",@progbits,_ZN7rocprim17ROCPRIM_400000_NS6detail17trampoline_kernelINS0_14default_configENS1_22reduce_config_selectorIjEEZNS1_11reduce_implILb1ES3_PjS7_j9plus_mod3IjEEE10hipError_tPvRmT1_T2_T3_mT4_P12ihipStream_tbEUlT_E1_NS1_11comp_targetILNS1_3genE8ELNS1_11target_archE1030ELNS1_3gpuE2ELNS1_3repE0EEENS1_30default_config_static_selectorELNS0_4arch9wavefront6targetE1EEEvSD_,comdat
.Lfunc_end820:
	.size	_ZN7rocprim17ROCPRIM_400000_NS6detail17trampoline_kernelINS0_14default_configENS1_22reduce_config_selectorIjEEZNS1_11reduce_implILb1ES3_PjS7_j9plus_mod3IjEEE10hipError_tPvRmT1_T2_T3_mT4_P12ihipStream_tbEUlT_E1_NS1_11comp_targetILNS1_3genE8ELNS1_11target_archE1030ELNS1_3gpuE2ELNS1_3repE0EEENS1_30default_config_static_selectorELNS0_4arch9wavefront6targetE1EEEvSD_, .Lfunc_end820-_ZN7rocprim17ROCPRIM_400000_NS6detail17trampoline_kernelINS0_14default_configENS1_22reduce_config_selectorIjEEZNS1_11reduce_implILb1ES3_PjS7_j9plus_mod3IjEEE10hipError_tPvRmT1_T2_T3_mT4_P12ihipStream_tbEUlT_E1_NS1_11comp_targetILNS1_3genE8ELNS1_11target_archE1030ELNS1_3gpuE2ELNS1_3repE0EEENS1_30default_config_static_selectorELNS0_4arch9wavefront6targetE1EEEvSD_
                                        ; -- End function
	.set _ZN7rocprim17ROCPRIM_400000_NS6detail17trampoline_kernelINS0_14default_configENS1_22reduce_config_selectorIjEEZNS1_11reduce_implILb1ES3_PjS7_j9plus_mod3IjEEE10hipError_tPvRmT1_T2_T3_mT4_P12ihipStream_tbEUlT_E1_NS1_11comp_targetILNS1_3genE8ELNS1_11target_archE1030ELNS1_3gpuE2ELNS1_3repE0EEENS1_30default_config_static_selectorELNS0_4arch9wavefront6targetE1EEEvSD_.num_vgpr, 0
	.set _ZN7rocprim17ROCPRIM_400000_NS6detail17trampoline_kernelINS0_14default_configENS1_22reduce_config_selectorIjEEZNS1_11reduce_implILb1ES3_PjS7_j9plus_mod3IjEEE10hipError_tPvRmT1_T2_T3_mT4_P12ihipStream_tbEUlT_E1_NS1_11comp_targetILNS1_3genE8ELNS1_11target_archE1030ELNS1_3gpuE2ELNS1_3repE0EEENS1_30default_config_static_selectorELNS0_4arch9wavefront6targetE1EEEvSD_.num_agpr, 0
	.set _ZN7rocprim17ROCPRIM_400000_NS6detail17trampoline_kernelINS0_14default_configENS1_22reduce_config_selectorIjEEZNS1_11reduce_implILb1ES3_PjS7_j9plus_mod3IjEEE10hipError_tPvRmT1_T2_T3_mT4_P12ihipStream_tbEUlT_E1_NS1_11comp_targetILNS1_3genE8ELNS1_11target_archE1030ELNS1_3gpuE2ELNS1_3repE0EEENS1_30default_config_static_selectorELNS0_4arch9wavefront6targetE1EEEvSD_.numbered_sgpr, 0
	.set _ZN7rocprim17ROCPRIM_400000_NS6detail17trampoline_kernelINS0_14default_configENS1_22reduce_config_selectorIjEEZNS1_11reduce_implILb1ES3_PjS7_j9plus_mod3IjEEE10hipError_tPvRmT1_T2_T3_mT4_P12ihipStream_tbEUlT_E1_NS1_11comp_targetILNS1_3genE8ELNS1_11target_archE1030ELNS1_3gpuE2ELNS1_3repE0EEENS1_30default_config_static_selectorELNS0_4arch9wavefront6targetE1EEEvSD_.num_named_barrier, 0
	.set _ZN7rocprim17ROCPRIM_400000_NS6detail17trampoline_kernelINS0_14default_configENS1_22reduce_config_selectorIjEEZNS1_11reduce_implILb1ES3_PjS7_j9plus_mod3IjEEE10hipError_tPvRmT1_T2_T3_mT4_P12ihipStream_tbEUlT_E1_NS1_11comp_targetILNS1_3genE8ELNS1_11target_archE1030ELNS1_3gpuE2ELNS1_3repE0EEENS1_30default_config_static_selectorELNS0_4arch9wavefront6targetE1EEEvSD_.private_seg_size, 0
	.set _ZN7rocprim17ROCPRIM_400000_NS6detail17trampoline_kernelINS0_14default_configENS1_22reduce_config_selectorIjEEZNS1_11reduce_implILb1ES3_PjS7_j9plus_mod3IjEEE10hipError_tPvRmT1_T2_T3_mT4_P12ihipStream_tbEUlT_E1_NS1_11comp_targetILNS1_3genE8ELNS1_11target_archE1030ELNS1_3gpuE2ELNS1_3repE0EEENS1_30default_config_static_selectorELNS0_4arch9wavefront6targetE1EEEvSD_.uses_vcc, 0
	.set _ZN7rocprim17ROCPRIM_400000_NS6detail17trampoline_kernelINS0_14default_configENS1_22reduce_config_selectorIjEEZNS1_11reduce_implILb1ES3_PjS7_j9plus_mod3IjEEE10hipError_tPvRmT1_T2_T3_mT4_P12ihipStream_tbEUlT_E1_NS1_11comp_targetILNS1_3genE8ELNS1_11target_archE1030ELNS1_3gpuE2ELNS1_3repE0EEENS1_30default_config_static_selectorELNS0_4arch9wavefront6targetE1EEEvSD_.uses_flat_scratch, 0
	.set _ZN7rocprim17ROCPRIM_400000_NS6detail17trampoline_kernelINS0_14default_configENS1_22reduce_config_selectorIjEEZNS1_11reduce_implILb1ES3_PjS7_j9plus_mod3IjEEE10hipError_tPvRmT1_T2_T3_mT4_P12ihipStream_tbEUlT_E1_NS1_11comp_targetILNS1_3genE8ELNS1_11target_archE1030ELNS1_3gpuE2ELNS1_3repE0EEENS1_30default_config_static_selectorELNS0_4arch9wavefront6targetE1EEEvSD_.has_dyn_sized_stack, 0
	.set _ZN7rocprim17ROCPRIM_400000_NS6detail17trampoline_kernelINS0_14default_configENS1_22reduce_config_selectorIjEEZNS1_11reduce_implILb1ES3_PjS7_j9plus_mod3IjEEE10hipError_tPvRmT1_T2_T3_mT4_P12ihipStream_tbEUlT_E1_NS1_11comp_targetILNS1_3genE8ELNS1_11target_archE1030ELNS1_3gpuE2ELNS1_3repE0EEENS1_30default_config_static_selectorELNS0_4arch9wavefront6targetE1EEEvSD_.has_recursion, 0
	.set _ZN7rocprim17ROCPRIM_400000_NS6detail17trampoline_kernelINS0_14default_configENS1_22reduce_config_selectorIjEEZNS1_11reduce_implILb1ES3_PjS7_j9plus_mod3IjEEE10hipError_tPvRmT1_T2_T3_mT4_P12ihipStream_tbEUlT_E1_NS1_11comp_targetILNS1_3genE8ELNS1_11target_archE1030ELNS1_3gpuE2ELNS1_3repE0EEENS1_30default_config_static_selectorELNS0_4arch9wavefront6targetE1EEEvSD_.has_indirect_call, 0
	.section	.AMDGPU.csdata,"",@progbits
; Kernel info:
; codeLenInByte = 0
; TotalNumSgprs: 6
; NumVgprs: 0
; NumAgprs: 0
; TotalNumVgprs: 0
; ScratchSize: 0
; MemoryBound: 0
; FloatMode: 240
; IeeeMode: 1
; LDSByteSize: 0 bytes/workgroup (compile time only)
; SGPRBlocks: 0
; VGPRBlocks: 0
; NumSGPRsForWavesPerEU: 6
; NumVGPRsForWavesPerEU: 1
; AccumOffset: 4
; Occupancy: 8
; WaveLimiterHint : 0
; COMPUTE_PGM_RSRC2:SCRATCH_EN: 0
; COMPUTE_PGM_RSRC2:USER_SGPR: 2
; COMPUTE_PGM_RSRC2:TRAP_HANDLER: 0
; COMPUTE_PGM_RSRC2:TGID_X_EN: 1
; COMPUTE_PGM_RSRC2:TGID_Y_EN: 0
; COMPUTE_PGM_RSRC2:TGID_Z_EN: 0
; COMPUTE_PGM_RSRC2:TIDIG_COMP_CNT: 0
; COMPUTE_PGM_RSRC3_GFX90A:ACCUM_OFFSET: 0
; COMPUTE_PGM_RSRC3_GFX90A:TG_SPLIT: 0
	.section	.text._ZN7rocprim17ROCPRIM_400000_NS6detail17trampoline_kernelINS0_14default_configENS1_22reduce_config_selectorIjEEZNS1_11reduce_implILb1ES3_N6thrust23THRUST_200600_302600_NS6detail15normal_iteratorINS8_10device_ptrIjEEEEPjj9plus_mod3IjEEE10hipError_tPvRmT1_T2_T3_mT4_P12ihipStream_tbEUlT_E0_NS1_11comp_targetILNS1_3genE0ELNS1_11target_archE4294967295ELNS1_3gpuE0ELNS1_3repE0EEENS1_30default_config_static_selectorELNS0_4arch9wavefront6targetE1EEEvSK_,"axG",@progbits,_ZN7rocprim17ROCPRIM_400000_NS6detail17trampoline_kernelINS0_14default_configENS1_22reduce_config_selectorIjEEZNS1_11reduce_implILb1ES3_N6thrust23THRUST_200600_302600_NS6detail15normal_iteratorINS8_10device_ptrIjEEEEPjj9plus_mod3IjEEE10hipError_tPvRmT1_T2_T3_mT4_P12ihipStream_tbEUlT_E0_NS1_11comp_targetILNS1_3genE0ELNS1_11target_archE4294967295ELNS1_3gpuE0ELNS1_3repE0EEENS1_30default_config_static_selectorELNS0_4arch9wavefront6targetE1EEEvSK_,comdat
	.protected	_ZN7rocprim17ROCPRIM_400000_NS6detail17trampoline_kernelINS0_14default_configENS1_22reduce_config_selectorIjEEZNS1_11reduce_implILb1ES3_N6thrust23THRUST_200600_302600_NS6detail15normal_iteratorINS8_10device_ptrIjEEEEPjj9plus_mod3IjEEE10hipError_tPvRmT1_T2_T3_mT4_P12ihipStream_tbEUlT_E0_NS1_11comp_targetILNS1_3genE0ELNS1_11target_archE4294967295ELNS1_3gpuE0ELNS1_3repE0EEENS1_30default_config_static_selectorELNS0_4arch9wavefront6targetE1EEEvSK_ ; -- Begin function _ZN7rocprim17ROCPRIM_400000_NS6detail17trampoline_kernelINS0_14default_configENS1_22reduce_config_selectorIjEEZNS1_11reduce_implILb1ES3_N6thrust23THRUST_200600_302600_NS6detail15normal_iteratorINS8_10device_ptrIjEEEEPjj9plus_mod3IjEEE10hipError_tPvRmT1_T2_T3_mT4_P12ihipStream_tbEUlT_E0_NS1_11comp_targetILNS1_3genE0ELNS1_11target_archE4294967295ELNS1_3gpuE0ELNS1_3repE0EEENS1_30default_config_static_selectorELNS0_4arch9wavefront6targetE1EEEvSK_
	.globl	_ZN7rocprim17ROCPRIM_400000_NS6detail17trampoline_kernelINS0_14default_configENS1_22reduce_config_selectorIjEEZNS1_11reduce_implILb1ES3_N6thrust23THRUST_200600_302600_NS6detail15normal_iteratorINS8_10device_ptrIjEEEEPjj9plus_mod3IjEEE10hipError_tPvRmT1_T2_T3_mT4_P12ihipStream_tbEUlT_E0_NS1_11comp_targetILNS1_3genE0ELNS1_11target_archE4294967295ELNS1_3gpuE0ELNS1_3repE0EEENS1_30default_config_static_selectorELNS0_4arch9wavefront6targetE1EEEvSK_
	.p2align	8
	.type	_ZN7rocprim17ROCPRIM_400000_NS6detail17trampoline_kernelINS0_14default_configENS1_22reduce_config_selectorIjEEZNS1_11reduce_implILb1ES3_N6thrust23THRUST_200600_302600_NS6detail15normal_iteratorINS8_10device_ptrIjEEEEPjj9plus_mod3IjEEE10hipError_tPvRmT1_T2_T3_mT4_P12ihipStream_tbEUlT_E0_NS1_11comp_targetILNS1_3genE0ELNS1_11target_archE4294967295ELNS1_3gpuE0ELNS1_3repE0EEENS1_30default_config_static_selectorELNS0_4arch9wavefront6targetE1EEEvSK_,@function
_ZN7rocprim17ROCPRIM_400000_NS6detail17trampoline_kernelINS0_14default_configENS1_22reduce_config_selectorIjEEZNS1_11reduce_implILb1ES3_N6thrust23THRUST_200600_302600_NS6detail15normal_iteratorINS8_10device_ptrIjEEEEPjj9plus_mod3IjEEE10hipError_tPvRmT1_T2_T3_mT4_P12ihipStream_tbEUlT_E0_NS1_11comp_targetILNS1_3genE0ELNS1_11target_archE4294967295ELNS1_3gpuE0ELNS1_3repE0EEENS1_30default_config_static_selectorELNS0_4arch9wavefront6targetE1EEEvSK_: ; @_ZN7rocprim17ROCPRIM_400000_NS6detail17trampoline_kernelINS0_14default_configENS1_22reduce_config_selectorIjEEZNS1_11reduce_implILb1ES3_N6thrust23THRUST_200600_302600_NS6detail15normal_iteratorINS8_10device_ptrIjEEEEPjj9plus_mod3IjEEE10hipError_tPvRmT1_T2_T3_mT4_P12ihipStream_tbEUlT_E0_NS1_11comp_targetILNS1_3genE0ELNS1_11target_archE4294967295ELNS1_3gpuE0ELNS1_3repE0EEENS1_30default_config_static_selectorELNS0_4arch9wavefront6targetE1EEEvSK_
; %bb.0:
	s_load_dwordx8 s[4:11], s[0:1], 0x0
	s_load_dwordx2 s[12:13], s[0:1], 0x38
	v_lshlrev_b32_e32 v6, 2, v0
	v_mbcnt_lo_u32_b32 v1, -1, 0
	s_waitcnt lgkmcnt(0)
	s_lshl_b64 s[6:7], s[6:7], 2
	s_add_u32 s16, s4, s6
	s_addc_u32 s17, s5, s7
	s_lshl_b32 s4, s2, 10
	s_mov_b32 s5, 0
	s_lshr_b64 s[6:7], s[8:9], 10
	s_lshl_b64 s[14:15], s[4:5], 2
	s_add_u32 s16, s16, s14
	s_mov_b32 s3, s5
	s_addc_u32 s17, s17, s15
	s_cmp_lg_u64 s[6:7], s[2:3]
	s_cbranch_scc0 .LBB821_6
; %bb.1:
	v_mov_b32_e32 v7, 0
	v_lshl_add_u64 v[2:3], s[16:17], 0, v[6:7]
	flat_load_dword v4, v[2:3]
	flat_load_dword v5, v[2:3] offset:1024
	flat_load_dword v7, v[2:3] offset:2048
	;; [unrolled: 1-line block ×3, first 2 shown]
	s_waitcnt vmcnt(0) lgkmcnt(0)
	v_add_u32_e32 v2, v5, v4
	v_ashrrev_i32_e32 v3, 31, v2
	v_lshl_add_u64 v[2:3], v[2:3], 2, s[12:13]
	global_load_dword v2, v[2:3], off
	v_mbcnt_hi_u32_b32 v5, -1, v1
	v_cmp_eq_u32_e32 vcc, 0, v5
	s_waitcnt vmcnt(0)
	v_add_u32_e32 v2, v2, v7
	v_ashrrev_i32_e32 v3, 31, v2
	v_lshl_add_u64 v[2:3], v[2:3], 2, s[12:13]
	global_load_dword v2, v[2:3], off
	s_waitcnt vmcnt(0)
	v_add_u32_e32 v2, v2, v8
	v_ashrrev_i32_e32 v3, 31, v2
	v_lshl_add_u64 v[2:3], v[2:3], 2, s[12:13]
	global_load_dword v2, v[2:3], off
	s_waitcnt vmcnt(0)
	s_nop 0
	v_add_u32_dpp v2, v2, v2 quad_perm:[1,0,3,2] row_mask:0xf bank_mask:0xf bound_ctrl:1
	v_ashrrev_i32_e32 v3, 31, v2
	v_lshl_add_u64 v[2:3], v[2:3], 2, s[12:13]
	global_load_dword v2, v[2:3], off
	s_waitcnt vmcnt(0)
	s_nop 0
	v_add_u32_dpp v2, v2, v2 quad_perm:[2,3,0,1] row_mask:0xf bank_mask:0xf bound_ctrl:1
	v_ashrrev_i32_e32 v3, 31, v2
	v_lshl_add_u64 v[2:3], v[2:3], 2, s[12:13]
	global_load_dword v2, v[2:3], off
	s_waitcnt vmcnt(0)
	s_nop 0
	v_add_u32_dpp v2, v2, v2 row_ror:4 row_mask:0xf bank_mask:0xf bound_ctrl:1
	v_ashrrev_i32_e32 v3, 31, v2
	v_lshl_add_u64 v[2:3], v[2:3], 2, s[12:13]
	global_load_dword v2, v[2:3], off
	s_waitcnt vmcnt(0)
	s_nop 0
	v_add_u32_dpp v2, v2, v2 row_ror:8 row_mask:0xf bank_mask:0xf bound_ctrl:1
	v_ashrrev_i32_e32 v3, 31, v2
	v_lshl_add_u64 v[2:3], v[2:3], 2, s[12:13]
	global_load_dword v2, v[2:3], off
	s_waitcnt vmcnt(0)
	s_nop 0
	v_add_u32_dpp v2, v2, v2 row_bcast:15 row_mask:0xf bank_mask:0xf bound_ctrl:1
	v_ashrrev_i32_e32 v3, 31, v2
	v_lshl_add_u64 v[2:3], v[2:3], 2, s[12:13]
	global_load_dword v2, v[2:3], off
	s_waitcnt vmcnt(0)
	s_nop 0
	v_add_u32_dpp v2, v2, v2 row_bcast:31 row_mask:0xf bank_mask:0xf bound_ctrl:1
	v_ashrrev_i32_e32 v3, 31, v2
	v_lshl_add_u64 v[2:3], v[2:3], 2, s[12:13]
	global_load_dword v2, v[2:3], off
	v_lshlrev_b32_e32 v3, 2, v5
	v_or_b32_e32 v4, 0xfc, v3
	s_waitcnt vmcnt(0)
	ds_bpermute_b32 v2, v4, v2
	s_and_saveexec_b64 s[6:7], vcc
	s_cbranch_execz .LBB821_3
; %bb.2:
	v_lshrrev_b32_e32 v4, 4, v0
	v_and_b32_e32 v4, 12, v4
	s_waitcnt lgkmcnt(0)
	ds_write_b32 v4, v2 offset:16
.LBB821_3:
	s_or_b64 exec, exec, s[6:7]
	v_cmp_gt_u32_e32 vcc, 64, v0
	s_mov_b64 s[6:7], 0
	s_mov_b64 s[14:15], 0
	s_waitcnt lgkmcnt(0)
	s_barrier
                                        ; implicit-def: $vgpr4
	s_and_saveexec_b64 s[18:19], vcc
	s_xor_b64 s[18:19], exec, s[18:19]
	s_cbranch_execz .LBB821_5
; %bb.4:
	v_and_b32_e32 v4, 3, v5
	v_lshlrev_b32_e32 v7, 2, v4
	ds_read_b32 v7, v7 offset:16
	v_cmp_ne_u32_e32 vcc, 3, v4
	v_or_b32_e32 v3, 8, v3
	s_mov_b64 s[14:15], exec
	v_addc_co_u32_e32 v4, vcc, 0, v5, vcc
	v_lshlrev_b32_e32 v4, 2, v4
	s_waitcnt lgkmcnt(0)
	ds_bpermute_b32 v4, v4, v7
	s_waitcnt lgkmcnt(0)
	v_add_u32_e32 v4, v4, v7
	v_ashrrev_i32_e32 v5, 31, v4
	v_lshl_add_u64 v[4:5], v[4:5], 2, s[12:13]
	global_load_dword v4, v[4:5], off
	s_waitcnt vmcnt(0)
	ds_bpermute_b32 v3, v3, v4
	s_waitcnt lgkmcnt(0)
	v_add_u32_e32 v4, v3, v4
.LBB821_5:
	s_or_b64 exec, exec, s[18:19]
	s_and_b64 vcc, exec, s[6:7]
	s_cbranch_vccnz .LBB821_7
	s_branch .LBB821_39
.LBB821_6:
	s_mov_b64 s[14:15], 0
                                        ; implicit-def: $vgpr4
                                        ; implicit-def: $vgpr2
	s_cbranch_execz .LBB821_39
.LBB821_7:
	s_sub_i32 s20, s8, s4
	v_mov_b32_e32 v2, 0
	v_cmp_gt_u32_e32 vcc, s20, v0
	v_mov_b32_e32 v3, v2
	v_mov_b32_e32 v4, v2
	;; [unrolled: 1-line block ×3, first 2 shown]
	s_and_saveexec_b64 s[4:5], vcc
	s_cbranch_execz .LBB821_9
; %bb.8:
	v_mov_b32_e32 v7, v2
	v_lshl_add_u64 v[4:5], s[16:17], 0, v[6:7]
	flat_load_dword v8, v[4:5]
	v_mov_b32_e32 v9, v2
	v_mov_b32_e32 v10, v2
	;; [unrolled: 1-line block ×3, first 2 shown]
	s_waitcnt vmcnt(0) lgkmcnt(0)
	v_mov_b64_e32 v[2:3], v[8:9]
	v_mov_b64_e32 v[4:5], v[10:11]
.LBB821_9:
	s_or_b64 exec, exec, s[4:5]
	v_or_b32_e32 v7, 0x100, v0
	v_cmp_gt_u32_e32 vcc, s20, v7
	s_and_saveexec_b64 s[4:5], vcc
	s_cbranch_execz .LBB821_11
; %bb.10:
	v_mov_b32_e32 v7, 0
	v_lshl_add_u64 v[8:9], s[16:17], 0, v[6:7]
	flat_load_dword v3, v[8:9] offset:1024
.LBB821_11:
	s_or_b64 exec, exec, s[4:5]
	v_or_b32_e32 v7, 0x200, v0
	v_cmp_gt_u32_e64 s[4:5], s20, v7
	s_and_saveexec_b64 s[6:7], s[4:5]
	s_cbranch_execz .LBB821_13
; %bb.12:
	v_mov_b32_e32 v7, 0
	v_lshl_add_u64 v[8:9], s[16:17], 0, v[6:7]
	flat_load_dword v4, v[8:9] offset:2048
.LBB821_13:
	s_or_b64 exec, exec, s[6:7]
	v_or_b32_e32 v7, 0x300, v0
	v_cmp_gt_u32_e64 s[6:7], s20, v7
	s_and_saveexec_b64 s[18:19], s[6:7]
	s_cbranch_execnz .LBB821_44
; %bb.14:
	s_or_b64 exec, exec, s[18:19]
	s_and_saveexec_b64 s[16:17], vcc
	s_cbranch_execnz .LBB821_45
.LBB821_15:
	s_or_b64 exec, exec, s[16:17]
	s_and_saveexec_b64 s[16:17], s[4:5]
	s_cbranch_execnz .LBB821_46
.LBB821_16:
	s_or_b64 exec, exec, s[16:17]
	s_and_saveexec_b64 s[4:5], s[6:7]
	s_cbranch_execz .LBB821_18
.LBB821_17:
	s_waitcnt vmcnt(0) lgkmcnt(0)
	v_add_u32_e32 v2, v2, v5
	v_ashrrev_i32_e32 v3, 31, v2
	v_lshl_add_u64 v[2:3], v[2:3], 2, s[12:13]
	global_load_dword v2, v[2:3], off
.LBB821_18:
	s_or_b64 exec, exec, s[4:5]
	v_mbcnt_hi_u32_b32 v1, -1, v1
	s_waitcnt vmcnt(0) lgkmcnt(0)
	v_and_b32_e32 v3, 63, v1
	v_cmp_ne_u32_e32 vcc, 63, v3
	s_min_u32 s6, s20, 0x100
	v_add_u32_e32 v6, 1, v3
	v_addc_co_u32_e32 v4, vcc, 0, v1, vcc
	v_lshlrev_b32_e32 v4, 2, v4
	ds_bpermute_b32 v5, v4, v2
	v_and_b32_e32 v4, 0xc0, v0
	v_sub_u32_e64 v4, s6, v4 clamp
	v_cmp_lt_u32_e32 vcc, v6, v4
	s_and_saveexec_b64 s[4:5], vcc
	s_xor_b64 s[4:5], exec, s[4:5]
	s_cbranch_execz .LBB821_20
; %bb.19:
	s_waitcnt lgkmcnt(0)
	v_add_u32_e32 v6, v5, v2
	v_ashrrev_i32_e32 v7, 31, v6
	v_lshl_add_u64 v[6:7], v[6:7], 2, s[12:13]
	global_load_dword v2, v[6:7], off
.LBB821_20:
	s_or_b64 exec, exec, s[4:5]
	v_cmp_gt_u32_e32 vcc, 62, v3
	v_add_u32_e32 v6, 2, v3
	s_waitcnt lgkmcnt(0)
	v_cndmask_b32_e64 v5, 0, 2, vcc
	v_add_lshl_u32 v5, v5, v1, 2
	s_waitcnt vmcnt(0)
	ds_bpermute_b32 v5, v5, v2
	v_cmp_lt_u32_e32 vcc, v6, v4
	s_and_saveexec_b64 s[4:5], vcc
	s_cbranch_execz .LBB821_22
; %bb.21:
	s_waitcnt lgkmcnt(0)
	v_add_u32_e32 v6, v5, v2
	v_ashrrev_i32_e32 v7, 31, v6
	v_lshl_add_u64 v[6:7], v[6:7], 2, s[12:13]
	global_load_dword v2, v[6:7], off
.LBB821_22:
	s_or_b64 exec, exec, s[4:5]
	v_cmp_gt_u32_e32 vcc, 60, v3
	v_add_u32_e32 v6, 4, v3
	s_waitcnt lgkmcnt(0)
	v_cndmask_b32_e64 v5, 0, 4, vcc
	v_add_lshl_u32 v5, v5, v1, 2
	s_waitcnt vmcnt(0)
	ds_bpermute_b32 v5, v5, v2
	v_cmp_lt_u32_e32 vcc, v6, v4
	s_and_saveexec_b64 s[4:5], vcc
	;; [unrolled: 18-line block ×4, first 2 shown]
	s_cbranch_execz .LBB821_28
; %bb.27:
	s_waitcnt lgkmcnt(0)
	v_add_u32_e32 v6, v5, v2
	v_ashrrev_i32_e32 v7, 31, v6
	v_lshl_add_u64 v[6:7], v[6:7], 2, s[12:13]
	global_load_dword v2, v[6:7], off
.LBB821_28:
	s_or_b64 exec, exec, s[4:5]
	s_waitcnt lgkmcnt(0)
	v_lshlrev_b32_e32 v5, 2, v1
	v_or_b32_e32 v6, 0x80, v5
	s_waitcnt vmcnt(0)
	ds_bpermute_b32 v6, v6, v2
	v_add_u32_e32 v3, 32, v3
	v_cmp_lt_u32_e32 vcc, v3, v4
	s_and_saveexec_b64 s[4:5], vcc
	s_cbranch_execz .LBB821_30
; %bb.29:
	s_waitcnt lgkmcnt(0)
	v_add_u32_e32 v2, v6, v2
	v_ashrrev_i32_e32 v3, 31, v2
	v_lshl_add_u64 v[2:3], v[2:3], 2, s[12:13]
	global_load_dword v2, v[2:3], off
.LBB821_30:
	s_or_b64 exec, exec, s[4:5]
	v_cmp_eq_u32_e32 vcc, 0, v1
	s_and_saveexec_b64 s[4:5], vcc
	s_cbranch_execz .LBB821_32
; %bb.31:
	v_lshrrev_b32_e32 v3, 4, v0
	v_and_b32_e32 v3, 12, v3
	s_waitcnt vmcnt(0)
	ds_write_b32 v3, v2
.LBB821_32:
	s_or_b64 exec, exec, s[4:5]
	v_cmp_gt_u32_e32 vcc, 4, v0
	s_waitcnt lgkmcnt(0)
	s_barrier
                                        ; implicit-def: $vgpr4
	s_and_saveexec_b64 s[4:5], vcc
	s_cbranch_execz .LBB821_38
; %bb.33:
	s_waitcnt vmcnt(0)
	ds_read_b32 v2, v5
	v_and_b32_e32 v3, 3, v1
	v_cmp_ne_u32_e32 vcc, 3, v3
	s_add_i32 s6, s6, 63
	s_lshr_b32 s16, s6, 6
	v_addc_co_u32_e32 v1, vcc, 0, v1, vcc
	v_lshlrev_b32_e32 v1, 2, v1
	s_waitcnt lgkmcnt(0)
	ds_bpermute_b32 v1, v1, v2
	v_add_u32_e32 v4, 1, v3
	v_cmp_gt_u32_e32 vcc, s16, v4
	s_and_saveexec_b64 s[6:7], vcc
	s_cbranch_execz .LBB821_35
; %bb.34:
	s_waitcnt lgkmcnt(0)
	v_add_u32_e32 v6, v1, v2
	v_ashrrev_i32_e32 v7, 31, v6
	v_lshl_add_u64 v[6:7], v[6:7], 2, s[12:13]
	global_load_dword v2, v[6:7], off
.LBB821_35:
	s_or_b64 exec, exec, s[6:7]
	s_waitcnt lgkmcnt(0)
	v_or_b32_e32 v1, 8, v5
	s_waitcnt vmcnt(0)
	ds_bpermute_b32 v1, v1, v2
	v_add_u32_e32 v3, 2, v3
	v_cmp_gt_u32_e32 vcc, s16, v3
	s_mov_b64 s[6:7], s[14:15]
                                        ; implicit-def: $vgpr4
	s_and_saveexec_b64 s[16:17], vcc
	s_cbranch_execz .LBB821_37
; %bb.36:
	s_waitcnt lgkmcnt(0)
	v_add_u32_e32 v4, v1, v2
	s_or_b64 s[6:7], s[14:15], exec
.LBB821_37:
	s_or_b64 exec, exec, s[16:17]
	s_andn2_b64 s[14:15], s[14:15], exec
	s_and_b64 s[6:7], s[6:7], exec
	s_or_b64 s[14:15], s[14:15], s[6:7]
.LBB821_38:
	s_or_b64 exec, exec, s[4:5]
.LBB821_39:
	s_and_saveexec_b64 s[4:5], s[14:15]
	s_cbranch_execnz .LBB821_42
; %bb.40:
	s_or_b64 exec, exec, s[4:5]
	v_cmp_eq_u32_e32 vcc, 0, v0
	s_and_saveexec_b64 s[4:5], vcc
	s_cbranch_execnz .LBB821_43
.LBB821_41:
	s_endpgm
.LBB821_42:
	v_ashrrev_i32_e32 v5, 31, v4
	s_waitcnt vmcnt(0)
	v_lshl_add_u64 v[2:3], v[4:5], 2, s[12:13]
	global_load_dword v2, v[2:3], off
	s_or_b64 exec, exec, s[4:5]
	v_cmp_eq_u32_e32 vcc, 0, v0
	s_and_saveexec_b64 s[4:5], vcc
	s_cbranch_execz .LBB821_41
.LBB821_43:
	s_load_dwordx4 s[4:7], s[0:1], 0x20
	s_load_dword s12, s[0:1], 0x30
	s_waitcnt lgkmcnt(0)
	v_mov_b32_e32 v1, 0
	s_mul_i32 s1, s6, s5
	s_mul_hi_u32 s5, s6, s4
	s_mul_i32 s7, s7, s4
	s_add_i32 s1, s5, s1
	s_mul_i32 s0, s6, s4
	s_add_i32 s1, s1, s7
	s_lshl_b64 s[0:1], s[0:1], 2
	s_add_u32 s4, s10, s0
	s_addc_u32 s5, s11, s1
	s_cmp_eq_u64 s[8:9], 0
	s_cselect_b64 vcc, -1, 0
	s_lshl_b64 s[0:1], s[2:3], 2
	v_mov_b32_e32 v0, s12
	s_add_u32 s0, s4, s0
	s_waitcnt vmcnt(0)
	v_cndmask_b32_e32 v0, v2, v0, vcc
	s_addc_u32 s1, s5, s1
	global_store_dword v1, v0, s[0:1]
	s_endpgm
.LBB821_44:
	v_mov_b32_e32 v7, 0
	v_lshl_add_u64 v[6:7], s[16:17], 0, v[6:7]
	flat_load_dword v5, v[6:7] offset:3072
	s_or_b64 exec, exec, s[18:19]
	s_and_saveexec_b64 s[16:17], vcc
	s_cbranch_execz .LBB821_15
.LBB821_45:
	s_waitcnt vmcnt(0) lgkmcnt(0)
	v_add_u32_e32 v2, v3, v2
	v_ashrrev_i32_e32 v3, 31, v2
	v_lshl_add_u64 v[2:3], v[2:3], 2, s[12:13]
	global_load_dword v2, v[2:3], off
	s_or_b64 exec, exec, s[16:17]
	s_and_saveexec_b64 s[16:17], s[4:5]
	s_cbranch_execz .LBB821_16
.LBB821_46:
	s_waitcnt vmcnt(0) lgkmcnt(0)
	v_add_u32_e32 v2, v2, v4
	v_ashrrev_i32_e32 v3, 31, v2
	v_lshl_add_u64 v[2:3], v[2:3], 2, s[12:13]
	global_load_dword v2, v[2:3], off
	s_or_b64 exec, exec, s[16:17]
	s_and_saveexec_b64 s[4:5], s[6:7]
	s_cbranch_execnz .LBB821_17
	s_branch .LBB821_18
	.section	.rodata,"a",@progbits
	.p2align	6, 0x0
	.amdhsa_kernel _ZN7rocprim17ROCPRIM_400000_NS6detail17trampoline_kernelINS0_14default_configENS1_22reduce_config_selectorIjEEZNS1_11reduce_implILb1ES3_N6thrust23THRUST_200600_302600_NS6detail15normal_iteratorINS8_10device_ptrIjEEEEPjj9plus_mod3IjEEE10hipError_tPvRmT1_T2_T3_mT4_P12ihipStream_tbEUlT_E0_NS1_11comp_targetILNS1_3genE0ELNS1_11target_archE4294967295ELNS1_3gpuE0ELNS1_3repE0EEENS1_30default_config_static_selectorELNS0_4arch9wavefront6targetE1EEEvSK_
		.amdhsa_group_segment_fixed_size 32
		.amdhsa_private_segment_fixed_size 0
		.amdhsa_kernarg_size 64
		.amdhsa_user_sgpr_count 2
		.amdhsa_user_sgpr_dispatch_ptr 0
		.amdhsa_user_sgpr_queue_ptr 0
		.amdhsa_user_sgpr_kernarg_segment_ptr 1
		.amdhsa_user_sgpr_dispatch_id 0
		.amdhsa_user_sgpr_kernarg_preload_length 0
		.amdhsa_user_sgpr_kernarg_preload_offset 0
		.amdhsa_user_sgpr_private_segment_size 0
		.amdhsa_uses_dynamic_stack 0
		.amdhsa_enable_private_segment 0
		.amdhsa_system_sgpr_workgroup_id_x 1
		.amdhsa_system_sgpr_workgroup_id_y 0
		.amdhsa_system_sgpr_workgroup_id_z 0
		.amdhsa_system_sgpr_workgroup_info 0
		.amdhsa_system_vgpr_workitem_id 0
		.amdhsa_next_free_vgpr 12
		.amdhsa_next_free_sgpr 21
		.amdhsa_accum_offset 12
		.amdhsa_reserve_vcc 1
		.amdhsa_float_round_mode_32 0
		.amdhsa_float_round_mode_16_64 0
		.amdhsa_float_denorm_mode_32 3
		.amdhsa_float_denorm_mode_16_64 3
		.amdhsa_dx10_clamp 1
		.amdhsa_ieee_mode 1
		.amdhsa_fp16_overflow 0
		.amdhsa_tg_split 0
		.amdhsa_exception_fp_ieee_invalid_op 0
		.amdhsa_exception_fp_denorm_src 0
		.amdhsa_exception_fp_ieee_div_zero 0
		.amdhsa_exception_fp_ieee_overflow 0
		.amdhsa_exception_fp_ieee_underflow 0
		.amdhsa_exception_fp_ieee_inexact 0
		.amdhsa_exception_int_div_zero 0
	.end_amdhsa_kernel
	.section	.text._ZN7rocprim17ROCPRIM_400000_NS6detail17trampoline_kernelINS0_14default_configENS1_22reduce_config_selectorIjEEZNS1_11reduce_implILb1ES3_N6thrust23THRUST_200600_302600_NS6detail15normal_iteratorINS8_10device_ptrIjEEEEPjj9plus_mod3IjEEE10hipError_tPvRmT1_T2_T3_mT4_P12ihipStream_tbEUlT_E0_NS1_11comp_targetILNS1_3genE0ELNS1_11target_archE4294967295ELNS1_3gpuE0ELNS1_3repE0EEENS1_30default_config_static_selectorELNS0_4arch9wavefront6targetE1EEEvSK_,"axG",@progbits,_ZN7rocprim17ROCPRIM_400000_NS6detail17trampoline_kernelINS0_14default_configENS1_22reduce_config_selectorIjEEZNS1_11reduce_implILb1ES3_N6thrust23THRUST_200600_302600_NS6detail15normal_iteratorINS8_10device_ptrIjEEEEPjj9plus_mod3IjEEE10hipError_tPvRmT1_T2_T3_mT4_P12ihipStream_tbEUlT_E0_NS1_11comp_targetILNS1_3genE0ELNS1_11target_archE4294967295ELNS1_3gpuE0ELNS1_3repE0EEENS1_30default_config_static_selectorELNS0_4arch9wavefront6targetE1EEEvSK_,comdat
.Lfunc_end821:
	.size	_ZN7rocprim17ROCPRIM_400000_NS6detail17trampoline_kernelINS0_14default_configENS1_22reduce_config_selectorIjEEZNS1_11reduce_implILb1ES3_N6thrust23THRUST_200600_302600_NS6detail15normal_iteratorINS8_10device_ptrIjEEEEPjj9plus_mod3IjEEE10hipError_tPvRmT1_T2_T3_mT4_P12ihipStream_tbEUlT_E0_NS1_11comp_targetILNS1_3genE0ELNS1_11target_archE4294967295ELNS1_3gpuE0ELNS1_3repE0EEENS1_30default_config_static_selectorELNS0_4arch9wavefront6targetE1EEEvSK_, .Lfunc_end821-_ZN7rocprim17ROCPRIM_400000_NS6detail17trampoline_kernelINS0_14default_configENS1_22reduce_config_selectorIjEEZNS1_11reduce_implILb1ES3_N6thrust23THRUST_200600_302600_NS6detail15normal_iteratorINS8_10device_ptrIjEEEEPjj9plus_mod3IjEEE10hipError_tPvRmT1_T2_T3_mT4_P12ihipStream_tbEUlT_E0_NS1_11comp_targetILNS1_3genE0ELNS1_11target_archE4294967295ELNS1_3gpuE0ELNS1_3repE0EEENS1_30default_config_static_selectorELNS0_4arch9wavefront6targetE1EEEvSK_
                                        ; -- End function
	.set _ZN7rocprim17ROCPRIM_400000_NS6detail17trampoline_kernelINS0_14default_configENS1_22reduce_config_selectorIjEEZNS1_11reduce_implILb1ES3_N6thrust23THRUST_200600_302600_NS6detail15normal_iteratorINS8_10device_ptrIjEEEEPjj9plus_mod3IjEEE10hipError_tPvRmT1_T2_T3_mT4_P12ihipStream_tbEUlT_E0_NS1_11comp_targetILNS1_3genE0ELNS1_11target_archE4294967295ELNS1_3gpuE0ELNS1_3repE0EEENS1_30default_config_static_selectorELNS0_4arch9wavefront6targetE1EEEvSK_.num_vgpr, 12
	.set _ZN7rocprim17ROCPRIM_400000_NS6detail17trampoline_kernelINS0_14default_configENS1_22reduce_config_selectorIjEEZNS1_11reduce_implILb1ES3_N6thrust23THRUST_200600_302600_NS6detail15normal_iteratorINS8_10device_ptrIjEEEEPjj9plus_mod3IjEEE10hipError_tPvRmT1_T2_T3_mT4_P12ihipStream_tbEUlT_E0_NS1_11comp_targetILNS1_3genE0ELNS1_11target_archE4294967295ELNS1_3gpuE0ELNS1_3repE0EEENS1_30default_config_static_selectorELNS0_4arch9wavefront6targetE1EEEvSK_.num_agpr, 0
	.set _ZN7rocprim17ROCPRIM_400000_NS6detail17trampoline_kernelINS0_14default_configENS1_22reduce_config_selectorIjEEZNS1_11reduce_implILb1ES3_N6thrust23THRUST_200600_302600_NS6detail15normal_iteratorINS8_10device_ptrIjEEEEPjj9plus_mod3IjEEE10hipError_tPvRmT1_T2_T3_mT4_P12ihipStream_tbEUlT_E0_NS1_11comp_targetILNS1_3genE0ELNS1_11target_archE4294967295ELNS1_3gpuE0ELNS1_3repE0EEENS1_30default_config_static_selectorELNS0_4arch9wavefront6targetE1EEEvSK_.numbered_sgpr, 21
	.set _ZN7rocprim17ROCPRIM_400000_NS6detail17trampoline_kernelINS0_14default_configENS1_22reduce_config_selectorIjEEZNS1_11reduce_implILb1ES3_N6thrust23THRUST_200600_302600_NS6detail15normal_iteratorINS8_10device_ptrIjEEEEPjj9plus_mod3IjEEE10hipError_tPvRmT1_T2_T3_mT4_P12ihipStream_tbEUlT_E0_NS1_11comp_targetILNS1_3genE0ELNS1_11target_archE4294967295ELNS1_3gpuE0ELNS1_3repE0EEENS1_30default_config_static_selectorELNS0_4arch9wavefront6targetE1EEEvSK_.num_named_barrier, 0
	.set _ZN7rocprim17ROCPRIM_400000_NS6detail17trampoline_kernelINS0_14default_configENS1_22reduce_config_selectorIjEEZNS1_11reduce_implILb1ES3_N6thrust23THRUST_200600_302600_NS6detail15normal_iteratorINS8_10device_ptrIjEEEEPjj9plus_mod3IjEEE10hipError_tPvRmT1_T2_T3_mT4_P12ihipStream_tbEUlT_E0_NS1_11comp_targetILNS1_3genE0ELNS1_11target_archE4294967295ELNS1_3gpuE0ELNS1_3repE0EEENS1_30default_config_static_selectorELNS0_4arch9wavefront6targetE1EEEvSK_.private_seg_size, 0
	.set _ZN7rocprim17ROCPRIM_400000_NS6detail17trampoline_kernelINS0_14default_configENS1_22reduce_config_selectorIjEEZNS1_11reduce_implILb1ES3_N6thrust23THRUST_200600_302600_NS6detail15normal_iteratorINS8_10device_ptrIjEEEEPjj9plus_mod3IjEEE10hipError_tPvRmT1_T2_T3_mT4_P12ihipStream_tbEUlT_E0_NS1_11comp_targetILNS1_3genE0ELNS1_11target_archE4294967295ELNS1_3gpuE0ELNS1_3repE0EEENS1_30default_config_static_selectorELNS0_4arch9wavefront6targetE1EEEvSK_.uses_vcc, 1
	.set _ZN7rocprim17ROCPRIM_400000_NS6detail17trampoline_kernelINS0_14default_configENS1_22reduce_config_selectorIjEEZNS1_11reduce_implILb1ES3_N6thrust23THRUST_200600_302600_NS6detail15normal_iteratorINS8_10device_ptrIjEEEEPjj9plus_mod3IjEEE10hipError_tPvRmT1_T2_T3_mT4_P12ihipStream_tbEUlT_E0_NS1_11comp_targetILNS1_3genE0ELNS1_11target_archE4294967295ELNS1_3gpuE0ELNS1_3repE0EEENS1_30default_config_static_selectorELNS0_4arch9wavefront6targetE1EEEvSK_.uses_flat_scratch, 0
	.set _ZN7rocprim17ROCPRIM_400000_NS6detail17trampoline_kernelINS0_14default_configENS1_22reduce_config_selectorIjEEZNS1_11reduce_implILb1ES3_N6thrust23THRUST_200600_302600_NS6detail15normal_iteratorINS8_10device_ptrIjEEEEPjj9plus_mod3IjEEE10hipError_tPvRmT1_T2_T3_mT4_P12ihipStream_tbEUlT_E0_NS1_11comp_targetILNS1_3genE0ELNS1_11target_archE4294967295ELNS1_3gpuE0ELNS1_3repE0EEENS1_30default_config_static_selectorELNS0_4arch9wavefront6targetE1EEEvSK_.has_dyn_sized_stack, 0
	.set _ZN7rocprim17ROCPRIM_400000_NS6detail17trampoline_kernelINS0_14default_configENS1_22reduce_config_selectorIjEEZNS1_11reduce_implILb1ES3_N6thrust23THRUST_200600_302600_NS6detail15normal_iteratorINS8_10device_ptrIjEEEEPjj9plus_mod3IjEEE10hipError_tPvRmT1_T2_T3_mT4_P12ihipStream_tbEUlT_E0_NS1_11comp_targetILNS1_3genE0ELNS1_11target_archE4294967295ELNS1_3gpuE0ELNS1_3repE0EEENS1_30default_config_static_selectorELNS0_4arch9wavefront6targetE1EEEvSK_.has_recursion, 0
	.set _ZN7rocprim17ROCPRIM_400000_NS6detail17trampoline_kernelINS0_14default_configENS1_22reduce_config_selectorIjEEZNS1_11reduce_implILb1ES3_N6thrust23THRUST_200600_302600_NS6detail15normal_iteratorINS8_10device_ptrIjEEEEPjj9plus_mod3IjEEE10hipError_tPvRmT1_T2_T3_mT4_P12ihipStream_tbEUlT_E0_NS1_11comp_targetILNS1_3genE0ELNS1_11target_archE4294967295ELNS1_3gpuE0ELNS1_3repE0EEENS1_30default_config_static_selectorELNS0_4arch9wavefront6targetE1EEEvSK_.has_indirect_call, 0
	.section	.AMDGPU.csdata,"",@progbits
; Kernel info:
; codeLenInByte = 1944
; TotalNumSgprs: 27
; NumVgprs: 12
; NumAgprs: 0
; TotalNumVgprs: 12
; ScratchSize: 0
; MemoryBound: 0
; FloatMode: 240
; IeeeMode: 1
; LDSByteSize: 32 bytes/workgroup (compile time only)
; SGPRBlocks: 3
; VGPRBlocks: 1
; NumSGPRsForWavesPerEU: 27
; NumVGPRsForWavesPerEU: 12
; AccumOffset: 12
; Occupancy: 8
; WaveLimiterHint : 1
; COMPUTE_PGM_RSRC2:SCRATCH_EN: 0
; COMPUTE_PGM_RSRC2:USER_SGPR: 2
; COMPUTE_PGM_RSRC2:TRAP_HANDLER: 0
; COMPUTE_PGM_RSRC2:TGID_X_EN: 1
; COMPUTE_PGM_RSRC2:TGID_Y_EN: 0
; COMPUTE_PGM_RSRC2:TGID_Z_EN: 0
; COMPUTE_PGM_RSRC2:TIDIG_COMP_CNT: 0
; COMPUTE_PGM_RSRC3_GFX90A:ACCUM_OFFSET: 2
; COMPUTE_PGM_RSRC3_GFX90A:TG_SPLIT: 0
	.section	.text._ZN7rocprim17ROCPRIM_400000_NS6detail17trampoline_kernelINS0_14default_configENS1_22reduce_config_selectorIjEEZNS1_11reduce_implILb1ES3_N6thrust23THRUST_200600_302600_NS6detail15normal_iteratorINS8_10device_ptrIjEEEEPjj9plus_mod3IjEEE10hipError_tPvRmT1_T2_T3_mT4_P12ihipStream_tbEUlT_E0_NS1_11comp_targetILNS1_3genE5ELNS1_11target_archE942ELNS1_3gpuE9ELNS1_3repE0EEENS1_30default_config_static_selectorELNS0_4arch9wavefront6targetE1EEEvSK_,"axG",@progbits,_ZN7rocprim17ROCPRIM_400000_NS6detail17trampoline_kernelINS0_14default_configENS1_22reduce_config_selectorIjEEZNS1_11reduce_implILb1ES3_N6thrust23THRUST_200600_302600_NS6detail15normal_iteratorINS8_10device_ptrIjEEEEPjj9plus_mod3IjEEE10hipError_tPvRmT1_T2_T3_mT4_P12ihipStream_tbEUlT_E0_NS1_11comp_targetILNS1_3genE5ELNS1_11target_archE942ELNS1_3gpuE9ELNS1_3repE0EEENS1_30default_config_static_selectorELNS0_4arch9wavefront6targetE1EEEvSK_,comdat
	.protected	_ZN7rocprim17ROCPRIM_400000_NS6detail17trampoline_kernelINS0_14default_configENS1_22reduce_config_selectorIjEEZNS1_11reduce_implILb1ES3_N6thrust23THRUST_200600_302600_NS6detail15normal_iteratorINS8_10device_ptrIjEEEEPjj9plus_mod3IjEEE10hipError_tPvRmT1_T2_T3_mT4_P12ihipStream_tbEUlT_E0_NS1_11comp_targetILNS1_3genE5ELNS1_11target_archE942ELNS1_3gpuE9ELNS1_3repE0EEENS1_30default_config_static_selectorELNS0_4arch9wavefront6targetE1EEEvSK_ ; -- Begin function _ZN7rocprim17ROCPRIM_400000_NS6detail17trampoline_kernelINS0_14default_configENS1_22reduce_config_selectorIjEEZNS1_11reduce_implILb1ES3_N6thrust23THRUST_200600_302600_NS6detail15normal_iteratorINS8_10device_ptrIjEEEEPjj9plus_mod3IjEEE10hipError_tPvRmT1_T2_T3_mT4_P12ihipStream_tbEUlT_E0_NS1_11comp_targetILNS1_3genE5ELNS1_11target_archE942ELNS1_3gpuE9ELNS1_3repE0EEENS1_30default_config_static_selectorELNS0_4arch9wavefront6targetE1EEEvSK_
	.globl	_ZN7rocprim17ROCPRIM_400000_NS6detail17trampoline_kernelINS0_14default_configENS1_22reduce_config_selectorIjEEZNS1_11reduce_implILb1ES3_N6thrust23THRUST_200600_302600_NS6detail15normal_iteratorINS8_10device_ptrIjEEEEPjj9plus_mod3IjEEE10hipError_tPvRmT1_T2_T3_mT4_P12ihipStream_tbEUlT_E0_NS1_11comp_targetILNS1_3genE5ELNS1_11target_archE942ELNS1_3gpuE9ELNS1_3repE0EEENS1_30default_config_static_selectorELNS0_4arch9wavefront6targetE1EEEvSK_
	.p2align	8
	.type	_ZN7rocprim17ROCPRIM_400000_NS6detail17trampoline_kernelINS0_14default_configENS1_22reduce_config_selectorIjEEZNS1_11reduce_implILb1ES3_N6thrust23THRUST_200600_302600_NS6detail15normal_iteratorINS8_10device_ptrIjEEEEPjj9plus_mod3IjEEE10hipError_tPvRmT1_T2_T3_mT4_P12ihipStream_tbEUlT_E0_NS1_11comp_targetILNS1_3genE5ELNS1_11target_archE942ELNS1_3gpuE9ELNS1_3repE0EEENS1_30default_config_static_selectorELNS0_4arch9wavefront6targetE1EEEvSK_,@function
_ZN7rocprim17ROCPRIM_400000_NS6detail17trampoline_kernelINS0_14default_configENS1_22reduce_config_selectorIjEEZNS1_11reduce_implILb1ES3_N6thrust23THRUST_200600_302600_NS6detail15normal_iteratorINS8_10device_ptrIjEEEEPjj9plus_mod3IjEEE10hipError_tPvRmT1_T2_T3_mT4_P12ihipStream_tbEUlT_E0_NS1_11comp_targetILNS1_3genE5ELNS1_11target_archE942ELNS1_3gpuE9ELNS1_3repE0EEENS1_30default_config_static_selectorELNS0_4arch9wavefront6targetE1EEEvSK_: ; @_ZN7rocprim17ROCPRIM_400000_NS6detail17trampoline_kernelINS0_14default_configENS1_22reduce_config_selectorIjEEZNS1_11reduce_implILb1ES3_N6thrust23THRUST_200600_302600_NS6detail15normal_iteratorINS8_10device_ptrIjEEEEPjj9plus_mod3IjEEE10hipError_tPvRmT1_T2_T3_mT4_P12ihipStream_tbEUlT_E0_NS1_11comp_targetILNS1_3genE5ELNS1_11target_archE942ELNS1_3gpuE9ELNS1_3repE0EEENS1_30default_config_static_selectorELNS0_4arch9wavefront6targetE1EEEvSK_
; %bb.0:
	.section	.rodata,"a",@progbits
	.p2align	6, 0x0
	.amdhsa_kernel _ZN7rocprim17ROCPRIM_400000_NS6detail17trampoline_kernelINS0_14default_configENS1_22reduce_config_selectorIjEEZNS1_11reduce_implILb1ES3_N6thrust23THRUST_200600_302600_NS6detail15normal_iteratorINS8_10device_ptrIjEEEEPjj9plus_mod3IjEEE10hipError_tPvRmT1_T2_T3_mT4_P12ihipStream_tbEUlT_E0_NS1_11comp_targetILNS1_3genE5ELNS1_11target_archE942ELNS1_3gpuE9ELNS1_3repE0EEENS1_30default_config_static_selectorELNS0_4arch9wavefront6targetE1EEEvSK_
		.amdhsa_group_segment_fixed_size 0
		.amdhsa_private_segment_fixed_size 0
		.amdhsa_kernarg_size 64
		.amdhsa_user_sgpr_count 2
		.amdhsa_user_sgpr_dispatch_ptr 0
		.amdhsa_user_sgpr_queue_ptr 0
		.amdhsa_user_sgpr_kernarg_segment_ptr 1
		.amdhsa_user_sgpr_dispatch_id 0
		.amdhsa_user_sgpr_kernarg_preload_length 0
		.amdhsa_user_sgpr_kernarg_preload_offset 0
		.amdhsa_user_sgpr_private_segment_size 0
		.amdhsa_uses_dynamic_stack 0
		.amdhsa_enable_private_segment 0
		.amdhsa_system_sgpr_workgroup_id_x 1
		.amdhsa_system_sgpr_workgroup_id_y 0
		.amdhsa_system_sgpr_workgroup_id_z 0
		.amdhsa_system_sgpr_workgroup_info 0
		.amdhsa_system_vgpr_workitem_id 0
		.amdhsa_next_free_vgpr 1
		.amdhsa_next_free_sgpr 0
		.amdhsa_accum_offset 4
		.amdhsa_reserve_vcc 0
		.amdhsa_float_round_mode_32 0
		.amdhsa_float_round_mode_16_64 0
		.amdhsa_float_denorm_mode_32 3
		.amdhsa_float_denorm_mode_16_64 3
		.amdhsa_dx10_clamp 1
		.amdhsa_ieee_mode 1
		.amdhsa_fp16_overflow 0
		.amdhsa_tg_split 0
		.amdhsa_exception_fp_ieee_invalid_op 0
		.amdhsa_exception_fp_denorm_src 0
		.amdhsa_exception_fp_ieee_div_zero 0
		.amdhsa_exception_fp_ieee_overflow 0
		.amdhsa_exception_fp_ieee_underflow 0
		.amdhsa_exception_fp_ieee_inexact 0
		.amdhsa_exception_int_div_zero 0
	.end_amdhsa_kernel
	.section	.text._ZN7rocprim17ROCPRIM_400000_NS6detail17trampoline_kernelINS0_14default_configENS1_22reduce_config_selectorIjEEZNS1_11reduce_implILb1ES3_N6thrust23THRUST_200600_302600_NS6detail15normal_iteratorINS8_10device_ptrIjEEEEPjj9plus_mod3IjEEE10hipError_tPvRmT1_T2_T3_mT4_P12ihipStream_tbEUlT_E0_NS1_11comp_targetILNS1_3genE5ELNS1_11target_archE942ELNS1_3gpuE9ELNS1_3repE0EEENS1_30default_config_static_selectorELNS0_4arch9wavefront6targetE1EEEvSK_,"axG",@progbits,_ZN7rocprim17ROCPRIM_400000_NS6detail17trampoline_kernelINS0_14default_configENS1_22reduce_config_selectorIjEEZNS1_11reduce_implILb1ES3_N6thrust23THRUST_200600_302600_NS6detail15normal_iteratorINS8_10device_ptrIjEEEEPjj9plus_mod3IjEEE10hipError_tPvRmT1_T2_T3_mT4_P12ihipStream_tbEUlT_E0_NS1_11comp_targetILNS1_3genE5ELNS1_11target_archE942ELNS1_3gpuE9ELNS1_3repE0EEENS1_30default_config_static_selectorELNS0_4arch9wavefront6targetE1EEEvSK_,comdat
.Lfunc_end822:
	.size	_ZN7rocprim17ROCPRIM_400000_NS6detail17trampoline_kernelINS0_14default_configENS1_22reduce_config_selectorIjEEZNS1_11reduce_implILb1ES3_N6thrust23THRUST_200600_302600_NS6detail15normal_iteratorINS8_10device_ptrIjEEEEPjj9plus_mod3IjEEE10hipError_tPvRmT1_T2_T3_mT4_P12ihipStream_tbEUlT_E0_NS1_11comp_targetILNS1_3genE5ELNS1_11target_archE942ELNS1_3gpuE9ELNS1_3repE0EEENS1_30default_config_static_selectorELNS0_4arch9wavefront6targetE1EEEvSK_, .Lfunc_end822-_ZN7rocprim17ROCPRIM_400000_NS6detail17trampoline_kernelINS0_14default_configENS1_22reduce_config_selectorIjEEZNS1_11reduce_implILb1ES3_N6thrust23THRUST_200600_302600_NS6detail15normal_iteratorINS8_10device_ptrIjEEEEPjj9plus_mod3IjEEE10hipError_tPvRmT1_T2_T3_mT4_P12ihipStream_tbEUlT_E0_NS1_11comp_targetILNS1_3genE5ELNS1_11target_archE942ELNS1_3gpuE9ELNS1_3repE0EEENS1_30default_config_static_selectorELNS0_4arch9wavefront6targetE1EEEvSK_
                                        ; -- End function
	.set _ZN7rocprim17ROCPRIM_400000_NS6detail17trampoline_kernelINS0_14default_configENS1_22reduce_config_selectorIjEEZNS1_11reduce_implILb1ES3_N6thrust23THRUST_200600_302600_NS6detail15normal_iteratorINS8_10device_ptrIjEEEEPjj9plus_mod3IjEEE10hipError_tPvRmT1_T2_T3_mT4_P12ihipStream_tbEUlT_E0_NS1_11comp_targetILNS1_3genE5ELNS1_11target_archE942ELNS1_3gpuE9ELNS1_3repE0EEENS1_30default_config_static_selectorELNS0_4arch9wavefront6targetE1EEEvSK_.num_vgpr, 0
	.set _ZN7rocprim17ROCPRIM_400000_NS6detail17trampoline_kernelINS0_14default_configENS1_22reduce_config_selectorIjEEZNS1_11reduce_implILb1ES3_N6thrust23THRUST_200600_302600_NS6detail15normal_iteratorINS8_10device_ptrIjEEEEPjj9plus_mod3IjEEE10hipError_tPvRmT1_T2_T3_mT4_P12ihipStream_tbEUlT_E0_NS1_11comp_targetILNS1_3genE5ELNS1_11target_archE942ELNS1_3gpuE9ELNS1_3repE0EEENS1_30default_config_static_selectorELNS0_4arch9wavefront6targetE1EEEvSK_.num_agpr, 0
	.set _ZN7rocprim17ROCPRIM_400000_NS6detail17trampoline_kernelINS0_14default_configENS1_22reduce_config_selectorIjEEZNS1_11reduce_implILb1ES3_N6thrust23THRUST_200600_302600_NS6detail15normal_iteratorINS8_10device_ptrIjEEEEPjj9plus_mod3IjEEE10hipError_tPvRmT1_T2_T3_mT4_P12ihipStream_tbEUlT_E0_NS1_11comp_targetILNS1_3genE5ELNS1_11target_archE942ELNS1_3gpuE9ELNS1_3repE0EEENS1_30default_config_static_selectorELNS0_4arch9wavefront6targetE1EEEvSK_.numbered_sgpr, 0
	.set _ZN7rocprim17ROCPRIM_400000_NS6detail17trampoline_kernelINS0_14default_configENS1_22reduce_config_selectorIjEEZNS1_11reduce_implILb1ES3_N6thrust23THRUST_200600_302600_NS6detail15normal_iteratorINS8_10device_ptrIjEEEEPjj9plus_mod3IjEEE10hipError_tPvRmT1_T2_T3_mT4_P12ihipStream_tbEUlT_E0_NS1_11comp_targetILNS1_3genE5ELNS1_11target_archE942ELNS1_3gpuE9ELNS1_3repE0EEENS1_30default_config_static_selectorELNS0_4arch9wavefront6targetE1EEEvSK_.num_named_barrier, 0
	.set _ZN7rocprim17ROCPRIM_400000_NS6detail17trampoline_kernelINS0_14default_configENS1_22reduce_config_selectorIjEEZNS1_11reduce_implILb1ES3_N6thrust23THRUST_200600_302600_NS6detail15normal_iteratorINS8_10device_ptrIjEEEEPjj9plus_mod3IjEEE10hipError_tPvRmT1_T2_T3_mT4_P12ihipStream_tbEUlT_E0_NS1_11comp_targetILNS1_3genE5ELNS1_11target_archE942ELNS1_3gpuE9ELNS1_3repE0EEENS1_30default_config_static_selectorELNS0_4arch9wavefront6targetE1EEEvSK_.private_seg_size, 0
	.set _ZN7rocprim17ROCPRIM_400000_NS6detail17trampoline_kernelINS0_14default_configENS1_22reduce_config_selectorIjEEZNS1_11reduce_implILb1ES3_N6thrust23THRUST_200600_302600_NS6detail15normal_iteratorINS8_10device_ptrIjEEEEPjj9plus_mod3IjEEE10hipError_tPvRmT1_T2_T3_mT4_P12ihipStream_tbEUlT_E0_NS1_11comp_targetILNS1_3genE5ELNS1_11target_archE942ELNS1_3gpuE9ELNS1_3repE0EEENS1_30default_config_static_selectorELNS0_4arch9wavefront6targetE1EEEvSK_.uses_vcc, 0
	.set _ZN7rocprim17ROCPRIM_400000_NS6detail17trampoline_kernelINS0_14default_configENS1_22reduce_config_selectorIjEEZNS1_11reduce_implILb1ES3_N6thrust23THRUST_200600_302600_NS6detail15normal_iteratorINS8_10device_ptrIjEEEEPjj9plus_mod3IjEEE10hipError_tPvRmT1_T2_T3_mT4_P12ihipStream_tbEUlT_E0_NS1_11comp_targetILNS1_3genE5ELNS1_11target_archE942ELNS1_3gpuE9ELNS1_3repE0EEENS1_30default_config_static_selectorELNS0_4arch9wavefront6targetE1EEEvSK_.uses_flat_scratch, 0
	.set _ZN7rocprim17ROCPRIM_400000_NS6detail17trampoline_kernelINS0_14default_configENS1_22reduce_config_selectorIjEEZNS1_11reduce_implILb1ES3_N6thrust23THRUST_200600_302600_NS6detail15normal_iteratorINS8_10device_ptrIjEEEEPjj9plus_mod3IjEEE10hipError_tPvRmT1_T2_T3_mT4_P12ihipStream_tbEUlT_E0_NS1_11comp_targetILNS1_3genE5ELNS1_11target_archE942ELNS1_3gpuE9ELNS1_3repE0EEENS1_30default_config_static_selectorELNS0_4arch9wavefront6targetE1EEEvSK_.has_dyn_sized_stack, 0
	.set _ZN7rocprim17ROCPRIM_400000_NS6detail17trampoline_kernelINS0_14default_configENS1_22reduce_config_selectorIjEEZNS1_11reduce_implILb1ES3_N6thrust23THRUST_200600_302600_NS6detail15normal_iteratorINS8_10device_ptrIjEEEEPjj9plus_mod3IjEEE10hipError_tPvRmT1_T2_T3_mT4_P12ihipStream_tbEUlT_E0_NS1_11comp_targetILNS1_3genE5ELNS1_11target_archE942ELNS1_3gpuE9ELNS1_3repE0EEENS1_30default_config_static_selectorELNS0_4arch9wavefront6targetE1EEEvSK_.has_recursion, 0
	.set _ZN7rocprim17ROCPRIM_400000_NS6detail17trampoline_kernelINS0_14default_configENS1_22reduce_config_selectorIjEEZNS1_11reduce_implILb1ES3_N6thrust23THRUST_200600_302600_NS6detail15normal_iteratorINS8_10device_ptrIjEEEEPjj9plus_mod3IjEEE10hipError_tPvRmT1_T2_T3_mT4_P12ihipStream_tbEUlT_E0_NS1_11comp_targetILNS1_3genE5ELNS1_11target_archE942ELNS1_3gpuE9ELNS1_3repE0EEENS1_30default_config_static_selectorELNS0_4arch9wavefront6targetE1EEEvSK_.has_indirect_call, 0
	.section	.AMDGPU.csdata,"",@progbits
; Kernel info:
; codeLenInByte = 0
; TotalNumSgprs: 6
; NumVgprs: 0
; NumAgprs: 0
; TotalNumVgprs: 0
; ScratchSize: 0
; MemoryBound: 0
; FloatMode: 240
; IeeeMode: 1
; LDSByteSize: 0 bytes/workgroup (compile time only)
; SGPRBlocks: 0
; VGPRBlocks: 0
; NumSGPRsForWavesPerEU: 6
; NumVGPRsForWavesPerEU: 1
; AccumOffset: 4
; Occupancy: 8
; WaveLimiterHint : 0
; COMPUTE_PGM_RSRC2:SCRATCH_EN: 0
; COMPUTE_PGM_RSRC2:USER_SGPR: 2
; COMPUTE_PGM_RSRC2:TRAP_HANDLER: 0
; COMPUTE_PGM_RSRC2:TGID_X_EN: 1
; COMPUTE_PGM_RSRC2:TGID_Y_EN: 0
; COMPUTE_PGM_RSRC2:TGID_Z_EN: 0
; COMPUTE_PGM_RSRC2:TIDIG_COMP_CNT: 0
; COMPUTE_PGM_RSRC3_GFX90A:ACCUM_OFFSET: 0
; COMPUTE_PGM_RSRC3_GFX90A:TG_SPLIT: 0
	.section	.text._ZN7rocprim17ROCPRIM_400000_NS6detail17trampoline_kernelINS0_14default_configENS1_22reduce_config_selectorIjEEZNS1_11reduce_implILb1ES3_N6thrust23THRUST_200600_302600_NS6detail15normal_iteratorINS8_10device_ptrIjEEEEPjj9plus_mod3IjEEE10hipError_tPvRmT1_T2_T3_mT4_P12ihipStream_tbEUlT_E0_NS1_11comp_targetILNS1_3genE4ELNS1_11target_archE910ELNS1_3gpuE8ELNS1_3repE0EEENS1_30default_config_static_selectorELNS0_4arch9wavefront6targetE1EEEvSK_,"axG",@progbits,_ZN7rocprim17ROCPRIM_400000_NS6detail17trampoline_kernelINS0_14default_configENS1_22reduce_config_selectorIjEEZNS1_11reduce_implILb1ES3_N6thrust23THRUST_200600_302600_NS6detail15normal_iteratorINS8_10device_ptrIjEEEEPjj9plus_mod3IjEEE10hipError_tPvRmT1_T2_T3_mT4_P12ihipStream_tbEUlT_E0_NS1_11comp_targetILNS1_3genE4ELNS1_11target_archE910ELNS1_3gpuE8ELNS1_3repE0EEENS1_30default_config_static_selectorELNS0_4arch9wavefront6targetE1EEEvSK_,comdat
	.protected	_ZN7rocprim17ROCPRIM_400000_NS6detail17trampoline_kernelINS0_14default_configENS1_22reduce_config_selectorIjEEZNS1_11reduce_implILb1ES3_N6thrust23THRUST_200600_302600_NS6detail15normal_iteratorINS8_10device_ptrIjEEEEPjj9plus_mod3IjEEE10hipError_tPvRmT1_T2_T3_mT4_P12ihipStream_tbEUlT_E0_NS1_11comp_targetILNS1_3genE4ELNS1_11target_archE910ELNS1_3gpuE8ELNS1_3repE0EEENS1_30default_config_static_selectorELNS0_4arch9wavefront6targetE1EEEvSK_ ; -- Begin function _ZN7rocprim17ROCPRIM_400000_NS6detail17trampoline_kernelINS0_14default_configENS1_22reduce_config_selectorIjEEZNS1_11reduce_implILb1ES3_N6thrust23THRUST_200600_302600_NS6detail15normal_iteratorINS8_10device_ptrIjEEEEPjj9plus_mod3IjEEE10hipError_tPvRmT1_T2_T3_mT4_P12ihipStream_tbEUlT_E0_NS1_11comp_targetILNS1_3genE4ELNS1_11target_archE910ELNS1_3gpuE8ELNS1_3repE0EEENS1_30default_config_static_selectorELNS0_4arch9wavefront6targetE1EEEvSK_
	.globl	_ZN7rocprim17ROCPRIM_400000_NS6detail17trampoline_kernelINS0_14default_configENS1_22reduce_config_selectorIjEEZNS1_11reduce_implILb1ES3_N6thrust23THRUST_200600_302600_NS6detail15normal_iteratorINS8_10device_ptrIjEEEEPjj9plus_mod3IjEEE10hipError_tPvRmT1_T2_T3_mT4_P12ihipStream_tbEUlT_E0_NS1_11comp_targetILNS1_3genE4ELNS1_11target_archE910ELNS1_3gpuE8ELNS1_3repE0EEENS1_30default_config_static_selectorELNS0_4arch9wavefront6targetE1EEEvSK_
	.p2align	8
	.type	_ZN7rocprim17ROCPRIM_400000_NS6detail17trampoline_kernelINS0_14default_configENS1_22reduce_config_selectorIjEEZNS1_11reduce_implILb1ES3_N6thrust23THRUST_200600_302600_NS6detail15normal_iteratorINS8_10device_ptrIjEEEEPjj9plus_mod3IjEEE10hipError_tPvRmT1_T2_T3_mT4_P12ihipStream_tbEUlT_E0_NS1_11comp_targetILNS1_3genE4ELNS1_11target_archE910ELNS1_3gpuE8ELNS1_3repE0EEENS1_30default_config_static_selectorELNS0_4arch9wavefront6targetE1EEEvSK_,@function
_ZN7rocprim17ROCPRIM_400000_NS6detail17trampoline_kernelINS0_14default_configENS1_22reduce_config_selectorIjEEZNS1_11reduce_implILb1ES3_N6thrust23THRUST_200600_302600_NS6detail15normal_iteratorINS8_10device_ptrIjEEEEPjj9plus_mod3IjEEE10hipError_tPvRmT1_T2_T3_mT4_P12ihipStream_tbEUlT_E0_NS1_11comp_targetILNS1_3genE4ELNS1_11target_archE910ELNS1_3gpuE8ELNS1_3repE0EEENS1_30default_config_static_selectorELNS0_4arch9wavefront6targetE1EEEvSK_: ; @_ZN7rocprim17ROCPRIM_400000_NS6detail17trampoline_kernelINS0_14default_configENS1_22reduce_config_selectorIjEEZNS1_11reduce_implILb1ES3_N6thrust23THRUST_200600_302600_NS6detail15normal_iteratorINS8_10device_ptrIjEEEEPjj9plus_mod3IjEEE10hipError_tPvRmT1_T2_T3_mT4_P12ihipStream_tbEUlT_E0_NS1_11comp_targetILNS1_3genE4ELNS1_11target_archE910ELNS1_3gpuE8ELNS1_3repE0EEENS1_30default_config_static_selectorELNS0_4arch9wavefront6targetE1EEEvSK_
; %bb.0:
	.section	.rodata,"a",@progbits
	.p2align	6, 0x0
	.amdhsa_kernel _ZN7rocprim17ROCPRIM_400000_NS6detail17trampoline_kernelINS0_14default_configENS1_22reduce_config_selectorIjEEZNS1_11reduce_implILb1ES3_N6thrust23THRUST_200600_302600_NS6detail15normal_iteratorINS8_10device_ptrIjEEEEPjj9plus_mod3IjEEE10hipError_tPvRmT1_T2_T3_mT4_P12ihipStream_tbEUlT_E0_NS1_11comp_targetILNS1_3genE4ELNS1_11target_archE910ELNS1_3gpuE8ELNS1_3repE0EEENS1_30default_config_static_selectorELNS0_4arch9wavefront6targetE1EEEvSK_
		.amdhsa_group_segment_fixed_size 0
		.amdhsa_private_segment_fixed_size 0
		.amdhsa_kernarg_size 64
		.amdhsa_user_sgpr_count 2
		.amdhsa_user_sgpr_dispatch_ptr 0
		.amdhsa_user_sgpr_queue_ptr 0
		.amdhsa_user_sgpr_kernarg_segment_ptr 1
		.amdhsa_user_sgpr_dispatch_id 0
		.amdhsa_user_sgpr_kernarg_preload_length 0
		.amdhsa_user_sgpr_kernarg_preload_offset 0
		.amdhsa_user_sgpr_private_segment_size 0
		.amdhsa_uses_dynamic_stack 0
		.amdhsa_enable_private_segment 0
		.amdhsa_system_sgpr_workgroup_id_x 1
		.amdhsa_system_sgpr_workgroup_id_y 0
		.amdhsa_system_sgpr_workgroup_id_z 0
		.amdhsa_system_sgpr_workgroup_info 0
		.amdhsa_system_vgpr_workitem_id 0
		.amdhsa_next_free_vgpr 1
		.amdhsa_next_free_sgpr 0
		.amdhsa_accum_offset 4
		.amdhsa_reserve_vcc 0
		.amdhsa_float_round_mode_32 0
		.amdhsa_float_round_mode_16_64 0
		.amdhsa_float_denorm_mode_32 3
		.amdhsa_float_denorm_mode_16_64 3
		.amdhsa_dx10_clamp 1
		.amdhsa_ieee_mode 1
		.amdhsa_fp16_overflow 0
		.amdhsa_tg_split 0
		.amdhsa_exception_fp_ieee_invalid_op 0
		.amdhsa_exception_fp_denorm_src 0
		.amdhsa_exception_fp_ieee_div_zero 0
		.amdhsa_exception_fp_ieee_overflow 0
		.amdhsa_exception_fp_ieee_underflow 0
		.amdhsa_exception_fp_ieee_inexact 0
		.amdhsa_exception_int_div_zero 0
	.end_amdhsa_kernel
	.section	.text._ZN7rocprim17ROCPRIM_400000_NS6detail17trampoline_kernelINS0_14default_configENS1_22reduce_config_selectorIjEEZNS1_11reduce_implILb1ES3_N6thrust23THRUST_200600_302600_NS6detail15normal_iteratorINS8_10device_ptrIjEEEEPjj9plus_mod3IjEEE10hipError_tPvRmT1_T2_T3_mT4_P12ihipStream_tbEUlT_E0_NS1_11comp_targetILNS1_3genE4ELNS1_11target_archE910ELNS1_3gpuE8ELNS1_3repE0EEENS1_30default_config_static_selectorELNS0_4arch9wavefront6targetE1EEEvSK_,"axG",@progbits,_ZN7rocprim17ROCPRIM_400000_NS6detail17trampoline_kernelINS0_14default_configENS1_22reduce_config_selectorIjEEZNS1_11reduce_implILb1ES3_N6thrust23THRUST_200600_302600_NS6detail15normal_iteratorINS8_10device_ptrIjEEEEPjj9plus_mod3IjEEE10hipError_tPvRmT1_T2_T3_mT4_P12ihipStream_tbEUlT_E0_NS1_11comp_targetILNS1_3genE4ELNS1_11target_archE910ELNS1_3gpuE8ELNS1_3repE0EEENS1_30default_config_static_selectorELNS0_4arch9wavefront6targetE1EEEvSK_,comdat
.Lfunc_end823:
	.size	_ZN7rocprim17ROCPRIM_400000_NS6detail17trampoline_kernelINS0_14default_configENS1_22reduce_config_selectorIjEEZNS1_11reduce_implILb1ES3_N6thrust23THRUST_200600_302600_NS6detail15normal_iteratorINS8_10device_ptrIjEEEEPjj9plus_mod3IjEEE10hipError_tPvRmT1_T2_T3_mT4_P12ihipStream_tbEUlT_E0_NS1_11comp_targetILNS1_3genE4ELNS1_11target_archE910ELNS1_3gpuE8ELNS1_3repE0EEENS1_30default_config_static_selectorELNS0_4arch9wavefront6targetE1EEEvSK_, .Lfunc_end823-_ZN7rocprim17ROCPRIM_400000_NS6detail17trampoline_kernelINS0_14default_configENS1_22reduce_config_selectorIjEEZNS1_11reduce_implILb1ES3_N6thrust23THRUST_200600_302600_NS6detail15normal_iteratorINS8_10device_ptrIjEEEEPjj9plus_mod3IjEEE10hipError_tPvRmT1_T2_T3_mT4_P12ihipStream_tbEUlT_E0_NS1_11comp_targetILNS1_3genE4ELNS1_11target_archE910ELNS1_3gpuE8ELNS1_3repE0EEENS1_30default_config_static_selectorELNS0_4arch9wavefront6targetE1EEEvSK_
                                        ; -- End function
	.set _ZN7rocprim17ROCPRIM_400000_NS6detail17trampoline_kernelINS0_14default_configENS1_22reduce_config_selectorIjEEZNS1_11reduce_implILb1ES3_N6thrust23THRUST_200600_302600_NS6detail15normal_iteratorINS8_10device_ptrIjEEEEPjj9plus_mod3IjEEE10hipError_tPvRmT1_T2_T3_mT4_P12ihipStream_tbEUlT_E0_NS1_11comp_targetILNS1_3genE4ELNS1_11target_archE910ELNS1_3gpuE8ELNS1_3repE0EEENS1_30default_config_static_selectorELNS0_4arch9wavefront6targetE1EEEvSK_.num_vgpr, 0
	.set _ZN7rocprim17ROCPRIM_400000_NS6detail17trampoline_kernelINS0_14default_configENS1_22reduce_config_selectorIjEEZNS1_11reduce_implILb1ES3_N6thrust23THRUST_200600_302600_NS6detail15normal_iteratorINS8_10device_ptrIjEEEEPjj9plus_mod3IjEEE10hipError_tPvRmT1_T2_T3_mT4_P12ihipStream_tbEUlT_E0_NS1_11comp_targetILNS1_3genE4ELNS1_11target_archE910ELNS1_3gpuE8ELNS1_3repE0EEENS1_30default_config_static_selectorELNS0_4arch9wavefront6targetE1EEEvSK_.num_agpr, 0
	.set _ZN7rocprim17ROCPRIM_400000_NS6detail17trampoline_kernelINS0_14default_configENS1_22reduce_config_selectorIjEEZNS1_11reduce_implILb1ES3_N6thrust23THRUST_200600_302600_NS6detail15normal_iteratorINS8_10device_ptrIjEEEEPjj9plus_mod3IjEEE10hipError_tPvRmT1_T2_T3_mT4_P12ihipStream_tbEUlT_E0_NS1_11comp_targetILNS1_3genE4ELNS1_11target_archE910ELNS1_3gpuE8ELNS1_3repE0EEENS1_30default_config_static_selectorELNS0_4arch9wavefront6targetE1EEEvSK_.numbered_sgpr, 0
	.set _ZN7rocprim17ROCPRIM_400000_NS6detail17trampoline_kernelINS0_14default_configENS1_22reduce_config_selectorIjEEZNS1_11reduce_implILb1ES3_N6thrust23THRUST_200600_302600_NS6detail15normal_iteratorINS8_10device_ptrIjEEEEPjj9plus_mod3IjEEE10hipError_tPvRmT1_T2_T3_mT4_P12ihipStream_tbEUlT_E0_NS1_11comp_targetILNS1_3genE4ELNS1_11target_archE910ELNS1_3gpuE8ELNS1_3repE0EEENS1_30default_config_static_selectorELNS0_4arch9wavefront6targetE1EEEvSK_.num_named_barrier, 0
	.set _ZN7rocprim17ROCPRIM_400000_NS6detail17trampoline_kernelINS0_14default_configENS1_22reduce_config_selectorIjEEZNS1_11reduce_implILb1ES3_N6thrust23THRUST_200600_302600_NS6detail15normal_iteratorINS8_10device_ptrIjEEEEPjj9plus_mod3IjEEE10hipError_tPvRmT1_T2_T3_mT4_P12ihipStream_tbEUlT_E0_NS1_11comp_targetILNS1_3genE4ELNS1_11target_archE910ELNS1_3gpuE8ELNS1_3repE0EEENS1_30default_config_static_selectorELNS0_4arch9wavefront6targetE1EEEvSK_.private_seg_size, 0
	.set _ZN7rocprim17ROCPRIM_400000_NS6detail17trampoline_kernelINS0_14default_configENS1_22reduce_config_selectorIjEEZNS1_11reduce_implILb1ES3_N6thrust23THRUST_200600_302600_NS6detail15normal_iteratorINS8_10device_ptrIjEEEEPjj9plus_mod3IjEEE10hipError_tPvRmT1_T2_T3_mT4_P12ihipStream_tbEUlT_E0_NS1_11comp_targetILNS1_3genE4ELNS1_11target_archE910ELNS1_3gpuE8ELNS1_3repE0EEENS1_30default_config_static_selectorELNS0_4arch9wavefront6targetE1EEEvSK_.uses_vcc, 0
	.set _ZN7rocprim17ROCPRIM_400000_NS6detail17trampoline_kernelINS0_14default_configENS1_22reduce_config_selectorIjEEZNS1_11reduce_implILb1ES3_N6thrust23THRUST_200600_302600_NS6detail15normal_iteratorINS8_10device_ptrIjEEEEPjj9plus_mod3IjEEE10hipError_tPvRmT1_T2_T3_mT4_P12ihipStream_tbEUlT_E0_NS1_11comp_targetILNS1_3genE4ELNS1_11target_archE910ELNS1_3gpuE8ELNS1_3repE0EEENS1_30default_config_static_selectorELNS0_4arch9wavefront6targetE1EEEvSK_.uses_flat_scratch, 0
	.set _ZN7rocprim17ROCPRIM_400000_NS6detail17trampoline_kernelINS0_14default_configENS1_22reduce_config_selectorIjEEZNS1_11reduce_implILb1ES3_N6thrust23THRUST_200600_302600_NS6detail15normal_iteratorINS8_10device_ptrIjEEEEPjj9plus_mod3IjEEE10hipError_tPvRmT1_T2_T3_mT4_P12ihipStream_tbEUlT_E0_NS1_11comp_targetILNS1_3genE4ELNS1_11target_archE910ELNS1_3gpuE8ELNS1_3repE0EEENS1_30default_config_static_selectorELNS0_4arch9wavefront6targetE1EEEvSK_.has_dyn_sized_stack, 0
	.set _ZN7rocprim17ROCPRIM_400000_NS6detail17trampoline_kernelINS0_14default_configENS1_22reduce_config_selectorIjEEZNS1_11reduce_implILb1ES3_N6thrust23THRUST_200600_302600_NS6detail15normal_iteratorINS8_10device_ptrIjEEEEPjj9plus_mod3IjEEE10hipError_tPvRmT1_T2_T3_mT4_P12ihipStream_tbEUlT_E0_NS1_11comp_targetILNS1_3genE4ELNS1_11target_archE910ELNS1_3gpuE8ELNS1_3repE0EEENS1_30default_config_static_selectorELNS0_4arch9wavefront6targetE1EEEvSK_.has_recursion, 0
	.set _ZN7rocprim17ROCPRIM_400000_NS6detail17trampoline_kernelINS0_14default_configENS1_22reduce_config_selectorIjEEZNS1_11reduce_implILb1ES3_N6thrust23THRUST_200600_302600_NS6detail15normal_iteratorINS8_10device_ptrIjEEEEPjj9plus_mod3IjEEE10hipError_tPvRmT1_T2_T3_mT4_P12ihipStream_tbEUlT_E0_NS1_11comp_targetILNS1_3genE4ELNS1_11target_archE910ELNS1_3gpuE8ELNS1_3repE0EEENS1_30default_config_static_selectorELNS0_4arch9wavefront6targetE1EEEvSK_.has_indirect_call, 0
	.section	.AMDGPU.csdata,"",@progbits
; Kernel info:
; codeLenInByte = 0
; TotalNumSgprs: 6
; NumVgprs: 0
; NumAgprs: 0
; TotalNumVgprs: 0
; ScratchSize: 0
; MemoryBound: 0
; FloatMode: 240
; IeeeMode: 1
; LDSByteSize: 0 bytes/workgroup (compile time only)
; SGPRBlocks: 0
; VGPRBlocks: 0
; NumSGPRsForWavesPerEU: 6
; NumVGPRsForWavesPerEU: 1
; AccumOffset: 4
; Occupancy: 8
; WaveLimiterHint : 0
; COMPUTE_PGM_RSRC2:SCRATCH_EN: 0
; COMPUTE_PGM_RSRC2:USER_SGPR: 2
; COMPUTE_PGM_RSRC2:TRAP_HANDLER: 0
; COMPUTE_PGM_RSRC2:TGID_X_EN: 1
; COMPUTE_PGM_RSRC2:TGID_Y_EN: 0
; COMPUTE_PGM_RSRC2:TGID_Z_EN: 0
; COMPUTE_PGM_RSRC2:TIDIG_COMP_CNT: 0
; COMPUTE_PGM_RSRC3_GFX90A:ACCUM_OFFSET: 0
; COMPUTE_PGM_RSRC3_GFX90A:TG_SPLIT: 0
	.section	.text._ZN7rocprim17ROCPRIM_400000_NS6detail17trampoline_kernelINS0_14default_configENS1_22reduce_config_selectorIjEEZNS1_11reduce_implILb1ES3_N6thrust23THRUST_200600_302600_NS6detail15normal_iteratorINS8_10device_ptrIjEEEEPjj9plus_mod3IjEEE10hipError_tPvRmT1_T2_T3_mT4_P12ihipStream_tbEUlT_E0_NS1_11comp_targetILNS1_3genE3ELNS1_11target_archE908ELNS1_3gpuE7ELNS1_3repE0EEENS1_30default_config_static_selectorELNS0_4arch9wavefront6targetE1EEEvSK_,"axG",@progbits,_ZN7rocprim17ROCPRIM_400000_NS6detail17trampoline_kernelINS0_14default_configENS1_22reduce_config_selectorIjEEZNS1_11reduce_implILb1ES3_N6thrust23THRUST_200600_302600_NS6detail15normal_iteratorINS8_10device_ptrIjEEEEPjj9plus_mod3IjEEE10hipError_tPvRmT1_T2_T3_mT4_P12ihipStream_tbEUlT_E0_NS1_11comp_targetILNS1_3genE3ELNS1_11target_archE908ELNS1_3gpuE7ELNS1_3repE0EEENS1_30default_config_static_selectorELNS0_4arch9wavefront6targetE1EEEvSK_,comdat
	.protected	_ZN7rocprim17ROCPRIM_400000_NS6detail17trampoline_kernelINS0_14default_configENS1_22reduce_config_selectorIjEEZNS1_11reduce_implILb1ES3_N6thrust23THRUST_200600_302600_NS6detail15normal_iteratorINS8_10device_ptrIjEEEEPjj9plus_mod3IjEEE10hipError_tPvRmT1_T2_T3_mT4_P12ihipStream_tbEUlT_E0_NS1_11comp_targetILNS1_3genE3ELNS1_11target_archE908ELNS1_3gpuE7ELNS1_3repE0EEENS1_30default_config_static_selectorELNS0_4arch9wavefront6targetE1EEEvSK_ ; -- Begin function _ZN7rocprim17ROCPRIM_400000_NS6detail17trampoline_kernelINS0_14default_configENS1_22reduce_config_selectorIjEEZNS1_11reduce_implILb1ES3_N6thrust23THRUST_200600_302600_NS6detail15normal_iteratorINS8_10device_ptrIjEEEEPjj9plus_mod3IjEEE10hipError_tPvRmT1_T2_T3_mT4_P12ihipStream_tbEUlT_E0_NS1_11comp_targetILNS1_3genE3ELNS1_11target_archE908ELNS1_3gpuE7ELNS1_3repE0EEENS1_30default_config_static_selectorELNS0_4arch9wavefront6targetE1EEEvSK_
	.globl	_ZN7rocprim17ROCPRIM_400000_NS6detail17trampoline_kernelINS0_14default_configENS1_22reduce_config_selectorIjEEZNS1_11reduce_implILb1ES3_N6thrust23THRUST_200600_302600_NS6detail15normal_iteratorINS8_10device_ptrIjEEEEPjj9plus_mod3IjEEE10hipError_tPvRmT1_T2_T3_mT4_P12ihipStream_tbEUlT_E0_NS1_11comp_targetILNS1_3genE3ELNS1_11target_archE908ELNS1_3gpuE7ELNS1_3repE0EEENS1_30default_config_static_selectorELNS0_4arch9wavefront6targetE1EEEvSK_
	.p2align	8
	.type	_ZN7rocprim17ROCPRIM_400000_NS6detail17trampoline_kernelINS0_14default_configENS1_22reduce_config_selectorIjEEZNS1_11reduce_implILb1ES3_N6thrust23THRUST_200600_302600_NS6detail15normal_iteratorINS8_10device_ptrIjEEEEPjj9plus_mod3IjEEE10hipError_tPvRmT1_T2_T3_mT4_P12ihipStream_tbEUlT_E0_NS1_11comp_targetILNS1_3genE3ELNS1_11target_archE908ELNS1_3gpuE7ELNS1_3repE0EEENS1_30default_config_static_selectorELNS0_4arch9wavefront6targetE1EEEvSK_,@function
_ZN7rocprim17ROCPRIM_400000_NS6detail17trampoline_kernelINS0_14default_configENS1_22reduce_config_selectorIjEEZNS1_11reduce_implILb1ES3_N6thrust23THRUST_200600_302600_NS6detail15normal_iteratorINS8_10device_ptrIjEEEEPjj9plus_mod3IjEEE10hipError_tPvRmT1_T2_T3_mT4_P12ihipStream_tbEUlT_E0_NS1_11comp_targetILNS1_3genE3ELNS1_11target_archE908ELNS1_3gpuE7ELNS1_3repE0EEENS1_30default_config_static_selectorELNS0_4arch9wavefront6targetE1EEEvSK_: ; @_ZN7rocprim17ROCPRIM_400000_NS6detail17trampoline_kernelINS0_14default_configENS1_22reduce_config_selectorIjEEZNS1_11reduce_implILb1ES3_N6thrust23THRUST_200600_302600_NS6detail15normal_iteratorINS8_10device_ptrIjEEEEPjj9plus_mod3IjEEE10hipError_tPvRmT1_T2_T3_mT4_P12ihipStream_tbEUlT_E0_NS1_11comp_targetILNS1_3genE3ELNS1_11target_archE908ELNS1_3gpuE7ELNS1_3repE0EEENS1_30default_config_static_selectorELNS0_4arch9wavefront6targetE1EEEvSK_
; %bb.0:
	.section	.rodata,"a",@progbits
	.p2align	6, 0x0
	.amdhsa_kernel _ZN7rocprim17ROCPRIM_400000_NS6detail17trampoline_kernelINS0_14default_configENS1_22reduce_config_selectorIjEEZNS1_11reduce_implILb1ES3_N6thrust23THRUST_200600_302600_NS6detail15normal_iteratorINS8_10device_ptrIjEEEEPjj9plus_mod3IjEEE10hipError_tPvRmT1_T2_T3_mT4_P12ihipStream_tbEUlT_E0_NS1_11comp_targetILNS1_3genE3ELNS1_11target_archE908ELNS1_3gpuE7ELNS1_3repE0EEENS1_30default_config_static_selectorELNS0_4arch9wavefront6targetE1EEEvSK_
		.amdhsa_group_segment_fixed_size 0
		.amdhsa_private_segment_fixed_size 0
		.amdhsa_kernarg_size 64
		.amdhsa_user_sgpr_count 2
		.amdhsa_user_sgpr_dispatch_ptr 0
		.amdhsa_user_sgpr_queue_ptr 0
		.amdhsa_user_sgpr_kernarg_segment_ptr 1
		.amdhsa_user_sgpr_dispatch_id 0
		.amdhsa_user_sgpr_kernarg_preload_length 0
		.amdhsa_user_sgpr_kernarg_preload_offset 0
		.amdhsa_user_sgpr_private_segment_size 0
		.amdhsa_uses_dynamic_stack 0
		.amdhsa_enable_private_segment 0
		.amdhsa_system_sgpr_workgroup_id_x 1
		.amdhsa_system_sgpr_workgroup_id_y 0
		.amdhsa_system_sgpr_workgroup_id_z 0
		.amdhsa_system_sgpr_workgroup_info 0
		.amdhsa_system_vgpr_workitem_id 0
		.amdhsa_next_free_vgpr 1
		.amdhsa_next_free_sgpr 0
		.amdhsa_accum_offset 4
		.amdhsa_reserve_vcc 0
		.amdhsa_float_round_mode_32 0
		.amdhsa_float_round_mode_16_64 0
		.amdhsa_float_denorm_mode_32 3
		.amdhsa_float_denorm_mode_16_64 3
		.amdhsa_dx10_clamp 1
		.amdhsa_ieee_mode 1
		.amdhsa_fp16_overflow 0
		.amdhsa_tg_split 0
		.amdhsa_exception_fp_ieee_invalid_op 0
		.amdhsa_exception_fp_denorm_src 0
		.amdhsa_exception_fp_ieee_div_zero 0
		.amdhsa_exception_fp_ieee_overflow 0
		.amdhsa_exception_fp_ieee_underflow 0
		.amdhsa_exception_fp_ieee_inexact 0
		.amdhsa_exception_int_div_zero 0
	.end_amdhsa_kernel
	.section	.text._ZN7rocprim17ROCPRIM_400000_NS6detail17trampoline_kernelINS0_14default_configENS1_22reduce_config_selectorIjEEZNS1_11reduce_implILb1ES3_N6thrust23THRUST_200600_302600_NS6detail15normal_iteratorINS8_10device_ptrIjEEEEPjj9plus_mod3IjEEE10hipError_tPvRmT1_T2_T3_mT4_P12ihipStream_tbEUlT_E0_NS1_11comp_targetILNS1_3genE3ELNS1_11target_archE908ELNS1_3gpuE7ELNS1_3repE0EEENS1_30default_config_static_selectorELNS0_4arch9wavefront6targetE1EEEvSK_,"axG",@progbits,_ZN7rocprim17ROCPRIM_400000_NS6detail17trampoline_kernelINS0_14default_configENS1_22reduce_config_selectorIjEEZNS1_11reduce_implILb1ES3_N6thrust23THRUST_200600_302600_NS6detail15normal_iteratorINS8_10device_ptrIjEEEEPjj9plus_mod3IjEEE10hipError_tPvRmT1_T2_T3_mT4_P12ihipStream_tbEUlT_E0_NS1_11comp_targetILNS1_3genE3ELNS1_11target_archE908ELNS1_3gpuE7ELNS1_3repE0EEENS1_30default_config_static_selectorELNS0_4arch9wavefront6targetE1EEEvSK_,comdat
.Lfunc_end824:
	.size	_ZN7rocprim17ROCPRIM_400000_NS6detail17trampoline_kernelINS0_14default_configENS1_22reduce_config_selectorIjEEZNS1_11reduce_implILb1ES3_N6thrust23THRUST_200600_302600_NS6detail15normal_iteratorINS8_10device_ptrIjEEEEPjj9plus_mod3IjEEE10hipError_tPvRmT1_T2_T3_mT4_P12ihipStream_tbEUlT_E0_NS1_11comp_targetILNS1_3genE3ELNS1_11target_archE908ELNS1_3gpuE7ELNS1_3repE0EEENS1_30default_config_static_selectorELNS0_4arch9wavefront6targetE1EEEvSK_, .Lfunc_end824-_ZN7rocprim17ROCPRIM_400000_NS6detail17trampoline_kernelINS0_14default_configENS1_22reduce_config_selectorIjEEZNS1_11reduce_implILb1ES3_N6thrust23THRUST_200600_302600_NS6detail15normal_iteratorINS8_10device_ptrIjEEEEPjj9plus_mod3IjEEE10hipError_tPvRmT1_T2_T3_mT4_P12ihipStream_tbEUlT_E0_NS1_11comp_targetILNS1_3genE3ELNS1_11target_archE908ELNS1_3gpuE7ELNS1_3repE0EEENS1_30default_config_static_selectorELNS0_4arch9wavefront6targetE1EEEvSK_
                                        ; -- End function
	.set _ZN7rocprim17ROCPRIM_400000_NS6detail17trampoline_kernelINS0_14default_configENS1_22reduce_config_selectorIjEEZNS1_11reduce_implILb1ES3_N6thrust23THRUST_200600_302600_NS6detail15normal_iteratorINS8_10device_ptrIjEEEEPjj9plus_mod3IjEEE10hipError_tPvRmT1_T2_T3_mT4_P12ihipStream_tbEUlT_E0_NS1_11comp_targetILNS1_3genE3ELNS1_11target_archE908ELNS1_3gpuE7ELNS1_3repE0EEENS1_30default_config_static_selectorELNS0_4arch9wavefront6targetE1EEEvSK_.num_vgpr, 0
	.set _ZN7rocprim17ROCPRIM_400000_NS6detail17trampoline_kernelINS0_14default_configENS1_22reduce_config_selectorIjEEZNS1_11reduce_implILb1ES3_N6thrust23THRUST_200600_302600_NS6detail15normal_iteratorINS8_10device_ptrIjEEEEPjj9plus_mod3IjEEE10hipError_tPvRmT1_T2_T3_mT4_P12ihipStream_tbEUlT_E0_NS1_11comp_targetILNS1_3genE3ELNS1_11target_archE908ELNS1_3gpuE7ELNS1_3repE0EEENS1_30default_config_static_selectorELNS0_4arch9wavefront6targetE1EEEvSK_.num_agpr, 0
	.set _ZN7rocprim17ROCPRIM_400000_NS6detail17trampoline_kernelINS0_14default_configENS1_22reduce_config_selectorIjEEZNS1_11reduce_implILb1ES3_N6thrust23THRUST_200600_302600_NS6detail15normal_iteratorINS8_10device_ptrIjEEEEPjj9plus_mod3IjEEE10hipError_tPvRmT1_T2_T3_mT4_P12ihipStream_tbEUlT_E0_NS1_11comp_targetILNS1_3genE3ELNS1_11target_archE908ELNS1_3gpuE7ELNS1_3repE0EEENS1_30default_config_static_selectorELNS0_4arch9wavefront6targetE1EEEvSK_.numbered_sgpr, 0
	.set _ZN7rocprim17ROCPRIM_400000_NS6detail17trampoline_kernelINS0_14default_configENS1_22reduce_config_selectorIjEEZNS1_11reduce_implILb1ES3_N6thrust23THRUST_200600_302600_NS6detail15normal_iteratorINS8_10device_ptrIjEEEEPjj9plus_mod3IjEEE10hipError_tPvRmT1_T2_T3_mT4_P12ihipStream_tbEUlT_E0_NS1_11comp_targetILNS1_3genE3ELNS1_11target_archE908ELNS1_3gpuE7ELNS1_3repE0EEENS1_30default_config_static_selectorELNS0_4arch9wavefront6targetE1EEEvSK_.num_named_barrier, 0
	.set _ZN7rocprim17ROCPRIM_400000_NS6detail17trampoline_kernelINS0_14default_configENS1_22reduce_config_selectorIjEEZNS1_11reduce_implILb1ES3_N6thrust23THRUST_200600_302600_NS6detail15normal_iteratorINS8_10device_ptrIjEEEEPjj9plus_mod3IjEEE10hipError_tPvRmT1_T2_T3_mT4_P12ihipStream_tbEUlT_E0_NS1_11comp_targetILNS1_3genE3ELNS1_11target_archE908ELNS1_3gpuE7ELNS1_3repE0EEENS1_30default_config_static_selectorELNS0_4arch9wavefront6targetE1EEEvSK_.private_seg_size, 0
	.set _ZN7rocprim17ROCPRIM_400000_NS6detail17trampoline_kernelINS0_14default_configENS1_22reduce_config_selectorIjEEZNS1_11reduce_implILb1ES3_N6thrust23THRUST_200600_302600_NS6detail15normal_iteratorINS8_10device_ptrIjEEEEPjj9plus_mod3IjEEE10hipError_tPvRmT1_T2_T3_mT4_P12ihipStream_tbEUlT_E0_NS1_11comp_targetILNS1_3genE3ELNS1_11target_archE908ELNS1_3gpuE7ELNS1_3repE0EEENS1_30default_config_static_selectorELNS0_4arch9wavefront6targetE1EEEvSK_.uses_vcc, 0
	.set _ZN7rocprim17ROCPRIM_400000_NS6detail17trampoline_kernelINS0_14default_configENS1_22reduce_config_selectorIjEEZNS1_11reduce_implILb1ES3_N6thrust23THRUST_200600_302600_NS6detail15normal_iteratorINS8_10device_ptrIjEEEEPjj9plus_mod3IjEEE10hipError_tPvRmT1_T2_T3_mT4_P12ihipStream_tbEUlT_E0_NS1_11comp_targetILNS1_3genE3ELNS1_11target_archE908ELNS1_3gpuE7ELNS1_3repE0EEENS1_30default_config_static_selectorELNS0_4arch9wavefront6targetE1EEEvSK_.uses_flat_scratch, 0
	.set _ZN7rocprim17ROCPRIM_400000_NS6detail17trampoline_kernelINS0_14default_configENS1_22reduce_config_selectorIjEEZNS1_11reduce_implILb1ES3_N6thrust23THRUST_200600_302600_NS6detail15normal_iteratorINS8_10device_ptrIjEEEEPjj9plus_mod3IjEEE10hipError_tPvRmT1_T2_T3_mT4_P12ihipStream_tbEUlT_E0_NS1_11comp_targetILNS1_3genE3ELNS1_11target_archE908ELNS1_3gpuE7ELNS1_3repE0EEENS1_30default_config_static_selectorELNS0_4arch9wavefront6targetE1EEEvSK_.has_dyn_sized_stack, 0
	.set _ZN7rocprim17ROCPRIM_400000_NS6detail17trampoline_kernelINS0_14default_configENS1_22reduce_config_selectorIjEEZNS1_11reduce_implILb1ES3_N6thrust23THRUST_200600_302600_NS6detail15normal_iteratorINS8_10device_ptrIjEEEEPjj9plus_mod3IjEEE10hipError_tPvRmT1_T2_T3_mT4_P12ihipStream_tbEUlT_E0_NS1_11comp_targetILNS1_3genE3ELNS1_11target_archE908ELNS1_3gpuE7ELNS1_3repE0EEENS1_30default_config_static_selectorELNS0_4arch9wavefront6targetE1EEEvSK_.has_recursion, 0
	.set _ZN7rocprim17ROCPRIM_400000_NS6detail17trampoline_kernelINS0_14default_configENS1_22reduce_config_selectorIjEEZNS1_11reduce_implILb1ES3_N6thrust23THRUST_200600_302600_NS6detail15normal_iteratorINS8_10device_ptrIjEEEEPjj9plus_mod3IjEEE10hipError_tPvRmT1_T2_T3_mT4_P12ihipStream_tbEUlT_E0_NS1_11comp_targetILNS1_3genE3ELNS1_11target_archE908ELNS1_3gpuE7ELNS1_3repE0EEENS1_30default_config_static_selectorELNS0_4arch9wavefront6targetE1EEEvSK_.has_indirect_call, 0
	.section	.AMDGPU.csdata,"",@progbits
; Kernel info:
; codeLenInByte = 0
; TotalNumSgprs: 6
; NumVgprs: 0
; NumAgprs: 0
; TotalNumVgprs: 0
; ScratchSize: 0
; MemoryBound: 0
; FloatMode: 240
; IeeeMode: 1
; LDSByteSize: 0 bytes/workgroup (compile time only)
; SGPRBlocks: 0
; VGPRBlocks: 0
; NumSGPRsForWavesPerEU: 6
; NumVGPRsForWavesPerEU: 1
; AccumOffset: 4
; Occupancy: 8
; WaveLimiterHint : 0
; COMPUTE_PGM_RSRC2:SCRATCH_EN: 0
; COMPUTE_PGM_RSRC2:USER_SGPR: 2
; COMPUTE_PGM_RSRC2:TRAP_HANDLER: 0
; COMPUTE_PGM_RSRC2:TGID_X_EN: 1
; COMPUTE_PGM_RSRC2:TGID_Y_EN: 0
; COMPUTE_PGM_RSRC2:TGID_Z_EN: 0
; COMPUTE_PGM_RSRC2:TIDIG_COMP_CNT: 0
; COMPUTE_PGM_RSRC3_GFX90A:ACCUM_OFFSET: 0
; COMPUTE_PGM_RSRC3_GFX90A:TG_SPLIT: 0
	.section	.text._ZN7rocprim17ROCPRIM_400000_NS6detail17trampoline_kernelINS0_14default_configENS1_22reduce_config_selectorIjEEZNS1_11reduce_implILb1ES3_N6thrust23THRUST_200600_302600_NS6detail15normal_iteratorINS8_10device_ptrIjEEEEPjj9plus_mod3IjEEE10hipError_tPvRmT1_T2_T3_mT4_P12ihipStream_tbEUlT_E0_NS1_11comp_targetILNS1_3genE2ELNS1_11target_archE906ELNS1_3gpuE6ELNS1_3repE0EEENS1_30default_config_static_selectorELNS0_4arch9wavefront6targetE1EEEvSK_,"axG",@progbits,_ZN7rocprim17ROCPRIM_400000_NS6detail17trampoline_kernelINS0_14default_configENS1_22reduce_config_selectorIjEEZNS1_11reduce_implILb1ES3_N6thrust23THRUST_200600_302600_NS6detail15normal_iteratorINS8_10device_ptrIjEEEEPjj9plus_mod3IjEEE10hipError_tPvRmT1_T2_T3_mT4_P12ihipStream_tbEUlT_E0_NS1_11comp_targetILNS1_3genE2ELNS1_11target_archE906ELNS1_3gpuE6ELNS1_3repE0EEENS1_30default_config_static_selectorELNS0_4arch9wavefront6targetE1EEEvSK_,comdat
	.protected	_ZN7rocprim17ROCPRIM_400000_NS6detail17trampoline_kernelINS0_14default_configENS1_22reduce_config_selectorIjEEZNS1_11reduce_implILb1ES3_N6thrust23THRUST_200600_302600_NS6detail15normal_iteratorINS8_10device_ptrIjEEEEPjj9plus_mod3IjEEE10hipError_tPvRmT1_T2_T3_mT4_P12ihipStream_tbEUlT_E0_NS1_11comp_targetILNS1_3genE2ELNS1_11target_archE906ELNS1_3gpuE6ELNS1_3repE0EEENS1_30default_config_static_selectorELNS0_4arch9wavefront6targetE1EEEvSK_ ; -- Begin function _ZN7rocprim17ROCPRIM_400000_NS6detail17trampoline_kernelINS0_14default_configENS1_22reduce_config_selectorIjEEZNS1_11reduce_implILb1ES3_N6thrust23THRUST_200600_302600_NS6detail15normal_iteratorINS8_10device_ptrIjEEEEPjj9plus_mod3IjEEE10hipError_tPvRmT1_T2_T3_mT4_P12ihipStream_tbEUlT_E0_NS1_11comp_targetILNS1_3genE2ELNS1_11target_archE906ELNS1_3gpuE6ELNS1_3repE0EEENS1_30default_config_static_selectorELNS0_4arch9wavefront6targetE1EEEvSK_
	.globl	_ZN7rocprim17ROCPRIM_400000_NS6detail17trampoline_kernelINS0_14default_configENS1_22reduce_config_selectorIjEEZNS1_11reduce_implILb1ES3_N6thrust23THRUST_200600_302600_NS6detail15normal_iteratorINS8_10device_ptrIjEEEEPjj9plus_mod3IjEEE10hipError_tPvRmT1_T2_T3_mT4_P12ihipStream_tbEUlT_E0_NS1_11comp_targetILNS1_3genE2ELNS1_11target_archE906ELNS1_3gpuE6ELNS1_3repE0EEENS1_30default_config_static_selectorELNS0_4arch9wavefront6targetE1EEEvSK_
	.p2align	8
	.type	_ZN7rocprim17ROCPRIM_400000_NS6detail17trampoline_kernelINS0_14default_configENS1_22reduce_config_selectorIjEEZNS1_11reduce_implILb1ES3_N6thrust23THRUST_200600_302600_NS6detail15normal_iteratorINS8_10device_ptrIjEEEEPjj9plus_mod3IjEEE10hipError_tPvRmT1_T2_T3_mT4_P12ihipStream_tbEUlT_E0_NS1_11comp_targetILNS1_3genE2ELNS1_11target_archE906ELNS1_3gpuE6ELNS1_3repE0EEENS1_30default_config_static_selectorELNS0_4arch9wavefront6targetE1EEEvSK_,@function
_ZN7rocprim17ROCPRIM_400000_NS6detail17trampoline_kernelINS0_14default_configENS1_22reduce_config_selectorIjEEZNS1_11reduce_implILb1ES3_N6thrust23THRUST_200600_302600_NS6detail15normal_iteratorINS8_10device_ptrIjEEEEPjj9plus_mod3IjEEE10hipError_tPvRmT1_T2_T3_mT4_P12ihipStream_tbEUlT_E0_NS1_11comp_targetILNS1_3genE2ELNS1_11target_archE906ELNS1_3gpuE6ELNS1_3repE0EEENS1_30default_config_static_selectorELNS0_4arch9wavefront6targetE1EEEvSK_: ; @_ZN7rocprim17ROCPRIM_400000_NS6detail17trampoline_kernelINS0_14default_configENS1_22reduce_config_selectorIjEEZNS1_11reduce_implILb1ES3_N6thrust23THRUST_200600_302600_NS6detail15normal_iteratorINS8_10device_ptrIjEEEEPjj9plus_mod3IjEEE10hipError_tPvRmT1_T2_T3_mT4_P12ihipStream_tbEUlT_E0_NS1_11comp_targetILNS1_3genE2ELNS1_11target_archE906ELNS1_3gpuE6ELNS1_3repE0EEENS1_30default_config_static_selectorELNS0_4arch9wavefront6targetE1EEEvSK_
; %bb.0:
	.section	.rodata,"a",@progbits
	.p2align	6, 0x0
	.amdhsa_kernel _ZN7rocprim17ROCPRIM_400000_NS6detail17trampoline_kernelINS0_14default_configENS1_22reduce_config_selectorIjEEZNS1_11reduce_implILb1ES3_N6thrust23THRUST_200600_302600_NS6detail15normal_iteratorINS8_10device_ptrIjEEEEPjj9plus_mod3IjEEE10hipError_tPvRmT1_T2_T3_mT4_P12ihipStream_tbEUlT_E0_NS1_11comp_targetILNS1_3genE2ELNS1_11target_archE906ELNS1_3gpuE6ELNS1_3repE0EEENS1_30default_config_static_selectorELNS0_4arch9wavefront6targetE1EEEvSK_
		.amdhsa_group_segment_fixed_size 0
		.amdhsa_private_segment_fixed_size 0
		.amdhsa_kernarg_size 64
		.amdhsa_user_sgpr_count 2
		.amdhsa_user_sgpr_dispatch_ptr 0
		.amdhsa_user_sgpr_queue_ptr 0
		.amdhsa_user_sgpr_kernarg_segment_ptr 1
		.amdhsa_user_sgpr_dispatch_id 0
		.amdhsa_user_sgpr_kernarg_preload_length 0
		.amdhsa_user_sgpr_kernarg_preload_offset 0
		.amdhsa_user_sgpr_private_segment_size 0
		.amdhsa_uses_dynamic_stack 0
		.amdhsa_enable_private_segment 0
		.amdhsa_system_sgpr_workgroup_id_x 1
		.amdhsa_system_sgpr_workgroup_id_y 0
		.amdhsa_system_sgpr_workgroup_id_z 0
		.amdhsa_system_sgpr_workgroup_info 0
		.amdhsa_system_vgpr_workitem_id 0
		.amdhsa_next_free_vgpr 1
		.amdhsa_next_free_sgpr 0
		.amdhsa_accum_offset 4
		.amdhsa_reserve_vcc 0
		.amdhsa_float_round_mode_32 0
		.amdhsa_float_round_mode_16_64 0
		.amdhsa_float_denorm_mode_32 3
		.amdhsa_float_denorm_mode_16_64 3
		.amdhsa_dx10_clamp 1
		.amdhsa_ieee_mode 1
		.amdhsa_fp16_overflow 0
		.amdhsa_tg_split 0
		.amdhsa_exception_fp_ieee_invalid_op 0
		.amdhsa_exception_fp_denorm_src 0
		.amdhsa_exception_fp_ieee_div_zero 0
		.amdhsa_exception_fp_ieee_overflow 0
		.amdhsa_exception_fp_ieee_underflow 0
		.amdhsa_exception_fp_ieee_inexact 0
		.amdhsa_exception_int_div_zero 0
	.end_amdhsa_kernel
	.section	.text._ZN7rocprim17ROCPRIM_400000_NS6detail17trampoline_kernelINS0_14default_configENS1_22reduce_config_selectorIjEEZNS1_11reduce_implILb1ES3_N6thrust23THRUST_200600_302600_NS6detail15normal_iteratorINS8_10device_ptrIjEEEEPjj9plus_mod3IjEEE10hipError_tPvRmT1_T2_T3_mT4_P12ihipStream_tbEUlT_E0_NS1_11comp_targetILNS1_3genE2ELNS1_11target_archE906ELNS1_3gpuE6ELNS1_3repE0EEENS1_30default_config_static_selectorELNS0_4arch9wavefront6targetE1EEEvSK_,"axG",@progbits,_ZN7rocprim17ROCPRIM_400000_NS6detail17trampoline_kernelINS0_14default_configENS1_22reduce_config_selectorIjEEZNS1_11reduce_implILb1ES3_N6thrust23THRUST_200600_302600_NS6detail15normal_iteratorINS8_10device_ptrIjEEEEPjj9plus_mod3IjEEE10hipError_tPvRmT1_T2_T3_mT4_P12ihipStream_tbEUlT_E0_NS1_11comp_targetILNS1_3genE2ELNS1_11target_archE906ELNS1_3gpuE6ELNS1_3repE0EEENS1_30default_config_static_selectorELNS0_4arch9wavefront6targetE1EEEvSK_,comdat
.Lfunc_end825:
	.size	_ZN7rocprim17ROCPRIM_400000_NS6detail17trampoline_kernelINS0_14default_configENS1_22reduce_config_selectorIjEEZNS1_11reduce_implILb1ES3_N6thrust23THRUST_200600_302600_NS6detail15normal_iteratorINS8_10device_ptrIjEEEEPjj9plus_mod3IjEEE10hipError_tPvRmT1_T2_T3_mT4_P12ihipStream_tbEUlT_E0_NS1_11comp_targetILNS1_3genE2ELNS1_11target_archE906ELNS1_3gpuE6ELNS1_3repE0EEENS1_30default_config_static_selectorELNS0_4arch9wavefront6targetE1EEEvSK_, .Lfunc_end825-_ZN7rocprim17ROCPRIM_400000_NS6detail17trampoline_kernelINS0_14default_configENS1_22reduce_config_selectorIjEEZNS1_11reduce_implILb1ES3_N6thrust23THRUST_200600_302600_NS6detail15normal_iteratorINS8_10device_ptrIjEEEEPjj9plus_mod3IjEEE10hipError_tPvRmT1_T2_T3_mT4_P12ihipStream_tbEUlT_E0_NS1_11comp_targetILNS1_3genE2ELNS1_11target_archE906ELNS1_3gpuE6ELNS1_3repE0EEENS1_30default_config_static_selectorELNS0_4arch9wavefront6targetE1EEEvSK_
                                        ; -- End function
	.set _ZN7rocprim17ROCPRIM_400000_NS6detail17trampoline_kernelINS0_14default_configENS1_22reduce_config_selectorIjEEZNS1_11reduce_implILb1ES3_N6thrust23THRUST_200600_302600_NS6detail15normal_iteratorINS8_10device_ptrIjEEEEPjj9plus_mod3IjEEE10hipError_tPvRmT1_T2_T3_mT4_P12ihipStream_tbEUlT_E0_NS1_11comp_targetILNS1_3genE2ELNS1_11target_archE906ELNS1_3gpuE6ELNS1_3repE0EEENS1_30default_config_static_selectorELNS0_4arch9wavefront6targetE1EEEvSK_.num_vgpr, 0
	.set _ZN7rocprim17ROCPRIM_400000_NS6detail17trampoline_kernelINS0_14default_configENS1_22reduce_config_selectorIjEEZNS1_11reduce_implILb1ES3_N6thrust23THRUST_200600_302600_NS6detail15normal_iteratorINS8_10device_ptrIjEEEEPjj9plus_mod3IjEEE10hipError_tPvRmT1_T2_T3_mT4_P12ihipStream_tbEUlT_E0_NS1_11comp_targetILNS1_3genE2ELNS1_11target_archE906ELNS1_3gpuE6ELNS1_3repE0EEENS1_30default_config_static_selectorELNS0_4arch9wavefront6targetE1EEEvSK_.num_agpr, 0
	.set _ZN7rocprim17ROCPRIM_400000_NS6detail17trampoline_kernelINS0_14default_configENS1_22reduce_config_selectorIjEEZNS1_11reduce_implILb1ES3_N6thrust23THRUST_200600_302600_NS6detail15normal_iteratorINS8_10device_ptrIjEEEEPjj9plus_mod3IjEEE10hipError_tPvRmT1_T2_T3_mT4_P12ihipStream_tbEUlT_E0_NS1_11comp_targetILNS1_3genE2ELNS1_11target_archE906ELNS1_3gpuE6ELNS1_3repE0EEENS1_30default_config_static_selectorELNS0_4arch9wavefront6targetE1EEEvSK_.numbered_sgpr, 0
	.set _ZN7rocprim17ROCPRIM_400000_NS6detail17trampoline_kernelINS0_14default_configENS1_22reduce_config_selectorIjEEZNS1_11reduce_implILb1ES3_N6thrust23THRUST_200600_302600_NS6detail15normal_iteratorINS8_10device_ptrIjEEEEPjj9plus_mod3IjEEE10hipError_tPvRmT1_T2_T3_mT4_P12ihipStream_tbEUlT_E0_NS1_11comp_targetILNS1_3genE2ELNS1_11target_archE906ELNS1_3gpuE6ELNS1_3repE0EEENS1_30default_config_static_selectorELNS0_4arch9wavefront6targetE1EEEvSK_.num_named_barrier, 0
	.set _ZN7rocprim17ROCPRIM_400000_NS6detail17trampoline_kernelINS0_14default_configENS1_22reduce_config_selectorIjEEZNS1_11reduce_implILb1ES3_N6thrust23THRUST_200600_302600_NS6detail15normal_iteratorINS8_10device_ptrIjEEEEPjj9plus_mod3IjEEE10hipError_tPvRmT1_T2_T3_mT4_P12ihipStream_tbEUlT_E0_NS1_11comp_targetILNS1_3genE2ELNS1_11target_archE906ELNS1_3gpuE6ELNS1_3repE0EEENS1_30default_config_static_selectorELNS0_4arch9wavefront6targetE1EEEvSK_.private_seg_size, 0
	.set _ZN7rocprim17ROCPRIM_400000_NS6detail17trampoline_kernelINS0_14default_configENS1_22reduce_config_selectorIjEEZNS1_11reduce_implILb1ES3_N6thrust23THRUST_200600_302600_NS6detail15normal_iteratorINS8_10device_ptrIjEEEEPjj9plus_mod3IjEEE10hipError_tPvRmT1_T2_T3_mT4_P12ihipStream_tbEUlT_E0_NS1_11comp_targetILNS1_3genE2ELNS1_11target_archE906ELNS1_3gpuE6ELNS1_3repE0EEENS1_30default_config_static_selectorELNS0_4arch9wavefront6targetE1EEEvSK_.uses_vcc, 0
	.set _ZN7rocprim17ROCPRIM_400000_NS6detail17trampoline_kernelINS0_14default_configENS1_22reduce_config_selectorIjEEZNS1_11reduce_implILb1ES3_N6thrust23THRUST_200600_302600_NS6detail15normal_iteratorINS8_10device_ptrIjEEEEPjj9plus_mod3IjEEE10hipError_tPvRmT1_T2_T3_mT4_P12ihipStream_tbEUlT_E0_NS1_11comp_targetILNS1_3genE2ELNS1_11target_archE906ELNS1_3gpuE6ELNS1_3repE0EEENS1_30default_config_static_selectorELNS0_4arch9wavefront6targetE1EEEvSK_.uses_flat_scratch, 0
	.set _ZN7rocprim17ROCPRIM_400000_NS6detail17trampoline_kernelINS0_14default_configENS1_22reduce_config_selectorIjEEZNS1_11reduce_implILb1ES3_N6thrust23THRUST_200600_302600_NS6detail15normal_iteratorINS8_10device_ptrIjEEEEPjj9plus_mod3IjEEE10hipError_tPvRmT1_T2_T3_mT4_P12ihipStream_tbEUlT_E0_NS1_11comp_targetILNS1_3genE2ELNS1_11target_archE906ELNS1_3gpuE6ELNS1_3repE0EEENS1_30default_config_static_selectorELNS0_4arch9wavefront6targetE1EEEvSK_.has_dyn_sized_stack, 0
	.set _ZN7rocprim17ROCPRIM_400000_NS6detail17trampoline_kernelINS0_14default_configENS1_22reduce_config_selectorIjEEZNS1_11reduce_implILb1ES3_N6thrust23THRUST_200600_302600_NS6detail15normal_iteratorINS8_10device_ptrIjEEEEPjj9plus_mod3IjEEE10hipError_tPvRmT1_T2_T3_mT4_P12ihipStream_tbEUlT_E0_NS1_11comp_targetILNS1_3genE2ELNS1_11target_archE906ELNS1_3gpuE6ELNS1_3repE0EEENS1_30default_config_static_selectorELNS0_4arch9wavefront6targetE1EEEvSK_.has_recursion, 0
	.set _ZN7rocprim17ROCPRIM_400000_NS6detail17trampoline_kernelINS0_14default_configENS1_22reduce_config_selectorIjEEZNS1_11reduce_implILb1ES3_N6thrust23THRUST_200600_302600_NS6detail15normal_iteratorINS8_10device_ptrIjEEEEPjj9plus_mod3IjEEE10hipError_tPvRmT1_T2_T3_mT4_P12ihipStream_tbEUlT_E0_NS1_11comp_targetILNS1_3genE2ELNS1_11target_archE906ELNS1_3gpuE6ELNS1_3repE0EEENS1_30default_config_static_selectorELNS0_4arch9wavefront6targetE1EEEvSK_.has_indirect_call, 0
	.section	.AMDGPU.csdata,"",@progbits
; Kernel info:
; codeLenInByte = 0
; TotalNumSgprs: 6
; NumVgprs: 0
; NumAgprs: 0
; TotalNumVgprs: 0
; ScratchSize: 0
; MemoryBound: 0
; FloatMode: 240
; IeeeMode: 1
; LDSByteSize: 0 bytes/workgroup (compile time only)
; SGPRBlocks: 0
; VGPRBlocks: 0
; NumSGPRsForWavesPerEU: 6
; NumVGPRsForWavesPerEU: 1
; AccumOffset: 4
; Occupancy: 8
; WaveLimiterHint : 0
; COMPUTE_PGM_RSRC2:SCRATCH_EN: 0
; COMPUTE_PGM_RSRC2:USER_SGPR: 2
; COMPUTE_PGM_RSRC2:TRAP_HANDLER: 0
; COMPUTE_PGM_RSRC2:TGID_X_EN: 1
; COMPUTE_PGM_RSRC2:TGID_Y_EN: 0
; COMPUTE_PGM_RSRC2:TGID_Z_EN: 0
; COMPUTE_PGM_RSRC2:TIDIG_COMP_CNT: 0
; COMPUTE_PGM_RSRC3_GFX90A:ACCUM_OFFSET: 0
; COMPUTE_PGM_RSRC3_GFX90A:TG_SPLIT: 0
	.section	.text._ZN7rocprim17ROCPRIM_400000_NS6detail17trampoline_kernelINS0_14default_configENS1_22reduce_config_selectorIjEEZNS1_11reduce_implILb1ES3_N6thrust23THRUST_200600_302600_NS6detail15normal_iteratorINS8_10device_ptrIjEEEEPjj9plus_mod3IjEEE10hipError_tPvRmT1_T2_T3_mT4_P12ihipStream_tbEUlT_E0_NS1_11comp_targetILNS1_3genE10ELNS1_11target_archE1201ELNS1_3gpuE5ELNS1_3repE0EEENS1_30default_config_static_selectorELNS0_4arch9wavefront6targetE1EEEvSK_,"axG",@progbits,_ZN7rocprim17ROCPRIM_400000_NS6detail17trampoline_kernelINS0_14default_configENS1_22reduce_config_selectorIjEEZNS1_11reduce_implILb1ES3_N6thrust23THRUST_200600_302600_NS6detail15normal_iteratorINS8_10device_ptrIjEEEEPjj9plus_mod3IjEEE10hipError_tPvRmT1_T2_T3_mT4_P12ihipStream_tbEUlT_E0_NS1_11comp_targetILNS1_3genE10ELNS1_11target_archE1201ELNS1_3gpuE5ELNS1_3repE0EEENS1_30default_config_static_selectorELNS0_4arch9wavefront6targetE1EEEvSK_,comdat
	.protected	_ZN7rocprim17ROCPRIM_400000_NS6detail17trampoline_kernelINS0_14default_configENS1_22reduce_config_selectorIjEEZNS1_11reduce_implILb1ES3_N6thrust23THRUST_200600_302600_NS6detail15normal_iteratorINS8_10device_ptrIjEEEEPjj9plus_mod3IjEEE10hipError_tPvRmT1_T2_T3_mT4_P12ihipStream_tbEUlT_E0_NS1_11comp_targetILNS1_3genE10ELNS1_11target_archE1201ELNS1_3gpuE5ELNS1_3repE0EEENS1_30default_config_static_selectorELNS0_4arch9wavefront6targetE1EEEvSK_ ; -- Begin function _ZN7rocprim17ROCPRIM_400000_NS6detail17trampoline_kernelINS0_14default_configENS1_22reduce_config_selectorIjEEZNS1_11reduce_implILb1ES3_N6thrust23THRUST_200600_302600_NS6detail15normal_iteratorINS8_10device_ptrIjEEEEPjj9plus_mod3IjEEE10hipError_tPvRmT1_T2_T3_mT4_P12ihipStream_tbEUlT_E0_NS1_11comp_targetILNS1_3genE10ELNS1_11target_archE1201ELNS1_3gpuE5ELNS1_3repE0EEENS1_30default_config_static_selectorELNS0_4arch9wavefront6targetE1EEEvSK_
	.globl	_ZN7rocprim17ROCPRIM_400000_NS6detail17trampoline_kernelINS0_14default_configENS1_22reduce_config_selectorIjEEZNS1_11reduce_implILb1ES3_N6thrust23THRUST_200600_302600_NS6detail15normal_iteratorINS8_10device_ptrIjEEEEPjj9plus_mod3IjEEE10hipError_tPvRmT1_T2_T3_mT4_P12ihipStream_tbEUlT_E0_NS1_11comp_targetILNS1_3genE10ELNS1_11target_archE1201ELNS1_3gpuE5ELNS1_3repE0EEENS1_30default_config_static_selectorELNS0_4arch9wavefront6targetE1EEEvSK_
	.p2align	8
	.type	_ZN7rocprim17ROCPRIM_400000_NS6detail17trampoline_kernelINS0_14default_configENS1_22reduce_config_selectorIjEEZNS1_11reduce_implILb1ES3_N6thrust23THRUST_200600_302600_NS6detail15normal_iteratorINS8_10device_ptrIjEEEEPjj9plus_mod3IjEEE10hipError_tPvRmT1_T2_T3_mT4_P12ihipStream_tbEUlT_E0_NS1_11comp_targetILNS1_3genE10ELNS1_11target_archE1201ELNS1_3gpuE5ELNS1_3repE0EEENS1_30default_config_static_selectorELNS0_4arch9wavefront6targetE1EEEvSK_,@function
_ZN7rocprim17ROCPRIM_400000_NS6detail17trampoline_kernelINS0_14default_configENS1_22reduce_config_selectorIjEEZNS1_11reduce_implILb1ES3_N6thrust23THRUST_200600_302600_NS6detail15normal_iteratorINS8_10device_ptrIjEEEEPjj9plus_mod3IjEEE10hipError_tPvRmT1_T2_T3_mT4_P12ihipStream_tbEUlT_E0_NS1_11comp_targetILNS1_3genE10ELNS1_11target_archE1201ELNS1_3gpuE5ELNS1_3repE0EEENS1_30default_config_static_selectorELNS0_4arch9wavefront6targetE1EEEvSK_: ; @_ZN7rocprim17ROCPRIM_400000_NS6detail17trampoline_kernelINS0_14default_configENS1_22reduce_config_selectorIjEEZNS1_11reduce_implILb1ES3_N6thrust23THRUST_200600_302600_NS6detail15normal_iteratorINS8_10device_ptrIjEEEEPjj9plus_mod3IjEEE10hipError_tPvRmT1_T2_T3_mT4_P12ihipStream_tbEUlT_E0_NS1_11comp_targetILNS1_3genE10ELNS1_11target_archE1201ELNS1_3gpuE5ELNS1_3repE0EEENS1_30default_config_static_selectorELNS0_4arch9wavefront6targetE1EEEvSK_
; %bb.0:
	.section	.rodata,"a",@progbits
	.p2align	6, 0x0
	.amdhsa_kernel _ZN7rocprim17ROCPRIM_400000_NS6detail17trampoline_kernelINS0_14default_configENS1_22reduce_config_selectorIjEEZNS1_11reduce_implILb1ES3_N6thrust23THRUST_200600_302600_NS6detail15normal_iteratorINS8_10device_ptrIjEEEEPjj9plus_mod3IjEEE10hipError_tPvRmT1_T2_T3_mT4_P12ihipStream_tbEUlT_E0_NS1_11comp_targetILNS1_3genE10ELNS1_11target_archE1201ELNS1_3gpuE5ELNS1_3repE0EEENS1_30default_config_static_selectorELNS0_4arch9wavefront6targetE1EEEvSK_
		.amdhsa_group_segment_fixed_size 0
		.amdhsa_private_segment_fixed_size 0
		.amdhsa_kernarg_size 64
		.amdhsa_user_sgpr_count 2
		.amdhsa_user_sgpr_dispatch_ptr 0
		.amdhsa_user_sgpr_queue_ptr 0
		.amdhsa_user_sgpr_kernarg_segment_ptr 1
		.amdhsa_user_sgpr_dispatch_id 0
		.amdhsa_user_sgpr_kernarg_preload_length 0
		.amdhsa_user_sgpr_kernarg_preload_offset 0
		.amdhsa_user_sgpr_private_segment_size 0
		.amdhsa_uses_dynamic_stack 0
		.amdhsa_enable_private_segment 0
		.amdhsa_system_sgpr_workgroup_id_x 1
		.amdhsa_system_sgpr_workgroup_id_y 0
		.amdhsa_system_sgpr_workgroup_id_z 0
		.amdhsa_system_sgpr_workgroup_info 0
		.amdhsa_system_vgpr_workitem_id 0
		.amdhsa_next_free_vgpr 1
		.amdhsa_next_free_sgpr 0
		.amdhsa_accum_offset 4
		.amdhsa_reserve_vcc 0
		.amdhsa_float_round_mode_32 0
		.amdhsa_float_round_mode_16_64 0
		.amdhsa_float_denorm_mode_32 3
		.amdhsa_float_denorm_mode_16_64 3
		.amdhsa_dx10_clamp 1
		.amdhsa_ieee_mode 1
		.amdhsa_fp16_overflow 0
		.amdhsa_tg_split 0
		.amdhsa_exception_fp_ieee_invalid_op 0
		.amdhsa_exception_fp_denorm_src 0
		.amdhsa_exception_fp_ieee_div_zero 0
		.amdhsa_exception_fp_ieee_overflow 0
		.amdhsa_exception_fp_ieee_underflow 0
		.amdhsa_exception_fp_ieee_inexact 0
		.amdhsa_exception_int_div_zero 0
	.end_amdhsa_kernel
	.section	.text._ZN7rocprim17ROCPRIM_400000_NS6detail17trampoline_kernelINS0_14default_configENS1_22reduce_config_selectorIjEEZNS1_11reduce_implILb1ES3_N6thrust23THRUST_200600_302600_NS6detail15normal_iteratorINS8_10device_ptrIjEEEEPjj9plus_mod3IjEEE10hipError_tPvRmT1_T2_T3_mT4_P12ihipStream_tbEUlT_E0_NS1_11comp_targetILNS1_3genE10ELNS1_11target_archE1201ELNS1_3gpuE5ELNS1_3repE0EEENS1_30default_config_static_selectorELNS0_4arch9wavefront6targetE1EEEvSK_,"axG",@progbits,_ZN7rocprim17ROCPRIM_400000_NS6detail17trampoline_kernelINS0_14default_configENS1_22reduce_config_selectorIjEEZNS1_11reduce_implILb1ES3_N6thrust23THRUST_200600_302600_NS6detail15normal_iteratorINS8_10device_ptrIjEEEEPjj9plus_mod3IjEEE10hipError_tPvRmT1_T2_T3_mT4_P12ihipStream_tbEUlT_E0_NS1_11comp_targetILNS1_3genE10ELNS1_11target_archE1201ELNS1_3gpuE5ELNS1_3repE0EEENS1_30default_config_static_selectorELNS0_4arch9wavefront6targetE1EEEvSK_,comdat
.Lfunc_end826:
	.size	_ZN7rocprim17ROCPRIM_400000_NS6detail17trampoline_kernelINS0_14default_configENS1_22reduce_config_selectorIjEEZNS1_11reduce_implILb1ES3_N6thrust23THRUST_200600_302600_NS6detail15normal_iteratorINS8_10device_ptrIjEEEEPjj9plus_mod3IjEEE10hipError_tPvRmT1_T2_T3_mT4_P12ihipStream_tbEUlT_E0_NS1_11comp_targetILNS1_3genE10ELNS1_11target_archE1201ELNS1_3gpuE5ELNS1_3repE0EEENS1_30default_config_static_selectorELNS0_4arch9wavefront6targetE1EEEvSK_, .Lfunc_end826-_ZN7rocprim17ROCPRIM_400000_NS6detail17trampoline_kernelINS0_14default_configENS1_22reduce_config_selectorIjEEZNS1_11reduce_implILb1ES3_N6thrust23THRUST_200600_302600_NS6detail15normal_iteratorINS8_10device_ptrIjEEEEPjj9plus_mod3IjEEE10hipError_tPvRmT1_T2_T3_mT4_P12ihipStream_tbEUlT_E0_NS1_11comp_targetILNS1_3genE10ELNS1_11target_archE1201ELNS1_3gpuE5ELNS1_3repE0EEENS1_30default_config_static_selectorELNS0_4arch9wavefront6targetE1EEEvSK_
                                        ; -- End function
	.set _ZN7rocprim17ROCPRIM_400000_NS6detail17trampoline_kernelINS0_14default_configENS1_22reduce_config_selectorIjEEZNS1_11reduce_implILb1ES3_N6thrust23THRUST_200600_302600_NS6detail15normal_iteratorINS8_10device_ptrIjEEEEPjj9plus_mod3IjEEE10hipError_tPvRmT1_T2_T3_mT4_P12ihipStream_tbEUlT_E0_NS1_11comp_targetILNS1_3genE10ELNS1_11target_archE1201ELNS1_3gpuE5ELNS1_3repE0EEENS1_30default_config_static_selectorELNS0_4arch9wavefront6targetE1EEEvSK_.num_vgpr, 0
	.set _ZN7rocprim17ROCPRIM_400000_NS6detail17trampoline_kernelINS0_14default_configENS1_22reduce_config_selectorIjEEZNS1_11reduce_implILb1ES3_N6thrust23THRUST_200600_302600_NS6detail15normal_iteratorINS8_10device_ptrIjEEEEPjj9plus_mod3IjEEE10hipError_tPvRmT1_T2_T3_mT4_P12ihipStream_tbEUlT_E0_NS1_11comp_targetILNS1_3genE10ELNS1_11target_archE1201ELNS1_3gpuE5ELNS1_3repE0EEENS1_30default_config_static_selectorELNS0_4arch9wavefront6targetE1EEEvSK_.num_agpr, 0
	.set _ZN7rocprim17ROCPRIM_400000_NS6detail17trampoline_kernelINS0_14default_configENS1_22reduce_config_selectorIjEEZNS1_11reduce_implILb1ES3_N6thrust23THRUST_200600_302600_NS6detail15normal_iteratorINS8_10device_ptrIjEEEEPjj9plus_mod3IjEEE10hipError_tPvRmT1_T2_T3_mT4_P12ihipStream_tbEUlT_E0_NS1_11comp_targetILNS1_3genE10ELNS1_11target_archE1201ELNS1_3gpuE5ELNS1_3repE0EEENS1_30default_config_static_selectorELNS0_4arch9wavefront6targetE1EEEvSK_.numbered_sgpr, 0
	.set _ZN7rocprim17ROCPRIM_400000_NS6detail17trampoline_kernelINS0_14default_configENS1_22reduce_config_selectorIjEEZNS1_11reduce_implILb1ES3_N6thrust23THRUST_200600_302600_NS6detail15normal_iteratorINS8_10device_ptrIjEEEEPjj9plus_mod3IjEEE10hipError_tPvRmT1_T2_T3_mT4_P12ihipStream_tbEUlT_E0_NS1_11comp_targetILNS1_3genE10ELNS1_11target_archE1201ELNS1_3gpuE5ELNS1_3repE0EEENS1_30default_config_static_selectorELNS0_4arch9wavefront6targetE1EEEvSK_.num_named_barrier, 0
	.set _ZN7rocprim17ROCPRIM_400000_NS6detail17trampoline_kernelINS0_14default_configENS1_22reduce_config_selectorIjEEZNS1_11reduce_implILb1ES3_N6thrust23THRUST_200600_302600_NS6detail15normal_iteratorINS8_10device_ptrIjEEEEPjj9plus_mod3IjEEE10hipError_tPvRmT1_T2_T3_mT4_P12ihipStream_tbEUlT_E0_NS1_11comp_targetILNS1_3genE10ELNS1_11target_archE1201ELNS1_3gpuE5ELNS1_3repE0EEENS1_30default_config_static_selectorELNS0_4arch9wavefront6targetE1EEEvSK_.private_seg_size, 0
	.set _ZN7rocprim17ROCPRIM_400000_NS6detail17trampoline_kernelINS0_14default_configENS1_22reduce_config_selectorIjEEZNS1_11reduce_implILb1ES3_N6thrust23THRUST_200600_302600_NS6detail15normal_iteratorINS8_10device_ptrIjEEEEPjj9plus_mod3IjEEE10hipError_tPvRmT1_T2_T3_mT4_P12ihipStream_tbEUlT_E0_NS1_11comp_targetILNS1_3genE10ELNS1_11target_archE1201ELNS1_3gpuE5ELNS1_3repE0EEENS1_30default_config_static_selectorELNS0_4arch9wavefront6targetE1EEEvSK_.uses_vcc, 0
	.set _ZN7rocprim17ROCPRIM_400000_NS6detail17trampoline_kernelINS0_14default_configENS1_22reduce_config_selectorIjEEZNS1_11reduce_implILb1ES3_N6thrust23THRUST_200600_302600_NS6detail15normal_iteratorINS8_10device_ptrIjEEEEPjj9plus_mod3IjEEE10hipError_tPvRmT1_T2_T3_mT4_P12ihipStream_tbEUlT_E0_NS1_11comp_targetILNS1_3genE10ELNS1_11target_archE1201ELNS1_3gpuE5ELNS1_3repE0EEENS1_30default_config_static_selectorELNS0_4arch9wavefront6targetE1EEEvSK_.uses_flat_scratch, 0
	.set _ZN7rocprim17ROCPRIM_400000_NS6detail17trampoline_kernelINS0_14default_configENS1_22reduce_config_selectorIjEEZNS1_11reduce_implILb1ES3_N6thrust23THRUST_200600_302600_NS6detail15normal_iteratorINS8_10device_ptrIjEEEEPjj9plus_mod3IjEEE10hipError_tPvRmT1_T2_T3_mT4_P12ihipStream_tbEUlT_E0_NS1_11comp_targetILNS1_3genE10ELNS1_11target_archE1201ELNS1_3gpuE5ELNS1_3repE0EEENS1_30default_config_static_selectorELNS0_4arch9wavefront6targetE1EEEvSK_.has_dyn_sized_stack, 0
	.set _ZN7rocprim17ROCPRIM_400000_NS6detail17trampoline_kernelINS0_14default_configENS1_22reduce_config_selectorIjEEZNS1_11reduce_implILb1ES3_N6thrust23THRUST_200600_302600_NS6detail15normal_iteratorINS8_10device_ptrIjEEEEPjj9plus_mod3IjEEE10hipError_tPvRmT1_T2_T3_mT4_P12ihipStream_tbEUlT_E0_NS1_11comp_targetILNS1_3genE10ELNS1_11target_archE1201ELNS1_3gpuE5ELNS1_3repE0EEENS1_30default_config_static_selectorELNS0_4arch9wavefront6targetE1EEEvSK_.has_recursion, 0
	.set _ZN7rocprim17ROCPRIM_400000_NS6detail17trampoline_kernelINS0_14default_configENS1_22reduce_config_selectorIjEEZNS1_11reduce_implILb1ES3_N6thrust23THRUST_200600_302600_NS6detail15normal_iteratorINS8_10device_ptrIjEEEEPjj9plus_mod3IjEEE10hipError_tPvRmT1_T2_T3_mT4_P12ihipStream_tbEUlT_E0_NS1_11comp_targetILNS1_3genE10ELNS1_11target_archE1201ELNS1_3gpuE5ELNS1_3repE0EEENS1_30default_config_static_selectorELNS0_4arch9wavefront6targetE1EEEvSK_.has_indirect_call, 0
	.section	.AMDGPU.csdata,"",@progbits
; Kernel info:
; codeLenInByte = 0
; TotalNumSgprs: 6
; NumVgprs: 0
; NumAgprs: 0
; TotalNumVgprs: 0
; ScratchSize: 0
; MemoryBound: 0
; FloatMode: 240
; IeeeMode: 1
; LDSByteSize: 0 bytes/workgroup (compile time only)
; SGPRBlocks: 0
; VGPRBlocks: 0
; NumSGPRsForWavesPerEU: 6
; NumVGPRsForWavesPerEU: 1
; AccumOffset: 4
; Occupancy: 8
; WaveLimiterHint : 0
; COMPUTE_PGM_RSRC2:SCRATCH_EN: 0
; COMPUTE_PGM_RSRC2:USER_SGPR: 2
; COMPUTE_PGM_RSRC2:TRAP_HANDLER: 0
; COMPUTE_PGM_RSRC2:TGID_X_EN: 1
; COMPUTE_PGM_RSRC2:TGID_Y_EN: 0
; COMPUTE_PGM_RSRC2:TGID_Z_EN: 0
; COMPUTE_PGM_RSRC2:TIDIG_COMP_CNT: 0
; COMPUTE_PGM_RSRC3_GFX90A:ACCUM_OFFSET: 0
; COMPUTE_PGM_RSRC3_GFX90A:TG_SPLIT: 0
	.section	.text._ZN7rocprim17ROCPRIM_400000_NS6detail17trampoline_kernelINS0_14default_configENS1_22reduce_config_selectorIjEEZNS1_11reduce_implILb1ES3_N6thrust23THRUST_200600_302600_NS6detail15normal_iteratorINS8_10device_ptrIjEEEEPjj9plus_mod3IjEEE10hipError_tPvRmT1_T2_T3_mT4_P12ihipStream_tbEUlT_E0_NS1_11comp_targetILNS1_3genE10ELNS1_11target_archE1200ELNS1_3gpuE4ELNS1_3repE0EEENS1_30default_config_static_selectorELNS0_4arch9wavefront6targetE1EEEvSK_,"axG",@progbits,_ZN7rocprim17ROCPRIM_400000_NS6detail17trampoline_kernelINS0_14default_configENS1_22reduce_config_selectorIjEEZNS1_11reduce_implILb1ES3_N6thrust23THRUST_200600_302600_NS6detail15normal_iteratorINS8_10device_ptrIjEEEEPjj9plus_mod3IjEEE10hipError_tPvRmT1_T2_T3_mT4_P12ihipStream_tbEUlT_E0_NS1_11comp_targetILNS1_3genE10ELNS1_11target_archE1200ELNS1_3gpuE4ELNS1_3repE0EEENS1_30default_config_static_selectorELNS0_4arch9wavefront6targetE1EEEvSK_,comdat
	.protected	_ZN7rocprim17ROCPRIM_400000_NS6detail17trampoline_kernelINS0_14default_configENS1_22reduce_config_selectorIjEEZNS1_11reduce_implILb1ES3_N6thrust23THRUST_200600_302600_NS6detail15normal_iteratorINS8_10device_ptrIjEEEEPjj9plus_mod3IjEEE10hipError_tPvRmT1_T2_T3_mT4_P12ihipStream_tbEUlT_E0_NS1_11comp_targetILNS1_3genE10ELNS1_11target_archE1200ELNS1_3gpuE4ELNS1_3repE0EEENS1_30default_config_static_selectorELNS0_4arch9wavefront6targetE1EEEvSK_ ; -- Begin function _ZN7rocprim17ROCPRIM_400000_NS6detail17trampoline_kernelINS0_14default_configENS1_22reduce_config_selectorIjEEZNS1_11reduce_implILb1ES3_N6thrust23THRUST_200600_302600_NS6detail15normal_iteratorINS8_10device_ptrIjEEEEPjj9plus_mod3IjEEE10hipError_tPvRmT1_T2_T3_mT4_P12ihipStream_tbEUlT_E0_NS1_11comp_targetILNS1_3genE10ELNS1_11target_archE1200ELNS1_3gpuE4ELNS1_3repE0EEENS1_30default_config_static_selectorELNS0_4arch9wavefront6targetE1EEEvSK_
	.globl	_ZN7rocprim17ROCPRIM_400000_NS6detail17trampoline_kernelINS0_14default_configENS1_22reduce_config_selectorIjEEZNS1_11reduce_implILb1ES3_N6thrust23THRUST_200600_302600_NS6detail15normal_iteratorINS8_10device_ptrIjEEEEPjj9plus_mod3IjEEE10hipError_tPvRmT1_T2_T3_mT4_P12ihipStream_tbEUlT_E0_NS1_11comp_targetILNS1_3genE10ELNS1_11target_archE1200ELNS1_3gpuE4ELNS1_3repE0EEENS1_30default_config_static_selectorELNS0_4arch9wavefront6targetE1EEEvSK_
	.p2align	8
	.type	_ZN7rocprim17ROCPRIM_400000_NS6detail17trampoline_kernelINS0_14default_configENS1_22reduce_config_selectorIjEEZNS1_11reduce_implILb1ES3_N6thrust23THRUST_200600_302600_NS6detail15normal_iteratorINS8_10device_ptrIjEEEEPjj9plus_mod3IjEEE10hipError_tPvRmT1_T2_T3_mT4_P12ihipStream_tbEUlT_E0_NS1_11comp_targetILNS1_3genE10ELNS1_11target_archE1200ELNS1_3gpuE4ELNS1_3repE0EEENS1_30default_config_static_selectorELNS0_4arch9wavefront6targetE1EEEvSK_,@function
_ZN7rocprim17ROCPRIM_400000_NS6detail17trampoline_kernelINS0_14default_configENS1_22reduce_config_selectorIjEEZNS1_11reduce_implILb1ES3_N6thrust23THRUST_200600_302600_NS6detail15normal_iteratorINS8_10device_ptrIjEEEEPjj9plus_mod3IjEEE10hipError_tPvRmT1_T2_T3_mT4_P12ihipStream_tbEUlT_E0_NS1_11comp_targetILNS1_3genE10ELNS1_11target_archE1200ELNS1_3gpuE4ELNS1_3repE0EEENS1_30default_config_static_selectorELNS0_4arch9wavefront6targetE1EEEvSK_: ; @_ZN7rocprim17ROCPRIM_400000_NS6detail17trampoline_kernelINS0_14default_configENS1_22reduce_config_selectorIjEEZNS1_11reduce_implILb1ES3_N6thrust23THRUST_200600_302600_NS6detail15normal_iteratorINS8_10device_ptrIjEEEEPjj9plus_mod3IjEEE10hipError_tPvRmT1_T2_T3_mT4_P12ihipStream_tbEUlT_E0_NS1_11comp_targetILNS1_3genE10ELNS1_11target_archE1200ELNS1_3gpuE4ELNS1_3repE0EEENS1_30default_config_static_selectorELNS0_4arch9wavefront6targetE1EEEvSK_
; %bb.0:
	.section	.rodata,"a",@progbits
	.p2align	6, 0x0
	.amdhsa_kernel _ZN7rocprim17ROCPRIM_400000_NS6detail17trampoline_kernelINS0_14default_configENS1_22reduce_config_selectorIjEEZNS1_11reduce_implILb1ES3_N6thrust23THRUST_200600_302600_NS6detail15normal_iteratorINS8_10device_ptrIjEEEEPjj9plus_mod3IjEEE10hipError_tPvRmT1_T2_T3_mT4_P12ihipStream_tbEUlT_E0_NS1_11comp_targetILNS1_3genE10ELNS1_11target_archE1200ELNS1_3gpuE4ELNS1_3repE0EEENS1_30default_config_static_selectorELNS0_4arch9wavefront6targetE1EEEvSK_
		.amdhsa_group_segment_fixed_size 0
		.amdhsa_private_segment_fixed_size 0
		.amdhsa_kernarg_size 64
		.amdhsa_user_sgpr_count 2
		.amdhsa_user_sgpr_dispatch_ptr 0
		.amdhsa_user_sgpr_queue_ptr 0
		.amdhsa_user_sgpr_kernarg_segment_ptr 1
		.amdhsa_user_sgpr_dispatch_id 0
		.amdhsa_user_sgpr_kernarg_preload_length 0
		.amdhsa_user_sgpr_kernarg_preload_offset 0
		.amdhsa_user_sgpr_private_segment_size 0
		.amdhsa_uses_dynamic_stack 0
		.amdhsa_enable_private_segment 0
		.amdhsa_system_sgpr_workgroup_id_x 1
		.amdhsa_system_sgpr_workgroup_id_y 0
		.amdhsa_system_sgpr_workgroup_id_z 0
		.amdhsa_system_sgpr_workgroup_info 0
		.amdhsa_system_vgpr_workitem_id 0
		.amdhsa_next_free_vgpr 1
		.amdhsa_next_free_sgpr 0
		.amdhsa_accum_offset 4
		.amdhsa_reserve_vcc 0
		.amdhsa_float_round_mode_32 0
		.amdhsa_float_round_mode_16_64 0
		.amdhsa_float_denorm_mode_32 3
		.amdhsa_float_denorm_mode_16_64 3
		.amdhsa_dx10_clamp 1
		.amdhsa_ieee_mode 1
		.amdhsa_fp16_overflow 0
		.amdhsa_tg_split 0
		.amdhsa_exception_fp_ieee_invalid_op 0
		.amdhsa_exception_fp_denorm_src 0
		.amdhsa_exception_fp_ieee_div_zero 0
		.amdhsa_exception_fp_ieee_overflow 0
		.amdhsa_exception_fp_ieee_underflow 0
		.amdhsa_exception_fp_ieee_inexact 0
		.amdhsa_exception_int_div_zero 0
	.end_amdhsa_kernel
	.section	.text._ZN7rocprim17ROCPRIM_400000_NS6detail17trampoline_kernelINS0_14default_configENS1_22reduce_config_selectorIjEEZNS1_11reduce_implILb1ES3_N6thrust23THRUST_200600_302600_NS6detail15normal_iteratorINS8_10device_ptrIjEEEEPjj9plus_mod3IjEEE10hipError_tPvRmT1_T2_T3_mT4_P12ihipStream_tbEUlT_E0_NS1_11comp_targetILNS1_3genE10ELNS1_11target_archE1200ELNS1_3gpuE4ELNS1_3repE0EEENS1_30default_config_static_selectorELNS0_4arch9wavefront6targetE1EEEvSK_,"axG",@progbits,_ZN7rocprim17ROCPRIM_400000_NS6detail17trampoline_kernelINS0_14default_configENS1_22reduce_config_selectorIjEEZNS1_11reduce_implILb1ES3_N6thrust23THRUST_200600_302600_NS6detail15normal_iteratorINS8_10device_ptrIjEEEEPjj9plus_mod3IjEEE10hipError_tPvRmT1_T2_T3_mT4_P12ihipStream_tbEUlT_E0_NS1_11comp_targetILNS1_3genE10ELNS1_11target_archE1200ELNS1_3gpuE4ELNS1_3repE0EEENS1_30default_config_static_selectorELNS0_4arch9wavefront6targetE1EEEvSK_,comdat
.Lfunc_end827:
	.size	_ZN7rocprim17ROCPRIM_400000_NS6detail17trampoline_kernelINS0_14default_configENS1_22reduce_config_selectorIjEEZNS1_11reduce_implILb1ES3_N6thrust23THRUST_200600_302600_NS6detail15normal_iteratorINS8_10device_ptrIjEEEEPjj9plus_mod3IjEEE10hipError_tPvRmT1_T2_T3_mT4_P12ihipStream_tbEUlT_E0_NS1_11comp_targetILNS1_3genE10ELNS1_11target_archE1200ELNS1_3gpuE4ELNS1_3repE0EEENS1_30default_config_static_selectorELNS0_4arch9wavefront6targetE1EEEvSK_, .Lfunc_end827-_ZN7rocprim17ROCPRIM_400000_NS6detail17trampoline_kernelINS0_14default_configENS1_22reduce_config_selectorIjEEZNS1_11reduce_implILb1ES3_N6thrust23THRUST_200600_302600_NS6detail15normal_iteratorINS8_10device_ptrIjEEEEPjj9plus_mod3IjEEE10hipError_tPvRmT1_T2_T3_mT4_P12ihipStream_tbEUlT_E0_NS1_11comp_targetILNS1_3genE10ELNS1_11target_archE1200ELNS1_3gpuE4ELNS1_3repE0EEENS1_30default_config_static_selectorELNS0_4arch9wavefront6targetE1EEEvSK_
                                        ; -- End function
	.set _ZN7rocprim17ROCPRIM_400000_NS6detail17trampoline_kernelINS0_14default_configENS1_22reduce_config_selectorIjEEZNS1_11reduce_implILb1ES3_N6thrust23THRUST_200600_302600_NS6detail15normal_iteratorINS8_10device_ptrIjEEEEPjj9plus_mod3IjEEE10hipError_tPvRmT1_T2_T3_mT4_P12ihipStream_tbEUlT_E0_NS1_11comp_targetILNS1_3genE10ELNS1_11target_archE1200ELNS1_3gpuE4ELNS1_3repE0EEENS1_30default_config_static_selectorELNS0_4arch9wavefront6targetE1EEEvSK_.num_vgpr, 0
	.set _ZN7rocprim17ROCPRIM_400000_NS6detail17trampoline_kernelINS0_14default_configENS1_22reduce_config_selectorIjEEZNS1_11reduce_implILb1ES3_N6thrust23THRUST_200600_302600_NS6detail15normal_iteratorINS8_10device_ptrIjEEEEPjj9plus_mod3IjEEE10hipError_tPvRmT1_T2_T3_mT4_P12ihipStream_tbEUlT_E0_NS1_11comp_targetILNS1_3genE10ELNS1_11target_archE1200ELNS1_3gpuE4ELNS1_3repE0EEENS1_30default_config_static_selectorELNS0_4arch9wavefront6targetE1EEEvSK_.num_agpr, 0
	.set _ZN7rocprim17ROCPRIM_400000_NS6detail17trampoline_kernelINS0_14default_configENS1_22reduce_config_selectorIjEEZNS1_11reduce_implILb1ES3_N6thrust23THRUST_200600_302600_NS6detail15normal_iteratorINS8_10device_ptrIjEEEEPjj9plus_mod3IjEEE10hipError_tPvRmT1_T2_T3_mT4_P12ihipStream_tbEUlT_E0_NS1_11comp_targetILNS1_3genE10ELNS1_11target_archE1200ELNS1_3gpuE4ELNS1_3repE0EEENS1_30default_config_static_selectorELNS0_4arch9wavefront6targetE1EEEvSK_.numbered_sgpr, 0
	.set _ZN7rocprim17ROCPRIM_400000_NS6detail17trampoline_kernelINS0_14default_configENS1_22reduce_config_selectorIjEEZNS1_11reduce_implILb1ES3_N6thrust23THRUST_200600_302600_NS6detail15normal_iteratorINS8_10device_ptrIjEEEEPjj9plus_mod3IjEEE10hipError_tPvRmT1_T2_T3_mT4_P12ihipStream_tbEUlT_E0_NS1_11comp_targetILNS1_3genE10ELNS1_11target_archE1200ELNS1_3gpuE4ELNS1_3repE0EEENS1_30default_config_static_selectorELNS0_4arch9wavefront6targetE1EEEvSK_.num_named_barrier, 0
	.set _ZN7rocprim17ROCPRIM_400000_NS6detail17trampoline_kernelINS0_14default_configENS1_22reduce_config_selectorIjEEZNS1_11reduce_implILb1ES3_N6thrust23THRUST_200600_302600_NS6detail15normal_iteratorINS8_10device_ptrIjEEEEPjj9plus_mod3IjEEE10hipError_tPvRmT1_T2_T3_mT4_P12ihipStream_tbEUlT_E0_NS1_11comp_targetILNS1_3genE10ELNS1_11target_archE1200ELNS1_3gpuE4ELNS1_3repE0EEENS1_30default_config_static_selectorELNS0_4arch9wavefront6targetE1EEEvSK_.private_seg_size, 0
	.set _ZN7rocprim17ROCPRIM_400000_NS6detail17trampoline_kernelINS0_14default_configENS1_22reduce_config_selectorIjEEZNS1_11reduce_implILb1ES3_N6thrust23THRUST_200600_302600_NS6detail15normal_iteratorINS8_10device_ptrIjEEEEPjj9plus_mod3IjEEE10hipError_tPvRmT1_T2_T3_mT4_P12ihipStream_tbEUlT_E0_NS1_11comp_targetILNS1_3genE10ELNS1_11target_archE1200ELNS1_3gpuE4ELNS1_3repE0EEENS1_30default_config_static_selectorELNS0_4arch9wavefront6targetE1EEEvSK_.uses_vcc, 0
	.set _ZN7rocprim17ROCPRIM_400000_NS6detail17trampoline_kernelINS0_14default_configENS1_22reduce_config_selectorIjEEZNS1_11reduce_implILb1ES3_N6thrust23THRUST_200600_302600_NS6detail15normal_iteratorINS8_10device_ptrIjEEEEPjj9plus_mod3IjEEE10hipError_tPvRmT1_T2_T3_mT4_P12ihipStream_tbEUlT_E0_NS1_11comp_targetILNS1_3genE10ELNS1_11target_archE1200ELNS1_3gpuE4ELNS1_3repE0EEENS1_30default_config_static_selectorELNS0_4arch9wavefront6targetE1EEEvSK_.uses_flat_scratch, 0
	.set _ZN7rocprim17ROCPRIM_400000_NS6detail17trampoline_kernelINS0_14default_configENS1_22reduce_config_selectorIjEEZNS1_11reduce_implILb1ES3_N6thrust23THRUST_200600_302600_NS6detail15normal_iteratorINS8_10device_ptrIjEEEEPjj9plus_mod3IjEEE10hipError_tPvRmT1_T2_T3_mT4_P12ihipStream_tbEUlT_E0_NS1_11comp_targetILNS1_3genE10ELNS1_11target_archE1200ELNS1_3gpuE4ELNS1_3repE0EEENS1_30default_config_static_selectorELNS0_4arch9wavefront6targetE1EEEvSK_.has_dyn_sized_stack, 0
	.set _ZN7rocprim17ROCPRIM_400000_NS6detail17trampoline_kernelINS0_14default_configENS1_22reduce_config_selectorIjEEZNS1_11reduce_implILb1ES3_N6thrust23THRUST_200600_302600_NS6detail15normal_iteratorINS8_10device_ptrIjEEEEPjj9plus_mod3IjEEE10hipError_tPvRmT1_T2_T3_mT4_P12ihipStream_tbEUlT_E0_NS1_11comp_targetILNS1_3genE10ELNS1_11target_archE1200ELNS1_3gpuE4ELNS1_3repE0EEENS1_30default_config_static_selectorELNS0_4arch9wavefront6targetE1EEEvSK_.has_recursion, 0
	.set _ZN7rocprim17ROCPRIM_400000_NS6detail17trampoline_kernelINS0_14default_configENS1_22reduce_config_selectorIjEEZNS1_11reduce_implILb1ES3_N6thrust23THRUST_200600_302600_NS6detail15normal_iteratorINS8_10device_ptrIjEEEEPjj9plus_mod3IjEEE10hipError_tPvRmT1_T2_T3_mT4_P12ihipStream_tbEUlT_E0_NS1_11comp_targetILNS1_3genE10ELNS1_11target_archE1200ELNS1_3gpuE4ELNS1_3repE0EEENS1_30default_config_static_selectorELNS0_4arch9wavefront6targetE1EEEvSK_.has_indirect_call, 0
	.section	.AMDGPU.csdata,"",@progbits
; Kernel info:
; codeLenInByte = 0
; TotalNumSgprs: 6
; NumVgprs: 0
; NumAgprs: 0
; TotalNumVgprs: 0
; ScratchSize: 0
; MemoryBound: 0
; FloatMode: 240
; IeeeMode: 1
; LDSByteSize: 0 bytes/workgroup (compile time only)
; SGPRBlocks: 0
; VGPRBlocks: 0
; NumSGPRsForWavesPerEU: 6
; NumVGPRsForWavesPerEU: 1
; AccumOffset: 4
; Occupancy: 8
; WaveLimiterHint : 0
; COMPUTE_PGM_RSRC2:SCRATCH_EN: 0
; COMPUTE_PGM_RSRC2:USER_SGPR: 2
; COMPUTE_PGM_RSRC2:TRAP_HANDLER: 0
; COMPUTE_PGM_RSRC2:TGID_X_EN: 1
; COMPUTE_PGM_RSRC2:TGID_Y_EN: 0
; COMPUTE_PGM_RSRC2:TGID_Z_EN: 0
; COMPUTE_PGM_RSRC2:TIDIG_COMP_CNT: 0
; COMPUTE_PGM_RSRC3_GFX90A:ACCUM_OFFSET: 0
; COMPUTE_PGM_RSRC3_GFX90A:TG_SPLIT: 0
	.section	.text._ZN7rocprim17ROCPRIM_400000_NS6detail17trampoline_kernelINS0_14default_configENS1_22reduce_config_selectorIjEEZNS1_11reduce_implILb1ES3_N6thrust23THRUST_200600_302600_NS6detail15normal_iteratorINS8_10device_ptrIjEEEEPjj9plus_mod3IjEEE10hipError_tPvRmT1_T2_T3_mT4_P12ihipStream_tbEUlT_E0_NS1_11comp_targetILNS1_3genE9ELNS1_11target_archE1100ELNS1_3gpuE3ELNS1_3repE0EEENS1_30default_config_static_selectorELNS0_4arch9wavefront6targetE1EEEvSK_,"axG",@progbits,_ZN7rocprim17ROCPRIM_400000_NS6detail17trampoline_kernelINS0_14default_configENS1_22reduce_config_selectorIjEEZNS1_11reduce_implILb1ES3_N6thrust23THRUST_200600_302600_NS6detail15normal_iteratorINS8_10device_ptrIjEEEEPjj9plus_mod3IjEEE10hipError_tPvRmT1_T2_T3_mT4_P12ihipStream_tbEUlT_E0_NS1_11comp_targetILNS1_3genE9ELNS1_11target_archE1100ELNS1_3gpuE3ELNS1_3repE0EEENS1_30default_config_static_selectorELNS0_4arch9wavefront6targetE1EEEvSK_,comdat
	.protected	_ZN7rocprim17ROCPRIM_400000_NS6detail17trampoline_kernelINS0_14default_configENS1_22reduce_config_selectorIjEEZNS1_11reduce_implILb1ES3_N6thrust23THRUST_200600_302600_NS6detail15normal_iteratorINS8_10device_ptrIjEEEEPjj9plus_mod3IjEEE10hipError_tPvRmT1_T2_T3_mT4_P12ihipStream_tbEUlT_E0_NS1_11comp_targetILNS1_3genE9ELNS1_11target_archE1100ELNS1_3gpuE3ELNS1_3repE0EEENS1_30default_config_static_selectorELNS0_4arch9wavefront6targetE1EEEvSK_ ; -- Begin function _ZN7rocprim17ROCPRIM_400000_NS6detail17trampoline_kernelINS0_14default_configENS1_22reduce_config_selectorIjEEZNS1_11reduce_implILb1ES3_N6thrust23THRUST_200600_302600_NS6detail15normal_iteratorINS8_10device_ptrIjEEEEPjj9plus_mod3IjEEE10hipError_tPvRmT1_T2_T3_mT4_P12ihipStream_tbEUlT_E0_NS1_11comp_targetILNS1_3genE9ELNS1_11target_archE1100ELNS1_3gpuE3ELNS1_3repE0EEENS1_30default_config_static_selectorELNS0_4arch9wavefront6targetE1EEEvSK_
	.globl	_ZN7rocprim17ROCPRIM_400000_NS6detail17trampoline_kernelINS0_14default_configENS1_22reduce_config_selectorIjEEZNS1_11reduce_implILb1ES3_N6thrust23THRUST_200600_302600_NS6detail15normal_iteratorINS8_10device_ptrIjEEEEPjj9plus_mod3IjEEE10hipError_tPvRmT1_T2_T3_mT4_P12ihipStream_tbEUlT_E0_NS1_11comp_targetILNS1_3genE9ELNS1_11target_archE1100ELNS1_3gpuE3ELNS1_3repE0EEENS1_30default_config_static_selectorELNS0_4arch9wavefront6targetE1EEEvSK_
	.p2align	8
	.type	_ZN7rocprim17ROCPRIM_400000_NS6detail17trampoline_kernelINS0_14default_configENS1_22reduce_config_selectorIjEEZNS1_11reduce_implILb1ES3_N6thrust23THRUST_200600_302600_NS6detail15normal_iteratorINS8_10device_ptrIjEEEEPjj9plus_mod3IjEEE10hipError_tPvRmT1_T2_T3_mT4_P12ihipStream_tbEUlT_E0_NS1_11comp_targetILNS1_3genE9ELNS1_11target_archE1100ELNS1_3gpuE3ELNS1_3repE0EEENS1_30default_config_static_selectorELNS0_4arch9wavefront6targetE1EEEvSK_,@function
_ZN7rocprim17ROCPRIM_400000_NS6detail17trampoline_kernelINS0_14default_configENS1_22reduce_config_selectorIjEEZNS1_11reduce_implILb1ES3_N6thrust23THRUST_200600_302600_NS6detail15normal_iteratorINS8_10device_ptrIjEEEEPjj9plus_mod3IjEEE10hipError_tPvRmT1_T2_T3_mT4_P12ihipStream_tbEUlT_E0_NS1_11comp_targetILNS1_3genE9ELNS1_11target_archE1100ELNS1_3gpuE3ELNS1_3repE0EEENS1_30default_config_static_selectorELNS0_4arch9wavefront6targetE1EEEvSK_: ; @_ZN7rocprim17ROCPRIM_400000_NS6detail17trampoline_kernelINS0_14default_configENS1_22reduce_config_selectorIjEEZNS1_11reduce_implILb1ES3_N6thrust23THRUST_200600_302600_NS6detail15normal_iteratorINS8_10device_ptrIjEEEEPjj9plus_mod3IjEEE10hipError_tPvRmT1_T2_T3_mT4_P12ihipStream_tbEUlT_E0_NS1_11comp_targetILNS1_3genE9ELNS1_11target_archE1100ELNS1_3gpuE3ELNS1_3repE0EEENS1_30default_config_static_selectorELNS0_4arch9wavefront6targetE1EEEvSK_
; %bb.0:
	.section	.rodata,"a",@progbits
	.p2align	6, 0x0
	.amdhsa_kernel _ZN7rocprim17ROCPRIM_400000_NS6detail17trampoline_kernelINS0_14default_configENS1_22reduce_config_selectorIjEEZNS1_11reduce_implILb1ES3_N6thrust23THRUST_200600_302600_NS6detail15normal_iteratorINS8_10device_ptrIjEEEEPjj9plus_mod3IjEEE10hipError_tPvRmT1_T2_T3_mT4_P12ihipStream_tbEUlT_E0_NS1_11comp_targetILNS1_3genE9ELNS1_11target_archE1100ELNS1_3gpuE3ELNS1_3repE0EEENS1_30default_config_static_selectorELNS0_4arch9wavefront6targetE1EEEvSK_
		.amdhsa_group_segment_fixed_size 0
		.amdhsa_private_segment_fixed_size 0
		.amdhsa_kernarg_size 64
		.amdhsa_user_sgpr_count 2
		.amdhsa_user_sgpr_dispatch_ptr 0
		.amdhsa_user_sgpr_queue_ptr 0
		.amdhsa_user_sgpr_kernarg_segment_ptr 1
		.amdhsa_user_sgpr_dispatch_id 0
		.amdhsa_user_sgpr_kernarg_preload_length 0
		.amdhsa_user_sgpr_kernarg_preload_offset 0
		.amdhsa_user_sgpr_private_segment_size 0
		.amdhsa_uses_dynamic_stack 0
		.amdhsa_enable_private_segment 0
		.amdhsa_system_sgpr_workgroup_id_x 1
		.amdhsa_system_sgpr_workgroup_id_y 0
		.amdhsa_system_sgpr_workgroup_id_z 0
		.amdhsa_system_sgpr_workgroup_info 0
		.amdhsa_system_vgpr_workitem_id 0
		.amdhsa_next_free_vgpr 1
		.amdhsa_next_free_sgpr 0
		.amdhsa_accum_offset 4
		.amdhsa_reserve_vcc 0
		.amdhsa_float_round_mode_32 0
		.amdhsa_float_round_mode_16_64 0
		.amdhsa_float_denorm_mode_32 3
		.amdhsa_float_denorm_mode_16_64 3
		.amdhsa_dx10_clamp 1
		.amdhsa_ieee_mode 1
		.amdhsa_fp16_overflow 0
		.amdhsa_tg_split 0
		.amdhsa_exception_fp_ieee_invalid_op 0
		.amdhsa_exception_fp_denorm_src 0
		.amdhsa_exception_fp_ieee_div_zero 0
		.amdhsa_exception_fp_ieee_overflow 0
		.amdhsa_exception_fp_ieee_underflow 0
		.amdhsa_exception_fp_ieee_inexact 0
		.amdhsa_exception_int_div_zero 0
	.end_amdhsa_kernel
	.section	.text._ZN7rocprim17ROCPRIM_400000_NS6detail17trampoline_kernelINS0_14default_configENS1_22reduce_config_selectorIjEEZNS1_11reduce_implILb1ES3_N6thrust23THRUST_200600_302600_NS6detail15normal_iteratorINS8_10device_ptrIjEEEEPjj9plus_mod3IjEEE10hipError_tPvRmT1_T2_T3_mT4_P12ihipStream_tbEUlT_E0_NS1_11comp_targetILNS1_3genE9ELNS1_11target_archE1100ELNS1_3gpuE3ELNS1_3repE0EEENS1_30default_config_static_selectorELNS0_4arch9wavefront6targetE1EEEvSK_,"axG",@progbits,_ZN7rocprim17ROCPRIM_400000_NS6detail17trampoline_kernelINS0_14default_configENS1_22reduce_config_selectorIjEEZNS1_11reduce_implILb1ES3_N6thrust23THRUST_200600_302600_NS6detail15normal_iteratorINS8_10device_ptrIjEEEEPjj9plus_mod3IjEEE10hipError_tPvRmT1_T2_T3_mT4_P12ihipStream_tbEUlT_E0_NS1_11comp_targetILNS1_3genE9ELNS1_11target_archE1100ELNS1_3gpuE3ELNS1_3repE0EEENS1_30default_config_static_selectorELNS0_4arch9wavefront6targetE1EEEvSK_,comdat
.Lfunc_end828:
	.size	_ZN7rocprim17ROCPRIM_400000_NS6detail17trampoline_kernelINS0_14default_configENS1_22reduce_config_selectorIjEEZNS1_11reduce_implILb1ES3_N6thrust23THRUST_200600_302600_NS6detail15normal_iteratorINS8_10device_ptrIjEEEEPjj9plus_mod3IjEEE10hipError_tPvRmT1_T2_T3_mT4_P12ihipStream_tbEUlT_E0_NS1_11comp_targetILNS1_3genE9ELNS1_11target_archE1100ELNS1_3gpuE3ELNS1_3repE0EEENS1_30default_config_static_selectorELNS0_4arch9wavefront6targetE1EEEvSK_, .Lfunc_end828-_ZN7rocprim17ROCPRIM_400000_NS6detail17trampoline_kernelINS0_14default_configENS1_22reduce_config_selectorIjEEZNS1_11reduce_implILb1ES3_N6thrust23THRUST_200600_302600_NS6detail15normal_iteratorINS8_10device_ptrIjEEEEPjj9plus_mod3IjEEE10hipError_tPvRmT1_T2_T3_mT4_P12ihipStream_tbEUlT_E0_NS1_11comp_targetILNS1_3genE9ELNS1_11target_archE1100ELNS1_3gpuE3ELNS1_3repE0EEENS1_30default_config_static_selectorELNS0_4arch9wavefront6targetE1EEEvSK_
                                        ; -- End function
	.set _ZN7rocprim17ROCPRIM_400000_NS6detail17trampoline_kernelINS0_14default_configENS1_22reduce_config_selectorIjEEZNS1_11reduce_implILb1ES3_N6thrust23THRUST_200600_302600_NS6detail15normal_iteratorINS8_10device_ptrIjEEEEPjj9plus_mod3IjEEE10hipError_tPvRmT1_T2_T3_mT4_P12ihipStream_tbEUlT_E0_NS1_11comp_targetILNS1_3genE9ELNS1_11target_archE1100ELNS1_3gpuE3ELNS1_3repE0EEENS1_30default_config_static_selectorELNS0_4arch9wavefront6targetE1EEEvSK_.num_vgpr, 0
	.set _ZN7rocprim17ROCPRIM_400000_NS6detail17trampoline_kernelINS0_14default_configENS1_22reduce_config_selectorIjEEZNS1_11reduce_implILb1ES3_N6thrust23THRUST_200600_302600_NS6detail15normal_iteratorINS8_10device_ptrIjEEEEPjj9plus_mod3IjEEE10hipError_tPvRmT1_T2_T3_mT4_P12ihipStream_tbEUlT_E0_NS1_11comp_targetILNS1_3genE9ELNS1_11target_archE1100ELNS1_3gpuE3ELNS1_3repE0EEENS1_30default_config_static_selectorELNS0_4arch9wavefront6targetE1EEEvSK_.num_agpr, 0
	.set _ZN7rocprim17ROCPRIM_400000_NS6detail17trampoline_kernelINS0_14default_configENS1_22reduce_config_selectorIjEEZNS1_11reduce_implILb1ES3_N6thrust23THRUST_200600_302600_NS6detail15normal_iteratorINS8_10device_ptrIjEEEEPjj9plus_mod3IjEEE10hipError_tPvRmT1_T2_T3_mT4_P12ihipStream_tbEUlT_E0_NS1_11comp_targetILNS1_3genE9ELNS1_11target_archE1100ELNS1_3gpuE3ELNS1_3repE0EEENS1_30default_config_static_selectorELNS0_4arch9wavefront6targetE1EEEvSK_.numbered_sgpr, 0
	.set _ZN7rocprim17ROCPRIM_400000_NS6detail17trampoline_kernelINS0_14default_configENS1_22reduce_config_selectorIjEEZNS1_11reduce_implILb1ES3_N6thrust23THRUST_200600_302600_NS6detail15normal_iteratorINS8_10device_ptrIjEEEEPjj9plus_mod3IjEEE10hipError_tPvRmT1_T2_T3_mT4_P12ihipStream_tbEUlT_E0_NS1_11comp_targetILNS1_3genE9ELNS1_11target_archE1100ELNS1_3gpuE3ELNS1_3repE0EEENS1_30default_config_static_selectorELNS0_4arch9wavefront6targetE1EEEvSK_.num_named_barrier, 0
	.set _ZN7rocprim17ROCPRIM_400000_NS6detail17trampoline_kernelINS0_14default_configENS1_22reduce_config_selectorIjEEZNS1_11reduce_implILb1ES3_N6thrust23THRUST_200600_302600_NS6detail15normal_iteratorINS8_10device_ptrIjEEEEPjj9plus_mod3IjEEE10hipError_tPvRmT1_T2_T3_mT4_P12ihipStream_tbEUlT_E0_NS1_11comp_targetILNS1_3genE9ELNS1_11target_archE1100ELNS1_3gpuE3ELNS1_3repE0EEENS1_30default_config_static_selectorELNS0_4arch9wavefront6targetE1EEEvSK_.private_seg_size, 0
	.set _ZN7rocprim17ROCPRIM_400000_NS6detail17trampoline_kernelINS0_14default_configENS1_22reduce_config_selectorIjEEZNS1_11reduce_implILb1ES3_N6thrust23THRUST_200600_302600_NS6detail15normal_iteratorINS8_10device_ptrIjEEEEPjj9plus_mod3IjEEE10hipError_tPvRmT1_T2_T3_mT4_P12ihipStream_tbEUlT_E0_NS1_11comp_targetILNS1_3genE9ELNS1_11target_archE1100ELNS1_3gpuE3ELNS1_3repE0EEENS1_30default_config_static_selectorELNS0_4arch9wavefront6targetE1EEEvSK_.uses_vcc, 0
	.set _ZN7rocprim17ROCPRIM_400000_NS6detail17trampoline_kernelINS0_14default_configENS1_22reduce_config_selectorIjEEZNS1_11reduce_implILb1ES3_N6thrust23THRUST_200600_302600_NS6detail15normal_iteratorINS8_10device_ptrIjEEEEPjj9plus_mod3IjEEE10hipError_tPvRmT1_T2_T3_mT4_P12ihipStream_tbEUlT_E0_NS1_11comp_targetILNS1_3genE9ELNS1_11target_archE1100ELNS1_3gpuE3ELNS1_3repE0EEENS1_30default_config_static_selectorELNS0_4arch9wavefront6targetE1EEEvSK_.uses_flat_scratch, 0
	.set _ZN7rocprim17ROCPRIM_400000_NS6detail17trampoline_kernelINS0_14default_configENS1_22reduce_config_selectorIjEEZNS1_11reduce_implILb1ES3_N6thrust23THRUST_200600_302600_NS6detail15normal_iteratorINS8_10device_ptrIjEEEEPjj9plus_mod3IjEEE10hipError_tPvRmT1_T2_T3_mT4_P12ihipStream_tbEUlT_E0_NS1_11comp_targetILNS1_3genE9ELNS1_11target_archE1100ELNS1_3gpuE3ELNS1_3repE0EEENS1_30default_config_static_selectorELNS0_4arch9wavefront6targetE1EEEvSK_.has_dyn_sized_stack, 0
	.set _ZN7rocprim17ROCPRIM_400000_NS6detail17trampoline_kernelINS0_14default_configENS1_22reduce_config_selectorIjEEZNS1_11reduce_implILb1ES3_N6thrust23THRUST_200600_302600_NS6detail15normal_iteratorINS8_10device_ptrIjEEEEPjj9plus_mod3IjEEE10hipError_tPvRmT1_T2_T3_mT4_P12ihipStream_tbEUlT_E0_NS1_11comp_targetILNS1_3genE9ELNS1_11target_archE1100ELNS1_3gpuE3ELNS1_3repE0EEENS1_30default_config_static_selectorELNS0_4arch9wavefront6targetE1EEEvSK_.has_recursion, 0
	.set _ZN7rocprim17ROCPRIM_400000_NS6detail17trampoline_kernelINS0_14default_configENS1_22reduce_config_selectorIjEEZNS1_11reduce_implILb1ES3_N6thrust23THRUST_200600_302600_NS6detail15normal_iteratorINS8_10device_ptrIjEEEEPjj9plus_mod3IjEEE10hipError_tPvRmT1_T2_T3_mT4_P12ihipStream_tbEUlT_E0_NS1_11comp_targetILNS1_3genE9ELNS1_11target_archE1100ELNS1_3gpuE3ELNS1_3repE0EEENS1_30default_config_static_selectorELNS0_4arch9wavefront6targetE1EEEvSK_.has_indirect_call, 0
	.section	.AMDGPU.csdata,"",@progbits
; Kernel info:
; codeLenInByte = 0
; TotalNumSgprs: 6
; NumVgprs: 0
; NumAgprs: 0
; TotalNumVgprs: 0
; ScratchSize: 0
; MemoryBound: 0
; FloatMode: 240
; IeeeMode: 1
; LDSByteSize: 0 bytes/workgroup (compile time only)
; SGPRBlocks: 0
; VGPRBlocks: 0
; NumSGPRsForWavesPerEU: 6
; NumVGPRsForWavesPerEU: 1
; AccumOffset: 4
; Occupancy: 8
; WaveLimiterHint : 0
; COMPUTE_PGM_RSRC2:SCRATCH_EN: 0
; COMPUTE_PGM_RSRC2:USER_SGPR: 2
; COMPUTE_PGM_RSRC2:TRAP_HANDLER: 0
; COMPUTE_PGM_RSRC2:TGID_X_EN: 1
; COMPUTE_PGM_RSRC2:TGID_Y_EN: 0
; COMPUTE_PGM_RSRC2:TGID_Z_EN: 0
; COMPUTE_PGM_RSRC2:TIDIG_COMP_CNT: 0
; COMPUTE_PGM_RSRC3_GFX90A:ACCUM_OFFSET: 0
; COMPUTE_PGM_RSRC3_GFX90A:TG_SPLIT: 0
	.section	.text._ZN7rocprim17ROCPRIM_400000_NS6detail17trampoline_kernelINS0_14default_configENS1_22reduce_config_selectorIjEEZNS1_11reduce_implILb1ES3_N6thrust23THRUST_200600_302600_NS6detail15normal_iteratorINS8_10device_ptrIjEEEEPjj9plus_mod3IjEEE10hipError_tPvRmT1_T2_T3_mT4_P12ihipStream_tbEUlT_E0_NS1_11comp_targetILNS1_3genE8ELNS1_11target_archE1030ELNS1_3gpuE2ELNS1_3repE0EEENS1_30default_config_static_selectorELNS0_4arch9wavefront6targetE1EEEvSK_,"axG",@progbits,_ZN7rocprim17ROCPRIM_400000_NS6detail17trampoline_kernelINS0_14default_configENS1_22reduce_config_selectorIjEEZNS1_11reduce_implILb1ES3_N6thrust23THRUST_200600_302600_NS6detail15normal_iteratorINS8_10device_ptrIjEEEEPjj9plus_mod3IjEEE10hipError_tPvRmT1_T2_T3_mT4_P12ihipStream_tbEUlT_E0_NS1_11comp_targetILNS1_3genE8ELNS1_11target_archE1030ELNS1_3gpuE2ELNS1_3repE0EEENS1_30default_config_static_selectorELNS0_4arch9wavefront6targetE1EEEvSK_,comdat
	.protected	_ZN7rocprim17ROCPRIM_400000_NS6detail17trampoline_kernelINS0_14default_configENS1_22reduce_config_selectorIjEEZNS1_11reduce_implILb1ES3_N6thrust23THRUST_200600_302600_NS6detail15normal_iteratorINS8_10device_ptrIjEEEEPjj9plus_mod3IjEEE10hipError_tPvRmT1_T2_T3_mT4_P12ihipStream_tbEUlT_E0_NS1_11comp_targetILNS1_3genE8ELNS1_11target_archE1030ELNS1_3gpuE2ELNS1_3repE0EEENS1_30default_config_static_selectorELNS0_4arch9wavefront6targetE1EEEvSK_ ; -- Begin function _ZN7rocprim17ROCPRIM_400000_NS6detail17trampoline_kernelINS0_14default_configENS1_22reduce_config_selectorIjEEZNS1_11reduce_implILb1ES3_N6thrust23THRUST_200600_302600_NS6detail15normal_iteratorINS8_10device_ptrIjEEEEPjj9plus_mod3IjEEE10hipError_tPvRmT1_T2_T3_mT4_P12ihipStream_tbEUlT_E0_NS1_11comp_targetILNS1_3genE8ELNS1_11target_archE1030ELNS1_3gpuE2ELNS1_3repE0EEENS1_30default_config_static_selectorELNS0_4arch9wavefront6targetE1EEEvSK_
	.globl	_ZN7rocprim17ROCPRIM_400000_NS6detail17trampoline_kernelINS0_14default_configENS1_22reduce_config_selectorIjEEZNS1_11reduce_implILb1ES3_N6thrust23THRUST_200600_302600_NS6detail15normal_iteratorINS8_10device_ptrIjEEEEPjj9plus_mod3IjEEE10hipError_tPvRmT1_T2_T3_mT4_P12ihipStream_tbEUlT_E0_NS1_11comp_targetILNS1_3genE8ELNS1_11target_archE1030ELNS1_3gpuE2ELNS1_3repE0EEENS1_30default_config_static_selectorELNS0_4arch9wavefront6targetE1EEEvSK_
	.p2align	8
	.type	_ZN7rocprim17ROCPRIM_400000_NS6detail17trampoline_kernelINS0_14default_configENS1_22reduce_config_selectorIjEEZNS1_11reduce_implILb1ES3_N6thrust23THRUST_200600_302600_NS6detail15normal_iteratorINS8_10device_ptrIjEEEEPjj9plus_mod3IjEEE10hipError_tPvRmT1_T2_T3_mT4_P12ihipStream_tbEUlT_E0_NS1_11comp_targetILNS1_3genE8ELNS1_11target_archE1030ELNS1_3gpuE2ELNS1_3repE0EEENS1_30default_config_static_selectorELNS0_4arch9wavefront6targetE1EEEvSK_,@function
_ZN7rocprim17ROCPRIM_400000_NS6detail17trampoline_kernelINS0_14default_configENS1_22reduce_config_selectorIjEEZNS1_11reduce_implILb1ES3_N6thrust23THRUST_200600_302600_NS6detail15normal_iteratorINS8_10device_ptrIjEEEEPjj9plus_mod3IjEEE10hipError_tPvRmT1_T2_T3_mT4_P12ihipStream_tbEUlT_E0_NS1_11comp_targetILNS1_3genE8ELNS1_11target_archE1030ELNS1_3gpuE2ELNS1_3repE0EEENS1_30default_config_static_selectorELNS0_4arch9wavefront6targetE1EEEvSK_: ; @_ZN7rocprim17ROCPRIM_400000_NS6detail17trampoline_kernelINS0_14default_configENS1_22reduce_config_selectorIjEEZNS1_11reduce_implILb1ES3_N6thrust23THRUST_200600_302600_NS6detail15normal_iteratorINS8_10device_ptrIjEEEEPjj9plus_mod3IjEEE10hipError_tPvRmT1_T2_T3_mT4_P12ihipStream_tbEUlT_E0_NS1_11comp_targetILNS1_3genE8ELNS1_11target_archE1030ELNS1_3gpuE2ELNS1_3repE0EEENS1_30default_config_static_selectorELNS0_4arch9wavefront6targetE1EEEvSK_
; %bb.0:
	.section	.rodata,"a",@progbits
	.p2align	6, 0x0
	.amdhsa_kernel _ZN7rocprim17ROCPRIM_400000_NS6detail17trampoline_kernelINS0_14default_configENS1_22reduce_config_selectorIjEEZNS1_11reduce_implILb1ES3_N6thrust23THRUST_200600_302600_NS6detail15normal_iteratorINS8_10device_ptrIjEEEEPjj9plus_mod3IjEEE10hipError_tPvRmT1_T2_T3_mT4_P12ihipStream_tbEUlT_E0_NS1_11comp_targetILNS1_3genE8ELNS1_11target_archE1030ELNS1_3gpuE2ELNS1_3repE0EEENS1_30default_config_static_selectorELNS0_4arch9wavefront6targetE1EEEvSK_
		.amdhsa_group_segment_fixed_size 0
		.amdhsa_private_segment_fixed_size 0
		.amdhsa_kernarg_size 64
		.amdhsa_user_sgpr_count 2
		.amdhsa_user_sgpr_dispatch_ptr 0
		.amdhsa_user_sgpr_queue_ptr 0
		.amdhsa_user_sgpr_kernarg_segment_ptr 1
		.amdhsa_user_sgpr_dispatch_id 0
		.amdhsa_user_sgpr_kernarg_preload_length 0
		.amdhsa_user_sgpr_kernarg_preload_offset 0
		.amdhsa_user_sgpr_private_segment_size 0
		.amdhsa_uses_dynamic_stack 0
		.amdhsa_enable_private_segment 0
		.amdhsa_system_sgpr_workgroup_id_x 1
		.amdhsa_system_sgpr_workgroup_id_y 0
		.amdhsa_system_sgpr_workgroup_id_z 0
		.amdhsa_system_sgpr_workgroup_info 0
		.amdhsa_system_vgpr_workitem_id 0
		.amdhsa_next_free_vgpr 1
		.amdhsa_next_free_sgpr 0
		.amdhsa_accum_offset 4
		.amdhsa_reserve_vcc 0
		.amdhsa_float_round_mode_32 0
		.amdhsa_float_round_mode_16_64 0
		.amdhsa_float_denorm_mode_32 3
		.amdhsa_float_denorm_mode_16_64 3
		.amdhsa_dx10_clamp 1
		.amdhsa_ieee_mode 1
		.amdhsa_fp16_overflow 0
		.amdhsa_tg_split 0
		.amdhsa_exception_fp_ieee_invalid_op 0
		.amdhsa_exception_fp_denorm_src 0
		.amdhsa_exception_fp_ieee_div_zero 0
		.amdhsa_exception_fp_ieee_overflow 0
		.amdhsa_exception_fp_ieee_underflow 0
		.amdhsa_exception_fp_ieee_inexact 0
		.amdhsa_exception_int_div_zero 0
	.end_amdhsa_kernel
	.section	.text._ZN7rocprim17ROCPRIM_400000_NS6detail17trampoline_kernelINS0_14default_configENS1_22reduce_config_selectorIjEEZNS1_11reduce_implILb1ES3_N6thrust23THRUST_200600_302600_NS6detail15normal_iteratorINS8_10device_ptrIjEEEEPjj9plus_mod3IjEEE10hipError_tPvRmT1_T2_T3_mT4_P12ihipStream_tbEUlT_E0_NS1_11comp_targetILNS1_3genE8ELNS1_11target_archE1030ELNS1_3gpuE2ELNS1_3repE0EEENS1_30default_config_static_selectorELNS0_4arch9wavefront6targetE1EEEvSK_,"axG",@progbits,_ZN7rocprim17ROCPRIM_400000_NS6detail17trampoline_kernelINS0_14default_configENS1_22reduce_config_selectorIjEEZNS1_11reduce_implILb1ES3_N6thrust23THRUST_200600_302600_NS6detail15normal_iteratorINS8_10device_ptrIjEEEEPjj9plus_mod3IjEEE10hipError_tPvRmT1_T2_T3_mT4_P12ihipStream_tbEUlT_E0_NS1_11comp_targetILNS1_3genE8ELNS1_11target_archE1030ELNS1_3gpuE2ELNS1_3repE0EEENS1_30default_config_static_selectorELNS0_4arch9wavefront6targetE1EEEvSK_,comdat
.Lfunc_end829:
	.size	_ZN7rocprim17ROCPRIM_400000_NS6detail17trampoline_kernelINS0_14default_configENS1_22reduce_config_selectorIjEEZNS1_11reduce_implILb1ES3_N6thrust23THRUST_200600_302600_NS6detail15normal_iteratorINS8_10device_ptrIjEEEEPjj9plus_mod3IjEEE10hipError_tPvRmT1_T2_T3_mT4_P12ihipStream_tbEUlT_E0_NS1_11comp_targetILNS1_3genE8ELNS1_11target_archE1030ELNS1_3gpuE2ELNS1_3repE0EEENS1_30default_config_static_selectorELNS0_4arch9wavefront6targetE1EEEvSK_, .Lfunc_end829-_ZN7rocprim17ROCPRIM_400000_NS6detail17trampoline_kernelINS0_14default_configENS1_22reduce_config_selectorIjEEZNS1_11reduce_implILb1ES3_N6thrust23THRUST_200600_302600_NS6detail15normal_iteratorINS8_10device_ptrIjEEEEPjj9plus_mod3IjEEE10hipError_tPvRmT1_T2_T3_mT4_P12ihipStream_tbEUlT_E0_NS1_11comp_targetILNS1_3genE8ELNS1_11target_archE1030ELNS1_3gpuE2ELNS1_3repE0EEENS1_30default_config_static_selectorELNS0_4arch9wavefront6targetE1EEEvSK_
                                        ; -- End function
	.set _ZN7rocprim17ROCPRIM_400000_NS6detail17trampoline_kernelINS0_14default_configENS1_22reduce_config_selectorIjEEZNS1_11reduce_implILb1ES3_N6thrust23THRUST_200600_302600_NS6detail15normal_iteratorINS8_10device_ptrIjEEEEPjj9plus_mod3IjEEE10hipError_tPvRmT1_T2_T3_mT4_P12ihipStream_tbEUlT_E0_NS1_11comp_targetILNS1_3genE8ELNS1_11target_archE1030ELNS1_3gpuE2ELNS1_3repE0EEENS1_30default_config_static_selectorELNS0_4arch9wavefront6targetE1EEEvSK_.num_vgpr, 0
	.set _ZN7rocprim17ROCPRIM_400000_NS6detail17trampoline_kernelINS0_14default_configENS1_22reduce_config_selectorIjEEZNS1_11reduce_implILb1ES3_N6thrust23THRUST_200600_302600_NS6detail15normal_iteratorINS8_10device_ptrIjEEEEPjj9plus_mod3IjEEE10hipError_tPvRmT1_T2_T3_mT4_P12ihipStream_tbEUlT_E0_NS1_11comp_targetILNS1_3genE8ELNS1_11target_archE1030ELNS1_3gpuE2ELNS1_3repE0EEENS1_30default_config_static_selectorELNS0_4arch9wavefront6targetE1EEEvSK_.num_agpr, 0
	.set _ZN7rocprim17ROCPRIM_400000_NS6detail17trampoline_kernelINS0_14default_configENS1_22reduce_config_selectorIjEEZNS1_11reduce_implILb1ES3_N6thrust23THRUST_200600_302600_NS6detail15normal_iteratorINS8_10device_ptrIjEEEEPjj9plus_mod3IjEEE10hipError_tPvRmT1_T2_T3_mT4_P12ihipStream_tbEUlT_E0_NS1_11comp_targetILNS1_3genE8ELNS1_11target_archE1030ELNS1_3gpuE2ELNS1_3repE0EEENS1_30default_config_static_selectorELNS0_4arch9wavefront6targetE1EEEvSK_.numbered_sgpr, 0
	.set _ZN7rocprim17ROCPRIM_400000_NS6detail17trampoline_kernelINS0_14default_configENS1_22reduce_config_selectorIjEEZNS1_11reduce_implILb1ES3_N6thrust23THRUST_200600_302600_NS6detail15normal_iteratorINS8_10device_ptrIjEEEEPjj9plus_mod3IjEEE10hipError_tPvRmT1_T2_T3_mT4_P12ihipStream_tbEUlT_E0_NS1_11comp_targetILNS1_3genE8ELNS1_11target_archE1030ELNS1_3gpuE2ELNS1_3repE0EEENS1_30default_config_static_selectorELNS0_4arch9wavefront6targetE1EEEvSK_.num_named_barrier, 0
	.set _ZN7rocprim17ROCPRIM_400000_NS6detail17trampoline_kernelINS0_14default_configENS1_22reduce_config_selectorIjEEZNS1_11reduce_implILb1ES3_N6thrust23THRUST_200600_302600_NS6detail15normal_iteratorINS8_10device_ptrIjEEEEPjj9plus_mod3IjEEE10hipError_tPvRmT1_T2_T3_mT4_P12ihipStream_tbEUlT_E0_NS1_11comp_targetILNS1_3genE8ELNS1_11target_archE1030ELNS1_3gpuE2ELNS1_3repE0EEENS1_30default_config_static_selectorELNS0_4arch9wavefront6targetE1EEEvSK_.private_seg_size, 0
	.set _ZN7rocprim17ROCPRIM_400000_NS6detail17trampoline_kernelINS0_14default_configENS1_22reduce_config_selectorIjEEZNS1_11reduce_implILb1ES3_N6thrust23THRUST_200600_302600_NS6detail15normal_iteratorINS8_10device_ptrIjEEEEPjj9plus_mod3IjEEE10hipError_tPvRmT1_T2_T3_mT4_P12ihipStream_tbEUlT_E0_NS1_11comp_targetILNS1_3genE8ELNS1_11target_archE1030ELNS1_3gpuE2ELNS1_3repE0EEENS1_30default_config_static_selectorELNS0_4arch9wavefront6targetE1EEEvSK_.uses_vcc, 0
	.set _ZN7rocprim17ROCPRIM_400000_NS6detail17trampoline_kernelINS0_14default_configENS1_22reduce_config_selectorIjEEZNS1_11reduce_implILb1ES3_N6thrust23THRUST_200600_302600_NS6detail15normal_iteratorINS8_10device_ptrIjEEEEPjj9plus_mod3IjEEE10hipError_tPvRmT1_T2_T3_mT4_P12ihipStream_tbEUlT_E0_NS1_11comp_targetILNS1_3genE8ELNS1_11target_archE1030ELNS1_3gpuE2ELNS1_3repE0EEENS1_30default_config_static_selectorELNS0_4arch9wavefront6targetE1EEEvSK_.uses_flat_scratch, 0
	.set _ZN7rocprim17ROCPRIM_400000_NS6detail17trampoline_kernelINS0_14default_configENS1_22reduce_config_selectorIjEEZNS1_11reduce_implILb1ES3_N6thrust23THRUST_200600_302600_NS6detail15normal_iteratorINS8_10device_ptrIjEEEEPjj9plus_mod3IjEEE10hipError_tPvRmT1_T2_T3_mT4_P12ihipStream_tbEUlT_E0_NS1_11comp_targetILNS1_3genE8ELNS1_11target_archE1030ELNS1_3gpuE2ELNS1_3repE0EEENS1_30default_config_static_selectorELNS0_4arch9wavefront6targetE1EEEvSK_.has_dyn_sized_stack, 0
	.set _ZN7rocprim17ROCPRIM_400000_NS6detail17trampoline_kernelINS0_14default_configENS1_22reduce_config_selectorIjEEZNS1_11reduce_implILb1ES3_N6thrust23THRUST_200600_302600_NS6detail15normal_iteratorINS8_10device_ptrIjEEEEPjj9plus_mod3IjEEE10hipError_tPvRmT1_T2_T3_mT4_P12ihipStream_tbEUlT_E0_NS1_11comp_targetILNS1_3genE8ELNS1_11target_archE1030ELNS1_3gpuE2ELNS1_3repE0EEENS1_30default_config_static_selectorELNS0_4arch9wavefront6targetE1EEEvSK_.has_recursion, 0
	.set _ZN7rocprim17ROCPRIM_400000_NS6detail17trampoline_kernelINS0_14default_configENS1_22reduce_config_selectorIjEEZNS1_11reduce_implILb1ES3_N6thrust23THRUST_200600_302600_NS6detail15normal_iteratorINS8_10device_ptrIjEEEEPjj9plus_mod3IjEEE10hipError_tPvRmT1_T2_T3_mT4_P12ihipStream_tbEUlT_E0_NS1_11comp_targetILNS1_3genE8ELNS1_11target_archE1030ELNS1_3gpuE2ELNS1_3repE0EEENS1_30default_config_static_selectorELNS0_4arch9wavefront6targetE1EEEvSK_.has_indirect_call, 0
	.section	.AMDGPU.csdata,"",@progbits
; Kernel info:
; codeLenInByte = 0
; TotalNumSgprs: 6
; NumVgprs: 0
; NumAgprs: 0
; TotalNumVgprs: 0
; ScratchSize: 0
; MemoryBound: 0
; FloatMode: 240
; IeeeMode: 1
; LDSByteSize: 0 bytes/workgroup (compile time only)
; SGPRBlocks: 0
; VGPRBlocks: 0
; NumSGPRsForWavesPerEU: 6
; NumVGPRsForWavesPerEU: 1
; AccumOffset: 4
; Occupancy: 8
; WaveLimiterHint : 0
; COMPUTE_PGM_RSRC2:SCRATCH_EN: 0
; COMPUTE_PGM_RSRC2:USER_SGPR: 2
; COMPUTE_PGM_RSRC2:TRAP_HANDLER: 0
; COMPUTE_PGM_RSRC2:TGID_X_EN: 1
; COMPUTE_PGM_RSRC2:TGID_Y_EN: 0
; COMPUTE_PGM_RSRC2:TGID_Z_EN: 0
; COMPUTE_PGM_RSRC2:TIDIG_COMP_CNT: 0
; COMPUTE_PGM_RSRC3_GFX90A:ACCUM_OFFSET: 0
; COMPUTE_PGM_RSRC3_GFX90A:TG_SPLIT: 0
	.section	.text._ZN7rocprim17ROCPRIM_400000_NS6detail17trampoline_kernelINS0_14default_configENS1_22reduce_config_selectorIjEEZNS1_11reduce_implILb1ES3_N6thrust23THRUST_200600_302600_NS6detail15normal_iteratorINS8_10device_ptrIjEEEEPjj9plus_mod3IjEEE10hipError_tPvRmT1_T2_T3_mT4_P12ihipStream_tbEUlT_E1_NS1_11comp_targetILNS1_3genE0ELNS1_11target_archE4294967295ELNS1_3gpuE0ELNS1_3repE0EEENS1_30default_config_static_selectorELNS0_4arch9wavefront6targetE1EEEvSK_,"axG",@progbits,_ZN7rocprim17ROCPRIM_400000_NS6detail17trampoline_kernelINS0_14default_configENS1_22reduce_config_selectorIjEEZNS1_11reduce_implILb1ES3_N6thrust23THRUST_200600_302600_NS6detail15normal_iteratorINS8_10device_ptrIjEEEEPjj9plus_mod3IjEEE10hipError_tPvRmT1_T2_T3_mT4_P12ihipStream_tbEUlT_E1_NS1_11comp_targetILNS1_3genE0ELNS1_11target_archE4294967295ELNS1_3gpuE0ELNS1_3repE0EEENS1_30default_config_static_selectorELNS0_4arch9wavefront6targetE1EEEvSK_,comdat
	.protected	_ZN7rocprim17ROCPRIM_400000_NS6detail17trampoline_kernelINS0_14default_configENS1_22reduce_config_selectorIjEEZNS1_11reduce_implILb1ES3_N6thrust23THRUST_200600_302600_NS6detail15normal_iteratorINS8_10device_ptrIjEEEEPjj9plus_mod3IjEEE10hipError_tPvRmT1_T2_T3_mT4_P12ihipStream_tbEUlT_E1_NS1_11comp_targetILNS1_3genE0ELNS1_11target_archE4294967295ELNS1_3gpuE0ELNS1_3repE0EEENS1_30default_config_static_selectorELNS0_4arch9wavefront6targetE1EEEvSK_ ; -- Begin function _ZN7rocprim17ROCPRIM_400000_NS6detail17trampoline_kernelINS0_14default_configENS1_22reduce_config_selectorIjEEZNS1_11reduce_implILb1ES3_N6thrust23THRUST_200600_302600_NS6detail15normal_iteratorINS8_10device_ptrIjEEEEPjj9plus_mod3IjEEE10hipError_tPvRmT1_T2_T3_mT4_P12ihipStream_tbEUlT_E1_NS1_11comp_targetILNS1_3genE0ELNS1_11target_archE4294967295ELNS1_3gpuE0ELNS1_3repE0EEENS1_30default_config_static_selectorELNS0_4arch9wavefront6targetE1EEEvSK_
	.globl	_ZN7rocprim17ROCPRIM_400000_NS6detail17trampoline_kernelINS0_14default_configENS1_22reduce_config_selectorIjEEZNS1_11reduce_implILb1ES3_N6thrust23THRUST_200600_302600_NS6detail15normal_iteratorINS8_10device_ptrIjEEEEPjj9plus_mod3IjEEE10hipError_tPvRmT1_T2_T3_mT4_P12ihipStream_tbEUlT_E1_NS1_11comp_targetILNS1_3genE0ELNS1_11target_archE4294967295ELNS1_3gpuE0ELNS1_3repE0EEENS1_30default_config_static_selectorELNS0_4arch9wavefront6targetE1EEEvSK_
	.p2align	8
	.type	_ZN7rocprim17ROCPRIM_400000_NS6detail17trampoline_kernelINS0_14default_configENS1_22reduce_config_selectorIjEEZNS1_11reduce_implILb1ES3_N6thrust23THRUST_200600_302600_NS6detail15normal_iteratorINS8_10device_ptrIjEEEEPjj9plus_mod3IjEEE10hipError_tPvRmT1_T2_T3_mT4_P12ihipStream_tbEUlT_E1_NS1_11comp_targetILNS1_3genE0ELNS1_11target_archE4294967295ELNS1_3gpuE0ELNS1_3repE0EEENS1_30default_config_static_selectorELNS0_4arch9wavefront6targetE1EEEvSK_,@function
_ZN7rocprim17ROCPRIM_400000_NS6detail17trampoline_kernelINS0_14default_configENS1_22reduce_config_selectorIjEEZNS1_11reduce_implILb1ES3_N6thrust23THRUST_200600_302600_NS6detail15normal_iteratorINS8_10device_ptrIjEEEEPjj9plus_mod3IjEEE10hipError_tPvRmT1_T2_T3_mT4_P12ihipStream_tbEUlT_E1_NS1_11comp_targetILNS1_3genE0ELNS1_11target_archE4294967295ELNS1_3gpuE0ELNS1_3repE0EEENS1_30default_config_static_selectorELNS0_4arch9wavefront6targetE1EEEvSK_: ; @_ZN7rocprim17ROCPRIM_400000_NS6detail17trampoline_kernelINS0_14default_configENS1_22reduce_config_selectorIjEEZNS1_11reduce_implILb1ES3_N6thrust23THRUST_200600_302600_NS6detail15normal_iteratorINS8_10device_ptrIjEEEEPjj9plus_mod3IjEEE10hipError_tPvRmT1_T2_T3_mT4_P12ihipStream_tbEUlT_E1_NS1_11comp_targetILNS1_3genE0ELNS1_11target_archE4294967295ELNS1_3gpuE0ELNS1_3repE0EEENS1_30default_config_static_selectorELNS0_4arch9wavefront6targetE1EEEvSK_
; %bb.0:
	s_load_dword s80, s[0:1], 0x4
	s_load_dwordx4 s[68:71], s[0:1], 0x8
	s_load_dword s33, s[0:1], 0x20
	s_load_dwordx2 s[66:67], s[0:1], 0x28
	s_waitcnt lgkmcnt(0)
	s_cmp_lt_i32 s80, 8
	s_cbranch_scc1 .LBB830_10
; %bb.1:
	s_cmp_gt_i32 s80, 15
	s_cbranch_scc0 .LBB830_11
; %bb.2:
	s_cmp_gt_i32 s80, 31
	s_cbranch_scc0 .LBB830_12
; %bb.3:
	s_cmp_eq_u32 s80, 32
	s_mov_b64 s[72:73], 0
	s_cbranch_scc0 .LBB830_13
; %bb.4:
	s_mov_b32 s3, 0
	s_lshl_b32 s4, s2, 13
	s_mov_b32 s5, s3
	s_lshr_b64 s[6:7], s[70:71], 13
	s_lshl_b64 s[8:9], s[4:5], 2
	s_add_u32 s76, s68, s8
	s_addc_u32 s77, s69, s9
	s_cmp_lg_u64 s[6:7], s[2:3]
	s_cbranch_scc0 .LBB830_22
; %bb.5:
	v_lshlrev_b32_e32 v2, 2, v0
	global_load_dword v1, v2, s[76:77]
	global_load_dword v3, v2, s[76:77] offset:1024
	global_load_dword v6, v2, s[76:77] offset:2048
	;; [unrolled: 1-line block ×3, first 2 shown]
	s_waitcnt vmcnt(2)
	v_add_u32_e32 v4, v3, v1
	v_ashrrev_i32_e32 v5, 31, v4
	v_lshl_add_u64 v[4:5], v[4:5], 2, s[66:67]
	global_load_dword v1, v[4:5], off
	v_mov_b32_e32 v3, 0
	v_lshl_add_u64 v[2:3], s[76:77], 0, v[2:3]
	s_waitcnt vmcnt(0)
	v_add_u32_e32 v4, v1, v6
	v_ashrrev_i32_e32 v5, 31, v4
	v_lshl_add_u64 v[4:5], v[4:5], 2, s[66:67]
	global_load_dword v1, v[4:5], off
	v_add_co_u32_e32 v4, vcc, 0x1000, v2
	s_waitcnt vmcnt(0)
	v_add_u32_e32 v6, v1, v7
	v_ashrrev_i32_e32 v7, 31, v6
	v_addc_co_u32_e32 v5, vcc, 0, v3, vcc
	v_lshl_add_u64 v[6:7], v[6:7], 2, s[66:67]
	global_load_dword v8, v[4:5], off
	global_load_dword v1, v[6:7], off
	v_add_co_u32_e32 v6, vcc, 0x2000, v2
	s_nop 1
	v_addc_co_u32_e32 v7, vcc, 0, v3, vcc
	global_load_dword v9, v[4:5], off offset:1024
	global_load_dword v10, v[4:5], off offset:2048
	;; [unrolled: 1-line block ×3, first 2 shown]
	global_load_dword v12, v[6:7], off
	global_load_dword v13, v[6:7], off offset:1024
	global_load_dword v14, v[6:7], off offset:2048
	;; [unrolled: 1-line block ×3, first 2 shown]
	s_waitcnt vmcnt(7)
	v_add_u32_e32 v4, v1, v8
	v_ashrrev_i32_e32 v5, 31, v4
	v_lshl_add_u64 v[4:5], v[4:5], 2, s[66:67]
	global_load_dword v1, v[4:5], off
	s_waitcnt vmcnt(0)
	v_add_u32_e32 v4, v1, v9
	v_ashrrev_i32_e32 v5, 31, v4
	v_lshl_add_u64 v[4:5], v[4:5], 2, s[66:67]
	global_load_dword v1, v[4:5], off
	;; [unrolled: 5-line block ×7, first 2 shown]
	v_add_co_u32_e32 v4, vcc, 0x3000, v2
	s_waitcnt vmcnt(0)
	v_add_u32_e32 v6, v1, v15
	v_ashrrev_i32_e32 v7, 31, v6
	v_addc_co_u32_e32 v5, vcc, 0, v3, vcc
	v_lshl_add_u64 v[6:7], v[6:7], 2, s[66:67]
	global_load_dword v8, v[4:5], off
	global_load_dword v1, v[6:7], off
	v_add_co_u32_e32 v6, vcc, 0x4000, v2
	s_nop 1
	v_addc_co_u32_e32 v7, vcc, 0, v3, vcc
	global_load_dword v9, v[4:5], off offset:1024
	global_load_dword v10, v[4:5], off offset:2048
	;; [unrolled: 1-line block ×3, first 2 shown]
	global_load_dword v12, v[6:7], off
	global_load_dword v13, v[6:7], off offset:1024
	global_load_dword v14, v[6:7], off offset:2048
	global_load_dword v15, v[6:7], off offset:3072
	s_waitcnt vmcnt(7)
	v_add_u32_e32 v4, v1, v8
	v_ashrrev_i32_e32 v5, 31, v4
	v_lshl_add_u64 v[4:5], v[4:5], 2, s[66:67]
	global_load_dword v1, v[4:5], off
	s_waitcnt vmcnt(0)
	v_add_u32_e32 v4, v1, v9
	v_ashrrev_i32_e32 v5, 31, v4
	v_lshl_add_u64 v[4:5], v[4:5], 2, s[66:67]
	global_load_dword v1, v[4:5], off
	s_waitcnt vmcnt(0)
	v_add_u32_e32 v4, v1, v10
	v_ashrrev_i32_e32 v5, 31, v4
	v_lshl_add_u64 v[4:5], v[4:5], 2, s[66:67]
	global_load_dword v1, v[4:5], off
	s_waitcnt vmcnt(0)
	v_add_u32_e32 v4, v1, v11
	v_ashrrev_i32_e32 v5, 31, v4
	v_lshl_add_u64 v[4:5], v[4:5], 2, s[66:67]
	global_load_dword v1, v[4:5], off
	s_waitcnt vmcnt(0)
	v_add_u32_e32 v4, v1, v12
	v_ashrrev_i32_e32 v5, 31, v4
	v_lshl_add_u64 v[4:5], v[4:5], 2, s[66:67]
	global_load_dword v1, v[4:5], off
	s_waitcnt vmcnt(0)
	v_add_u32_e32 v4, v1, v13
	v_ashrrev_i32_e32 v5, 31, v4
	v_lshl_add_u64 v[4:5], v[4:5], 2, s[66:67]
	global_load_dword v1, v[4:5], off
	s_waitcnt vmcnt(0)
	v_add_u32_e32 v4, v1, v14
	v_ashrrev_i32_e32 v5, 31, v4
	v_lshl_add_u64 v[4:5], v[4:5], 2, s[66:67]
	global_load_dword v1, v[4:5], off
	v_add_co_u32_e32 v4, vcc, 0x5000, v2
	s_waitcnt vmcnt(0)
	v_add_u32_e32 v6, v1, v15
	v_ashrrev_i32_e32 v7, 31, v6
	v_addc_co_u32_e32 v5, vcc, 0, v3, vcc
	v_lshl_add_u64 v[6:7], v[6:7], 2, s[66:67]
	global_load_dword v8, v[4:5], off
	global_load_dword v1, v[6:7], off
	v_add_co_u32_e32 v6, vcc, 0x6000, v2
	s_nop 1
	v_addc_co_u32_e32 v7, vcc, 0, v3, vcc
	global_load_dword v9, v[4:5], off offset:1024
	global_load_dword v10, v[4:5], off offset:2048
	;; [unrolled: 1-line block ×3, first 2 shown]
	global_load_dword v12, v[6:7], off
	global_load_dword v13, v[6:7], off offset:1024
	global_load_dword v14, v[6:7], off offset:2048
	;; [unrolled: 1-line block ×3, first 2 shown]
	v_add_co_u32_e32 v2, vcc, 0x7000, v2
	s_waitcnt vmcnt(7)
	v_add_u32_e32 v4, v1, v8
	v_ashrrev_i32_e32 v5, 31, v4
	v_lshl_add_u64 v[4:5], v[4:5], 2, s[66:67]
	global_load_dword v1, v[4:5], off
	v_addc_co_u32_e32 v3, vcc, 0, v3, vcc
	s_waitcnt vmcnt(0)
	v_add_u32_e32 v4, v1, v9
	v_ashrrev_i32_e32 v5, 31, v4
	v_lshl_add_u64 v[4:5], v[4:5], 2, s[66:67]
	global_load_dword v1, v[4:5], off
	s_waitcnt vmcnt(0)
	v_add_u32_e32 v4, v1, v10
	v_ashrrev_i32_e32 v5, 31, v4
	v_lshl_add_u64 v[4:5], v[4:5], 2, s[66:67]
	global_load_dword v1, v[4:5], off
	;; [unrolled: 5-line block ×7, first 2 shown]
	global_load_dword v6, v[2:3], off
	global_load_dword v7, v[2:3], off offset:1024
	global_load_dword v8, v[2:3], off offset:2048
	;; [unrolled: 1-line block ×3, first 2 shown]
	s_waitcnt vmcnt(3)
	v_add_u32_e32 v2, v1, v6
	v_ashrrev_i32_e32 v3, 31, v2
	v_lshl_add_u64 v[2:3], v[2:3], 2, s[66:67]
	global_load_dword v1, v[2:3], off
	s_waitcnt vmcnt(0)
	v_add_u32_e32 v2, v1, v7
	v_ashrrev_i32_e32 v3, 31, v2
	v_lshl_add_u64 v[2:3], v[2:3], 2, s[66:67]
	global_load_dword v1, v[2:3], off
	s_waitcnt vmcnt(0)
	v_add_u32_e32 v2, v1, v8
	v_ashrrev_i32_e32 v3, 31, v2
	v_lshl_add_u64 v[2:3], v[2:3], 2, s[66:67]
	global_load_dword v1, v[2:3], off
	s_waitcnt vmcnt(0)
	v_add_u32_e32 v2, v1, v9
	v_ashrrev_i32_e32 v3, 31, v2
	v_lshl_add_u64 v[2:3], v[2:3], 2, s[66:67]
	global_load_dword v1, v[2:3], off
	s_waitcnt vmcnt(0)
	s_nop 0
	v_add_u32_dpp v2, v1, v1 quad_perm:[1,0,3,2] row_mask:0xf bank_mask:0xf bound_ctrl:1
	v_ashrrev_i32_e32 v3, 31, v2
	v_lshl_add_u64 v[2:3], v[2:3], 2, s[66:67]
	global_load_dword v1, v[2:3], off
	s_waitcnt vmcnt(0)
	s_nop 0
	v_add_u32_dpp v2, v1, v1 quad_perm:[2,3,0,1] row_mask:0xf bank_mask:0xf bound_ctrl:1
	v_ashrrev_i32_e32 v3, 31, v2
	v_lshl_add_u64 v[2:3], v[2:3], 2, s[66:67]
	global_load_dword v1, v[2:3], off
	s_waitcnt vmcnt(0)
	s_nop 0
	v_add_u32_dpp v2, v1, v1 row_ror:4 row_mask:0xf bank_mask:0xf bound_ctrl:1
	v_ashrrev_i32_e32 v3, 31, v2
	v_lshl_add_u64 v[2:3], v[2:3], 2, s[66:67]
	global_load_dword v1, v[2:3], off
	s_waitcnt vmcnt(0)
	s_nop 0
	v_add_u32_dpp v2, v1, v1 row_ror:8 row_mask:0xf bank_mask:0xf bound_ctrl:1
	v_ashrrev_i32_e32 v3, 31, v2
	v_lshl_add_u64 v[2:3], v[2:3], 2, s[66:67]
	global_load_dword v1, v[2:3], off
	s_waitcnt vmcnt(0)
	s_nop 0
	v_add_u32_dpp v2, v1, v1 row_bcast:15 row_mask:0xf bank_mask:0xf bound_ctrl:1
	v_ashrrev_i32_e32 v3, 31, v2
	v_lshl_add_u64 v[2:3], v[2:3], 2, s[66:67]
	global_load_dword v1, v[2:3], off
	s_waitcnt vmcnt(0)
	s_nop 0
	v_add_u32_dpp v2, v1, v1 row_bcast:31 row_mask:0xf bank_mask:0xf bound_ctrl:1
	v_ashrrev_i32_e32 v3, 31, v2
	v_lshl_add_u64 v[2:3], v[2:3], 2, s[66:67]
	global_load_dword v2, v[2:3], off
	v_mbcnt_lo_u32_b32 v1, -1, 0
	v_mbcnt_hi_u32_b32 v3, -1, v1
	v_lshlrev_b32_e32 v1, 2, v3
	v_or_b32_e32 v4, 0xfc, v1
	v_cmp_eq_u32_e32 vcc, 0, v3
	s_waitcnt vmcnt(0)
	ds_bpermute_b32 v2, v4, v2
	s_and_saveexec_b64 s[6:7], vcc
	s_cbranch_execz .LBB830_7
; %bb.6:
	v_lshrrev_b32_e32 v4, 4, v0
	v_and_b32_e32 v4, 12, v4
	s_waitcnt lgkmcnt(0)
	ds_write_b32 v4, v2 offset:64
.LBB830_7:
	s_or_b64 exec, exec, s[6:7]
	v_cmp_gt_u32_e32 vcc, 64, v0
	s_mov_b64 s[6:7], 0
	s_mov_b64 s[74:75], 0
	s_waitcnt lgkmcnt(0)
	s_barrier
                                        ; implicit-def: $vgpr4
	s_and_saveexec_b64 s[8:9], vcc
	s_xor_b64 s[8:9], exec, s[8:9]
	s_cbranch_execz .LBB830_9
; %bb.8:
	v_and_b32_e32 v4, 3, v3
	v_lshlrev_b32_e32 v5, 2, v4
	ds_read_b32 v5, v5 offset:64
	v_cmp_ne_u32_e32 vcc, 3, v4
	v_or_b32_e32 v1, 8, v1
	s_mov_b64 s[74:75], exec
	v_addc_co_u32_e32 v3, vcc, 0, v3, vcc
	v_lshlrev_b32_e32 v3, 2, v3
	s_waitcnt lgkmcnt(0)
	ds_bpermute_b32 v3, v3, v5
	s_waitcnt lgkmcnt(0)
	v_add_u32_e32 v4, v3, v5
	v_ashrrev_i32_e32 v5, 31, v4
	v_lshl_add_u64 v[4:5], v[4:5], 2, s[66:67]
	global_load_dword v3, v[4:5], off
	s_waitcnt vmcnt(0)
	ds_bpermute_b32 v1, v1, v3
	s_waitcnt lgkmcnt(0)
	v_add_u32_e32 v4, v1, v3
.LBB830_9:
	s_or_b64 exec, exec, s[8:9]
	s_branch .LBB830_23
.LBB830_10:
	s_mov_b64 s[36:37], 0
	s_mov_b64 s[34:35], 0
                                        ; implicit-def: $vgpr2
	s_cbranch_execnz .LBB830_280
	s_branch .LBB830_389
.LBB830_11:
	s_mov_b64 s[36:37], 0
	s_mov_b64 s[34:35], 0
                                        ; implicit-def: $vgpr2
	s_cbranch_execnz .LBB830_221
	s_branch .LBB830_229
.LBB830_12:
	s_mov_b64 s[72:73], -1
.LBB830_13:
	s_mov_b64 s[36:37], 0
	s_mov_b64 s[34:35], 0
                                        ; implicit-def: $vgpr2
	s_and_b64 vcc, exec, s[72:73]
	s_cbranch_vccz .LBB830_145
.LBB830_14:
	s_cmp_eq_u32 s80, 16
	s_cbranch_scc0 .LBB830_21
; %bb.15:
	s_mov_b32 s3, 0
	s_lshl_b32 s4, s2, 12
	s_mov_b32 s5, s3
	s_lshr_b64 s[6:7], s[70:71], 12
	s_lshl_b64 s[8:9], s[4:5], 2
	s_add_u32 s40, s68, s8
	s_addc_u32 s41, s69, s9
	s_cmp_lg_u64 s[6:7], s[2:3]
	s_cbranch_scc0 .LBB830_146
; %bb.16:
	s_waitcnt vmcnt(0)
	v_lshlrev_b32_e32 v2, 2, v0
	s_waitcnt lgkmcnt(0)
	global_load_dword v1, v2, s[40:41]
	global_load_dword v3, v2, s[40:41] offset:1024
	global_load_dword v6, v2, s[40:41] offset:2048
	;; [unrolled: 1-line block ×3, first 2 shown]
	s_waitcnt vmcnt(2)
	v_add_u32_e32 v4, v3, v1
	v_ashrrev_i32_e32 v5, 31, v4
	v_lshl_add_u64 v[4:5], v[4:5], 2, s[66:67]
	global_load_dword v1, v[4:5], off
	v_mov_b32_e32 v3, 0
	v_lshl_add_u64 v[2:3], s[40:41], 0, v[2:3]
	s_waitcnt vmcnt(0)
	v_add_u32_e32 v4, v1, v6
	v_ashrrev_i32_e32 v5, 31, v4
	v_lshl_add_u64 v[4:5], v[4:5], 2, s[66:67]
	global_load_dword v1, v[4:5], off
	v_add_co_u32_e32 v4, vcc, 0x1000, v2
	s_waitcnt vmcnt(0)
	v_add_u32_e32 v6, v1, v7
	v_ashrrev_i32_e32 v7, 31, v6
	v_addc_co_u32_e32 v5, vcc, 0, v3, vcc
	v_lshl_add_u64 v[6:7], v[6:7], 2, s[66:67]
	global_load_dword v8, v[4:5], off
	global_load_dword v1, v[6:7], off
	v_add_co_u32_e32 v6, vcc, 0x2000, v2
	s_nop 1
	v_addc_co_u32_e32 v7, vcc, 0, v3, vcc
	global_load_dword v9, v[4:5], off offset:1024
	global_load_dword v10, v[4:5], off offset:2048
	;; [unrolled: 1-line block ×3, first 2 shown]
	global_load_dword v12, v[6:7], off
	global_load_dword v13, v[6:7], off offset:1024
	global_load_dword v14, v[6:7], off offset:2048
	;; [unrolled: 1-line block ×3, first 2 shown]
	v_add_co_u32_e32 v2, vcc, 0x3000, v2
	s_waitcnt vmcnt(7)
	v_add_u32_e32 v4, v1, v8
	v_ashrrev_i32_e32 v5, 31, v4
	v_lshl_add_u64 v[4:5], v[4:5], 2, s[66:67]
	global_load_dword v1, v[4:5], off
	v_addc_co_u32_e32 v3, vcc, 0, v3, vcc
	s_waitcnt vmcnt(0)
	v_add_u32_e32 v4, v1, v9
	v_ashrrev_i32_e32 v5, 31, v4
	v_lshl_add_u64 v[4:5], v[4:5], 2, s[66:67]
	global_load_dword v1, v[4:5], off
	s_waitcnt vmcnt(0)
	v_add_u32_e32 v4, v1, v10
	v_ashrrev_i32_e32 v5, 31, v4
	v_lshl_add_u64 v[4:5], v[4:5], 2, s[66:67]
	global_load_dword v1, v[4:5], off
	;; [unrolled: 5-line block ×7, first 2 shown]
	global_load_dword v6, v[2:3], off
	global_load_dword v7, v[2:3], off offset:1024
	global_load_dword v8, v[2:3], off offset:2048
	;; [unrolled: 1-line block ×3, first 2 shown]
	s_waitcnt vmcnt(3)
	v_add_u32_e32 v2, v1, v6
	v_ashrrev_i32_e32 v3, 31, v2
	v_lshl_add_u64 v[2:3], v[2:3], 2, s[66:67]
	global_load_dword v1, v[2:3], off
	s_waitcnt vmcnt(0)
	v_add_u32_e32 v2, v1, v7
	v_ashrrev_i32_e32 v3, 31, v2
	v_lshl_add_u64 v[2:3], v[2:3], 2, s[66:67]
	global_load_dword v1, v[2:3], off
	;; [unrolled: 5-line block ×4, first 2 shown]
	s_waitcnt vmcnt(0)
	s_nop 0
	v_add_u32_dpp v2, v1, v1 quad_perm:[1,0,3,2] row_mask:0xf bank_mask:0xf bound_ctrl:1
	v_ashrrev_i32_e32 v3, 31, v2
	v_lshl_add_u64 v[2:3], v[2:3], 2, s[66:67]
	global_load_dword v1, v[2:3], off
	s_waitcnt vmcnt(0)
	s_nop 0
	v_add_u32_dpp v2, v1, v1 quad_perm:[2,3,0,1] row_mask:0xf bank_mask:0xf bound_ctrl:1
	v_ashrrev_i32_e32 v3, 31, v2
	v_lshl_add_u64 v[2:3], v[2:3], 2, s[66:67]
	global_load_dword v1, v[2:3], off
	s_waitcnt vmcnt(0)
	s_nop 0
	v_add_u32_dpp v2, v1, v1 row_ror:4 row_mask:0xf bank_mask:0xf bound_ctrl:1
	v_ashrrev_i32_e32 v3, 31, v2
	v_lshl_add_u64 v[2:3], v[2:3], 2, s[66:67]
	global_load_dword v1, v[2:3], off
	s_waitcnt vmcnt(0)
	s_nop 0
	v_add_u32_dpp v2, v1, v1 row_ror:8 row_mask:0xf bank_mask:0xf bound_ctrl:1
	v_ashrrev_i32_e32 v3, 31, v2
	v_lshl_add_u64 v[2:3], v[2:3], 2, s[66:67]
	global_load_dword v1, v[2:3], off
	s_waitcnt vmcnt(0)
	s_nop 0
	v_add_u32_dpp v2, v1, v1 row_bcast:15 row_mask:0xf bank_mask:0xf bound_ctrl:1
	v_ashrrev_i32_e32 v3, 31, v2
	v_lshl_add_u64 v[2:3], v[2:3], 2, s[66:67]
	global_load_dword v1, v[2:3], off
	s_waitcnt vmcnt(0)
	s_nop 0
	v_add_u32_dpp v2, v1, v1 row_bcast:31 row_mask:0xf bank_mask:0xf bound_ctrl:1
	v_ashrrev_i32_e32 v3, 31, v2
	v_lshl_add_u64 v[2:3], v[2:3], 2, s[66:67]
	global_load_dword v2, v[2:3], off
	v_mbcnt_lo_u32_b32 v1, -1, 0
	v_mbcnt_hi_u32_b32 v3, -1, v1
	v_lshlrev_b32_e32 v1, 2, v3
	v_or_b32_e32 v4, 0xfc, v1
	v_cmp_eq_u32_e32 vcc, 0, v3
	s_waitcnt vmcnt(0)
	ds_bpermute_b32 v2, v4, v2
	s_and_saveexec_b64 s[6:7], vcc
	s_cbranch_execz .LBB830_18
; %bb.17:
	v_lshrrev_b32_e32 v4, 4, v0
	v_and_b32_e32 v4, 12, v4
	s_waitcnt lgkmcnt(0)
	ds_write_b32 v4, v2 offset:16
.LBB830_18:
	s_or_b64 exec, exec, s[6:7]
	v_cmp_gt_u32_e32 vcc, 64, v0
	s_mov_b64 s[6:7], 0
	s_mov_b64 s[38:39], 0
	s_waitcnt lgkmcnt(0)
	s_barrier
                                        ; implicit-def: $vgpr4
	s_and_saveexec_b64 s[8:9], vcc
	s_xor_b64 s[8:9], exec, s[8:9]
	s_cbranch_execz .LBB830_20
; %bb.19:
	v_and_b32_e32 v4, 3, v3
	v_lshlrev_b32_e32 v5, 2, v4
	ds_read_b32 v5, v5 offset:16
	v_cmp_ne_u32_e32 vcc, 3, v4
	v_or_b32_e32 v1, 8, v1
	s_mov_b64 s[38:39], exec
	v_addc_co_u32_e32 v3, vcc, 0, v3, vcc
	v_lshlrev_b32_e32 v3, 2, v3
	s_waitcnt lgkmcnt(0)
	ds_bpermute_b32 v3, v3, v5
	s_waitcnt lgkmcnt(0)
	v_add_u32_e32 v4, v3, v5
	v_ashrrev_i32_e32 v5, 31, v4
	v_lshl_add_u64 v[4:5], v[4:5], 2, s[66:67]
	global_load_dword v3, v[4:5], off
	s_waitcnt vmcnt(0)
	ds_bpermute_b32 v1, v1, v3
	s_waitcnt lgkmcnt(0)
	v_add_u32_e32 v4, v1, v3
.LBB830_20:
	s_or_b64 exec, exec, s[8:9]
	s_branch .LBB830_147
.LBB830_21:
                                        ; implicit-def: $vgpr2
	s_branch .LBB830_229
.LBB830_22:
	s_mov_b64 s[6:7], -1
	s_mov_b64 s[74:75], 0
                                        ; implicit-def: $vgpr4
                                        ; implicit-def: $vgpr2
.LBB830_23:
	s_and_b64 vcc, exec, s[6:7]
	s_cbranch_vccz .LBB830_140
; %bb.24:
	s_sub_i32 s81, s70, s4
	v_mov_b32_e32 v2, 0
	v_cmp_gt_u32_e32 vcc, s81, v0
	v_mov_b32_e32 v3, v2
	v_mov_b32_e32 v4, v2
	;; [unrolled: 1-line block ×31, first 2 shown]
	s_and_saveexec_b64 s[4:5], vcc
	s_cbranch_execz .LBB830_26
; %bb.25:
	v_lshlrev_b32_e32 v1, 2, v0
	global_load_dword v4, v1, s[76:77]
	v_mov_b32_e32 v5, v2
	v_mov_b32_e32 v6, v2
	;; [unrolled: 1-line block ×31, first 2 shown]
	s_waitcnt vmcnt(0)
	v_mov_b64_e32 v[2:3], v[4:5]
	v_mov_b64_e32 v[4:5], v[6:7]
	v_mov_b64_e32 v[6:7], v[8:9]
	v_mov_b64_e32 v[8:9], v[10:11]
	v_mov_b64_e32 v[10:11], v[12:13]
	v_mov_b64_e32 v[12:13], v[14:15]
	v_mov_b64_e32 v[14:15], v[16:17]
	v_mov_b64_e32 v[16:17], v[18:19]
	v_mov_b64_e32 v[18:19], v[20:21]
	v_mov_b64_e32 v[20:21], v[22:23]
	v_mov_b64_e32 v[22:23], v[24:25]
	v_mov_b64_e32 v[24:25], v[26:27]
	v_mov_b64_e32 v[26:27], v[28:29]
	v_mov_b64_e32 v[28:29], v[30:31]
	v_mov_b64_e32 v[30:31], v[32:33]
	v_mov_b64_e32 v[32:33], v[34:35]
.LBB830_26:
	s_or_b64 exec, exec, s[4:5]
	v_or_b32_e32 v1, 0x100, v0
	v_cmp_gt_u32_e32 vcc, s81, v1
	s_and_saveexec_b64 s[4:5], vcc
	s_cbranch_execz .LBB830_28
; %bb.27:
	v_lshlrev_b32_e32 v1, 2, v0
	global_load_dword v3, v1, s[76:77] offset:1024
.LBB830_28:
	s_or_b64 exec, exec, s[4:5]
	v_or_b32_e32 v1, 0x200, v0
	v_cmp_gt_u32_e64 s[4:5], s81, v1
	s_and_saveexec_b64 s[6:7], s[4:5]
	s_cbranch_execz .LBB830_30
; %bb.29:
	v_lshlrev_b32_e32 v1, 2, v0
	global_load_dword v4, v1, s[76:77] offset:2048
.LBB830_30:
	s_or_b64 exec, exec, s[6:7]
	v_or_b32_e32 v1, 0x300, v0
	v_cmp_gt_u32_e64 s[6:7], s81, v1
	s_and_saveexec_b64 s[8:9], s[6:7]
	s_cbranch_execz .LBB830_32
; %bb.31:
	v_lshlrev_b32_e32 v1, 2, v0
	global_load_dword v5, v1, s[76:77] offset:3072
.LBB830_32:
	s_or_b64 exec, exec, s[8:9]
	v_or_b32_e32 v1, 0x400, v0
	v_cmp_gt_u32_e64 s[8:9], s81, v1
	s_and_saveexec_b64 s[10:11], s[8:9]
	s_cbranch_execz .LBB830_34
; %bb.33:
	v_lshlrev_b32_e32 v1, 2, v1
	global_load_dword v6, v1, s[76:77]
.LBB830_34:
	s_or_b64 exec, exec, s[10:11]
	v_or_b32_e32 v1, 0x500, v0
	v_cmp_gt_u32_e64 s[10:11], s81, v1
	s_and_saveexec_b64 s[12:13], s[10:11]
	s_cbranch_execz .LBB830_36
; %bb.35:
	v_lshlrev_b32_e32 v1, 2, v1
	global_load_dword v7, v1, s[76:77]
.LBB830_36:
	s_or_b64 exec, exec, s[12:13]
	v_or_b32_e32 v1, 0x600, v0
	v_cmp_gt_u32_e64 s[12:13], s81, v1
	s_and_saveexec_b64 s[14:15], s[12:13]
	;; [unrolled: 9-line block ×27, first 2 shown]
	s_cbranch_execnz .LBB830_423
; %bb.87:
	s_or_b64 exec, exec, s[78:79]
	s_and_saveexec_b64 s[76:77], vcc
	s_cbranch_execnz .LBB830_424
.LBB830_88:
	s_or_b64 exec, exec, s[76:77]
	s_and_saveexec_b64 s[76:77], s[4:5]
	s_cbranch_execnz .LBB830_425
.LBB830_89:
	s_or_b64 exec, exec, s[76:77]
	s_and_saveexec_b64 s[4:5], s[6:7]
	s_cbranch_execnz .LBB830_426
.LBB830_90:
	s_or_b64 exec, exec, s[4:5]
	s_and_saveexec_b64 s[4:5], s[8:9]
	s_cbranch_execnz .LBB830_427
.LBB830_91:
	s_or_b64 exec, exec, s[4:5]
	s_and_saveexec_b64 s[4:5], s[10:11]
	s_cbranch_execnz .LBB830_428
.LBB830_92:
	s_or_b64 exec, exec, s[4:5]
	s_and_saveexec_b64 s[4:5], s[12:13]
	s_cbranch_execnz .LBB830_429
.LBB830_93:
	s_or_b64 exec, exec, s[4:5]
	s_and_saveexec_b64 s[4:5], s[14:15]
	s_cbranch_execnz .LBB830_430
.LBB830_94:
	s_or_b64 exec, exec, s[4:5]
	s_and_saveexec_b64 s[4:5], s[16:17]
	s_cbranch_execnz .LBB830_431
.LBB830_95:
	s_or_b64 exec, exec, s[4:5]
	s_and_saveexec_b64 s[4:5], s[18:19]
	s_cbranch_execnz .LBB830_432
.LBB830_96:
	s_or_b64 exec, exec, s[4:5]
	s_and_saveexec_b64 s[4:5], s[20:21]
	s_cbranch_execnz .LBB830_433
.LBB830_97:
	s_or_b64 exec, exec, s[4:5]
	s_and_saveexec_b64 s[4:5], s[22:23]
	s_cbranch_execnz .LBB830_434
.LBB830_98:
	s_or_b64 exec, exec, s[4:5]
	s_and_saveexec_b64 s[4:5], s[24:25]
	s_cbranch_execnz .LBB830_435
.LBB830_99:
	s_or_b64 exec, exec, s[4:5]
	s_and_saveexec_b64 s[4:5], s[26:27]
	s_cbranch_execnz .LBB830_436
.LBB830_100:
	s_or_b64 exec, exec, s[4:5]
	s_and_saveexec_b64 s[4:5], s[28:29]
	s_cbranch_execnz .LBB830_437
.LBB830_101:
	s_or_b64 exec, exec, s[4:5]
	s_and_saveexec_b64 s[4:5], s[30:31]
	s_cbranch_execnz .LBB830_438
.LBB830_102:
	s_or_b64 exec, exec, s[4:5]
	s_and_saveexec_b64 s[4:5], s[34:35]
	s_cbranch_execnz .LBB830_439
.LBB830_103:
	s_or_b64 exec, exec, s[4:5]
	s_and_saveexec_b64 s[4:5], s[36:37]
	s_cbranch_execnz .LBB830_440
.LBB830_104:
	s_or_b64 exec, exec, s[4:5]
	s_and_saveexec_b64 s[4:5], s[38:39]
	s_cbranch_execnz .LBB830_441
.LBB830_105:
	s_or_b64 exec, exec, s[4:5]
	s_and_saveexec_b64 s[4:5], s[40:41]
	s_cbranch_execnz .LBB830_442
.LBB830_106:
	s_or_b64 exec, exec, s[4:5]
	s_and_saveexec_b64 s[4:5], s[42:43]
	s_cbranch_execnz .LBB830_443
.LBB830_107:
	s_or_b64 exec, exec, s[4:5]
	s_and_saveexec_b64 s[4:5], s[44:45]
	s_cbranch_execnz .LBB830_444
.LBB830_108:
	s_or_b64 exec, exec, s[4:5]
	s_and_saveexec_b64 s[4:5], s[46:47]
	s_cbranch_execnz .LBB830_445
.LBB830_109:
	s_or_b64 exec, exec, s[4:5]
	s_and_saveexec_b64 s[4:5], s[48:49]
	s_cbranch_execnz .LBB830_446
.LBB830_110:
	s_or_b64 exec, exec, s[4:5]
	s_and_saveexec_b64 s[4:5], s[50:51]
	s_cbranch_execnz .LBB830_447
.LBB830_111:
	s_or_b64 exec, exec, s[4:5]
	s_and_saveexec_b64 s[4:5], s[52:53]
	s_cbranch_execnz .LBB830_448
.LBB830_112:
	s_or_b64 exec, exec, s[4:5]
	s_and_saveexec_b64 s[4:5], s[54:55]
	s_cbranch_execnz .LBB830_449
.LBB830_113:
	s_or_b64 exec, exec, s[4:5]
	s_and_saveexec_b64 s[4:5], s[56:57]
	s_cbranch_execnz .LBB830_450
.LBB830_114:
	s_or_b64 exec, exec, s[4:5]
	s_and_saveexec_b64 s[4:5], s[58:59]
	s_cbranch_execnz .LBB830_451
.LBB830_115:
	s_or_b64 exec, exec, s[4:5]
	s_and_saveexec_b64 s[4:5], s[60:61]
	s_cbranch_execnz .LBB830_452
.LBB830_116:
	s_or_b64 exec, exec, s[4:5]
	s_and_saveexec_b64 s[4:5], s[62:63]
	s_cbranch_execnz .LBB830_453
.LBB830_117:
	s_or_b64 exec, exec, s[4:5]
	s_and_saveexec_b64 s[4:5], s[64:65]
	s_cbranch_execz .LBB830_119
.LBB830_118:
	s_waitcnt vmcnt(0)
	v_add_u32_e32 v2, v2, v33
	v_ashrrev_i32_e32 v3, 31, v2
	v_lshl_add_u64 v[2:3], v[2:3], 2, s[66:67]
	global_load_dword v2, v[2:3], off
.LBB830_119:
	s_or_b64 exec, exec, s[4:5]
	v_mbcnt_lo_u32_b32 v1, -1, 0
	v_mbcnt_hi_u32_b32 v1, -1, v1
	s_waitcnt vmcnt(0)
	v_and_b32_e32 v3, 63, v1
	v_cmp_ne_u32_e32 vcc, 63, v3
	s_min_u32 s6, s81, 0x100
	v_add_u32_e32 v6, 1, v3
	v_addc_co_u32_e32 v4, vcc, 0, v1, vcc
	v_lshlrev_b32_e32 v4, 2, v4
	ds_bpermute_b32 v5, v4, v2
	v_and_b32_e32 v4, 0xc0, v0
	v_sub_u32_e64 v4, s6, v4 clamp
	v_cmp_lt_u32_e32 vcc, v6, v4
	s_and_saveexec_b64 s[4:5], vcc
	s_xor_b64 s[4:5], exec, s[4:5]
	s_cbranch_execz .LBB830_121
; %bb.120:
	s_waitcnt lgkmcnt(0)
	v_add_u32_e32 v6, v5, v2
	v_ashrrev_i32_e32 v7, 31, v6
	v_lshl_add_u64 v[6:7], v[6:7], 2, s[66:67]
	global_load_dword v2, v[6:7], off
.LBB830_121:
	s_or_b64 exec, exec, s[4:5]
	v_cmp_gt_u32_e32 vcc, 62, v3
	v_add_u32_e32 v6, 2, v3
	s_waitcnt lgkmcnt(0)
	v_cndmask_b32_e64 v5, 0, 2, vcc
	v_add_lshl_u32 v5, v5, v1, 2
	s_waitcnt vmcnt(0)
	ds_bpermute_b32 v5, v5, v2
	v_cmp_lt_u32_e32 vcc, v6, v4
	s_and_saveexec_b64 s[4:5], vcc
	s_cbranch_execz .LBB830_123
; %bb.122:
	s_waitcnt lgkmcnt(0)
	v_add_u32_e32 v6, v5, v2
	v_ashrrev_i32_e32 v7, 31, v6
	v_lshl_add_u64 v[6:7], v[6:7], 2, s[66:67]
	global_load_dword v2, v[6:7], off
.LBB830_123:
	s_or_b64 exec, exec, s[4:5]
	v_cmp_gt_u32_e32 vcc, 60, v3
	v_add_u32_e32 v6, 4, v3
	s_waitcnt lgkmcnt(0)
	v_cndmask_b32_e64 v5, 0, 4, vcc
	v_add_lshl_u32 v5, v5, v1, 2
	s_waitcnt vmcnt(0)
	ds_bpermute_b32 v5, v5, v2
	v_cmp_lt_u32_e32 vcc, v6, v4
	s_and_saveexec_b64 s[4:5], vcc
	;; [unrolled: 18-line block ×4, first 2 shown]
	s_cbranch_execz .LBB830_129
; %bb.128:
	s_waitcnt lgkmcnt(0)
	v_add_u32_e32 v6, v5, v2
	v_ashrrev_i32_e32 v7, 31, v6
	v_lshl_add_u64 v[6:7], v[6:7], 2, s[66:67]
	global_load_dword v2, v[6:7], off
.LBB830_129:
	s_or_b64 exec, exec, s[4:5]
	s_waitcnt lgkmcnt(0)
	v_lshlrev_b32_e32 v5, 2, v1
	v_or_b32_e32 v6, 0x80, v5
	s_waitcnt vmcnt(0)
	ds_bpermute_b32 v6, v6, v2
	v_add_u32_e32 v3, 32, v3
	v_cmp_lt_u32_e32 vcc, v3, v4
	s_and_saveexec_b64 s[4:5], vcc
	s_cbranch_execz .LBB830_131
; %bb.130:
	s_waitcnt lgkmcnt(0)
	v_add_u32_e32 v2, v6, v2
	v_ashrrev_i32_e32 v3, 31, v2
	v_lshl_add_u64 v[2:3], v[2:3], 2, s[66:67]
	global_load_dword v2, v[2:3], off
.LBB830_131:
	s_or_b64 exec, exec, s[4:5]
	v_cmp_eq_u32_e32 vcc, 0, v1
	s_and_saveexec_b64 s[4:5], vcc
	s_cbranch_execz .LBB830_133
; %bb.132:
	v_lshrrev_b32_e32 v3, 4, v0
	v_and_b32_e32 v3, 12, v3
	s_waitcnt vmcnt(0)
	ds_write_b32 v3, v2
.LBB830_133:
	s_or_b64 exec, exec, s[4:5]
	v_cmp_gt_u32_e32 vcc, 4, v0
	s_waitcnt lgkmcnt(0)
	s_barrier
                                        ; implicit-def: $vgpr4
	s_and_saveexec_b64 s[4:5], vcc
	s_cbranch_execz .LBB830_139
; %bb.134:
	s_waitcnt vmcnt(0)
	ds_read_b32 v2, v5
	v_and_b32_e32 v3, 3, v1
	v_cmp_ne_u32_e32 vcc, 3, v3
	s_add_i32 s6, s6, 63
	s_lshr_b32 s8, s6, 6
	v_addc_co_u32_e32 v1, vcc, 0, v1, vcc
	v_lshlrev_b32_e32 v1, 2, v1
	s_waitcnt lgkmcnt(0)
	ds_bpermute_b32 v1, v1, v2
	v_add_u32_e32 v4, 1, v3
	v_cmp_gt_u32_e32 vcc, s8, v4
	s_and_saveexec_b64 s[6:7], vcc
	s_cbranch_execz .LBB830_136
; %bb.135:
	s_waitcnt lgkmcnt(0)
	v_add_u32_e32 v6, v1, v2
	v_ashrrev_i32_e32 v7, 31, v6
	v_lshl_add_u64 v[6:7], v[6:7], 2, s[66:67]
	global_load_dword v2, v[6:7], off
.LBB830_136:
	s_or_b64 exec, exec, s[6:7]
	s_waitcnt lgkmcnt(0)
	v_or_b32_e32 v1, 8, v5
	s_waitcnt vmcnt(0)
	ds_bpermute_b32 v1, v1, v2
	v_add_u32_e32 v3, 2, v3
	v_cmp_gt_u32_e32 vcc, s8, v3
	s_mov_b64 s[6:7], s[74:75]
                                        ; implicit-def: $vgpr4
	s_and_saveexec_b64 s[8:9], vcc
	s_cbranch_execz .LBB830_138
; %bb.137:
	s_waitcnt lgkmcnt(0)
	v_add_u32_e32 v4, v1, v2
	s_or_b64 s[6:7], s[74:75], exec
.LBB830_138:
	s_or_b64 exec, exec, s[8:9]
	s_andn2_b64 s[8:9], s[74:75], exec
	s_and_b64 s[6:7], s[6:7], exec
	s_or_b64 s[74:75], s[8:9], s[6:7]
.LBB830_139:
	s_or_b64 exec, exec, s[4:5]
.LBB830_140:
	s_and_saveexec_b64 s[4:5], s[74:75]
	s_cbranch_execz .LBB830_142
; %bb.141:
	v_ashrrev_i32_e32 v5, 31, v4
	s_waitcnt vmcnt(0)
	v_lshl_add_u64 v[2:3], v[4:5], 2, s[66:67]
	global_load_dword v2, v[2:3], off
.LBB830_142:
	s_or_b64 exec, exec, s[4:5]
	v_cmp_eq_u32_e32 vcc, 0, v0
	s_mov_b64 s[36:37], 0
	s_mov_b64 s[34:35], 0
	s_and_saveexec_b64 s[4:5], vcc
	s_xor_b64 s[4:5], exec, s[4:5]
; %bb.143:
	s_cmp_eq_u64 s[70:71], 0
	s_cselect_b64 s[6:7], -1, 0
	s_cmp_lg_u64 s[70:71], 0
	s_cselect_b64 s[8:9], -1, 0
	s_and_b64 s[34:35], s[6:7], exec
	s_and_b64 s[36:37], s[8:9], exec
; %bb.144:
	s_or_b64 exec, exec, s[4:5]
	s_and_b64 vcc, exec, s[72:73]
	s_cbranch_vccnz .LBB830_14
.LBB830_145:
	s_branch .LBB830_229
.LBB830_146:
	s_mov_b64 s[6:7], -1
	s_mov_b64 s[38:39], 0
                                        ; implicit-def: $vgpr4
                                        ; implicit-def: $vgpr2
.LBB830_147:
	s_and_b64 vcc, exec, s[6:7]
	s_cbranch_vccz .LBB830_216
; %bb.148:
	s_sub_i32 s44, s70, s4
	s_waitcnt vmcnt(0)
	v_mov_b32_e32 v2, 0
	v_cmp_gt_u32_e32 vcc, s44, v0
	v_mov_b32_e32 v3, v2
	v_mov_b32_e32 v4, v2
	;; [unrolled: 1-line block ×15, first 2 shown]
	s_and_saveexec_b64 s[4:5], vcc
	s_cbranch_execz .LBB830_150
; %bb.149:
	s_waitcnt lgkmcnt(0)
	v_lshlrev_b32_e32 v1, 2, v0
	global_load_dword v4, v1, s[40:41]
	v_mov_b32_e32 v5, v2
	v_mov_b32_e32 v6, v2
	;; [unrolled: 1-line block ×15, first 2 shown]
	s_waitcnt vmcnt(0)
	v_mov_b64_e32 v[2:3], v[4:5]
	v_mov_b64_e32 v[4:5], v[6:7]
	;; [unrolled: 1-line block ×8, first 2 shown]
.LBB830_150:
	s_or_b64 exec, exec, s[4:5]
	s_waitcnt lgkmcnt(0)
	v_or_b32_e32 v1, 0x100, v0
	v_cmp_gt_u32_e32 vcc, s44, v1
	s_and_saveexec_b64 s[4:5], vcc
	s_cbranch_execz .LBB830_152
; %bb.151:
	v_lshlrev_b32_e32 v1, 2, v0
	global_load_dword v3, v1, s[40:41] offset:1024
.LBB830_152:
	s_or_b64 exec, exec, s[4:5]
	v_or_b32_e32 v1, 0x200, v0
	v_cmp_gt_u32_e64 s[4:5], s44, v1
	s_and_saveexec_b64 s[6:7], s[4:5]
	s_cbranch_execz .LBB830_154
; %bb.153:
	v_lshlrev_b32_e32 v1, 2, v0
	global_load_dword v4, v1, s[40:41] offset:2048
.LBB830_154:
	s_or_b64 exec, exec, s[6:7]
	v_or_b32_e32 v1, 0x300, v0
	v_cmp_gt_u32_e64 s[6:7], s44, v1
	s_and_saveexec_b64 s[8:9], s[6:7]
	;; [unrolled: 9-line block ×3, first 2 shown]
	s_cbranch_execz .LBB830_158
; %bb.157:
	v_lshlrev_b32_e32 v1, 2, v1
	global_load_dword v6, v1, s[40:41]
.LBB830_158:
	s_or_b64 exec, exec, s[10:11]
	v_or_b32_e32 v1, 0x500, v0
	v_cmp_gt_u32_e64 s[10:11], s44, v1
	s_and_saveexec_b64 s[12:13], s[10:11]
	s_cbranch_execz .LBB830_160
; %bb.159:
	v_lshlrev_b32_e32 v1, 2, v1
	global_load_dword v7, v1, s[40:41]
.LBB830_160:
	s_or_b64 exec, exec, s[12:13]
	v_or_b32_e32 v1, 0x600, v0
	v_cmp_gt_u32_e64 s[12:13], s44, v1
	s_and_saveexec_b64 s[14:15], s[12:13]
	;; [unrolled: 9-line block ×11, first 2 shown]
	s_cbranch_execnz .LBB830_454
; %bb.179:
	s_or_b64 exec, exec, s[42:43]
	s_and_saveexec_b64 s[40:41], vcc
	s_cbranch_execnz .LBB830_455
.LBB830_180:
	s_or_b64 exec, exec, s[40:41]
	s_and_saveexec_b64 s[40:41], s[4:5]
	s_cbranch_execnz .LBB830_456
.LBB830_181:
	s_or_b64 exec, exec, s[40:41]
	s_and_saveexec_b64 s[4:5], s[6:7]
	s_cbranch_execnz .LBB830_457
.LBB830_182:
	s_or_b64 exec, exec, s[4:5]
	s_and_saveexec_b64 s[4:5], s[8:9]
	s_cbranch_execnz .LBB830_458
.LBB830_183:
	s_or_b64 exec, exec, s[4:5]
	s_and_saveexec_b64 s[4:5], s[10:11]
	s_cbranch_execnz .LBB830_459
.LBB830_184:
	s_or_b64 exec, exec, s[4:5]
	s_and_saveexec_b64 s[4:5], s[12:13]
	s_cbranch_execnz .LBB830_460
.LBB830_185:
	s_or_b64 exec, exec, s[4:5]
	s_and_saveexec_b64 s[4:5], s[14:15]
	s_cbranch_execnz .LBB830_461
.LBB830_186:
	s_or_b64 exec, exec, s[4:5]
	s_and_saveexec_b64 s[4:5], s[16:17]
	s_cbranch_execnz .LBB830_462
.LBB830_187:
	s_or_b64 exec, exec, s[4:5]
	s_and_saveexec_b64 s[4:5], s[18:19]
	s_cbranch_execnz .LBB830_463
.LBB830_188:
	s_or_b64 exec, exec, s[4:5]
	s_and_saveexec_b64 s[4:5], s[20:21]
	s_cbranch_execnz .LBB830_464
.LBB830_189:
	s_or_b64 exec, exec, s[4:5]
	s_and_saveexec_b64 s[4:5], s[22:23]
	s_cbranch_execnz .LBB830_465
.LBB830_190:
	s_or_b64 exec, exec, s[4:5]
	s_and_saveexec_b64 s[4:5], s[24:25]
	s_cbranch_execnz .LBB830_466
.LBB830_191:
	s_or_b64 exec, exec, s[4:5]
	s_and_saveexec_b64 s[4:5], s[26:27]
	s_cbranch_execnz .LBB830_467
.LBB830_192:
	s_or_b64 exec, exec, s[4:5]
	s_and_saveexec_b64 s[4:5], s[28:29]
	s_cbranch_execnz .LBB830_468
.LBB830_193:
	s_or_b64 exec, exec, s[4:5]
	s_and_saveexec_b64 s[4:5], s[30:31]
	s_cbranch_execz .LBB830_195
.LBB830_194:
	s_waitcnt vmcnt(0)
	v_add_u32_e32 v2, v2, v17
	v_ashrrev_i32_e32 v3, 31, v2
	v_lshl_add_u64 v[2:3], v[2:3], 2, s[66:67]
	global_load_dword v2, v[2:3], off
.LBB830_195:
	s_or_b64 exec, exec, s[4:5]
	v_mbcnt_lo_u32_b32 v1, -1, 0
	v_mbcnt_hi_u32_b32 v1, -1, v1
	s_waitcnt vmcnt(0)
	v_and_b32_e32 v3, 63, v1
	v_cmp_ne_u32_e32 vcc, 63, v3
	s_min_u32 s6, s44, 0x100
	v_add_u32_e32 v6, 1, v3
	v_addc_co_u32_e32 v4, vcc, 0, v1, vcc
	v_lshlrev_b32_e32 v4, 2, v4
	ds_bpermute_b32 v5, v4, v2
	v_and_b32_e32 v4, 0xc0, v0
	v_sub_u32_e64 v4, s6, v4 clamp
	v_cmp_lt_u32_e32 vcc, v6, v4
	s_and_saveexec_b64 s[4:5], vcc
	s_xor_b64 s[4:5], exec, s[4:5]
	s_cbranch_execz .LBB830_197
; %bb.196:
	s_waitcnt lgkmcnt(0)
	v_add_u32_e32 v6, v5, v2
	v_ashrrev_i32_e32 v7, 31, v6
	v_lshl_add_u64 v[6:7], v[6:7], 2, s[66:67]
	global_load_dword v2, v[6:7], off
.LBB830_197:
	s_or_b64 exec, exec, s[4:5]
	v_cmp_gt_u32_e32 vcc, 62, v3
	v_add_u32_e32 v6, 2, v3
	s_waitcnt lgkmcnt(0)
	v_cndmask_b32_e64 v5, 0, 2, vcc
	v_add_lshl_u32 v5, v5, v1, 2
	s_waitcnt vmcnt(0)
	ds_bpermute_b32 v5, v5, v2
	v_cmp_lt_u32_e32 vcc, v6, v4
	s_and_saveexec_b64 s[4:5], vcc
	s_cbranch_execz .LBB830_199
; %bb.198:
	s_waitcnt lgkmcnt(0)
	v_add_u32_e32 v6, v5, v2
	v_ashrrev_i32_e32 v7, 31, v6
	v_lshl_add_u64 v[6:7], v[6:7], 2, s[66:67]
	global_load_dword v2, v[6:7], off
.LBB830_199:
	s_or_b64 exec, exec, s[4:5]
	v_cmp_gt_u32_e32 vcc, 60, v3
	v_add_u32_e32 v6, 4, v3
	s_waitcnt lgkmcnt(0)
	v_cndmask_b32_e64 v5, 0, 4, vcc
	v_add_lshl_u32 v5, v5, v1, 2
	s_waitcnt vmcnt(0)
	ds_bpermute_b32 v5, v5, v2
	v_cmp_lt_u32_e32 vcc, v6, v4
	s_and_saveexec_b64 s[4:5], vcc
	;; [unrolled: 18-line block ×4, first 2 shown]
	s_cbranch_execz .LBB830_205
; %bb.204:
	s_waitcnt lgkmcnt(0)
	v_add_u32_e32 v6, v5, v2
	v_ashrrev_i32_e32 v7, 31, v6
	v_lshl_add_u64 v[6:7], v[6:7], 2, s[66:67]
	global_load_dword v2, v[6:7], off
.LBB830_205:
	s_or_b64 exec, exec, s[4:5]
	s_waitcnt lgkmcnt(0)
	v_lshlrev_b32_e32 v5, 2, v1
	v_or_b32_e32 v6, 0x80, v5
	s_waitcnt vmcnt(0)
	ds_bpermute_b32 v6, v6, v2
	v_add_u32_e32 v3, 32, v3
	v_cmp_lt_u32_e32 vcc, v3, v4
	s_and_saveexec_b64 s[4:5], vcc
	s_cbranch_execz .LBB830_207
; %bb.206:
	s_waitcnt lgkmcnt(0)
	v_add_u32_e32 v2, v6, v2
	v_ashrrev_i32_e32 v3, 31, v2
	v_lshl_add_u64 v[2:3], v[2:3], 2, s[66:67]
	global_load_dword v2, v[2:3], off
.LBB830_207:
	s_or_b64 exec, exec, s[4:5]
	v_cmp_eq_u32_e32 vcc, 0, v1
	s_and_saveexec_b64 s[4:5], vcc
	s_cbranch_execz .LBB830_209
; %bb.208:
	v_lshrrev_b32_e32 v3, 4, v0
	v_and_b32_e32 v3, 12, v3
	s_waitcnt vmcnt(0)
	ds_write_b32 v3, v2
.LBB830_209:
	s_or_b64 exec, exec, s[4:5]
	v_cmp_gt_u32_e32 vcc, 4, v0
	s_waitcnt lgkmcnt(0)
	s_barrier
                                        ; implicit-def: $vgpr4
	s_and_saveexec_b64 s[4:5], vcc
	s_cbranch_execz .LBB830_215
; %bb.210:
	s_waitcnt vmcnt(0)
	ds_read_b32 v2, v5
	v_and_b32_e32 v3, 3, v1
	v_cmp_ne_u32_e32 vcc, 3, v3
	s_add_i32 s6, s6, 63
	s_lshr_b32 s8, s6, 6
	v_addc_co_u32_e32 v1, vcc, 0, v1, vcc
	v_lshlrev_b32_e32 v1, 2, v1
	s_waitcnt lgkmcnt(0)
	ds_bpermute_b32 v1, v1, v2
	v_add_u32_e32 v4, 1, v3
	v_cmp_gt_u32_e32 vcc, s8, v4
	s_and_saveexec_b64 s[6:7], vcc
	s_cbranch_execz .LBB830_212
; %bb.211:
	s_waitcnt lgkmcnt(0)
	v_add_u32_e32 v6, v1, v2
	v_ashrrev_i32_e32 v7, 31, v6
	v_lshl_add_u64 v[6:7], v[6:7], 2, s[66:67]
	global_load_dword v2, v[6:7], off
.LBB830_212:
	s_or_b64 exec, exec, s[6:7]
	s_waitcnt lgkmcnt(0)
	v_or_b32_e32 v1, 8, v5
	s_waitcnt vmcnt(0)
	ds_bpermute_b32 v1, v1, v2
	v_add_u32_e32 v3, 2, v3
	v_cmp_gt_u32_e32 vcc, s8, v3
	s_mov_b64 s[6:7], s[38:39]
                                        ; implicit-def: $vgpr4
	s_and_saveexec_b64 s[8:9], vcc
	s_cbranch_execz .LBB830_214
; %bb.213:
	s_waitcnt lgkmcnt(0)
	v_add_u32_e32 v4, v1, v2
	s_or_b64 s[6:7], s[38:39], exec
.LBB830_214:
	s_or_b64 exec, exec, s[8:9]
	s_andn2_b64 s[8:9], s[38:39], exec
	s_and_b64 s[6:7], s[6:7], exec
	s_or_b64 s[38:39], s[8:9], s[6:7]
.LBB830_215:
	s_or_b64 exec, exec, s[4:5]
.LBB830_216:
	s_and_saveexec_b64 s[4:5], s[38:39]
	s_cbranch_execz .LBB830_218
; %bb.217:
	v_ashrrev_i32_e32 v5, 31, v4
	s_waitcnt vmcnt(0)
	v_lshl_add_u64 v[2:3], v[4:5], 2, s[66:67]
	global_load_dword v2, v[2:3], off
.LBB830_218:
	s_or_b64 exec, exec, s[4:5]
	v_cmp_eq_u32_e32 vcc, 0, v0
	s_and_saveexec_b64 s[4:5], vcc
	s_xor_b64 s[4:5], exec, s[4:5]
	s_cbranch_execz .LBB830_220
; %bb.219:
	s_cmp_eq_u64 s[70:71], 0
	s_cselect_b64 s[6:7], -1, 0
	s_cmp_lg_u64 s[70:71], 0
	s_cselect_b64 s[8:9], -1, 0
	s_andn2_b64 s[10:11], s[34:35], exec
	s_and_b64 s[6:7], s[6:7], exec
	s_or_b64 s[34:35], s[10:11], s[6:7]
	s_andn2_b64 s[6:7], s[36:37], exec
	s_and_b64 s[8:9], s[8:9], exec
	s_or_b64 s[36:37], s[6:7], s[8:9]
.LBB830_220:
	s_or_b64 exec, exec, s[4:5]
	s_branch .LBB830_229
.LBB830_221:
	s_cmp_eq_u32 s80, 8
	s_cbranch_scc0 .LBB830_228
; %bb.222:
	s_mov_b32 s3, 0
	s_lshl_b32 s4, s2, 11
	s_mov_b32 s5, s3
	s_lshr_b64 s[6:7], s[70:71], 11
	s_lshl_b64 s[8:9], s[4:5], 2
	s_add_u32 s18, s68, s8
	s_addc_u32 s19, s69, s9
	s_cmp_lg_u64 s[6:7], s[2:3]
	s_cbranch_scc0 .LBB830_230
; %bb.223:
	s_waitcnt vmcnt(0)
	v_lshlrev_b32_e32 v2, 2, v0
	s_waitcnt lgkmcnt(0)
	global_load_dword v1, v2, s[18:19]
	global_load_dword v3, v2, s[18:19] offset:1024
	global_load_dword v6, v2, s[18:19] offset:2048
	;; [unrolled: 1-line block ×3, first 2 shown]
	s_waitcnt vmcnt(2)
	v_add_u32_e32 v4, v3, v1
	v_ashrrev_i32_e32 v5, 31, v4
	v_lshl_add_u64 v[4:5], v[4:5], 2, s[66:67]
	global_load_dword v1, v[4:5], off
	v_mov_b32_e32 v3, 0
	v_lshl_add_u64 v[2:3], s[18:19], 0, v[2:3]
	v_add_co_u32_e32 v2, vcc, 0x1000, v2
	s_waitcnt vmcnt(0)
	v_add_u32_e32 v4, v1, v6
	v_ashrrev_i32_e32 v5, 31, v4
	v_lshl_add_u64 v[4:5], v[4:5], 2, s[66:67]
	global_load_dword v1, v[4:5], off
	v_addc_co_u32_e32 v3, vcc, 0, v3, vcc
	s_waitcnt vmcnt(0)
	v_add_u32_e32 v4, v1, v7
	v_ashrrev_i32_e32 v5, 31, v4
	v_lshl_add_u64 v[4:5], v[4:5], 2, s[66:67]
	global_load_dword v1, v[4:5], off
	global_load_dword v6, v[2:3], off
	global_load_dword v7, v[2:3], off offset:1024
	global_load_dword v8, v[2:3], off offset:2048
	;; [unrolled: 1-line block ×3, first 2 shown]
	s_waitcnt vmcnt(3)
	v_add_u32_e32 v2, v1, v6
	v_ashrrev_i32_e32 v3, 31, v2
	v_lshl_add_u64 v[2:3], v[2:3], 2, s[66:67]
	global_load_dword v1, v[2:3], off
	s_waitcnt vmcnt(0)
	v_add_u32_e32 v2, v1, v7
	v_ashrrev_i32_e32 v3, 31, v2
	v_lshl_add_u64 v[2:3], v[2:3], 2, s[66:67]
	global_load_dword v1, v[2:3], off
	;; [unrolled: 5-line block ×4, first 2 shown]
	s_waitcnt vmcnt(0)
	s_nop 0
	v_add_u32_dpp v2, v1, v1 quad_perm:[1,0,3,2] row_mask:0xf bank_mask:0xf bound_ctrl:1
	v_ashrrev_i32_e32 v3, 31, v2
	v_lshl_add_u64 v[2:3], v[2:3], 2, s[66:67]
	global_load_dword v1, v[2:3], off
	s_waitcnt vmcnt(0)
	s_nop 0
	v_add_u32_dpp v2, v1, v1 quad_perm:[2,3,0,1] row_mask:0xf bank_mask:0xf bound_ctrl:1
	v_ashrrev_i32_e32 v3, 31, v2
	v_lshl_add_u64 v[2:3], v[2:3], 2, s[66:67]
	global_load_dword v1, v[2:3], off
	s_waitcnt vmcnt(0)
	s_nop 0
	v_add_u32_dpp v2, v1, v1 row_ror:4 row_mask:0xf bank_mask:0xf bound_ctrl:1
	v_ashrrev_i32_e32 v3, 31, v2
	v_lshl_add_u64 v[2:3], v[2:3], 2, s[66:67]
	global_load_dword v1, v[2:3], off
	s_waitcnt vmcnt(0)
	s_nop 0
	v_add_u32_dpp v2, v1, v1 row_ror:8 row_mask:0xf bank_mask:0xf bound_ctrl:1
	v_ashrrev_i32_e32 v3, 31, v2
	v_lshl_add_u64 v[2:3], v[2:3], 2, s[66:67]
	global_load_dword v1, v[2:3], off
	s_waitcnt vmcnt(0)
	s_nop 0
	v_add_u32_dpp v2, v1, v1 row_bcast:15 row_mask:0xf bank_mask:0xf bound_ctrl:1
	v_ashrrev_i32_e32 v3, 31, v2
	v_lshl_add_u64 v[2:3], v[2:3], 2, s[66:67]
	global_load_dword v1, v[2:3], off
	s_waitcnt vmcnt(0)
	s_nop 0
	v_add_u32_dpp v2, v1, v1 row_bcast:31 row_mask:0xf bank_mask:0xf bound_ctrl:1
	v_ashrrev_i32_e32 v3, 31, v2
	v_lshl_add_u64 v[2:3], v[2:3], 2, s[66:67]
	global_load_dword v2, v[2:3], off
	v_mbcnt_lo_u32_b32 v1, -1, 0
	v_mbcnt_hi_u32_b32 v3, -1, v1
	v_lshlrev_b32_e32 v1, 2, v3
	v_or_b32_e32 v4, 0xfc, v1
	v_cmp_eq_u32_e32 vcc, 0, v3
	s_waitcnt vmcnt(0)
	ds_bpermute_b32 v2, v4, v2
	s_and_saveexec_b64 s[6:7], vcc
	s_cbranch_execz .LBB830_225
; %bb.224:
	v_lshrrev_b32_e32 v4, 4, v0
	v_and_b32_e32 v4, 12, v4
	s_waitcnt lgkmcnt(0)
	ds_write_b32 v4, v2 offset:96
.LBB830_225:
	s_or_b64 exec, exec, s[6:7]
	v_cmp_gt_u32_e32 vcc, 64, v0
	s_mov_b64 s[6:7], 0
	s_mov_b64 s[16:17], 0
	s_waitcnt lgkmcnt(0)
	s_barrier
                                        ; implicit-def: $vgpr4
	s_and_saveexec_b64 s[8:9], vcc
	s_xor_b64 s[8:9], exec, s[8:9]
	s_cbranch_execz .LBB830_227
; %bb.226:
	v_and_b32_e32 v4, 3, v3
	v_lshlrev_b32_e32 v5, 2, v4
	ds_read_b32 v5, v5 offset:96
	v_cmp_ne_u32_e32 vcc, 3, v4
	v_or_b32_e32 v1, 8, v1
	s_mov_b64 s[16:17], exec
	v_addc_co_u32_e32 v3, vcc, 0, v3, vcc
	v_lshlrev_b32_e32 v3, 2, v3
	s_waitcnt lgkmcnt(0)
	ds_bpermute_b32 v3, v3, v5
	s_waitcnt lgkmcnt(0)
	v_add_u32_e32 v4, v3, v5
	v_ashrrev_i32_e32 v5, 31, v4
	v_lshl_add_u64 v[4:5], v[4:5], 2, s[66:67]
	global_load_dword v3, v[4:5], off
	s_waitcnt vmcnt(0)
	ds_bpermute_b32 v1, v1, v3
	s_waitcnt lgkmcnt(0)
	v_add_u32_e32 v4, v1, v3
.LBB830_227:
	s_or_b64 exec, exec, s[8:9]
	s_and_b64 vcc, exec, s[6:7]
	s_cbranch_vccnz .LBB830_231
	s_branch .LBB830_275
.LBB830_228:
                                        ; implicit-def: $vgpr2
.LBB830_229:
	s_branch .LBB830_389
.LBB830_230:
	s_mov_b64 s[16:17], 0
                                        ; implicit-def: $vgpr4
                                        ; implicit-def: $vgpr2
	s_cbranch_execz .LBB830_275
.LBB830_231:
	s_sub_i32 s22, s70, s4
	s_waitcnt vmcnt(0)
	v_mov_b32_e32 v2, 0
	v_cmp_gt_u32_e32 vcc, s22, v0
	v_mov_b32_e32 v3, v2
	v_mov_b32_e32 v4, v2
	;; [unrolled: 1-line block ×7, first 2 shown]
	s_and_saveexec_b64 s[4:5], vcc
	s_cbranch_execz .LBB830_233
; %bb.232:
	s_waitcnt lgkmcnt(0)
	v_lshlrev_b32_e32 v1, 2, v0
	global_load_dword v4, v1, s[18:19]
	v_mov_b32_e32 v5, v2
	v_mov_b32_e32 v6, v2
	;; [unrolled: 1-line block ×7, first 2 shown]
	s_waitcnt vmcnt(0)
	v_mov_b64_e32 v[2:3], v[4:5]
	v_mov_b64_e32 v[4:5], v[6:7]
	;; [unrolled: 1-line block ×4, first 2 shown]
.LBB830_233:
	s_or_b64 exec, exec, s[4:5]
	s_waitcnt lgkmcnt(0)
	v_or_b32_e32 v1, 0x100, v0
	v_cmp_gt_u32_e32 vcc, s22, v1
	s_and_saveexec_b64 s[4:5], vcc
	s_cbranch_execz .LBB830_235
; %bb.234:
	v_lshlrev_b32_e32 v1, 2, v0
	global_load_dword v3, v1, s[18:19] offset:1024
.LBB830_235:
	s_or_b64 exec, exec, s[4:5]
	v_or_b32_e32 v1, 0x200, v0
	v_cmp_gt_u32_e64 s[4:5], s22, v1
	s_and_saveexec_b64 s[6:7], s[4:5]
	s_cbranch_execz .LBB830_237
; %bb.236:
	v_lshlrev_b32_e32 v1, 2, v0
	global_load_dword v4, v1, s[18:19] offset:2048
.LBB830_237:
	s_or_b64 exec, exec, s[6:7]
	v_or_b32_e32 v1, 0x300, v0
	v_cmp_gt_u32_e64 s[6:7], s22, v1
	s_and_saveexec_b64 s[8:9], s[6:7]
	;; [unrolled: 9-line block ×3, first 2 shown]
	s_cbranch_execz .LBB830_241
; %bb.240:
	v_lshlrev_b32_e32 v1, 2, v1
	global_load_dword v6, v1, s[18:19]
.LBB830_241:
	s_or_b64 exec, exec, s[10:11]
	v_or_b32_e32 v1, 0x500, v0
	v_cmp_gt_u32_e64 s[10:11], s22, v1
	s_and_saveexec_b64 s[12:13], s[10:11]
	s_cbranch_execz .LBB830_243
; %bb.242:
	v_lshlrev_b32_e32 v1, 2, v1
	global_load_dword v7, v1, s[18:19]
.LBB830_243:
	s_or_b64 exec, exec, s[12:13]
	v_or_b32_e32 v1, 0x600, v0
	v_cmp_gt_u32_e64 s[12:13], s22, v1
	s_and_saveexec_b64 s[14:15], s[12:13]
	;; [unrolled: 9-line block ×3, first 2 shown]
	s_cbranch_execnz .LBB830_293
; %bb.246:
	s_or_b64 exec, exec, s[20:21]
	s_and_saveexec_b64 s[18:19], vcc
	s_cbranch_execnz .LBB830_294
.LBB830_247:
	s_or_b64 exec, exec, s[18:19]
	s_and_saveexec_b64 s[18:19], s[4:5]
	s_cbranch_execnz .LBB830_295
.LBB830_248:
	s_or_b64 exec, exec, s[18:19]
	s_and_saveexec_b64 s[4:5], s[6:7]
	s_cbranch_execnz .LBB830_296
.LBB830_249:
	s_or_b64 exec, exec, s[4:5]
	s_and_saveexec_b64 s[4:5], s[8:9]
	s_cbranch_execnz .LBB830_297
.LBB830_250:
	s_or_b64 exec, exec, s[4:5]
	s_and_saveexec_b64 s[4:5], s[10:11]
	s_cbranch_execnz .LBB830_298
.LBB830_251:
	s_or_b64 exec, exec, s[4:5]
	s_and_saveexec_b64 s[4:5], s[12:13]
	s_cbranch_execnz .LBB830_299
.LBB830_252:
	s_or_b64 exec, exec, s[4:5]
	s_and_saveexec_b64 s[4:5], s[14:15]
	s_cbranch_execz .LBB830_254
.LBB830_253:
	s_waitcnt vmcnt(0)
	v_add_u32_e32 v2, v2, v9
	v_ashrrev_i32_e32 v3, 31, v2
	v_lshl_add_u64 v[2:3], v[2:3], 2, s[66:67]
	global_load_dword v2, v[2:3], off
.LBB830_254:
	s_or_b64 exec, exec, s[4:5]
	v_mbcnt_lo_u32_b32 v1, -1, 0
	v_mbcnt_hi_u32_b32 v1, -1, v1
	s_waitcnt vmcnt(0)
	v_and_b32_e32 v3, 63, v1
	v_cmp_ne_u32_e32 vcc, 63, v3
	s_min_u32 s6, s22, 0x100
	v_add_u32_e32 v6, 1, v3
	v_addc_co_u32_e32 v4, vcc, 0, v1, vcc
	v_lshlrev_b32_e32 v4, 2, v4
	ds_bpermute_b32 v5, v4, v2
	v_and_b32_e32 v4, 0xc0, v0
	v_sub_u32_e64 v4, s6, v4 clamp
	v_cmp_lt_u32_e32 vcc, v6, v4
	s_and_saveexec_b64 s[4:5], vcc
	s_xor_b64 s[4:5], exec, s[4:5]
	s_cbranch_execz .LBB830_256
; %bb.255:
	s_waitcnt lgkmcnt(0)
	v_add_u32_e32 v6, v5, v2
	v_ashrrev_i32_e32 v7, 31, v6
	v_lshl_add_u64 v[6:7], v[6:7], 2, s[66:67]
	global_load_dword v2, v[6:7], off
.LBB830_256:
	s_or_b64 exec, exec, s[4:5]
	v_cmp_gt_u32_e32 vcc, 62, v3
	v_add_u32_e32 v6, 2, v3
	s_waitcnt lgkmcnt(0)
	v_cndmask_b32_e64 v5, 0, 2, vcc
	v_add_lshl_u32 v5, v5, v1, 2
	s_waitcnt vmcnt(0)
	ds_bpermute_b32 v5, v5, v2
	v_cmp_lt_u32_e32 vcc, v6, v4
	s_and_saveexec_b64 s[4:5], vcc
	s_cbranch_execz .LBB830_258
; %bb.257:
	s_waitcnt lgkmcnt(0)
	v_add_u32_e32 v6, v5, v2
	v_ashrrev_i32_e32 v7, 31, v6
	v_lshl_add_u64 v[6:7], v[6:7], 2, s[66:67]
	global_load_dword v2, v[6:7], off
.LBB830_258:
	s_or_b64 exec, exec, s[4:5]
	v_cmp_gt_u32_e32 vcc, 60, v3
	v_add_u32_e32 v6, 4, v3
	s_waitcnt lgkmcnt(0)
	v_cndmask_b32_e64 v5, 0, 4, vcc
	v_add_lshl_u32 v5, v5, v1, 2
	s_waitcnt vmcnt(0)
	ds_bpermute_b32 v5, v5, v2
	v_cmp_lt_u32_e32 vcc, v6, v4
	s_and_saveexec_b64 s[4:5], vcc
	;; [unrolled: 18-line block ×4, first 2 shown]
	s_cbranch_execz .LBB830_264
; %bb.263:
	s_waitcnt lgkmcnt(0)
	v_add_u32_e32 v6, v5, v2
	v_ashrrev_i32_e32 v7, 31, v6
	v_lshl_add_u64 v[6:7], v[6:7], 2, s[66:67]
	global_load_dword v2, v[6:7], off
.LBB830_264:
	s_or_b64 exec, exec, s[4:5]
	s_waitcnt lgkmcnt(0)
	v_lshlrev_b32_e32 v5, 2, v1
	v_or_b32_e32 v6, 0x80, v5
	s_waitcnt vmcnt(0)
	ds_bpermute_b32 v6, v6, v2
	v_add_u32_e32 v3, 32, v3
	v_cmp_lt_u32_e32 vcc, v3, v4
	s_and_saveexec_b64 s[4:5], vcc
	s_cbranch_execz .LBB830_266
; %bb.265:
	s_waitcnt lgkmcnt(0)
	v_add_u32_e32 v2, v6, v2
	v_ashrrev_i32_e32 v3, 31, v2
	v_lshl_add_u64 v[2:3], v[2:3], 2, s[66:67]
	global_load_dword v2, v[2:3], off
.LBB830_266:
	s_or_b64 exec, exec, s[4:5]
	v_cmp_eq_u32_e32 vcc, 0, v1
	s_and_saveexec_b64 s[4:5], vcc
	s_cbranch_execz .LBB830_268
; %bb.267:
	v_lshrrev_b32_e32 v3, 4, v0
	v_and_b32_e32 v3, 12, v3
	s_waitcnt vmcnt(0)
	ds_write_b32 v3, v2
.LBB830_268:
	s_or_b64 exec, exec, s[4:5]
	v_cmp_gt_u32_e32 vcc, 4, v0
	s_waitcnt lgkmcnt(0)
	s_barrier
                                        ; implicit-def: $vgpr4
	s_and_saveexec_b64 s[4:5], vcc
	s_cbranch_execz .LBB830_274
; %bb.269:
	s_waitcnt vmcnt(0)
	ds_read_b32 v2, v5
	v_and_b32_e32 v3, 3, v1
	v_cmp_ne_u32_e32 vcc, 3, v3
	s_add_i32 s6, s6, 63
	s_lshr_b32 s8, s6, 6
	v_addc_co_u32_e32 v1, vcc, 0, v1, vcc
	v_lshlrev_b32_e32 v1, 2, v1
	s_waitcnt lgkmcnt(0)
	ds_bpermute_b32 v1, v1, v2
	v_add_u32_e32 v4, 1, v3
	v_cmp_gt_u32_e32 vcc, s8, v4
	s_and_saveexec_b64 s[6:7], vcc
	s_cbranch_execz .LBB830_271
; %bb.270:
	s_waitcnt lgkmcnt(0)
	v_add_u32_e32 v6, v1, v2
	v_ashrrev_i32_e32 v7, 31, v6
	v_lshl_add_u64 v[6:7], v[6:7], 2, s[66:67]
	global_load_dword v2, v[6:7], off
.LBB830_271:
	s_or_b64 exec, exec, s[6:7]
	s_waitcnt lgkmcnt(0)
	v_or_b32_e32 v1, 8, v5
	s_waitcnt vmcnt(0)
	ds_bpermute_b32 v1, v1, v2
	v_add_u32_e32 v3, 2, v3
	v_cmp_gt_u32_e32 vcc, s8, v3
	s_mov_b64 s[6:7], s[16:17]
                                        ; implicit-def: $vgpr4
	s_and_saveexec_b64 s[8:9], vcc
	s_cbranch_execz .LBB830_273
; %bb.272:
	s_waitcnt lgkmcnt(0)
	v_add_u32_e32 v4, v1, v2
	s_or_b64 s[6:7], s[16:17], exec
.LBB830_273:
	s_or_b64 exec, exec, s[8:9]
	s_andn2_b64 s[8:9], s[16:17], exec
	s_and_b64 s[6:7], s[6:7], exec
	s_or_b64 s[16:17], s[8:9], s[6:7]
.LBB830_274:
	s_or_b64 exec, exec, s[4:5]
.LBB830_275:
	s_and_saveexec_b64 s[4:5], s[16:17]
	s_cbranch_execz .LBB830_277
; %bb.276:
	v_ashrrev_i32_e32 v5, 31, v4
	s_waitcnt vmcnt(0)
	v_lshl_add_u64 v[2:3], v[4:5], 2, s[66:67]
	global_load_dword v2, v[2:3], off
.LBB830_277:
	s_or_b64 exec, exec, s[4:5]
	v_cmp_eq_u32_e32 vcc, 0, v0
	s_and_saveexec_b64 s[4:5], vcc
	s_xor_b64 s[4:5], exec, s[4:5]
	s_cbranch_execz .LBB830_279
; %bb.278:
	s_cmp_eq_u64 s[70:71], 0
	s_cselect_b64 s[6:7], -1, 0
	s_cmp_lg_u64 s[70:71], 0
	s_cselect_b64 s[8:9], -1, 0
	s_andn2_b64 s[10:11], s[34:35], exec
	s_and_b64 s[6:7], s[6:7], exec
	s_or_b64 s[34:35], s[10:11], s[6:7]
	s_andn2_b64 s[6:7], s[36:37], exec
	s_and_b64 s[8:9], s[8:9], exec
	s_or_b64 s[36:37], s[6:7], s[8:9]
.LBB830_279:
	s_or_b64 exec, exec, s[4:5]
	s_branch .LBB830_389
.LBB830_280:
	s_cmp_gt_i32 s80, 1
	s_cbranch_scc0 .LBB830_289
; %bb.281:
	s_cmp_gt_i32 s80, 3
	s_cbranch_scc0 .LBB830_290
; %bb.282:
	s_cmp_eq_u32 s80, 4
	s_cbranch_scc0 .LBB830_291
; %bb.283:
	s_mov_b32 s3, 0
	s_lshl_b32 s4, s2, 10
	s_mov_b32 s5, s3
	s_lshr_b64 s[6:7], s[70:71], 10
	s_lshl_b64 s[8:9], s[4:5], 2
	s_add_u32 s10, s68, s8
	s_addc_u32 s11, s69, s9
	s_cmp_lg_u64 s[6:7], s[2:3]
	s_cbranch_scc0 .LBB830_300
; %bb.284:
	s_waitcnt lgkmcnt(0)
	v_lshlrev_b32_e32 v1, 2, v0
	global_load_dword v2, v1, s[10:11]
	global_load_dword v3, v1, s[10:11] offset:1024
	global_load_dword v4, v1, s[10:11] offset:2048
	;; [unrolled: 1-line block ×3, first 2 shown]
	s_waitcnt vmcnt(2)
	v_add_u32_e32 v2, v3, v2
	v_ashrrev_i32_e32 v3, 31, v2
	v_lshl_add_u64 v[2:3], v[2:3], 2, s[66:67]
	global_load_dword v1, v[2:3], off
	s_waitcnt vmcnt(0)
	v_add_u32_e32 v2, v1, v4
	v_ashrrev_i32_e32 v3, 31, v2
	v_lshl_add_u64 v[2:3], v[2:3], 2, s[66:67]
	global_load_dword v1, v[2:3], off
	;; [unrolled: 5-line block ×3, first 2 shown]
	s_waitcnt vmcnt(0)
	s_nop 0
	v_add_u32_dpp v2, v1, v1 quad_perm:[1,0,3,2] row_mask:0xf bank_mask:0xf bound_ctrl:1
	v_ashrrev_i32_e32 v3, 31, v2
	v_lshl_add_u64 v[2:3], v[2:3], 2, s[66:67]
	global_load_dword v1, v[2:3], off
	s_waitcnt vmcnt(0)
	s_nop 0
	v_add_u32_dpp v2, v1, v1 quad_perm:[2,3,0,1] row_mask:0xf bank_mask:0xf bound_ctrl:1
	v_ashrrev_i32_e32 v3, 31, v2
	v_lshl_add_u64 v[2:3], v[2:3], 2, s[66:67]
	global_load_dword v1, v[2:3], off
	s_waitcnt vmcnt(0)
	s_nop 0
	v_add_u32_dpp v2, v1, v1 row_ror:4 row_mask:0xf bank_mask:0xf bound_ctrl:1
	v_ashrrev_i32_e32 v3, 31, v2
	v_lshl_add_u64 v[2:3], v[2:3], 2, s[66:67]
	global_load_dword v1, v[2:3], off
	s_waitcnt vmcnt(0)
	s_nop 0
	v_add_u32_dpp v2, v1, v1 row_ror:8 row_mask:0xf bank_mask:0xf bound_ctrl:1
	v_ashrrev_i32_e32 v3, 31, v2
	v_lshl_add_u64 v[2:3], v[2:3], 2, s[66:67]
	global_load_dword v1, v[2:3], off
	s_waitcnt vmcnt(0)
	s_nop 0
	v_add_u32_dpp v2, v1, v1 row_bcast:15 row_mask:0xf bank_mask:0xf bound_ctrl:1
	v_ashrrev_i32_e32 v3, 31, v2
	v_lshl_add_u64 v[2:3], v[2:3], 2, s[66:67]
	global_load_dword v1, v[2:3], off
	s_waitcnt vmcnt(0)
	s_nop 0
	v_add_u32_dpp v2, v1, v1 row_bcast:31 row_mask:0xf bank_mask:0xf bound_ctrl:1
	v_ashrrev_i32_e32 v3, 31, v2
	v_lshl_add_u64 v[2:3], v[2:3], 2, s[66:67]
	global_load_dword v2, v[2:3], off
	v_mbcnt_lo_u32_b32 v1, -1, 0
	v_mbcnt_hi_u32_b32 v3, -1, v1
	v_lshlrev_b32_e32 v1, 2, v3
	v_or_b32_e32 v4, 0xfc, v1
	v_cmp_eq_u32_e32 vcc, 0, v3
	s_waitcnt vmcnt(0)
	ds_bpermute_b32 v2, v4, v2
	s_and_saveexec_b64 s[6:7], vcc
	s_cbranch_execz .LBB830_286
; %bb.285:
	v_lshrrev_b32_e32 v4, 4, v0
	v_and_b32_e32 v4, 12, v4
	s_waitcnt lgkmcnt(0)
	ds_write_b32 v4, v2 offset:80
.LBB830_286:
	s_or_b64 exec, exec, s[6:7]
	v_cmp_gt_u32_e32 vcc, 64, v0
	s_mov_b64 s[6:7], 0
	s_mov_b64 s[8:9], 0
	s_waitcnt lgkmcnt(0)
	s_barrier
                                        ; implicit-def: $vgpr4
	s_and_saveexec_b64 s[12:13], vcc
	s_xor_b64 s[12:13], exec, s[12:13]
	s_cbranch_execz .LBB830_288
; %bb.287:
	v_and_b32_e32 v4, 3, v3
	v_lshlrev_b32_e32 v5, 2, v4
	ds_read_b32 v5, v5 offset:80
	v_cmp_ne_u32_e32 vcc, 3, v4
	v_or_b32_e32 v1, 8, v1
	s_mov_b64 s[8:9], exec
	v_addc_co_u32_e32 v3, vcc, 0, v3, vcc
	v_lshlrev_b32_e32 v3, 2, v3
	s_waitcnt lgkmcnt(0)
	ds_bpermute_b32 v3, v3, v5
	s_waitcnt lgkmcnt(0)
	v_add_u32_e32 v4, v3, v5
	v_ashrrev_i32_e32 v5, 31, v4
	v_lshl_add_u64 v[4:5], v[4:5], 2, s[66:67]
	global_load_dword v3, v[4:5], off
	s_waitcnt vmcnt(0)
	ds_bpermute_b32 v1, v1, v3
	s_waitcnt lgkmcnt(0)
	v_add_u32_e32 v4, v1, v3
.LBB830_288:
	s_or_b64 exec, exec, s[12:13]
	s_branch .LBB830_301
.LBB830_289:
                                        ; implicit-def: $vgpr2
	s_cbranch_execnz .LBB830_381
	s_branch .LBB830_389
.LBB830_290:
                                        ; implicit-def: $vgpr2
	s_cbranch_execz .LBB830_292
	s_branch .LBB830_339
.LBB830_291:
                                        ; implicit-def: $vgpr2
.LBB830_292:
	s_branch .LBB830_389
.LBB830_293:
	v_lshlrev_b32_e32 v1, 2, v1
	global_load_dword v9, v1, s[18:19]
	s_or_b64 exec, exec, s[20:21]
	s_and_saveexec_b64 s[18:19], vcc
	s_cbranch_execz .LBB830_247
.LBB830_294:
	s_waitcnt vmcnt(0)
	v_add_u32_e32 v2, v3, v2
	v_ashrrev_i32_e32 v3, 31, v2
	v_lshl_add_u64 v[2:3], v[2:3], 2, s[66:67]
	global_load_dword v2, v[2:3], off
	s_or_b64 exec, exec, s[18:19]
	s_and_saveexec_b64 s[18:19], s[4:5]
	s_cbranch_execz .LBB830_248
.LBB830_295:
	s_waitcnt vmcnt(0)
	v_add_u32_e32 v2, v2, v4
	v_ashrrev_i32_e32 v3, 31, v2
	v_lshl_add_u64 v[2:3], v[2:3], 2, s[66:67]
	global_load_dword v2, v[2:3], off
	s_or_b64 exec, exec, s[18:19]
	s_and_saveexec_b64 s[4:5], s[6:7]
	s_cbranch_execz .LBB830_249
.LBB830_296:
	s_waitcnt vmcnt(0)
	v_add_u32_e32 v2, v2, v5
	v_ashrrev_i32_e32 v3, 31, v2
	v_lshl_add_u64 v[2:3], v[2:3], 2, s[66:67]
	global_load_dword v2, v[2:3], off
	s_or_b64 exec, exec, s[4:5]
	s_and_saveexec_b64 s[4:5], s[8:9]
	s_cbranch_execz .LBB830_250
.LBB830_297:
	s_waitcnt vmcnt(0)
	v_add_u32_e32 v2, v2, v6
	v_ashrrev_i32_e32 v3, 31, v2
	v_lshl_add_u64 v[2:3], v[2:3], 2, s[66:67]
	global_load_dword v2, v[2:3], off
	s_or_b64 exec, exec, s[4:5]
	s_and_saveexec_b64 s[4:5], s[10:11]
	s_cbranch_execz .LBB830_251
.LBB830_298:
	s_waitcnt vmcnt(0)
	v_add_u32_e32 v2, v2, v7
	v_ashrrev_i32_e32 v3, 31, v2
	v_lshl_add_u64 v[2:3], v[2:3], 2, s[66:67]
	global_load_dword v2, v[2:3], off
	s_or_b64 exec, exec, s[4:5]
	s_and_saveexec_b64 s[4:5], s[12:13]
	s_cbranch_execz .LBB830_252
.LBB830_299:
	s_waitcnt vmcnt(0)
	v_add_u32_e32 v2, v2, v8
	v_ashrrev_i32_e32 v3, 31, v2
	v_lshl_add_u64 v[2:3], v[2:3], 2, s[66:67]
	global_load_dword v2, v[2:3], off
	s_or_b64 exec, exec, s[4:5]
	s_and_saveexec_b64 s[4:5], s[14:15]
	s_cbranch_execnz .LBB830_253
	s_branch .LBB830_254
.LBB830_300:
	s_mov_b64 s[6:7], -1
	s_mov_b64 s[8:9], 0
                                        ; implicit-def: $vgpr4
                                        ; implicit-def: $vgpr2
.LBB830_301:
	s_and_b64 vcc, exec, s[6:7]
	s_cbranch_vccz .LBB830_334
; %bb.302:
	s_sub_i32 s14, s70, s4
	s_waitcnt vmcnt(0)
	v_mov_b32_e32 v2, 0
	v_cmp_gt_u32_e32 vcc, s14, v0
	v_mov_b32_e32 v3, v2
	v_mov_b32_e32 v4, v2
	;; [unrolled: 1-line block ×3, first 2 shown]
	s_and_saveexec_b64 s[4:5], vcc
	s_cbranch_execz .LBB830_304
; %bb.303:
	s_waitcnt lgkmcnt(0)
	v_lshlrev_b32_e32 v1, 2, v0
	global_load_dword v4, v1, s[10:11]
	v_mov_b32_e32 v5, v2
	v_mov_b32_e32 v6, v2
	;; [unrolled: 1-line block ×3, first 2 shown]
	s_waitcnt vmcnt(0)
	v_mov_b64_e32 v[2:3], v[4:5]
	v_mov_b64_e32 v[4:5], v[6:7]
.LBB830_304:
	s_or_b64 exec, exec, s[4:5]
	s_waitcnt lgkmcnt(0)
	v_or_b32_e32 v1, 0x100, v0
	v_cmp_gt_u32_e32 vcc, s14, v1
	s_and_saveexec_b64 s[4:5], vcc
	s_cbranch_execz .LBB830_306
; %bb.305:
	v_lshlrev_b32_e32 v1, 2, v0
	global_load_dword v3, v1, s[10:11] offset:1024
.LBB830_306:
	s_or_b64 exec, exec, s[4:5]
	v_or_b32_e32 v1, 0x200, v0
	v_cmp_gt_u32_e64 s[4:5], s14, v1
	s_and_saveexec_b64 s[6:7], s[4:5]
	s_cbranch_execz .LBB830_308
; %bb.307:
	v_lshlrev_b32_e32 v1, 2, v0
	global_load_dword v4, v1, s[10:11] offset:2048
.LBB830_308:
	s_or_b64 exec, exec, s[6:7]
	v_or_b32_e32 v1, 0x300, v0
	v_cmp_gt_u32_e64 s[6:7], s14, v1
	s_and_saveexec_b64 s[12:13], s[6:7]
	s_cbranch_execnz .LBB830_469
; %bb.309:
	s_or_b64 exec, exec, s[12:13]
	s_and_saveexec_b64 s[10:11], vcc
	s_cbranch_execnz .LBB830_470
.LBB830_310:
	s_or_b64 exec, exec, s[10:11]
	s_and_saveexec_b64 s[10:11], s[4:5]
	s_cbranch_execnz .LBB830_471
.LBB830_311:
	s_or_b64 exec, exec, s[10:11]
	s_and_saveexec_b64 s[4:5], s[6:7]
	s_cbranch_execz .LBB830_313
.LBB830_312:
	s_waitcnt vmcnt(0)
	v_add_u32_e32 v2, v2, v5
	v_ashrrev_i32_e32 v3, 31, v2
	v_lshl_add_u64 v[2:3], v[2:3], 2, s[66:67]
	global_load_dword v2, v[2:3], off
.LBB830_313:
	s_or_b64 exec, exec, s[4:5]
	v_mbcnt_lo_u32_b32 v1, -1, 0
	v_mbcnt_hi_u32_b32 v1, -1, v1
	s_waitcnt vmcnt(0)
	v_and_b32_e32 v3, 63, v1
	v_cmp_ne_u32_e32 vcc, 63, v3
	s_min_u32 s6, s14, 0x100
	v_add_u32_e32 v6, 1, v3
	v_addc_co_u32_e32 v4, vcc, 0, v1, vcc
	v_lshlrev_b32_e32 v4, 2, v4
	ds_bpermute_b32 v5, v4, v2
	v_and_b32_e32 v4, 0xc0, v0
	v_sub_u32_e64 v4, s6, v4 clamp
	v_cmp_lt_u32_e32 vcc, v6, v4
	s_and_saveexec_b64 s[4:5], vcc
	s_xor_b64 s[4:5], exec, s[4:5]
	s_cbranch_execz .LBB830_315
; %bb.314:
	s_waitcnt lgkmcnt(0)
	v_add_u32_e32 v6, v5, v2
	v_ashrrev_i32_e32 v7, 31, v6
	v_lshl_add_u64 v[6:7], v[6:7], 2, s[66:67]
	global_load_dword v2, v[6:7], off
.LBB830_315:
	s_or_b64 exec, exec, s[4:5]
	v_cmp_gt_u32_e32 vcc, 62, v3
	v_add_u32_e32 v6, 2, v3
	s_waitcnt lgkmcnt(0)
	v_cndmask_b32_e64 v5, 0, 2, vcc
	v_add_lshl_u32 v5, v5, v1, 2
	s_waitcnt vmcnt(0)
	ds_bpermute_b32 v5, v5, v2
	v_cmp_lt_u32_e32 vcc, v6, v4
	s_and_saveexec_b64 s[4:5], vcc
	s_cbranch_execz .LBB830_317
; %bb.316:
	s_waitcnt lgkmcnt(0)
	v_add_u32_e32 v6, v5, v2
	v_ashrrev_i32_e32 v7, 31, v6
	v_lshl_add_u64 v[6:7], v[6:7], 2, s[66:67]
	global_load_dword v2, v[6:7], off
.LBB830_317:
	s_or_b64 exec, exec, s[4:5]
	v_cmp_gt_u32_e32 vcc, 60, v3
	v_add_u32_e32 v6, 4, v3
	s_waitcnt lgkmcnt(0)
	v_cndmask_b32_e64 v5, 0, 4, vcc
	v_add_lshl_u32 v5, v5, v1, 2
	s_waitcnt vmcnt(0)
	ds_bpermute_b32 v5, v5, v2
	v_cmp_lt_u32_e32 vcc, v6, v4
	s_and_saveexec_b64 s[4:5], vcc
	;; [unrolled: 18-line block ×4, first 2 shown]
	s_cbranch_execz .LBB830_323
; %bb.322:
	s_waitcnt lgkmcnt(0)
	v_add_u32_e32 v6, v5, v2
	v_ashrrev_i32_e32 v7, 31, v6
	v_lshl_add_u64 v[6:7], v[6:7], 2, s[66:67]
	global_load_dword v2, v[6:7], off
.LBB830_323:
	s_or_b64 exec, exec, s[4:5]
	s_waitcnt lgkmcnt(0)
	v_lshlrev_b32_e32 v5, 2, v1
	v_or_b32_e32 v6, 0x80, v5
	s_waitcnt vmcnt(0)
	ds_bpermute_b32 v6, v6, v2
	v_add_u32_e32 v3, 32, v3
	v_cmp_lt_u32_e32 vcc, v3, v4
	s_and_saveexec_b64 s[4:5], vcc
	s_cbranch_execz .LBB830_325
; %bb.324:
	s_waitcnt lgkmcnt(0)
	v_add_u32_e32 v2, v6, v2
	v_ashrrev_i32_e32 v3, 31, v2
	v_lshl_add_u64 v[2:3], v[2:3], 2, s[66:67]
	global_load_dword v2, v[2:3], off
.LBB830_325:
	s_or_b64 exec, exec, s[4:5]
	v_cmp_eq_u32_e32 vcc, 0, v1
	s_and_saveexec_b64 s[4:5], vcc
	s_cbranch_execz .LBB830_327
; %bb.326:
	v_lshrrev_b32_e32 v3, 4, v0
	v_and_b32_e32 v3, 12, v3
	s_waitcnt vmcnt(0)
	ds_write_b32 v3, v2
.LBB830_327:
	s_or_b64 exec, exec, s[4:5]
	v_cmp_gt_u32_e32 vcc, 4, v0
	s_waitcnt lgkmcnt(0)
	s_barrier
                                        ; implicit-def: $vgpr4
	s_and_saveexec_b64 s[4:5], vcc
	s_cbranch_execz .LBB830_333
; %bb.328:
	s_waitcnt vmcnt(0)
	ds_read_b32 v2, v5
	v_and_b32_e32 v3, 3, v1
	v_cmp_ne_u32_e32 vcc, 3, v3
	s_add_i32 s6, s6, 63
	s_lshr_b32 s10, s6, 6
	v_addc_co_u32_e32 v1, vcc, 0, v1, vcc
	v_lshlrev_b32_e32 v1, 2, v1
	s_waitcnt lgkmcnt(0)
	ds_bpermute_b32 v1, v1, v2
	v_add_u32_e32 v4, 1, v3
	v_cmp_gt_u32_e32 vcc, s10, v4
	s_and_saveexec_b64 s[6:7], vcc
	s_cbranch_execz .LBB830_330
; %bb.329:
	s_waitcnt lgkmcnt(0)
	v_add_u32_e32 v6, v1, v2
	v_ashrrev_i32_e32 v7, 31, v6
	v_lshl_add_u64 v[6:7], v[6:7], 2, s[66:67]
	global_load_dword v2, v[6:7], off
.LBB830_330:
	s_or_b64 exec, exec, s[6:7]
	s_waitcnt lgkmcnt(0)
	v_or_b32_e32 v1, 8, v5
	s_waitcnt vmcnt(0)
	ds_bpermute_b32 v1, v1, v2
	v_add_u32_e32 v3, 2, v3
	v_cmp_gt_u32_e32 vcc, s10, v3
	s_mov_b64 s[6:7], s[8:9]
                                        ; implicit-def: $vgpr4
	s_and_saveexec_b64 s[10:11], vcc
	s_cbranch_execz .LBB830_332
; %bb.331:
	s_waitcnt lgkmcnt(0)
	v_add_u32_e32 v4, v1, v2
	s_or_b64 s[6:7], s[8:9], exec
.LBB830_332:
	s_or_b64 exec, exec, s[10:11]
	s_andn2_b64 s[8:9], s[8:9], exec
	s_and_b64 s[6:7], s[6:7], exec
	s_or_b64 s[8:9], s[8:9], s[6:7]
.LBB830_333:
	s_or_b64 exec, exec, s[4:5]
.LBB830_334:
	s_and_saveexec_b64 s[4:5], s[8:9]
	s_cbranch_execz .LBB830_336
; %bb.335:
	v_ashrrev_i32_e32 v5, 31, v4
	s_waitcnt vmcnt(0)
	v_lshl_add_u64 v[2:3], v[4:5], 2, s[66:67]
	global_load_dword v2, v[2:3], off
.LBB830_336:
	s_or_b64 exec, exec, s[4:5]
	v_cmp_eq_u32_e32 vcc, 0, v0
	s_and_saveexec_b64 s[4:5], vcc
	s_xor_b64 s[4:5], exec, s[4:5]
	s_cbranch_execz .LBB830_338
; %bb.337:
	s_cmp_eq_u64 s[70:71], 0
	s_cselect_b64 s[6:7], -1, 0
	s_cmp_lg_u64 s[70:71], 0
	s_cselect_b64 s[8:9], -1, 0
	s_andn2_b64 s[10:11], s[34:35], exec
	s_and_b64 s[6:7], s[6:7], exec
	s_or_b64 s[34:35], s[10:11], s[6:7]
	s_andn2_b64 s[6:7], s[36:37], exec
	s_and_b64 s[8:9], s[8:9], exec
	s_or_b64 s[36:37], s[6:7], s[8:9]
.LBB830_338:
	s_or_b64 exec, exec, s[4:5]
	s_branch .LBB830_292
.LBB830_339:
	s_cmp_eq_u32 s80, 2
	s_cbranch_scc0 .LBB830_346
; %bb.340:
	s_mov_b32 s3, 0
	s_lshl_b32 s8, s2, 9
	s_mov_b32 s9, s3
	s_lshr_b64 s[4:5], s[70:71], 9
	s_lshl_b64 s[6:7], s[8:9], 2
	s_add_u32 s6, s68, s6
	s_addc_u32 s7, s69, s7
	s_cmp_lg_u64 s[4:5], s[2:3]
	s_cbranch_scc0 .LBB830_347
; %bb.341:
	s_waitcnt lgkmcnt(0)
	v_lshlrev_b32_e32 v1, 2, v0
	global_load_dword v2, v1, s[6:7]
	global_load_dword v3, v1, s[6:7] offset:1024
	s_waitcnt vmcnt(0)
	v_add_u32_e32 v2, v3, v2
	v_ashrrev_i32_e32 v3, 31, v2
	v_lshl_add_u64 v[2:3], v[2:3], 2, s[66:67]
	global_load_dword v1, v[2:3], off
	s_waitcnt vmcnt(0)
	s_nop 0
	v_add_u32_dpp v2, v1, v1 quad_perm:[1,0,3,2] row_mask:0xf bank_mask:0xf bound_ctrl:1
	v_ashrrev_i32_e32 v3, 31, v2
	v_lshl_add_u64 v[2:3], v[2:3], 2, s[66:67]
	global_load_dword v1, v[2:3], off
	s_waitcnt vmcnt(0)
	s_nop 0
	v_add_u32_dpp v2, v1, v1 quad_perm:[2,3,0,1] row_mask:0xf bank_mask:0xf bound_ctrl:1
	v_ashrrev_i32_e32 v3, 31, v2
	v_lshl_add_u64 v[2:3], v[2:3], 2, s[66:67]
	global_load_dword v1, v[2:3], off
	s_waitcnt vmcnt(0)
	s_nop 0
	v_add_u32_dpp v2, v1, v1 row_ror:4 row_mask:0xf bank_mask:0xf bound_ctrl:1
	v_ashrrev_i32_e32 v3, 31, v2
	v_lshl_add_u64 v[2:3], v[2:3], 2, s[66:67]
	global_load_dword v1, v[2:3], off
	s_waitcnt vmcnt(0)
	s_nop 0
	v_add_u32_dpp v2, v1, v1 row_ror:8 row_mask:0xf bank_mask:0xf bound_ctrl:1
	v_ashrrev_i32_e32 v3, 31, v2
	v_lshl_add_u64 v[2:3], v[2:3], 2, s[66:67]
	global_load_dword v1, v[2:3], off
	s_waitcnt vmcnt(0)
	s_nop 0
	v_add_u32_dpp v2, v1, v1 row_bcast:15 row_mask:0xf bank_mask:0xf bound_ctrl:1
	v_ashrrev_i32_e32 v3, 31, v2
	v_lshl_add_u64 v[2:3], v[2:3], 2, s[66:67]
	global_load_dword v1, v[2:3], off
	s_waitcnt vmcnt(0)
	s_nop 0
	v_add_u32_dpp v2, v1, v1 row_bcast:31 row_mask:0xf bank_mask:0xf bound_ctrl:1
	v_ashrrev_i32_e32 v3, 31, v2
	v_lshl_add_u64 v[2:3], v[2:3], 2, s[66:67]
	global_load_dword v2, v[2:3], off
	v_mbcnt_lo_u32_b32 v1, -1, 0
	v_mbcnt_hi_u32_b32 v3, -1, v1
	v_lshlrev_b32_e32 v1, 2, v3
	v_or_b32_e32 v4, 0xfc, v1
	v_cmp_eq_u32_e32 vcc, 0, v3
	s_waitcnt vmcnt(0)
	ds_bpermute_b32 v2, v4, v2
	s_and_saveexec_b64 s[4:5], vcc
	s_cbranch_execz .LBB830_343
; %bb.342:
	v_lshrrev_b32_e32 v4, 4, v0
	v_and_b32_e32 v4, 12, v4
	s_waitcnt lgkmcnt(0)
	ds_write_b32 v4, v2 offset:48
.LBB830_343:
	s_or_b64 exec, exec, s[4:5]
	v_cmp_gt_u32_e32 vcc, 64, v0
	s_mov_b64 s[10:11], 0
	s_mov_b64 s[4:5], 0
	s_waitcnt lgkmcnt(0)
	s_barrier
                                        ; implicit-def: $vgpr4
	s_and_saveexec_b64 s[12:13], vcc
	s_xor_b64 s[12:13], exec, s[12:13]
	s_cbranch_execz .LBB830_345
; %bb.344:
	v_and_b32_e32 v4, 3, v3
	v_lshlrev_b32_e32 v5, 2, v4
	ds_read_b32 v5, v5 offset:48
	v_cmp_ne_u32_e32 vcc, 3, v4
	v_or_b32_e32 v1, 8, v1
	s_mov_b64 s[4:5], exec
	v_addc_co_u32_e32 v3, vcc, 0, v3, vcc
	v_lshlrev_b32_e32 v3, 2, v3
	s_waitcnt lgkmcnt(0)
	ds_bpermute_b32 v3, v3, v5
	s_waitcnt lgkmcnt(0)
	v_add_u32_e32 v4, v3, v5
	v_ashrrev_i32_e32 v5, 31, v4
	v_lshl_add_u64 v[4:5], v[4:5], 2, s[66:67]
	global_load_dword v3, v[4:5], off
	s_waitcnt vmcnt(0)
	ds_bpermute_b32 v1, v1, v3
	s_waitcnt lgkmcnt(0)
	v_add_u32_e32 v4, v1, v3
.LBB830_345:
	s_or_b64 exec, exec, s[12:13]
	s_branch .LBB830_348
.LBB830_346:
                                        ; implicit-def: $vgpr2
	s_branch .LBB830_389
.LBB830_347:
	s_mov_b64 s[10:11], -1
	s_mov_b64 s[4:5], 0
                                        ; implicit-def: $vgpr4
                                        ; implicit-def: $vgpr2
.LBB830_348:
	s_and_b64 vcc, exec, s[10:11]
	s_cbranch_vccz .LBB830_376
; %bb.349:
	s_sub_i32 s10, s70, s8
	s_waitcnt vmcnt(0)
	v_mov_b32_e32 v2, 0
	v_cmp_gt_u32_e32 vcc, s10, v0
	v_mov_b32_e32 v3, v2
	s_and_saveexec_b64 s[8:9], vcc
	s_cbranch_execz .LBB830_351
; %bb.350:
	s_waitcnt lgkmcnt(0)
	v_lshlrev_b32_e32 v1, 2, v0
	global_load_dword v4, v1, s[6:7]
	v_mov_b32_e32 v5, v2
	s_waitcnt vmcnt(0)
	v_mov_b64_e32 v[2:3], v[4:5]
.LBB830_351:
	s_or_b64 exec, exec, s[8:9]
	s_waitcnt lgkmcnt(0)
	v_or_b32_e32 v1, 0x100, v0
	v_cmp_gt_u32_e32 vcc, s10, v1
	s_and_saveexec_b64 s[8:9], vcc
	s_cbranch_execz .LBB830_353
; %bb.352:
	v_lshlrev_b32_e32 v1, 2, v0
	global_load_dword v3, v1, s[6:7] offset:1024
.LBB830_353:
	s_or_b64 exec, exec, s[8:9]
	s_and_saveexec_b64 s[6:7], vcc
	s_cbranch_execz .LBB830_355
; %bb.354:
	s_waitcnt vmcnt(0)
	v_add_u32_e32 v2, v2, v3
	v_ashrrev_i32_e32 v3, 31, v2
	v_lshl_add_u64 v[2:3], v[2:3], 2, s[66:67]
	global_load_dword v2, v[2:3], off
.LBB830_355:
	s_or_b64 exec, exec, s[6:7]
	v_mbcnt_lo_u32_b32 v1, -1, 0
	v_mbcnt_hi_u32_b32 v1, -1, v1
	s_waitcnt vmcnt(0)
	v_and_b32_e32 v3, 63, v1
	v_cmp_ne_u32_e32 vcc, 63, v3
	s_min_u32 s8, s10, 0x100
	v_add_u32_e32 v6, 1, v3
	v_addc_co_u32_e32 v4, vcc, 0, v1, vcc
	v_lshlrev_b32_e32 v4, 2, v4
	ds_bpermute_b32 v5, v4, v2
	v_and_b32_e32 v4, 0xc0, v0
	v_sub_u32_e64 v4, s8, v4 clamp
	v_cmp_lt_u32_e32 vcc, v6, v4
	s_and_saveexec_b64 s[6:7], vcc
	s_xor_b64 s[6:7], exec, s[6:7]
	s_cbranch_execz .LBB830_357
; %bb.356:
	s_waitcnt lgkmcnt(0)
	v_add_u32_e32 v6, v5, v2
	v_ashrrev_i32_e32 v7, 31, v6
	v_lshl_add_u64 v[6:7], v[6:7], 2, s[66:67]
	global_load_dword v2, v[6:7], off
.LBB830_357:
	s_or_b64 exec, exec, s[6:7]
	v_cmp_gt_u32_e32 vcc, 62, v3
	v_add_u32_e32 v6, 2, v3
	s_waitcnt lgkmcnt(0)
	v_cndmask_b32_e64 v5, 0, 2, vcc
	v_add_lshl_u32 v5, v5, v1, 2
	s_waitcnt vmcnt(0)
	ds_bpermute_b32 v5, v5, v2
	v_cmp_lt_u32_e32 vcc, v6, v4
	s_and_saveexec_b64 s[6:7], vcc
	s_cbranch_execz .LBB830_359
; %bb.358:
	s_waitcnt lgkmcnt(0)
	v_add_u32_e32 v6, v5, v2
	v_ashrrev_i32_e32 v7, 31, v6
	v_lshl_add_u64 v[6:7], v[6:7], 2, s[66:67]
	global_load_dword v2, v[6:7], off
.LBB830_359:
	s_or_b64 exec, exec, s[6:7]
	v_cmp_gt_u32_e32 vcc, 60, v3
	v_add_u32_e32 v6, 4, v3
	s_waitcnt lgkmcnt(0)
	v_cndmask_b32_e64 v5, 0, 4, vcc
	v_add_lshl_u32 v5, v5, v1, 2
	s_waitcnt vmcnt(0)
	ds_bpermute_b32 v5, v5, v2
	v_cmp_lt_u32_e32 vcc, v6, v4
	s_and_saveexec_b64 s[6:7], vcc
	;; [unrolled: 18-line block ×4, first 2 shown]
	s_cbranch_execz .LBB830_365
; %bb.364:
	s_waitcnt lgkmcnt(0)
	v_add_u32_e32 v6, v5, v2
	v_ashrrev_i32_e32 v7, 31, v6
	v_lshl_add_u64 v[6:7], v[6:7], 2, s[66:67]
	global_load_dword v2, v[6:7], off
.LBB830_365:
	s_or_b64 exec, exec, s[6:7]
	s_waitcnt lgkmcnt(0)
	v_lshlrev_b32_e32 v5, 2, v1
	v_or_b32_e32 v6, 0x80, v5
	s_waitcnt vmcnt(0)
	ds_bpermute_b32 v6, v6, v2
	v_add_u32_e32 v3, 32, v3
	v_cmp_lt_u32_e32 vcc, v3, v4
	s_and_saveexec_b64 s[6:7], vcc
	s_cbranch_execz .LBB830_367
; %bb.366:
	s_waitcnt lgkmcnt(0)
	v_add_u32_e32 v2, v6, v2
	v_ashrrev_i32_e32 v3, 31, v2
	v_lshl_add_u64 v[2:3], v[2:3], 2, s[66:67]
	global_load_dword v2, v[2:3], off
.LBB830_367:
	s_or_b64 exec, exec, s[6:7]
	v_cmp_eq_u32_e32 vcc, 0, v1
	s_and_saveexec_b64 s[6:7], vcc
	s_cbranch_execz .LBB830_369
; %bb.368:
	v_lshrrev_b32_e32 v3, 4, v0
	v_and_b32_e32 v3, 12, v3
	s_waitcnt vmcnt(0)
	ds_write_b32 v3, v2
.LBB830_369:
	s_or_b64 exec, exec, s[6:7]
	v_cmp_gt_u32_e32 vcc, 4, v0
	s_waitcnt lgkmcnt(0)
	s_barrier
                                        ; implicit-def: $vgpr4
	s_and_saveexec_b64 s[6:7], vcc
	s_cbranch_execz .LBB830_375
; %bb.370:
	s_waitcnt vmcnt(0)
	ds_read_b32 v2, v5
	v_and_b32_e32 v3, 3, v1
	v_cmp_ne_u32_e32 vcc, 3, v3
	s_add_i32 s8, s8, 63
	s_lshr_b32 s10, s8, 6
	v_addc_co_u32_e32 v1, vcc, 0, v1, vcc
	v_lshlrev_b32_e32 v1, 2, v1
	s_waitcnt lgkmcnt(0)
	ds_bpermute_b32 v1, v1, v2
	v_add_u32_e32 v4, 1, v3
	v_cmp_gt_u32_e32 vcc, s10, v4
	s_and_saveexec_b64 s[8:9], vcc
	s_cbranch_execz .LBB830_372
; %bb.371:
	s_waitcnt lgkmcnt(0)
	v_add_u32_e32 v6, v1, v2
	v_ashrrev_i32_e32 v7, 31, v6
	v_lshl_add_u64 v[6:7], v[6:7], 2, s[66:67]
	global_load_dword v2, v[6:7], off
.LBB830_372:
	s_or_b64 exec, exec, s[8:9]
	s_waitcnt lgkmcnt(0)
	v_or_b32_e32 v1, 8, v5
	s_waitcnt vmcnt(0)
	ds_bpermute_b32 v1, v1, v2
	v_add_u32_e32 v3, 2, v3
	v_cmp_gt_u32_e32 vcc, s10, v3
	s_mov_b64 s[8:9], s[4:5]
                                        ; implicit-def: $vgpr4
	s_and_saveexec_b64 s[10:11], vcc
	s_cbranch_execz .LBB830_374
; %bb.373:
	s_waitcnt lgkmcnt(0)
	v_add_u32_e32 v4, v1, v2
	s_or_b64 s[8:9], s[4:5], exec
.LBB830_374:
	s_or_b64 exec, exec, s[10:11]
	s_andn2_b64 s[4:5], s[4:5], exec
	s_and_b64 s[8:9], s[8:9], exec
	s_or_b64 s[4:5], s[4:5], s[8:9]
.LBB830_375:
	s_or_b64 exec, exec, s[6:7]
.LBB830_376:
	s_and_saveexec_b64 s[6:7], s[4:5]
	s_cbranch_execz .LBB830_378
; %bb.377:
	v_ashrrev_i32_e32 v5, 31, v4
	s_waitcnt vmcnt(0)
	v_lshl_add_u64 v[2:3], v[4:5], 2, s[66:67]
	global_load_dword v2, v[2:3], off
.LBB830_378:
	s_or_b64 exec, exec, s[6:7]
	v_cmp_eq_u32_e32 vcc, 0, v0
	s_and_saveexec_b64 s[4:5], vcc
	s_xor_b64 s[4:5], exec, s[4:5]
	s_cbranch_execz .LBB830_380
; %bb.379:
	s_cmp_eq_u64 s[70:71], 0
	s_cselect_b64 s[6:7], -1, 0
	s_cmp_lg_u64 s[70:71], 0
	s_cselect_b64 s[8:9], -1, 0
	s_andn2_b64 s[10:11], s[34:35], exec
	s_and_b64 s[6:7], s[6:7], exec
	s_or_b64 s[34:35], s[10:11], s[6:7]
	s_andn2_b64 s[6:7], s[36:37], exec
	s_and_b64 s[8:9], s[8:9], exec
	s_or_b64 s[36:37], s[6:7], s[8:9]
.LBB830_380:
	s_or_b64 exec, exec, s[4:5]
	s_branch .LBB830_389
.LBB830_381:
	s_cmp_eq_u32 s80, 1
	s_cbranch_scc0 .LBB830_388
; %bb.382:
	s_mov_b32 s7, 0
	s_lshl_b32 s6, s2, 8
	s_mov_b32 s3, s7
	s_lshr_b64 s[4:5], s[70:71], 8
	s_cmp_lg_u64 s[4:5], s[2:3]
	s_waitcnt lgkmcnt(0)
	v_mbcnt_lo_u32_b32 v1, -1, 0
	s_cbranch_scc0 .LBB830_392
; %bb.383:
	s_lshl_b64 s[4:5], s[6:7], 2
	s_add_u32 s4, s68, s4
	s_addc_u32 s5, s69, s5
	s_waitcnt vmcnt(0)
	v_lshlrev_b32_e32 v2, 2, v0
	global_load_dword v2, v2, s[4:5]
	v_mbcnt_hi_u32_b32 v5, -1, v1
	v_cmp_eq_u32_e32 vcc, 0, v5
	s_waitcnt vmcnt(0)
	v_add_u32_dpp v2, v2, v2 quad_perm:[1,0,3,2] row_mask:0xf bank_mask:0xf bound_ctrl:1
	v_ashrrev_i32_e32 v3, 31, v2
	v_lshl_add_u64 v[2:3], v[2:3], 2, s[66:67]
	global_load_dword v2, v[2:3], off
	s_waitcnt vmcnt(0)
	s_nop 0
	v_add_u32_dpp v2, v2, v2 quad_perm:[2,3,0,1] row_mask:0xf bank_mask:0xf bound_ctrl:1
	v_ashrrev_i32_e32 v3, 31, v2
	v_lshl_add_u64 v[2:3], v[2:3], 2, s[66:67]
	global_load_dword v2, v[2:3], off
	s_waitcnt vmcnt(0)
	s_nop 0
	v_add_u32_dpp v2, v2, v2 row_ror:4 row_mask:0xf bank_mask:0xf bound_ctrl:1
	v_ashrrev_i32_e32 v3, 31, v2
	v_lshl_add_u64 v[2:3], v[2:3], 2, s[66:67]
	global_load_dword v2, v[2:3], off
	s_waitcnt vmcnt(0)
	s_nop 0
	v_add_u32_dpp v2, v2, v2 row_ror:8 row_mask:0xf bank_mask:0xf bound_ctrl:1
	v_ashrrev_i32_e32 v3, 31, v2
	v_lshl_add_u64 v[2:3], v[2:3], 2, s[66:67]
	global_load_dword v2, v[2:3], off
	s_waitcnt vmcnt(0)
	s_nop 0
	v_add_u32_dpp v2, v2, v2 row_bcast:15 row_mask:0xf bank_mask:0xf bound_ctrl:1
	v_ashrrev_i32_e32 v3, 31, v2
	v_lshl_add_u64 v[2:3], v[2:3], 2, s[66:67]
	global_load_dword v2, v[2:3], off
	s_waitcnt vmcnt(0)
	s_nop 0
	v_add_u32_dpp v2, v2, v2 row_bcast:31 row_mask:0xf bank_mask:0xf bound_ctrl:1
	v_ashrrev_i32_e32 v3, 31, v2
	v_lshl_add_u64 v[2:3], v[2:3], 2, s[66:67]
	global_load_dword v2, v[2:3], off
	v_lshlrev_b32_e32 v3, 2, v5
	v_or_b32_e32 v4, 0xfc, v3
	s_waitcnt vmcnt(0)
	ds_bpermute_b32 v2, v4, v2
	s_and_saveexec_b64 s[4:5], vcc
	s_cbranch_execz .LBB830_385
; %bb.384:
	v_lshrrev_b32_e32 v4, 4, v0
	v_and_b32_e32 v4, 12, v4
	s_waitcnt lgkmcnt(0)
	ds_write_b32 v4, v2 offset:32
.LBB830_385:
	s_or_b64 exec, exec, s[4:5]
	v_cmp_gt_u32_e32 vcc, 64, v0
	s_mov_b64 s[8:9], 0
	s_mov_b64 s[4:5], 0
	s_waitcnt lgkmcnt(0)
	s_barrier
                                        ; implicit-def: $vgpr4
	s_and_saveexec_b64 s[10:11], vcc
	s_xor_b64 s[10:11], exec, s[10:11]
	s_cbranch_execz .LBB830_387
; %bb.386:
	v_and_b32_e32 v4, 3, v5
	v_lshlrev_b32_e32 v6, 2, v4
	ds_read_b32 v6, v6 offset:32
	v_cmp_ne_u32_e32 vcc, 3, v4
	v_or_b32_e32 v3, 8, v3
	s_mov_b64 s[4:5], exec
	v_addc_co_u32_e32 v4, vcc, 0, v5, vcc
	v_lshlrev_b32_e32 v4, 2, v4
	s_waitcnt lgkmcnt(0)
	ds_bpermute_b32 v4, v4, v6
	s_waitcnt lgkmcnt(0)
	v_add_u32_e32 v4, v4, v6
	v_ashrrev_i32_e32 v5, 31, v4
	v_lshl_add_u64 v[4:5], v[4:5], 2, s[66:67]
	global_load_dword v4, v[4:5], off
	s_waitcnt vmcnt(0)
	ds_bpermute_b32 v3, v3, v4
	s_waitcnt lgkmcnt(0)
	v_add_u32_e32 v4, v3, v4
.LBB830_387:
	s_or_b64 exec, exec, s[10:11]
	s_and_b64 vcc, exec, s[8:9]
	s_cbranch_vccnz .LBB830_393
	s_branch .LBB830_416
.LBB830_388:
                                        ; implicit-def: $sgpr2_sgpr3
                                        ; implicit-def: $vgpr2
.LBB830_389:
	v_mov_b32_e32 v0, s33
	s_and_saveexec_b64 s[4:5], s[36:37]
	s_cbranch_execnz .LBB830_421
.LBB830_390:
	s_or_b64 exec, exec, s[4:5]
	s_and_saveexec_b64 s[4:5], s[34:35]
	s_cbranch_execnz .LBB830_422
.LBB830_391:
	s_endpgm
.LBB830_392:
	s_mov_b64 s[4:5], 0
                                        ; implicit-def: $vgpr4
                                        ; implicit-def: $vgpr2
	s_cbranch_execz .LBB830_416
.LBB830_393:
	s_sub_i32 s10, s70, s6
	v_cmp_gt_u32_e32 vcc, s10, v0
                                        ; implicit-def: $vgpr2
	s_and_saveexec_b64 s[8:9], vcc
	s_cbranch_execz .LBB830_395
; %bb.394:
	s_lshl_b64 s[6:7], s[6:7], 2
	s_add_u32 s6, s68, s6
	s_addc_u32 s7, s69, s7
	s_waitcnt vmcnt(0)
	v_lshlrev_b32_e32 v2, 2, v0
	global_load_dword v2, v2, s[6:7]
.LBB830_395:
	s_or_b64 exec, exec, s[8:9]
	v_mbcnt_hi_u32_b32 v1, -1, v1
	v_and_b32_e32 v3, 63, v1
	v_cmp_ne_u32_e32 vcc, 63, v3
	s_min_u32 s8, s10, 0x100
	v_add_u32_e32 v6, 1, v3
	v_addc_co_u32_e32 v4, vcc, 0, v1, vcc
	v_lshlrev_b32_e32 v4, 2, v4
	s_waitcnt vmcnt(0)
	ds_bpermute_b32 v5, v4, v2
	v_and_b32_e32 v4, 0xc0, v0
	v_sub_u32_e64 v4, s8, v4 clamp
	v_cmp_lt_u32_e32 vcc, v6, v4
	s_and_saveexec_b64 s[6:7], vcc
	s_cbranch_execz .LBB830_397
; %bb.396:
	s_waitcnt lgkmcnt(0)
	v_add_u32_e32 v6, v5, v2
	v_ashrrev_i32_e32 v7, 31, v6
	v_lshl_add_u64 v[6:7], v[6:7], 2, s[66:67]
	global_load_dword v2, v[6:7], off
.LBB830_397:
	s_or_b64 exec, exec, s[6:7]
	v_cmp_gt_u32_e32 vcc, 62, v3
	v_add_u32_e32 v6, 2, v3
	s_waitcnt lgkmcnt(0)
	v_cndmask_b32_e64 v5, 0, 2, vcc
	v_add_lshl_u32 v5, v5, v1, 2
	s_waitcnt vmcnt(0)
	ds_bpermute_b32 v5, v5, v2
	v_cmp_lt_u32_e32 vcc, v6, v4
	s_and_saveexec_b64 s[6:7], vcc
	s_cbranch_execz .LBB830_399
; %bb.398:
	s_waitcnt lgkmcnt(0)
	v_add_u32_e32 v6, v5, v2
	v_ashrrev_i32_e32 v7, 31, v6
	v_lshl_add_u64 v[6:7], v[6:7], 2, s[66:67]
	global_load_dword v2, v[6:7], off
.LBB830_399:
	s_or_b64 exec, exec, s[6:7]
	v_cmp_gt_u32_e32 vcc, 60, v3
	v_add_u32_e32 v6, 4, v3
	s_waitcnt lgkmcnt(0)
	v_cndmask_b32_e64 v5, 0, 4, vcc
	v_add_lshl_u32 v5, v5, v1, 2
	s_waitcnt vmcnt(0)
	ds_bpermute_b32 v5, v5, v2
	;; [unrolled: 18-line block ×4, first 2 shown]
	v_cmp_lt_u32_e32 vcc, v6, v4
	s_and_saveexec_b64 s[6:7], vcc
	s_cbranch_execz .LBB830_405
; %bb.404:
	s_waitcnt lgkmcnt(0)
	v_add_u32_e32 v6, v5, v2
	v_ashrrev_i32_e32 v7, 31, v6
	v_lshl_add_u64 v[6:7], v[6:7], 2, s[66:67]
	global_load_dword v2, v[6:7], off
.LBB830_405:
	s_or_b64 exec, exec, s[6:7]
	s_waitcnt lgkmcnt(0)
	v_lshlrev_b32_e32 v5, 2, v1
	v_or_b32_e32 v6, 0x80, v5
	s_waitcnt vmcnt(0)
	ds_bpermute_b32 v6, v6, v2
	v_add_u32_e32 v3, 32, v3
	v_cmp_lt_u32_e32 vcc, v3, v4
	s_and_saveexec_b64 s[6:7], vcc
	s_cbranch_execz .LBB830_407
; %bb.406:
	s_waitcnt lgkmcnt(0)
	v_add_u32_e32 v2, v6, v2
	v_ashrrev_i32_e32 v3, 31, v2
	v_lshl_add_u64 v[2:3], v[2:3], 2, s[66:67]
	global_load_dword v2, v[2:3], off
.LBB830_407:
	s_or_b64 exec, exec, s[6:7]
	v_cmp_eq_u32_e32 vcc, 0, v1
	s_and_saveexec_b64 s[6:7], vcc
	s_cbranch_execz .LBB830_409
; %bb.408:
	v_lshrrev_b32_e32 v3, 4, v0
	v_and_b32_e32 v3, 12, v3
	s_waitcnt vmcnt(0)
	ds_write_b32 v3, v2
.LBB830_409:
	s_or_b64 exec, exec, s[6:7]
	v_cmp_gt_u32_e32 vcc, 4, v0
	s_waitcnt lgkmcnt(0)
	s_barrier
                                        ; implicit-def: $vgpr4
	s_and_saveexec_b64 s[6:7], vcc
	s_cbranch_execz .LBB830_415
; %bb.410:
	s_waitcnt vmcnt(0)
	ds_read_b32 v2, v5
	v_and_b32_e32 v3, 3, v1
	v_cmp_ne_u32_e32 vcc, 3, v3
	s_add_i32 s8, s8, 63
	s_lshr_b32 s10, s8, 6
	v_addc_co_u32_e32 v1, vcc, 0, v1, vcc
	v_lshlrev_b32_e32 v1, 2, v1
	s_waitcnt lgkmcnt(0)
	ds_bpermute_b32 v1, v1, v2
	v_add_u32_e32 v4, 1, v3
	v_cmp_gt_u32_e32 vcc, s10, v4
	s_and_saveexec_b64 s[8:9], vcc
	s_cbranch_execz .LBB830_412
; %bb.411:
	s_waitcnt lgkmcnt(0)
	v_add_u32_e32 v6, v1, v2
	v_ashrrev_i32_e32 v7, 31, v6
	v_lshl_add_u64 v[6:7], v[6:7], 2, s[66:67]
	global_load_dword v2, v[6:7], off
.LBB830_412:
	s_or_b64 exec, exec, s[8:9]
	s_waitcnt lgkmcnt(0)
	v_or_b32_e32 v1, 8, v5
	s_waitcnt vmcnt(0)
	ds_bpermute_b32 v1, v1, v2
	v_add_u32_e32 v3, 2, v3
	v_cmp_gt_u32_e32 vcc, s10, v3
	s_mov_b64 s[8:9], s[4:5]
                                        ; implicit-def: $vgpr4
	s_and_saveexec_b64 s[10:11], vcc
	s_cbranch_execz .LBB830_414
; %bb.413:
	s_waitcnt lgkmcnt(0)
	v_add_u32_e32 v4, v1, v2
	s_or_b64 s[8:9], s[4:5], exec
.LBB830_414:
	s_or_b64 exec, exec, s[10:11]
	s_andn2_b64 s[4:5], s[4:5], exec
	s_and_b64 s[8:9], s[8:9], exec
	s_or_b64 s[4:5], s[4:5], s[8:9]
.LBB830_415:
	s_or_b64 exec, exec, s[6:7]
.LBB830_416:
	s_and_saveexec_b64 s[6:7], s[4:5]
	s_cbranch_execz .LBB830_418
; %bb.417:
	v_ashrrev_i32_e32 v5, 31, v4
	s_waitcnt vmcnt(0)
	v_lshl_add_u64 v[2:3], v[4:5], 2, s[66:67]
	global_load_dword v2, v[2:3], off
.LBB830_418:
	s_or_b64 exec, exec, s[6:7]
	v_cmp_eq_u32_e32 vcc, 0, v0
	s_and_saveexec_b64 s[4:5], vcc
	s_cbranch_execz .LBB830_420
; %bb.419:
	s_cmp_eq_u64 s[70:71], 0
	s_cselect_b64 s[6:7], -1, 0
	s_cmp_lg_u64 s[70:71], 0
	s_cselect_b64 s[8:9], -1, 0
	s_andn2_b64 s[10:11], s[34:35], exec
	s_and_b64 s[6:7], s[6:7], exec
	s_or_b64 s[34:35], s[10:11], s[6:7]
	s_andn2_b64 s[6:7], s[36:37], exec
	s_and_b64 s[8:9], s[8:9], exec
	s_or_b64 s[36:37], s[6:7], s[8:9]
.LBB830_420:
	s_or_b64 exec, exec, s[4:5]
	v_mov_b32_e32 v0, s33
	s_and_saveexec_b64 s[4:5], s[36:37]
	s_cbranch_execz .LBB830_390
.LBB830_421:
	s_waitcnt vmcnt(0)
	v_add_u32_e32 v0, s33, v2
	s_waitcnt lgkmcnt(0)
	v_ashrrev_i32_e32 v1, 31, v0
	v_lshl_add_u64 v[0:1], v[0:1], 2, s[66:67]
	global_load_dword v0, v[0:1], off
	s_or_b64 s[34:35], s[34:35], exec
	s_or_b64 exec, exec, s[4:5]
	s_and_saveexec_b64 s[4:5], s[34:35]
	s_cbranch_execz .LBB830_391
.LBB830_422:
	s_load_dwordx2 s[0:1], s[0:1], 0x18
	s_lshl_b64 s[2:3], s[2:3], 2
	s_waitcnt lgkmcnt(0)
	v_mov_b32_e32 v1, 0
	s_add_u32 s0, s0, s2
	s_addc_u32 s1, s1, s3
	s_waitcnt vmcnt(0)
	global_store_dword v1, v0, s[0:1]
	s_endpgm
.LBB830_423:
	v_lshlrev_b32_e32 v1, 2, v1
	global_load_dword v33, v1, s[76:77]
	s_or_b64 exec, exec, s[78:79]
	s_and_saveexec_b64 s[76:77], vcc
	s_cbranch_execz .LBB830_88
.LBB830_424:
	s_waitcnt vmcnt(0)
	v_add_u32_e32 v2, v3, v2
	v_ashrrev_i32_e32 v3, 31, v2
	v_lshl_add_u64 v[2:3], v[2:3], 2, s[66:67]
	global_load_dword v2, v[2:3], off
	s_or_b64 exec, exec, s[76:77]
	s_and_saveexec_b64 s[76:77], s[4:5]
	s_cbranch_execz .LBB830_89
.LBB830_425:
	s_waitcnt vmcnt(0)
	v_add_u32_e32 v2, v2, v4
	v_ashrrev_i32_e32 v3, 31, v2
	v_lshl_add_u64 v[2:3], v[2:3], 2, s[66:67]
	global_load_dword v2, v[2:3], off
	s_or_b64 exec, exec, s[76:77]
	s_and_saveexec_b64 s[4:5], s[6:7]
	s_cbranch_execz .LBB830_90
.LBB830_426:
	s_waitcnt vmcnt(0)
	v_add_u32_e32 v2, v2, v5
	v_ashrrev_i32_e32 v3, 31, v2
	v_lshl_add_u64 v[2:3], v[2:3], 2, s[66:67]
	global_load_dword v2, v[2:3], off
	s_or_b64 exec, exec, s[4:5]
	s_and_saveexec_b64 s[4:5], s[8:9]
	s_cbranch_execz .LBB830_91
.LBB830_427:
	s_waitcnt vmcnt(0)
	v_add_u32_e32 v2, v2, v6
	v_ashrrev_i32_e32 v3, 31, v2
	v_lshl_add_u64 v[2:3], v[2:3], 2, s[66:67]
	global_load_dword v2, v[2:3], off
	s_or_b64 exec, exec, s[4:5]
	s_and_saveexec_b64 s[4:5], s[10:11]
	s_cbranch_execz .LBB830_92
.LBB830_428:
	s_waitcnt vmcnt(0)
	v_add_u32_e32 v2, v2, v7
	v_ashrrev_i32_e32 v3, 31, v2
	v_lshl_add_u64 v[2:3], v[2:3], 2, s[66:67]
	global_load_dword v2, v[2:3], off
	s_or_b64 exec, exec, s[4:5]
	s_and_saveexec_b64 s[4:5], s[12:13]
	s_cbranch_execz .LBB830_93
.LBB830_429:
	s_waitcnt vmcnt(0)
	v_add_u32_e32 v2, v2, v8
	v_ashrrev_i32_e32 v3, 31, v2
	v_lshl_add_u64 v[2:3], v[2:3], 2, s[66:67]
	global_load_dword v2, v[2:3], off
	s_or_b64 exec, exec, s[4:5]
	s_and_saveexec_b64 s[4:5], s[14:15]
	s_cbranch_execz .LBB830_94
.LBB830_430:
	s_waitcnt vmcnt(0)
	v_add_u32_e32 v2, v2, v9
	v_ashrrev_i32_e32 v3, 31, v2
	v_lshl_add_u64 v[2:3], v[2:3], 2, s[66:67]
	global_load_dword v2, v[2:3], off
	s_or_b64 exec, exec, s[4:5]
	s_and_saveexec_b64 s[4:5], s[16:17]
	s_cbranch_execz .LBB830_95
.LBB830_431:
	s_waitcnt vmcnt(0)
	v_add_u32_e32 v2, v2, v10
	v_ashrrev_i32_e32 v3, 31, v2
	v_lshl_add_u64 v[2:3], v[2:3], 2, s[66:67]
	global_load_dword v2, v[2:3], off
	s_or_b64 exec, exec, s[4:5]
	s_and_saveexec_b64 s[4:5], s[18:19]
	s_cbranch_execz .LBB830_96
.LBB830_432:
	s_waitcnt vmcnt(0)
	v_add_u32_e32 v2, v2, v11
	v_ashrrev_i32_e32 v3, 31, v2
	v_lshl_add_u64 v[2:3], v[2:3], 2, s[66:67]
	global_load_dword v2, v[2:3], off
	s_or_b64 exec, exec, s[4:5]
	s_and_saveexec_b64 s[4:5], s[20:21]
	s_cbranch_execz .LBB830_97
.LBB830_433:
	s_waitcnt vmcnt(0)
	v_add_u32_e32 v2, v2, v12
	v_ashrrev_i32_e32 v3, 31, v2
	v_lshl_add_u64 v[2:3], v[2:3], 2, s[66:67]
	global_load_dword v2, v[2:3], off
	s_or_b64 exec, exec, s[4:5]
	s_and_saveexec_b64 s[4:5], s[22:23]
	s_cbranch_execz .LBB830_98
.LBB830_434:
	s_waitcnt vmcnt(0)
	v_add_u32_e32 v2, v2, v13
	v_ashrrev_i32_e32 v3, 31, v2
	v_lshl_add_u64 v[2:3], v[2:3], 2, s[66:67]
	global_load_dword v2, v[2:3], off
	s_or_b64 exec, exec, s[4:5]
	s_and_saveexec_b64 s[4:5], s[24:25]
	s_cbranch_execz .LBB830_99
.LBB830_435:
	s_waitcnt vmcnt(0)
	v_add_u32_e32 v2, v2, v14
	v_ashrrev_i32_e32 v3, 31, v2
	v_lshl_add_u64 v[2:3], v[2:3], 2, s[66:67]
	global_load_dword v2, v[2:3], off
	s_or_b64 exec, exec, s[4:5]
	s_and_saveexec_b64 s[4:5], s[26:27]
	s_cbranch_execz .LBB830_100
.LBB830_436:
	s_waitcnt vmcnt(0)
	v_add_u32_e32 v2, v2, v15
	v_ashrrev_i32_e32 v3, 31, v2
	v_lshl_add_u64 v[2:3], v[2:3], 2, s[66:67]
	global_load_dword v2, v[2:3], off
	s_or_b64 exec, exec, s[4:5]
	s_and_saveexec_b64 s[4:5], s[28:29]
	s_cbranch_execz .LBB830_101
.LBB830_437:
	s_waitcnt vmcnt(0)
	v_add_u32_e32 v2, v2, v16
	v_ashrrev_i32_e32 v3, 31, v2
	v_lshl_add_u64 v[2:3], v[2:3], 2, s[66:67]
	global_load_dword v2, v[2:3], off
	s_or_b64 exec, exec, s[4:5]
	s_and_saveexec_b64 s[4:5], s[30:31]
	s_cbranch_execz .LBB830_102
.LBB830_438:
	s_waitcnt vmcnt(0)
	v_add_u32_e32 v2, v2, v17
	v_ashrrev_i32_e32 v3, 31, v2
	v_lshl_add_u64 v[2:3], v[2:3], 2, s[66:67]
	global_load_dword v2, v[2:3], off
	s_or_b64 exec, exec, s[4:5]
	s_and_saveexec_b64 s[4:5], s[34:35]
	s_cbranch_execz .LBB830_103
.LBB830_439:
	s_waitcnt vmcnt(0)
	v_add_u32_e32 v2, v2, v18
	v_ashrrev_i32_e32 v3, 31, v2
	v_lshl_add_u64 v[2:3], v[2:3], 2, s[66:67]
	global_load_dword v2, v[2:3], off
	s_or_b64 exec, exec, s[4:5]
	s_and_saveexec_b64 s[4:5], s[36:37]
	s_cbranch_execz .LBB830_104
.LBB830_440:
	s_waitcnt vmcnt(0)
	v_add_u32_e32 v2, v2, v19
	v_ashrrev_i32_e32 v3, 31, v2
	v_lshl_add_u64 v[2:3], v[2:3], 2, s[66:67]
	global_load_dword v2, v[2:3], off
	s_or_b64 exec, exec, s[4:5]
	s_and_saveexec_b64 s[4:5], s[38:39]
	s_cbranch_execz .LBB830_105
.LBB830_441:
	s_waitcnt vmcnt(0)
	v_add_u32_e32 v2, v2, v20
	v_ashrrev_i32_e32 v3, 31, v2
	v_lshl_add_u64 v[2:3], v[2:3], 2, s[66:67]
	global_load_dword v2, v[2:3], off
	s_or_b64 exec, exec, s[4:5]
	s_and_saveexec_b64 s[4:5], s[40:41]
	s_cbranch_execz .LBB830_106
.LBB830_442:
	s_waitcnt vmcnt(0)
	v_add_u32_e32 v2, v2, v21
	v_ashrrev_i32_e32 v3, 31, v2
	v_lshl_add_u64 v[2:3], v[2:3], 2, s[66:67]
	global_load_dword v2, v[2:3], off
	s_or_b64 exec, exec, s[4:5]
	s_and_saveexec_b64 s[4:5], s[42:43]
	s_cbranch_execz .LBB830_107
.LBB830_443:
	s_waitcnt vmcnt(0)
	v_add_u32_e32 v2, v2, v22
	v_ashrrev_i32_e32 v3, 31, v2
	v_lshl_add_u64 v[2:3], v[2:3], 2, s[66:67]
	global_load_dword v2, v[2:3], off
	s_or_b64 exec, exec, s[4:5]
	s_and_saveexec_b64 s[4:5], s[44:45]
	s_cbranch_execz .LBB830_108
.LBB830_444:
	s_waitcnt vmcnt(0)
	v_add_u32_e32 v2, v2, v23
	v_ashrrev_i32_e32 v3, 31, v2
	v_lshl_add_u64 v[2:3], v[2:3], 2, s[66:67]
	global_load_dword v2, v[2:3], off
	s_or_b64 exec, exec, s[4:5]
	s_and_saveexec_b64 s[4:5], s[46:47]
	s_cbranch_execz .LBB830_109
.LBB830_445:
	s_waitcnt vmcnt(0)
	v_add_u32_e32 v2, v2, v24
	v_ashrrev_i32_e32 v3, 31, v2
	v_lshl_add_u64 v[2:3], v[2:3], 2, s[66:67]
	global_load_dword v2, v[2:3], off
	s_or_b64 exec, exec, s[4:5]
	s_and_saveexec_b64 s[4:5], s[48:49]
	s_cbranch_execz .LBB830_110
.LBB830_446:
	s_waitcnt vmcnt(0)
	v_add_u32_e32 v2, v2, v25
	v_ashrrev_i32_e32 v3, 31, v2
	v_lshl_add_u64 v[2:3], v[2:3], 2, s[66:67]
	global_load_dword v2, v[2:3], off
	s_or_b64 exec, exec, s[4:5]
	s_and_saveexec_b64 s[4:5], s[50:51]
	s_cbranch_execz .LBB830_111
.LBB830_447:
	s_waitcnt vmcnt(0)
	v_add_u32_e32 v2, v2, v26
	v_ashrrev_i32_e32 v3, 31, v2
	v_lshl_add_u64 v[2:3], v[2:3], 2, s[66:67]
	global_load_dword v2, v[2:3], off
	s_or_b64 exec, exec, s[4:5]
	s_and_saveexec_b64 s[4:5], s[52:53]
	s_cbranch_execz .LBB830_112
.LBB830_448:
	s_waitcnt vmcnt(0)
	v_add_u32_e32 v2, v2, v27
	v_ashrrev_i32_e32 v3, 31, v2
	v_lshl_add_u64 v[2:3], v[2:3], 2, s[66:67]
	global_load_dword v2, v[2:3], off
	s_or_b64 exec, exec, s[4:5]
	s_and_saveexec_b64 s[4:5], s[54:55]
	s_cbranch_execz .LBB830_113
.LBB830_449:
	s_waitcnt vmcnt(0)
	v_add_u32_e32 v2, v2, v28
	v_ashrrev_i32_e32 v3, 31, v2
	v_lshl_add_u64 v[2:3], v[2:3], 2, s[66:67]
	global_load_dword v2, v[2:3], off
	s_or_b64 exec, exec, s[4:5]
	s_and_saveexec_b64 s[4:5], s[56:57]
	s_cbranch_execz .LBB830_114
.LBB830_450:
	s_waitcnt vmcnt(0)
	v_add_u32_e32 v2, v2, v29
	v_ashrrev_i32_e32 v3, 31, v2
	v_lshl_add_u64 v[2:3], v[2:3], 2, s[66:67]
	global_load_dword v2, v[2:3], off
	s_or_b64 exec, exec, s[4:5]
	s_and_saveexec_b64 s[4:5], s[58:59]
	s_cbranch_execz .LBB830_115
.LBB830_451:
	s_waitcnt vmcnt(0)
	v_add_u32_e32 v2, v2, v30
	v_ashrrev_i32_e32 v3, 31, v2
	v_lshl_add_u64 v[2:3], v[2:3], 2, s[66:67]
	global_load_dword v2, v[2:3], off
	s_or_b64 exec, exec, s[4:5]
	s_and_saveexec_b64 s[4:5], s[60:61]
	s_cbranch_execz .LBB830_116
.LBB830_452:
	s_waitcnt vmcnt(0)
	v_add_u32_e32 v2, v2, v31
	v_ashrrev_i32_e32 v3, 31, v2
	v_lshl_add_u64 v[2:3], v[2:3], 2, s[66:67]
	global_load_dword v2, v[2:3], off
	s_or_b64 exec, exec, s[4:5]
	s_and_saveexec_b64 s[4:5], s[62:63]
	s_cbranch_execz .LBB830_117
.LBB830_453:
	s_waitcnt vmcnt(0)
	v_add_u32_e32 v2, v2, v32
	v_ashrrev_i32_e32 v3, 31, v2
	v_lshl_add_u64 v[2:3], v[2:3], 2, s[66:67]
	global_load_dword v2, v[2:3], off
	s_or_b64 exec, exec, s[4:5]
	s_and_saveexec_b64 s[4:5], s[64:65]
	s_cbranch_execnz .LBB830_118
	s_branch .LBB830_119
.LBB830_454:
	v_lshlrev_b32_e32 v1, 2, v1
	global_load_dword v17, v1, s[40:41]
	s_or_b64 exec, exec, s[42:43]
	s_and_saveexec_b64 s[40:41], vcc
	s_cbranch_execz .LBB830_180
.LBB830_455:
	s_waitcnt vmcnt(0)
	v_add_u32_e32 v2, v3, v2
	v_ashrrev_i32_e32 v3, 31, v2
	v_lshl_add_u64 v[2:3], v[2:3], 2, s[66:67]
	global_load_dword v2, v[2:3], off
	s_or_b64 exec, exec, s[40:41]
	s_and_saveexec_b64 s[40:41], s[4:5]
	s_cbranch_execz .LBB830_181
.LBB830_456:
	s_waitcnt vmcnt(0)
	v_add_u32_e32 v2, v2, v4
	v_ashrrev_i32_e32 v3, 31, v2
	v_lshl_add_u64 v[2:3], v[2:3], 2, s[66:67]
	global_load_dword v2, v[2:3], off
	s_or_b64 exec, exec, s[40:41]
	s_and_saveexec_b64 s[4:5], s[6:7]
	s_cbranch_execz .LBB830_182
.LBB830_457:
	s_waitcnt vmcnt(0)
	v_add_u32_e32 v2, v2, v5
	v_ashrrev_i32_e32 v3, 31, v2
	v_lshl_add_u64 v[2:3], v[2:3], 2, s[66:67]
	global_load_dword v2, v[2:3], off
	s_or_b64 exec, exec, s[4:5]
	s_and_saveexec_b64 s[4:5], s[8:9]
	s_cbranch_execz .LBB830_183
.LBB830_458:
	s_waitcnt vmcnt(0)
	v_add_u32_e32 v2, v2, v6
	v_ashrrev_i32_e32 v3, 31, v2
	v_lshl_add_u64 v[2:3], v[2:3], 2, s[66:67]
	global_load_dword v2, v[2:3], off
	s_or_b64 exec, exec, s[4:5]
	s_and_saveexec_b64 s[4:5], s[10:11]
	s_cbranch_execz .LBB830_184
.LBB830_459:
	s_waitcnt vmcnt(0)
	v_add_u32_e32 v2, v2, v7
	v_ashrrev_i32_e32 v3, 31, v2
	v_lshl_add_u64 v[2:3], v[2:3], 2, s[66:67]
	global_load_dword v2, v[2:3], off
	s_or_b64 exec, exec, s[4:5]
	s_and_saveexec_b64 s[4:5], s[12:13]
	s_cbranch_execz .LBB830_185
.LBB830_460:
	s_waitcnt vmcnt(0)
	v_add_u32_e32 v2, v2, v8
	v_ashrrev_i32_e32 v3, 31, v2
	v_lshl_add_u64 v[2:3], v[2:3], 2, s[66:67]
	global_load_dword v2, v[2:3], off
	s_or_b64 exec, exec, s[4:5]
	s_and_saveexec_b64 s[4:5], s[14:15]
	s_cbranch_execz .LBB830_186
.LBB830_461:
	s_waitcnt vmcnt(0)
	v_add_u32_e32 v2, v2, v9
	v_ashrrev_i32_e32 v3, 31, v2
	v_lshl_add_u64 v[2:3], v[2:3], 2, s[66:67]
	global_load_dword v2, v[2:3], off
	s_or_b64 exec, exec, s[4:5]
	s_and_saveexec_b64 s[4:5], s[16:17]
	s_cbranch_execz .LBB830_187
.LBB830_462:
	s_waitcnt vmcnt(0)
	v_add_u32_e32 v2, v2, v10
	v_ashrrev_i32_e32 v3, 31, v2
	v_lshl_add_u64 v[2:3], v[2:3], 2, s[66:67]
	global_load_dword v2, v[2:3], off
	s_or_b64 exec, exec, s[4:5]
	s_and_saveexec_b64 s[4:5], s[18:19]
	s_cbranch_execz .LBB830_188
.LBB830_463:
	s_waitcnt vmcnt(0)
	v_add_u32_e32 v2, v2, v11
	v_ashrrev_i32_e32 v3, 31, v2
	v_lshl_add_u64 v[2:3], v[2:3], 2, s[66:67]
	global_load_dword v2, v[2:3], off
	s_or_b64 exec, exec, s[4:5]
	s_and_saveexec_b64 s[4:5], s[20:21]
	s_cbranch_execz .LBB830_189
.LBB830_464:
	s_waitcnt vmcnt(0)
	v_add_u32_e32 v2, v2, v12
	v_ashrrev_i32_e32 v3, 31, v2
	v_lshl_add_u64 v[2:3], v[2:3], 2, s[66:67]
	global_load_dword v2, v[2:3], off
	s_or_b64 exec, exec, s[4:5]
	s_and_saveexec_b64 s[4:5], s[22:23]
	s_cbranch_execz .LBB830_190
.LBB830_465:
	s_waitcnt vmcnt(0)
	v_add_u32_e32 v2, v2, v13
	v_ashrrev_i32_e32 v3, 31, v2
	v_lshl_add_u64 v[2:3], v[2:3], 2, s[66:67]
	global_load_dword v2, v[2:3], off
	s_or_b64 exec, exec, s[4:5]
	s_and_saveexec_b64 s[4:5], s[24:25]
	s_cbranch_execz .LBB830_191
.LBB830_466:
	s_waitcnt vmcnt(0)
	v_add_u32_e32 v2, v2, v14
	v_ashrrev_i32_e32 v3, 31, v2
	v_lshl_add_u64 v[2:3], v[2:3], 2, s[66:67]
	global_load_dword v2, v[2:3], off
	s_or_b64 exec, exec, s[4:5]
	s_and_saveexec_b64 s[4:5], s[26:27]
	s_cbranch_execz .LBB830_192
.LBB830_467:
	s_waitcnt vmcnt(0)
	v_add_u32_e32 v2, v2, v15
	v_ashrrev_i32_e32 v3, 31, v2
	v_lshl_add_u64 v[2:3], v[2:3], 2, s[66:67]
	global_load_dword v2, v[2:3], off
	s_or_b64 exec, exec, s[4:5]
	s_and_saveexec_b64 s[4:5], s[28:29]
	s_cbranch_execz .LBB830_193
.LBB830_468:
	s_waitcnt vmcnt(0)
	v_add_u32_e32 v2, v2, v16
	v_ashrrev_i32_e32 v3, 31, v2
	v_lshl_add_u64 v[2:3], v[2:3], 2, s[66:67]
	global_load_dword v2, v[2:3], off
	s_or_b64 exec, exec, s[4:5]
	s_and_saveexec_b64 s[4:5], s[30:31]
	s_cbranch_execnz .LBB830_194
	s_branch .LBB830_195
.LBB830_469:
	v_lshlrev_b32_e32 v1, 2, v0
	global_load_dword v5, v1, s[10:11] offset:3072
	s_or_b64 exec, exec, s[12:13]
	s_and_saveexec_b64 s[10:11], vcc
	s_cbranch_execz .LBB830_310
.LBB830_470:
	s_waitcnt vmcnt(0)
	v_add_u32_e32 v2, v3, v2
	v_ashrrev_i32_e32 v3, 31, v2
	v_lshl_add_u64 v[2:3], v[2:3], 2, s[66:67]
	global_load_dword v2, v[2:3], off
	s_or_b64 exec, exec, s[10:11]
	s_and_saveexec_b64 s[10:11], s[4:5]
	s_cbranch_execz .LBB830_311
.LBB830_471:
	s_waitcnt vmcnt(0)
	v_add_u32_e32 v2, v2, v4
	v_ashrrev_i32_e32 v3, 31, v2
	v_lshl_add_u64 v[2:3], v[2:3], 2, s[66:67]
	global_load_dword v2, v[2:3], off
	s_or_b64 exec, exec, s[10:11]
	s_and_saveexec_b64 s[4:5], s[6:7]
	s_cbranch_execnz .LBB830_312
	s_branch .LBB830_313
	.section	.rodata,"a",@progbits
	.p2align	6, 0x0
	.amdhsa_kernel _ZN7rocprim17ROCPRIM_400000_NS6detail17trampoline_kernelINS0_14default_configENS1_22reduce_config_selectorIjEEZNS1_11reduce_implILb1ES3_N6thrust23THRUST_200600_302600_NS6detail15normal_iteratorINS8_10device_ptrIjEEEEPjj9plus_mod3IjEEE10hipError_tPvRmT1_T2_T3_mT4_P12ihipStream_tbEUlT_E1_NS1_11comp_targetILNS1_3genE0ELNS1_11target_archE4294967295ELNS1_3gpuE0ELNS1_3repE0EEENS1_30default_config_static_selectorELNS0_4arch9wavefront6targetE1EEEvSK_
		.amdhsa_group_segment_fixed_size 112
		.amdhsa_private_segment_fixed_size 0
		.amdhsa_kernarg_size 48
		.amdhsa_user_sgpr_count 2
		.amdhsa_user_sgpr_dispatch_ptr 0
		.amdhsa_user_sgpr_queue_ptr 0
		.amdhsa_user_sgpr_kernarg_segment_ptr 1
		.amdhsa_user_sgpr_dispatch_id 0
		.amdhsa_user_sgpr_kernarg_preload_length 0
		.amdhsa_user_sgpr_kernarg_preload_offset 0
		.amdhsa_user_sgpr_private_segment_size 0
		.amdhsa_uses_dynamic_stack 0
		.amdhsa_enable_private_segment 0
		.amdhsa_system_sgpr_workgroup_id_x 1
		.amdhsa_system_sgpr_workgroup_id_y 0
		.amdhsa_system_sgpr_workgroup_id_z 0
		.amdhsa_system_sgpr_workgroup_info 0
		.amdhsa_system_vgpr_workitem_id 0
		.amdhsa_next_free_vgpr 36
		.amdhsa_next_free_sgpr 82
		.amdhsa_accum_offset 36
		.amdhsa_reserve_vcc 1
		.amdhsa_float_round_mode_32 0
		.amdhsa_float_round_mode_16_64 0
		.amdhsa_float_denorm_mode_32 3
		.amdhsa_float_denorm_mode_16_64 3
		.amdhsa_dx10_clamp 1
		.amdhsa_ieee_mode 1
		.amdhsa_fp16_overflow 0
		.amdhsa_tg_split 0
		.amdhsa_exception_fp_ieee_invalid_op 0
		.amdhsa_exception_fp_denorm_src 0
		.amdhsa_exception_fp_ieee_div_zero 0
		.amdhsa_exception_fp_ieee_overflow 0
		.amdhsa_exception_fp_ieee_underflow 0
		.amdhsa_exception_fp_ieee_inexact 0
		.amdhsa_exception_int_div_zero 0
	.end_amdhsa_kernel
	.section	.text._ZN7rocprim17ROCPRIM_400000_NS6detail17trampoline_kernelINS0_14default_configENS1_22reduce_config_selectorIjEEZNS1_11reduce_implILb1ES3_N6thrust23THRUST_200600_302600_NS6detail15normal_iteratorINS8_10device_ptrIjEEEEPjj9plus_mod3IjEEE10hipError_tPvRmT1_T2_T3_mT4_P12ihipStream_tbEUlT_E1_NS1_11comp_targetILNS1_3genE0ELNS1_11target_archE4294967295ELNS1_3gpuE0ELNS1_3repE0EEENS1_30default_config_static_selectorELNS0_4arch9wavefront6targetE1EEEvSK_,"axG",@progbits,_ZN7rocprim17ROCPRIM_400000_NS6detail17trampoline_kernelINS0_14default_configENS1_22reduce_config_selectorIjEEZNS1_11reduce_implILb1ES3_N6thrust23THRUST_200600_302600_NS6detail15normal_iteratorINS8_10device_ptrIjEEEEPjj9plus_mod3IjEEE10hipError_tPvRmT1_T2_T3_mT4_P12ihipStream_tbEUlT_E1_NS1_11comp_targetILNS1_3genE0ELNS1_11target_archE4294967295ELNS1_3gpuE0ELNS1_3repE0EEENS1_30default_config_static_selectorELNS0_4arch9wavefront6targetE1EEEvSK_,comdat
.Lfunc_end830:
	.size	_ZN7rocprim17ROCPRIM_400000_NS6detail17trampoline_kernelINS0_14default_configENS1_22reduce_config_selectorIjEEZNS1_11reduce_implILb1ES3_N6thrust23THRUST_200600_302600_NS6detail15normal_iteratorINS8_10device_ptrIjEEEEPjj9plus_mod3IjEEE10hipError_tPvRmT1_T2_T3_mT4_P12ihipStream_tbEUlT_E1_NS1_11comp_targetILNS1_3genE0ELNS1_11target_archE4294967295ELNS1_3gpuE0ELNS1_3repE0EEENS1_30default_config_static_selectorELNS0_4arch9wavefront6targetE1EEEvSK_, .Lfunc_end830-_ZN7rocprim17ROCPRIM_400000_NS6detail17trampoline_kernelINS0_14default_configENS1_22reduce_config_selectorIjEEZNS1_11reduce_implILb1ES3_N6thrust23THRUST_200600_302600_NS6detail15normal_iteratorINS8_10device_ptrIjEEEEPjj9plus_mod3IjEEE10hipError_tPvRmT1_T2_T3_mT4_P12ihipStream_tbEUlT_E1_NS1_11comp_targetILNS1_3genE0ELNS1_11target_archE4294967295ELNS1_3gpuE0ELNS1_3repE0EEENS1_30default_config_static_selectorELNS0_4arch9wavefront6targetE1EEEvSK_
                                        ; -- End function
	.set _ZN7rocprim17ROCPRIM_400000_NS6detail17trampoline_kernelINS0_14default_configENS1_22reduce_config_selectorIjEEZNS1_11reduce_implILb1ES3_N6thrust23THRUST_200600_302600_NS6detail15normal_iteratorINS8_10device_ptrIjEEEEPjj9plus_mod3IjEEE10hipError_tPvRmT1_T2_T3_mT4_P12ihipStream_tbEUlT_E1_NS1_11comp_targetILNS1_3genE0ELNS1_11target_archE4294967295ELNS1_3gpuE0ELNS1_3repE0EEENS1_30default_config_static_selectorELNS0_4arch9wavefront6targetE1EEEvSK_.num_vgpr, 36
	.set _ZN7rocprim17ROCPRIM_400000_NS6detail17trampoline_kernelINS0_14default_configENS1_22reduce_config_selectorIjEEZNS1_11reduce_implILb1ES3_N6thrust23THRUST_200600_302600_NS6detail15normal_iteratorINS8_10device_ptrIjEEEEPjj9plus_mod3IjEEE10hipError_tPvRmT1_T2_T3_mT4_P12ihipStream_tbEUlT_E1_NS1_11comp_targetILNS1_3genE0ELNS1_11target_archE4294967295ELNS1_3gpuE0ELNS1_3repE0EEENS1_30default_config_static_selectorELNS0_4arch9wavefront6targetE1EEEvSK_.num_agpr, 0
	.set _ZN7rocprim17ROCPRIM_400000_NS6detail17trampoline_kernelINS0_14default_configENS1_22reduce_config_selectorIjEEZNS1_11reduce_implILb1ES3_N6thrust23THRUST_200600_302600_NS6detail15normal_iteratorINS8_10device_ptrIjEEEEPjj9plus_mod3IjEEE10hipError_tPvRmT1_T2_T3_mT4_P12ihipStream_tbEUlT_E1_NS1_11comp_targetILNS1_3genE0ELNS1_11target_archE4294967295ELNS1_3gpuE0ELNS1_3repE0EEENS1_30default_config_static_selectorELNS0_4arch9wavefront6targetE1EEEvSK_.numbered_sgpr, 82
	.set _ZN7rocprim17ROCPRIM_400000_NS6detail17trampoline_kernelINS0_14default_configENS1_22reduce_config_selectorIjEEZNS1_11reduce_implILb1ES3_N6thrust23THRUST_200600_302600_NS6detail15normal_iteratorINS8_10device_ptrIjEEEEPjj9plus_mod3IjEEE10hipError_tPvRmT1_T2_T3_mT4_P12ihipStream_tbEUlT_E1_NS1_11comp_targetILNS1_3genE0ELNS1_11target_archE4294967295ELNS1_3gpuE0ELNS1_3repE0EEENS1_30default_config_static_selectorELNS0_4arch9wavefront6targetE1EEEvSK_.num_named_barrier, 0
	.set _ZN7rocprim17ROCPRIM_400000_NS6detail17trampoline_kernelINS0_14default_configENS1_22reduce_config_selectorIjEEZNS1_11reduce_implILb1ES3_N6thrust23THRUST_200600_302600_NS6detail15normal_iteratorINS8_10device_ptrIjEEEEPjj9plus_mod3IjEEE10hipError_tPvRmT1_T2_T3_mT4_P12ihipStream_tbEUlT_E1_NS1_11comp_targetILNS1_3genE0ELNS1_11target_archE4294967295ELNS1_3gpuE0ELNS1_3repE0EEENS1_30default_config_static_selectorELNS0_4arch9wavefront6targetE1EEEvSK_.private_seg_size, 0
	.set _ZN7rocprim17ROCPRIM_400000_NS6detail17trampoline_kernelINS0_14default_configENS1_22reduce_config_selectorIjEEZNS1_11reduce_implILb1ES3_N6thrust23THRUST_200600_302600_NS6detail15normal_iteratorINS8_10device_ptrIjEEEEPjj9plus_mod3IjEEE10hipError_tPvRmT1_T2_T3_mT4_P12ihipStream_tbEUlT_E1_NS1_11comp_targetILNS1_3genE0ELNS1_11target_archE4294967295ELNS1_3gpuE0ELNS1_3repE0EEENS1_30default_config_static_selectorELNS0_4arch9wavefront6targetE1EEEvSK_.uses_vcc, 1
	.set _ZN7rocprim17ROCPRIM_400000_NS6detail17trampoline_kernelINS0_14default_configENS1_22reduce_config_selectorIjEEZNS1_11reduce_implILb1ES3_N6thrust23THRUST_200600_302600_NS6detail15normal_iteratorINS8_10device_ptrIjEEEEPjj9plus_mod3IjEEE10hipError_tPvRmT1_T2_T3_mT4_P12ihipStream_tbEUlT_E1_NS1_11comp_targetILNS1_3genE0ELNS1_11target_archE4294967295ELNS1_3gpuE0ELNS1_3repE0EEENS1_30default_config_static_selectorELNS0_4arch9wavefront6targetE1EEEvSK_.uses_flat_scratch, 0
	.set _ZN7rocprim17ROCPRIM_400000_NS6detail17trampoline_kernelINS0_14default_configENS1_22reduce_config_selectorIjEEZNS1_11reduce_implILb1ES3_N6thrust23THRUST_200600_302600_NS6detail15normal_iteratorINS8_10device_ptrIjEEEEPjj9plus_mod3IjEEE10hipError_tPvRmT1_T2_T3_mT4_P12ihipStream_tbEUlT_E1_NS1_11comp_targetILNS1_3genE0ELNS1_11target_archE4294967295ELNS1_3gpuE0ELNS1_3repE0EEENS1_30default_config_static_selectorELNS0_4arch9wavefront6targetE1EEEvSK_.has_dyn_sized_stack, 0
	.set _ZN7rocprim17ROCPRIM_400000_NS6detail17trampoline_kernelINS0_14default_configENS1_22reduce_config_selectorIjEEZNS1_11reduce_implILb1ES3_N6thrust23THRUST_200600_302600_NS6detail15normal_iteratorINS8_10device_ptrIjEEEEPjj9plus_mod3IjEEE10hipError_tPvRmT1_T2_T3_mT4_P12ihipStream_tbEUlT_E1_NS1_11comp_targetILNS1_3genE0ELNS1_11target_archE4294967295ELNS1_3gpuE0ELNS1_3repE0EEENS1_30default_config_static_selectorELNS0_4arch9wavefront6targetE1EEEvSK_.has_recursion, 0
	.set _ZN7rocprim17ROCPRIM_400000_NS6detail17trampoline_kernelINS0_14default_configENS1_22reduce_config_selectorIjEEZNS1_11reduce_implILb1ES3_N6thrust23THRUST_200600_302600_NS6detail15normal_iteratorINS8_10device_ptrIjEEEEPjj9plus_mod3IjEEE10hipError_tPvRmT1_T2_T3_mT4_P12ihipStream_tbEUlT_E1_NS1_11comp_targetILNS1_3genE0ELNS1_11target_archE4294967295ELNS1_3gpuE0ELNS1_3repE0EEENS1_30default_config_static_selectorELNS0_4arch9wavefront6targetE1EEEvSK_.has_indirect_call, 0
	.section	.AMDGPU.csdata,"",@progbits
; Kernel info:
; codeLenInByte = 16776
; TotalNumSgprs: 88
; NumVgprs: 36
; NumAgprs: 0
; TotalNumVgprs: 36
; ScratchSize: 0
; MemoryBound: 0
; FloatMode: 240
; IeeeMode: 1
; LDSByteSize: 112 bytes/workgroup (compile time only)
; SGPRBlocks: 10
; VGPRBlocks: 4
; NumSGPRsForWavesPerEU: 88
; NumVGPRsForWavesPerEU: 36
; AccumOffset: 36
; Occupancy: 8
; WaveLimiterHint : 1
; COMPUTE_PGM_RSRC2:SCRATCH_EN: 0
; COMPUTE_PGM_RSRC2:USER_SGPR: 2
; COMPUTE_PGM_RSRC2:TRAP_HANDLER: 0
; COMPUTE_PGM_RSRC2:TGID_X_EN: 1
; COMPUTE_PGM_RSRC2:TGID_Y_EN: 0
; COMPUTE_PGM_RSRC2:TGID_Z_EN: 0
; COMPUTE_PGM_RSRC2:TIDIG_COMP_CNT: 0
; COMPUTE_PGM_RSRC3_GFX90A:ACCUM_OFFSET: 8
; COMPUTE_PGM_RSRC3_GFX90A:TG_SPLIT: 0
	.section	.text._ZN7rocprim17ROCPRIM_400000_NS6detail17trampoline_kernelINS0_14default_configENS1_22reduce_config_selectorIjEEZNS1_11reduce_implILb1ES3_N6thrust23THRUST_200600_302600_NS6detail15normal_iteratorINS8_10device_ptrIjEEEEPjj9plus_mod3IjEEE10hipError_tPvRmT1_T2_T3_mT4_P12ihipStream_tbEUlT_E1_NS1_11comp_targetILNS1_3genE5ELNS1_11target_archE942ELNS1_3gpuE9ELNS1_3repE0EEENS1_30default_config_static_selectorELNS0_4arch9wavefront6targetE1EEEvSK_,"axG",@progbits,_ZN7rocprim17ROCPRIM_400000_NS6detail17trampoline_kernelINS0_14default_configENS1_22reduce_config_selectorIjEEZNS1_11reduce_implILb1ES3_N6thrust23THRUST_200600_302600_NS6detail15normal_iteratorINS8_10device_ptrIjEEEEPjj9plus_mod3IjEEE10hipError_tPvRmT1_T2_T3_mT4_P12ihipStream_tbEUlT_E1_NS1_11comp_targetILNS1_3genE5ELNS1_11target_archE942ELNS1_3gpuE9ELNS1_3repE0EEENS1_30default_config_static_selectorELNS0_4arch9wavefront6targetE1EEEvSK_,comdat
	.protected	_ZN7rocprim17ROCPRIM_400000_NS6detail17trampoline_kernelINS0_14default_configENS1_22reduce_config_selectorIjEEZNS1_11reduce_implILb1ES3_N6thrust23THRUST_200600_302600_NS6detail15normal_iteratorINS8_10device_ptrIjEEEEPjj9plus_mod3IjEEE10hipError_tPvRmT1_T2_T3_mT4_P12ihipStream_tbEUlT_E1_NS1_11comp_targetILNS1_3genE5ELNS1_11target_archE942ELNS1_3gpuE9ELNS1_3repE0EEENS1_30default_config_static_selectorELNS0_4arch9wavefront6targetE1EEEvSK_ ; -- Begin function _ZN7rocprim17ROCPRIM_400000_NS6detail17trampoline_kernelINS0_14default_configENS1_22reduce_config_selectorIjEEZNS1_11reduce_implILb1ES3_N6thrust23THRUST_200600_302600_NS6detail15normal_iteratorINS8_10device_ptrIjEEEEPjj9plus_mod3IjEEE10hipError_tPvRmT1_T2_T3_mT4_P12ihipStream_tbEUlT_E1_NS1_11comp_targetILNS1_3genE5ELNS1_11target_archE942ELNS1_3gpuE9ELNS1_3repE0EEENS1_30default_config_static_selectorELNS0_4arch9wavefront6targetE1EEEvSK_
	.globl	_ZN7rocprim17ROCPRIM_400000_NS6detail17trampoline_kernelINS0_14default_configENS1_22reduce_config_selectorIjEEZNS1_11reduce_implILb1ES3_N6thrust23THRUST_200600_302600_NS6detail15normal_iteratorINS8_10device_ptrIjEEEEPjj9plus_mod3IjEEE10hipError_tPvRmT1_T2_T3_mT4_P12ihipStream_tbEUlT_E1_NS1_11comp_targetILNS1_3genE5ELNS1_11target_archE942ELNS1_3gpuE9ELNS1_3repE0EEENS1_30default_config_static_selectorELNS0_4arch9wavefront6targetE1EEEvSK_
	.p2align	8
	.type	_ZN7rocprim17ROCPRIM_400000_NS6detail17trampoline_kernelINS0_14default_configENS1_22reduce_config_selectorIjEEZNS1_11reduce_implILb1ES3_N6thrust23THRUST_200600_302600_NS6detail15normal_iteratorINS8_10device_ptrIjEEEEPjj9plus_mod3IjEEE10hipError_tPvRmT1_T2_T3_mT4_P12ihipStream_tbEUlT_E1_NS1_11comp_targetILNS1_3genE5ELNS1_11target_archE942ELNS1_3gpuE9ELNS1_3repE0EEENS1_30default_config_static_selectorELNS0_4arch9wavefront6targetE1EEEvSK_,@function
_ZN7rocprim17ROCPRIM_400000_NS6detail17trampoline_kernelINS0_14default_configENS1_22reduce_config_selectorIjEEZNS1_11reduce_implILb1ES3_N6thrust23THRUST_200600_302600_NS6detail15normal_iteratorINS8_10device_ptrIjEEEEPjj9plus_mod3IjEEE10hipError_tPvRmT1_T2_T3_mT4_P12ihipStream_tbEUlT_E1_NS1_11comp_targetILNS1_3genE5ELNS1_11target_archE942ELNS1_3gpuE9ELNS1_3repE0EEENS1_30default_config_static_selectorELNS0_4arch9wavefront6targetE1EEEvSK_: ; @_ZN7rocprim17ROCPRIM_400000_NS6detail17trampoline_kernelINS0_14default_configENS1_22reduce_config_selectorIjEEZNS1_11reduce_implILb1ES3_N6thrust23THRUST_200600_302600_NS6detail15normal_iteratorINS8_10device_ptrIjEEEEPjj9plus_mod3IjEEE10hipError_tPvRmT1_T2_T3_mT4_P12ihipStream_tbEUlT_E1_NS1_11comp_targetILNS1_3genE5ELNS1_11target_archE942ELNS1_3gpuE9ELNS1_3repE0EEENS1_30default_config_static_selectorELNS0_4arch9wavefront6targetE1EEEvSK_
; %bb.0:
	.section	.rodata,"a",@progbits
	.p2align	6, 0x0
	.amdhsa_kernel _ZN7rocprim17ROCPRIM_400000_NS6detail17trampoline_kernelINS0_14default_configENS1_22reduce_config_selectorIjEEZNS1_11reduce_implILb1ES3_N6thrust23THRUST_200600_302600_NS6detail15normal_iteratorINS8_10device_ptrIjEEEEPjj9plus_mod3IjEEE10hipError_tPvRmT1_T2_T3_mT4_P12ihipStream_tbEUlT_E1_NS1_11comp_targetILNS1_3genE5ELNS1_11target_archE942ELNS1_3gpuE9ELNS1_3repE0EEENS1_30default_config_static_selectorELNS0_4arch9wavefront6targetE1EEEvSK_
		.amdhsa_group_segment_fixed_size 0
		.amdhsa_private_segment_fixed_size 0
		.amdhsa_kernarg_size 48
		.amdhsa_user_sgpr_count 2
		.amdhsa_user_sgpr_dispatch_ptr 0
		.amdhsa_user_sgpr_queue_ptr 0
		.amdhsa_user_sgpr_kernarg_segment_ptr 1
		.amdhsa_user_sgpr_dispatch_id 0
		.amdhsa_user_sgpr_kernarg_preload_length 0
		.amdhsa_user_sgpr_kernarg_preload_offset 0
		.amdhsa_user_sgpr_private_segment_size 0
		.amdhsa_uses_dynamic_stack 0
		.amdhsa_enable_private_segment 0
		.amdhsa_system_sgpr_workgroup_id_x 1
		.amdhsa_system_sgpr_workgroup_id_y 0
		.amdhsa_system_sgpr_workgroup_id_z 0
		.amdhsa_system_sgpr_workgroup_info 0
		.amdhsa_system_vgpr_workitem_id 0
		.amdhsa_next_free_vgpr 1
		.amdhsa_next_free_sgpr 0
		.amdhsa_accum_offset 4
		.amdhsa_reserve_vcc 0
		.amdhsa_float_round_mode_32 0
		.amdhsa_float_round_mode_16_64 0
		.amdhsa_float_denorm_mode_32 3
		.amdhsa_float_denorm_mode_16_64 3
		.amdhsa_dx10_clamp 1
		.amdhsa_ieee_mode 1
		.amdhsa_fp16_overflow 0
		.amdhsa_tg_split 0
		.amdhsa_exception_fp_ieee_invalid_op 0
		.amdhsa_exception_fp_denorm_src 0
		.amdhsa_exception_fp_ieee_div_zero 0
		.amdhsa_exception_fp_ieee_overflow 0
		.amdhsa_exception_fp_ieee_underflow 0
		.amdhsa_exception_fp_ieee_inexact 0
		.amdhsa_exception_int_div_zero 0
	.end_amdhsa_kernel
	.section	.text._ZN7rocprim17ROCPRIM_400000_NS6detail17trampoline_kernelINS0_14default_configENS1_22reduce_config_selectorIjEEZNS1_11reduce_implILb1ES3_N6thrust23THRUST_200600_302600_NS6detail15normal_iteratorINS8_10device_ptrIjEEEEPjj9plus_mod3IjEEE10hipError_tPvRmT1_T2_T3_mT4_P12ihipStream_tbEUlT_E1_NS1_11comp_targetILNS1_3genE5ELNS1_11target_archE942ELNS1_3gpuE9ELNS1_3repE0EEENS1_30default_config_static_selectorELNS0_4arch9wavefront6targetE1EEEvSK_,"axG",@progbits,_ZN7rocprim17ROCPRIM_400000_NS6detail17trampoline_kernelINS0_14default_configENS1_22reduce_config_selectorIjEEZNS1_11reduce_implILb1ES3_N6thrust23THRUST_200600_302600_NS6detail15normal_iteratorINS8_10device_ptrIjEEEEPjj9plus_mod3IjEEE10hipError_tPvRmT1_T2_T3_mT4_P12ihipStream_tbEUlT_E1_NS1_11comp_targetILNS1_3genE5ELNS1_11target_archE942ELNS1_3gpuE9ELNS1_3repE0EEENS1_30default_config_static_selectorELNS0_4arch9wavefront6targetE1EEEvSK_,comdat
.Lfunc_end831:
	.size	_ZN7rocprim17ROCPRIM_400000_NS6detail17trampoline_kernelINS0_14default_configENS1_22reduce_config_selectorIjEEZNS1_11reduce_implILb1ES3_N6thrust23THRUST_200600_302600_NS6detail15normal_iteratorINS8_10device_ptrIjEEEEPjj9plus_mod3IjEEE10hipError_tPvRmT1_T2_T3_mT4_P12ihipStream_tbEUlT_E1_NS1_11comp_targetILNS1_3genE5ELNS1_11target_archE942ELNS1_3gpuE9ELNS1_3repE0EEENS1_30default_config_static_selectorELNS0_4arch9wavefront6targetE1EEEvSK_, .Lfunc_end831-_ZN7rocprim17ROCPRIM_400000_NS6detail17trampoline_kernelINS0_14default_configENS1_22reduce_config_selectorIjEEZNS1_11reduce_implILb1ES3_N6thrust23THRUST_200600_302600_NS6detail15normal_iteratorINS8_10device_ptrIjEEEEPjj9plus_mod3IjEEE10hipError_tPvRmT1_T2_T3_mT4_P12ihipStream_tbEUlT_E1_NS1_11comp_targetILNS1_3genE5ELNS1_11target_archE942ELNS1_3gpuE9ELNS1_3repE0EEENS1_30default_config_static_selectorELNS0_4arch9wavefront6targetE1EEEvSK_
                                        ; -- End function
	.set _ZN7rocprim17ROCPRIM_400000_NS6detail17trampoline_kernelINS0_14default_configENS1_22reduce_config_selectorIjEEZNS1_11reduce_implILb1ES3_N6thrust23THRUST_200600_302600_NS6detail15normal_iteratorINS8_10device_ptrIjEEEEPjj9plus_mod3IjEEE10hipError_tPvRmT1_T2_T3_mT4_P12ihipStream_tbEUlT_E1_NS1_11comp_targetILNS1_3genE5ELNS1_11target_archE942ELNS1_3gpuE9ELNS1_3repE0EEENS1_30default_config_static_selectorELNS0_4arch9wavefront6targetE1EEEvSK_.num_vgpr, 0
	.set _ZN7rocprim17ROCPRIM_400000_NS6detail17trampoline_kernelINS0_14default_configENS1_22reduce_config_selectorIjEEZNS1_11reduce_implILb1ES3_N6thrust23THRUST_200600_302600_NS6detail15normal_iteratorINS8_10device_ptrIjEEEEPjj9plus_mod3IjEEE10hipError_tPvRmT1_T2_T3_mT4_P12ihipStream_tbEUlT_E1_NS1_11comp_targetILNS1_3genE5ELNS1_11target_archE942ELNS1_3gpuE9ELNS1_3repE0EEENS1_30default_config_static_selectorELNS0_4arch9wavefront6targetE1EEEvSK_.num_agpr, 0
	.set _ZN7rocprim17ROCPRIM_400000_NS6detail17trampoline_kernelINS0_14default_configENS1_22reduce_config_selectorIjEEZNS1_11reduce_implILb1ES3_N6thrust23THRUST_200600_302600_NS6detail15normal_iteratorINS8_10device_ptrIjEEEEPjj9plus_mod3IjEEE10hipError_tPvRmT1_T2_T3_mT4_P12ihipStream_tbEUlT_E1_NS1_11comp_targetILNS1_3genE5ELNS1_11target_archE942ELNS1_3gpuE9ELNS1_3repE0EEENS1_30default_config_static_selectorELNS0_4arch9wavefront6targetE1EEEvSK_.numbered_sgpr, 0
	.set _ZN7rocprim17ROCPRIM_400000_NS6detail17trampoline_kernelINS0_14default_configENS1_22reduce_config_selectorIjEEZNS1_11reduce_implILb1ES3_N6thrust23THRUST_200600_302600_NS6detail15normal_iteratorINS8_10device_ptrIjEEEEPjj9plus_mod3IjEEE10hipError_tPvRmT1_T2_T3_mT4_P12ihipStream_tbEUlT_E1_NS1_11comp_targetILNS1_3genE5ELNS1_11target_archE942ELNS1_3gpuE9ELNS1_3repE0EEENS1_30default_config_static_selectorELNS0_4arch9wavefront6targetE1EEEvSK_.num_named_barrier, 0
	.set _ZN7rocprim17ROCPRIM_400000_NS6detail17trampoline_kernelINS0_14default_configENS1_22reduce_config_selectorIjEEZNS1_11reduce_implILb1ES3_N6thrust23THRUST_200600_302600_NS6detail15normal_iteratorINS8_10device_ptrIjEEEEPjj9plus_mod3IjEEE10hipError_tPvRmT1_T2_T3_mT4_P12ihipStream_tbEUlT_E1_NS1_11comp_targetILNS1_3genE5ELNS1_11target_archE942ELNS1_3gpuE9ELNS1_3repE0EEENS1_30default_config_static_selectorELNS0_4arch9wavefront6targetE1EEEvSK_.private_seg_size, 0
	.set _ZN7rocprim17ROCPRIM_400000_NS6detail17trampoline_kernelINS0_14default_configENS1_22reduce_config_selectorIjEEZNS1_11reduce_implILb1ES3_N6thrust23THRUST_200600_302600_NS6detail15normal_iteratorINS8_10device_ptrIjEEEEPjj9plus_mod3IjEEE10hipError_tPvRmT1_T2_T3_mT4_P12ihipStream_tbEUlT_E1_NS1_11comp_targetILNS1_3genE5ELNS1_11target_archE942ELNS1_3gpuE9ELNS1_3repE0EEENS1_30default_config_static_selectorELNS0_4arch9wavefront6targetE1EEEvSK_.uses_vcc, 0
	.set _ZN7rocprim17ROCPRIM_400000_NS6detail17trampoline_kernelINS0_14default_configENS1_22reduce_config_selectorIjEEZNS1_11reduce_implILb1ES3_N6thrust23THRUST_200600_302600_NS6detail15normal_iteratorINS8_10device_ptrIjEEEEPjj9plus_mod3IjEEE10hipError_tPvRmT1_T2_T3_mT4_P12ihipStream_tbEUlT_E1_NS1_11comp_targetILNS1_3genE5ELNS1_11target_archE942ELNS1_3gpuE9ELNS1_3repE0EEENS1_30default_config_static_selectorELNS0_4arch9wavefront6targetE1EEEvSK_.uses_flat_scratch, 0
	.set _ZN7rocprim17ROCPRIM_400000_NS6detail17trampoline_kernelINS0_14default_configENS1_22reduce_config_selectorIjEEZNS1_11reduce_implILb1ES3_N6thrust23THRUST_200600_302600_NS6detail15normal_iteratorINS8_10device_ptrIjEEEEPjj9plus_mod3IjEEE10hipError_tPvRmT1_T2_T3_mT4_P12ihipStream_tbEUlT_E1_NS1_11comp_targetILNS1_3genE5ELNS1_11target_archE942ELNS1_3gpuE9ELNS1_3repE0EEENS1_30default_config_static_selectorELNS0_4arch9wavefront6targetE1EEEvSK_.has_dyn_sized_stack, 0
	.set _ZN7rocprim17ROCPRIM_400000_NS6detail17trampoline_kernelINS0_14default_configENS1_22reduce_config_selectorIjEEZNS1_11reduce_implILb1ES3_N6thrust23THRUST_200600_302600_NS6detail15normal_iteratorINS8_10device_ptrIjEEEEPjj9plus_mod3IjEEE10hipError_tPvRmT1_T2_T3_mT4_P12ihipStream_tbEUlT_E1_NS1_11comp_targetILNS1_3genE5ELNS1_11target_archE942ELNS1_3gpuE9ELNS1_3repE0EEENS1_30default_config_static_selectorELNS0_4arch9wavefront6targetE1EEEvSK_.has_recursion, 0
	.set _ZN7rocprim17ROCPRIM_400000_NS6detail17trampoline_kernelINS0_14default_configENS1_22reduce_config_selectorIjEEZNS1_11reduce_implILb1ES3_N6thrust23THRUST_200600_302600_NS6detail15normal_iteratorINS8_10device_ptrIjEEEEPjj9plus_mod3IjEEE10hipError_tPvRmT1_T2_T3_mT4_P12ihipStream_tbEUlT_E1_NS1_11comp_targetILNS1_3genE5ELNS1_11target_archE942ELNS1_3gpuE9ELNS1_3repE0EEENS1_30default_config_static_selectorELNS0_4arch9wavefront6targetE1EEEvSK_.has_indirect_call, 0
	.section	.AMDGPU.csdata,"",@progbits
; Kernel info:
; codeLenInByte = 0
; TotalNumSgprs: 6
; NumVgprs: 0
; NumAgprs: 0
; TotalNumVgprs: 0
; ScratchSize: 0
; MemoryBound: 0
; FloatMode: 240
; IeeeMode: 1
; LDSByteSize: 0 bytes/workgroup (compile time only)
; SGPRBlocks: 0
; VGPRBlocks: 0
; NumSGPRsForWavesPerEU: 6
; NumVGPRsForWavesPerEU: 1
; AccumOffset: 4
; Occupancy: 8
; WaveLimiterHint : 0
; COMPUTE_PGM_RSRC2:SCRATCH_EN: 0
; COMPUTE_PGM_RSRC2:USER_SGPR: 2
; COMPUTE_PGM_RSRC2:TRAP_HANDLER: 0
; COMPUTE_PGM_RSRC2:TGID_X_EN: 1
; COMPUTE_PGM_RSRC2:TGID_Y_EN: 0
; COMPUTE_PGM_RSRC2:TGID_Z_EN: 0
; COMPUTE_PGM_RSRC2:TIDIG_COMP_CNT: 0
; COMPUTE_PGM_RSRC3_GFX90A:ACCUM_OFFSET: 0
; COMPUTE_PGM_RSRC3_GFX90A:TG_SPLIT: 0
	.section	.text._ZN7rocprim17ROCPRIM_400000_NS6detail17trampoline_kernelINS0_14default_configENS1_22reduce_config_selectorIjEEZNS1_11reduce_implILb1ES3_N6thrust23THRUST_200600_302600_NS6detail15normal_iteratorINS8_10device_ptrIjEEEEPjj9plus_mod3IjEEE10hipError_tPvRmT1_T2_T3_mT4_P12ihipStream_tbEUlT_E1_NS1_11comp_targetILNS1_3genE4ELNS1_11target_archE910ELNS1_3gpuE8ELNS1_3repE0EEENS1_30default_config_static_selectorELNS0_4arch9wavefront6targetE1EEEvSK_,"axG",@progbits,_ZN7rocprim17ROCPRIM_400000_NS6detail17trampoline_kernelINS0_14default_configENS1_22reduce_config_selectorIjEEZNS1_11reduce_implILb1ES3_N6thrust23THRUST_200600_302600_NS6detail15normal_iteratorINS8_10device_ptrIjEEEEPjj9plus_mod3IjEEE10hipError_tPvRmT1_T2_T3_mT4_P12ihipStream_tbEUlT_E1_NS1_11comp_targetILNS1_3genE4ELNS1_11target_archE910ELNS1_3gpuE8ELNS1_3repE0EEENS1_30default_config_static_selectorELNS0_4arch9wavefront6targetE1EEEvSK_,comdat
	.protected	_ZN7rocprim17ROCPRIM_400000_NS6detail17trampoline_kernelINS0_14default_configENS1_22reduce_config_selectorIjEEZNS1_11reduce_implILb1ES3_N6thrust23THRUST_200600_302600_NS6detail15normal_iteratorINS8_10device_ptrIjEEEEPjj9plus_mod3IjEEE10hipError_tPvRmT1_T2_T3_mT4_P12ihipStream_tbEUlT_E1_NS1_11comp_targetILNS1_3genE4ELNS1_11target_archE910ELNS1_3gpuE8ELNS1_3repE0EEENS1_30default_config_static_selectorELNS0_4arch9wavefront6targetE1EEEvSK_ ; -- Begin function _ZN7rocprim17ROCPRIM_400000_NS6detail17trampoline_kernelINS0_14default_configENS1_22reduce_config_selectorIjEEZNS1_11reduce_implILb1ES3_N6thrust23THRUST_200600_302600_NS6detail15normal_iteratorINS8_10device_ptrIjEEEEPjj9plus_mod3IjEEE10hipError_tPvRmT1_T2_T3_mT4_P12ihipStream_tbEUlT_E1_NS1_11comp_targetILNS1_3genE4ELNS1_11target_archE910ELNS1_3gpuE8ELNS1_3repE0EEENS1_30default_config_static_selectorELNS0_4arch9wavefront6targetE1EEEvSK_
	.globl	_ZN7rocprim17ROCPRIM_400000_NS6detail17trampoline_kernelINS0_14default_configENS1_22reduce_config_selectorIjEEZNS1_11reduce_implILb1ES3_N6thrust23THRUST_200600_302600_NS6detail15normal_iteratorINS8_10device_ptrIjEEEEPjj9plus_mod3IjEEE10hipError_tPvRmT1_T2_T3_mT4_P12ihipStream_tbEUlT_E1_NS1_11comp_targetILNS1_3genE4ELNS1_11target_archE910ELNS1_3gpuE8ELNS1_3repE0EEENS1_30default_config_static_selectorELNS0_4arch9wavefront6targetE1EEEvSK_
	.p2align	8
	.type	_ZN7rocprim17ROCPRIM_400000_NS6detail17trampoline_kernelINS0_14default_configENS1_22reduce_config_selectorIjEEZNS1_11reduce_implILb1ES3_N6thrust23THRUST_200600_302600_NS6detail15normal_iteratorINS8_10device_ptrIjEEEEPjj9plus_mod3IjEEE10hipError_tPvRmT1_T2_T3_mT4_P12ihipStream_tbEUlT_E1_NS1_11comp_targetILNS1_3genE4ELNS1_11target_archE910ELNS1_3gpuE8ELNS1_3repE0EEENS1_30default_config_static_selectorELNS0_4arch9wavefront6targetE1EEEvSK_,@function
_ZN7rocprim17ROCPRIM_400000_NS6detail17trampoline_kernelINS0_14default_configENS1_22reduce_config_selectorIjEEZNS1_11reduce_implILb1ES3_N6thrust23THRUST_200600_302600_NS6detail15normal_iteratorINS8_10device_ptrIjEEEEPjj9plus_mod3IjEEE10hipError_tPvRmT1_T2_T3_mT4_P12ihipStream_tbEUlT_E1_NS1_11comp_targetILNS1_3genE4ELNS1_11target_archE910ELNS1_3gpuE8ELNS1_3repE0EEENS1_30default_config_static_selectorELNS0_4arch9wavefront6targetE1EEEvSK_: ; @_ZN7rocprim17ROCPRIM_400000_NS6detail17trampoline_kernelINS0_14default_configENS1_22reduce_config_selectorIjEEZNS1_11reduce_implILb1ES3_N6thrust23THRUST_200600_302600_NS6detail15normal_iteratorINS8_10device_ptrIjEEEEPjj9plus_mod3IjEEE10hipError_tPvRmT1_T2_T3_mT4_P12ihipStream_tbEUlT_E1_NS1_11comp_targetILNS1_3genE4ELNS1_11target_archE910ELNS1_3gpuE8ELNS1_3repE0EEENS1_30default_config_static_selectorELNS0_4arch9wavefront6targetE1EEEvSK_
; %bb.0:
	.section	.rodata,"a",@progbits
	.p2align	6, 0x0
	.amdhsa_kernel _ZN7rocprim17ROCPRIM_400000_NS6detail17trampoline_kernelINS0_14default_configENS1_22reduce_config_selectorIjEEZNS1_11reduce_implILb1ES3_N6thrust23THRUST_200600_302600_NS6detail15normal_iteratorINS8_10device_ptrIjEEEEPjj9plus_mod3IjEEE10hipError_tPvRmT1_T2_T3_mT4_P12ihipStream_tbEUlT_E1_NS1_11comp_targetILNS1_3genE4ELNS1_11target_archE910ELNS1_3gpuE8ELNS1_3repE0EEENS1_30default_config_static_selectorELNS0_4arch9wavefront6targetE1EEEvSK_
		.amdhsa_group_segment_fixed_size 0
		.amdhsa_private_segment_fixed_size 0
		.amdhsa_kernarg_size 48
		.amdhsa_user_sgpr_count 2
		.amdhsa_user_sgpr_dispatch_ptr 0
		.amdhsa_user_sgpr_queue_ptr 0
		.amdhsa_user_sgpr_kernarg_segment_ptr 1
		.amdhsa_user_sgpr_dispatch_id 0
		.amdhsa_user_sgpr_kernarg_preload_length 0
		.amdhsa_user_sgpr_kernarg_preload_offset 0
		.amdhsa_user_sgpr_private_segment_size 0
		.amdhsa_uses_dynamic_stack 0
		.amdhsa_enable_private_segment 0
		.amdhsa_system_sgpr_workgroup_id_x 1
		.amdhsa_system_sgpr_workgroup_id_y 0
		.amdhsa_system_sgpr_workgroup_id_z 0
		.amdhsa_system_sgpr_workgroup_info 0
		.amdhsa_system_vgpr_workitem_id 0
		.amdhsa_next_free_vgpr 1
		.amdhsa_next_free_sgpr 0
		.amdhsa_accum_offset 4
		.amdhsa_reserve_vcc 0
		.amdhsa_float_round_mode_32 0
		.amdhsa_float_round_mode_16_64 0
		.amdhsa_float_denorm_mode_32 3
		.amdhsa_float_denorm_mode_16_64 3
		.amdhsa_dx10_clamp 1
		.amdhsa_ieee_mode 1
		.amdhsa_fp16_overflow 0
		.amdhsa_tg_split 0
		.amdhsa_exception_fp_ieee_invalid_op 0
		.amdhsa_exception_fp_denorm_src 0
		.amdhsa_exception_fp_ieee_div_zero 0
		.amdhsa_exception_fp_ieee_overflow 0
		.amdhsa_exception_fp_ieee_underflow 0
		.amdhsa_exception_fp_ieee_inexact 0
		.amdhsa_exception_int_div_zero 0
	.end_amdhsa_kernel
	.section	.text._ZN7rocprim17ROCPRIM_400000_NS6detail17trampoline_kernelINS0_14default_configENS1_22reduce_config_selectorIjEEZNS1_11reduce_implILb1ES3_N6thrust23THRUST_200600_302600_NS6detail15normal_iteratorINS8_10device_ptrIjEEEEPjj9plus_mod3IjEEE10hipError_tPvRmT1_T2_T3_mT4_P12ihipStream_tbEUlT_E1_NS1_11comp_targetILNS1_3genE4ELNS1_11target_archE910ELNS1_3gpuE8ELNS1_3repE0EEENS1_30default_config_static_selectorELNS0_4arch9wavefront6targetE1EEEvSK_,"axG",@progbits,_ZN7rocprim17ROCPRIM_400000_NS6detail17trampoline_kernelINS0_14default_configENS1_22reduce_config_selectorIjEEZNS1_11reduce_implILb1ES3_N6thrust23THRUST_200600_302600_NS6detail15normal_iteratorINS8_10device_ptrIjEEEEPjj9plus_mod3IjEEE10hipError_tPvRmT1_T2_T3_mT4_P12ihipStream_tbEUlT_E1_NS1_11comp_targetILNS1_3genE4ELNS1_11target_archE910ELNS1_3gpuE8ELNS1_3repE0EEENS1_30default_config_static_selectorELNS0_4arch9wavefront6targetE1EEEvSK_,comdat
.Lfunc_end832:
	.size	_ZN7rocprim17ROCPRIM_400000_NS6detail17trampoline_kernelINS0_14default_configENS1_22reduce_config_selectorIjEEZNS1_11reduce_implILb1ES3_N6thrust23THRUST_200600_302600_NS6detail15normal_iteratorINS8_10device_ptrIjEEEEPjj9plus_mod3IjEEE10hipError_tPvRmT1_T2_T3_mT4_P12ihipStream_tbEUlT_E1_NS1_11comp_targetILNS1_3genE4ELNS1_11target_archE910ELNS1_3gpuE8ELNS1_3repE0EEENS1_30default_config_static_selectorELNS0_4arch9wavefront6targetE1EEEvSK_, .Lfunc_end832-_ZN7rocprim17ROCPRIM_400000_NS6detail17trampoline_kernelINS0_14default_configENS1_22reduce_config_selectorIjEEZNS1_11reduce_implILb1ES3_N6thrust23THRUST_200600_302600_NS6detail15normal_iteratorINS8_10device_ptrIjEEEEPjj9plus_mod3IjEEE10hipError_tPvRmT1_T2_T3_mT4_P12ihipStream_tbEUlT_E1_NS1_11comp_targetILNS1_3genE4ELNS1_11target_archE910ELNS1_3gpuE8ELNS1_3repE0EEENS1_30default_config_static_selectorELNS0_4arch9wavefront6targetE1EEEvSK_
                                        ; -- End function
	.set _ZN7rocprim17ROCPRIM_400000_NS6detail17trampoline_kernelINS0_14default_configENS1_22reduce_config_selectorIjEEZNS1_11reduce_implILb1ES3_N6thrust23THRUST_200600_302600_NS6detail15normal_iteratorINS8_10device_ptrIjEEEEPjj9plus_mod3IjEEE10hipError_tPvRmT1_T2_T3_mT4_P12ihipStream_tbEUlT_E1_NS1_11comp_targetILNS1_3genE4ELNS1_11target_archE910ELNS1_3gpuE8ELNS1_3repE0EEENS1_30default_config_static_selectorELNS0_4arch9wavefront6targetE1EEEvSK_.num_vgpr, 0
	.set _ZN7rocprim17ROCPRIM_400000_NS6detail17trampoline_kernelINS0_14default_configENS1_22reduce_config_selectorIjEEZNS1_11reduce_implILb1ES3_N6thrust23THRUST_200600_302600_NS6detail15normal_iteratorINS8_10device_ptrIjEEEEPjj9plus_mod3IjEEE10hipError_tPvRmT1_T2_T3_mT4_P12ihipStream_tbEUlT_E1_NS1_11comp_targetILNS1_3genE4ELNS1_11target_archE910ELNS1_3gpuE8ELNS1_3repE0EEENS1_30default_config_static_selectorELNS0_4arch9wavefront6targetE1EEEvSK_.num_agpr, 0
	.set _ZN7rocprim17ROCPRIM_400000_NS6detail17trampoline_kernelINS0_14default_configENS1_22reduce_config_selectorIjEEZNS1_11reduce_implILb1ES3_N6thrust23THRUST_200600_302600_NS6detail15normal_iteratorINS8_10device_ptrIjEEEEPjj9plus_mod3IjEEE10hipError_tPvRmT1_T2_T3_mT4_P12ihipStream_tbEUlT_E1_NS1_11comp_targetILNS1_3genE4ELNS1_11target_archE910ELNS1_3gpuE8ELNS1_3repE0EEENS1_30default_config_static_selectorELNS0_4arch9wavefront6targetE1EEEvSK_.numbered_sgpr, 0
	.set _ZN7rocprim17ROCPRIM_400000_NS6detail17trampoline_kernelINS0_14default_configENS1_22reduce_config_selectorIjEEZNS1_11reduce_implILb1ES3_N6thrust23THRUST_200600_302600_NS6detail15normal_iteratorINS8_10device_ptrIjEEEEPjj9plus_mod3IjEEE10hipError_tPvRmT1_T2_T3_mT4_P12ihipStream_tbEUlT_E1_NS1_11comp_targetILNS1_3genE4ELNS1_11target_archE910ELNS1_3gpuE8ELNS1_3repE0EEENS1_30default_config_static_selectorELNS0_4arch9wavefront6targetE1EEEvSK_.num_named_barrier, 0
	.set _ZN7rocprim17ROCPRIM_400000_NS6detail17trampoline_kernelINS0_14default_configENS1_22reduce_config_selectorIjEEZNS1_11reduce_implILb1ES3_N6thrust23THRUST_200600_302600_NS6detail15normal_iteratorINS8_10device_ptrIjEEEEPjj9plus_mod3IjEEE10hipError_tPvRmT1_T2_T3_mT4_P12ihipStream_tbEUlT_E1_NS1_11comp_targetILNS1_3genE4ELNS1_11target_archE910ELNS1_3gpuE8ELNS1_3repE0EEENS1_30default_config_static_selectorELNS0_4arch9wavefront6targetE1EEEvSK_.private_seg_size, 0
	.set _ZN7rocprim17ROCPRIM_400000_NS6detail17trampoline_kernelINS0_14default_configENS1_22reduce_config_selectorIjEEZNS1_11reduce_implILb1ES3_N6thrust23THRUST_200600_302600_NS6detail15normal_iteratorINS8_10device_ptrIjEEEEPjj9plus_mod3IjEEE10hipError_tPvRmT1_T2_T3_mT4_P12ihipStream_tbEUlT_E1_NS1_11comp_targetILNS1_3genE4ELNS1_11target_archE910ELNS1_3gpuE8ELNS1_3repE0EEENS1_30default_config_static_selectorELNS0_4arch9wavefront6targetE1EEEvSK_.uses_vcc, 0
	.set _ZN7rocprim17ROCPRIM_400000_NS6detail17trampoline_kernelINS0_14default_configENS1_22reduce_config_selectorIjEEZNS1_11reduce_implILb1ES3_N6thrust23THRUST_200600_302600_NS6detail15normal_iteratorINS8_10device_ptrIjEEEEPjj9plus_mod3IjEEE10hipError_tPvRmT1_T2_T3_mT4_P12ihipStream_tbEUlT_E1_NS1_11comp_targetILNS1_3genE4ELNS1_11target_archE910ELNS1_3gpuE8ELNS1_3repE0EEENS1_30default_config_static_selectorELNS0_4arch9wavefront6targetE1EEEvSK_.uses_flat_scratch, 0
	.set _ZN7rocprim17ROCPRIM_400000_NS6detail17trampoline_kernelINS0_14default_configENS1_22reduce_config_selectorIjEEZNS1_11reduce_implILb1ES3_N6thrust23THRUST_200600_302600_NS6detail15normal_iteratorINS8_10device_ptrIjEEEEPjj9plus_mod3IjEEE10hipError_tPvRmT1_T2_T3_mT4_P12ihipStream_tbEUlT_E1_NS1_11comp_targetILNS1_3genE4ELNS1_11target_archE910ELNS1_3gpuE8ELNS1_3repE0EEENS1_30default_config_static_selectorELNS0_4arch9wavefront6targetE1EEEvSK_.has_dyn_sized_stack, 0
	.set _ZN7rocprim17ROCPRIM_400000_NS6detail17trampoline_kernelINS0_14default_configENS1_22reduce_config_selectorIjEEZNS1_11reduce_implILb1ES3_N6thrust23THRUST_200600_302600_NS6detail15normal_iteratorINS8_10device_ptrIjEEEEPjj9plus_mod3IjEEE10hipError_tPvRmT1_T2_T3_mT4_P12ihipStream_tbEUlT_E1_NS1_11comp_targetILNS1_3genE4ELNS1_11target_archE910ELNS1_3gpuE8ELNS1_3repE0EEENS1_30default_config_static_selectorELNS0_4arch9wavefront6targetE1EEEvSK_.has_recursion, 0
	.set _ZN7rocprim17ROCPRIM_400000_NS6detail17trampoline_kernelINS0_14default_configENS1_22reduce_config_selectorIjEEZNS1_11reduce_implILb1ES3_N6thrust23THRUST_200600_302600_NS6detail15normal_iteratorINS8_10device_ptrIjEEEEPjj9plus_mod3IjEEE10hipError_tPvRmT1_T2_T3_mT4_P12ihipStream_tbEUlT_E1_NS1_11comp_targetILNS1_3genE4ELNS1_11target_archE910ELNS1_3gpuE8ELNS1_3repE0EEENS1_30default_config_static_selectorELNS0_4arch9wavefront6targetE1EEEvSK_.has_indirect_call, 0
	.section	.AMDGPU.csdata,"",@progbits
; Kernel info:
; codeLenInByte = 0
; TotalNumSgprs: 6
; NumVgprs: 0
; NumAgprs: 0
; TotalNumVgprs: 0
; ScratchSize: 0
; MemoryBound: 0
; FloatMode: 240
; IeeeMode: 1
; LDSByteSize: 0 bytes/workgroup (compile time only)
; SGPRBlocks: 0
; VGPRBlocks: 0
; NumSGPRsForWavesPerEU: 6
; NumVGPRsForWavesPerEU: 1
; AccumOffset: 4
; Occupancy: 8
; WaveLimiterHint : 0
; COMPUTE_PGM_RSRC2:SCRATCH_EN: 0
; COMPUTE_PGM_RSRC2:USER_SGPR: 2
; COMPUTE_PGM_RSRC2:TRAP_HANDLER: 0
; COMPUTE_PGM_RSRC2:TGID_X_EN: 1
; COMPUTE_PGM_RSRC2:TGID_Y_EN: 0
; COMPUTE_PGM_RSRC2:TGID_Z_EN: 0
; COMPUTE_PGM_RSRC2:TIDIG_COMP_CNT: 0
; COMPUTE_PGM_RSRC3_GFX90A:ACCUM_OFFSET: 0
; COMPUTE_PGM_RSRC3_GFX90A:TG_SPLIT: 0
	.section	.text._ZN7rocprim17ROCPRIM_400000_NS6detail17trampoline_kernelINS0_14default_configENS1_22reduce_config_selectorIjEEZNS1_11reduce_implILb1ES3_N6thrust23THRUST_200600_302600_NS6detail15normal_iteratorINS8_10device_ptrIjEEEEPjj9plus_mod3IjEEE10hipError_tPvRmT1_T2_T3_mT4_P12ihipStream_tbEUlT_E1_NS1_11comp_targetILNS1_3genE3ELNS1_11target_archE908ELNS1_3gpuE7ELNS1_3repE0EEENS1_30default_config_static_selectorELNS0_4arch9wavefront6targetE1EEEvSK_,"axG",@progbits,_ZN7rocprim17ROCPRIM_400000_NS6detail17trampoline_kernelINS0_14default_configENS1_22reduce_config_selectorIjEEZNS1_11reduce_implILb1ES3_N6thrust23THRUST_200600_302600_NS6detail15normal_iteratorINS8_10device_ptrIjEEEEPjj9plus_mod3IjEEE10hipError_tPvRmT1_T2_T3_mT4_P12ihipStream_tbEUlT_E1_NS1_11comp_targetILNS1_3genE3ELNS1_11target_archE908ELNS1_3gpuE7ELNS1_3repE0EEENS1_30default_config_static_selectorELNS0_4arch9wavefront6targetE1EEEvSK_,comdat
	.protected	_ZN7rocprim17ROCPRIM_400000_NS6detail17trampoline_kernelINS0_14default_configENS1_22reduce_config_selectorIjEEZNS1_11reduce_implILb1ES3_N6thrust23THRUST_200600_302600_NS6detail15normal_iteratorINS8_10device_ptrIjEEEEPjj9plus_mod3IjEEE10hipError_tPvRmT1_T2_T3_mT4_P12ihipStream_tbEUlT_E1_NS1_11comp_targetILNS1_3genE3ELNS1_11target_archE908ELNS1_3gpuE7ELNS1_3repE0EEENS1_30default_config_static_selectorELNS0_4arch9wavefront6targetE1EEEvSK_ ; -- Begin function _ZN7rocprim17ROCPRIM_400000_NS6detail17trampoline_kernelINS0_14default_configENS1_22reduce_config_selectorIjEEZNS1_11reduce_implILb1ES3_N6thrust23THRUST_200600_302600_NS6detail15normal_iteratorINS8_10device_ptrIjEEEEPjj9plus_mod3IjEEE10hipError_tPvRmT1_T2_T3_mT4_P12ihipStream_tbEUlT_E1_NS1_11comp_targetILNS1_3genE3ELNS1_11target_archE908ELNS1_3gpuE7ELNS1_3repE0EEENS1_30default_config_static_selectorELNS0_4arch9wavefront6targetE1EEEvSK_
	.globl	_ZN7rocprim17ROCPRIM_400000_NS6detail17trampoline_kernelINS0_14default_configENS1_22reduce_config_selectorIjEEZNS1_11reduce_implILb1ES3_N6thrust23THRUST_200600_302600_NS6detail15normal_iteratorINS8_10device_ptrIjEEEEPjj9plus_mod3IjEEE10hipError_tPvRmT1_T2_T3_mT4_P12ihipStream_tbEUlT_E1_NS1_11comp_targetILNS1_3genE3ELNS1_11target_archE908ELNS1_3gpuE7ELNS1_3repE0EEENS1_30default_config_static_selectorELNS0_4arch9wavefront6targetE1EEEvSK_
	.p2align	8
	.type	_ZN7rocprim17ROCPRIM_400000_NS6detail17trampoline_kernelINS0_14default_configENS1_22reduce_config_selectorIjEEZNS1_11reduce_implILb1ES3_N6thrust23THRUST_200600_302600_NS6detail15normal_iteratorINS8_10device_ptrIjEEEEPjj9plus_mod3IjEEE10hipError_tPvRmT1_T2_T3_mT4_P12ihipStream_tbEUlT_E1_NS1_11comp_targetILNS1_3genE3ELNS1_11target_archE908ELNS1_3gpuE7ELNS1_3repE0EEENS1_30default_config_static_selectorELNS0_4arch9wavefront6targetE1EEEvSK_,@function
_ZN7rocprim17ROCPRIM_400000_NS6detail17trampoline_kernelINS0_14default_configENS1_22reduce_config_selectorIjEEZNS1_11reduce_implILb1ES3_N6thrust23THRUST_200600_302600_NS6detail15normal_iteratorINS8_10device_ptrIjEEEEPjj9plus_mod3IjEEE10hipError_tPvRmT1_T2_T3_mT4_P12ihipStream_tbEUlT_E1_NS1_11comp_targetILNS1_3genE3ELNS1_11target_archE908ELNS1_3gpuE7ELNS1_3repE0EEENS1_30default_config_static_selectorELNS0_4arch9wavefront6targetE1EEEvSK_: ; @_ZN7rocprim17ROCPRIM_400000_NS6detail17trampoline_kernelINS0_14default_configENS1_22reduce_config_selectorIjEEZNS1_11reduce_implILb1ES3_N6thrust23THRUST_200600_302600_NS6detail15normal_iteratorINS8_10device_ptrIjEEEEPjj9plus_mod3IjEEE10hipError_tPvRmT1_T2_T3_mT4_P12ihipStream_tbEUlT_E1_NS1_11comp_targetILNS1_3genE3ELNS1_11target_archE908ELNS1_3gpuE7ELNS1_3repE0EEENS1_30default_config_static_selectorELNS0_4arch9wavefront6targetE1EEEvSK_
; %bb.0:
	.section	.rodata,"a",@progbits
	.p2align	6, 0x0
	.amdhsa_kernel _ZN7rocprim17ROCPRIM_400000_NS6detail17trampoline_kernelINS0_14default_configENS1_22reduce_config_selectorIjEEZNS1_11reduce_implILb1ES3_N6thrust23THRUST_200600_302600_NS6detail15normal_iteratorINS8_10device_ptrIjEEEEPjj9plus_mod3IjEEE10hipError_tPvRmT1_T2_T3_mT4_P12ihipStream_tbEUlT_E1_NS1_11comp_targetILNS1_3genE3ELNS1_11target_archE908ELNS1_3gpuE7ELNS1_3repE0EEENS1_30default_config_static_selectorELNS0_4arch9wavefront6targetE1EEEvSK_
		.amdhsa_group_segment_fixed_size 0
		.amdhsa_private_segment_fixed_size 0
		.amdhsa_kernarg_size 48
		.amdhsa_user_sgpr_count 2
		.amdhsa_user_sgpr_dispatch_ptr 0
		.amdhsa_user_sgpr_queue_ptr 0
		.amdhsa_user_sgpr_kernarg_segment_ptr 1
		.amdhsa_user_sgpr_dispatch_id 0
		.amdhsa_user_sgpr_kernarg_preload_length 0
		.amdhsa_user_sgpr_kernarg_preload_offset 0
		.amdhsa_user_sgpr_private_segment_size 0
		.amdhsa_uses_dynamic_stack 0
		.amdhsa_enable_private_segment 0
		.amdhsa_system_sgpr_workgroup_id_x 1
		.amdhsa_system_sgpr_workgroup_id_y 0
		.amdhsa_system_sgpr_workgroup_id_z 0
		.amdhsa_system_sgpr_workgroup_info 0
		.amdhsa_system_vgpr_workitem_id 0
		.amdhsa_next_free_vgpr 1
		.amdhsa_next_free_sgpr 0
		.amdhsa_accum_offset 4
		.amdhsa_reserve_vcc 0
		.amdhsa_float_round_mode_32 0
		.amdhsa_float_round_mode_16_64 0
		.amdhsa_float_denorm_mode_32 3
		.amdhsa_float_denorm_mode_16_64 3
		.amdhsa_dx10_clamp 1
		.amdhsa_ieee_mode 1
		.amdhsa_fp16_overflow 0
		.amdhsa_tg_split 0
		.amdhsa_exception_fp_ieee_invalid_op 0
		.amdhsa_exception_fp_denorm_src 0
		.amdhsa_exception_fp_ieee_div_zero 0
		.amdhsa_exception_fp_ieee_overflow 0
		.amdhsa_exception_fp_ieee_underflow 0
		.amdhsa_exception_fp_ieee_inexact 0
		.amdhsa_exception_int_div_zero 0
	.end_amdhsa_kernel
	.section	.text._ZN7rocprim17ROCPRIM_400000_NS6detail17trampoline_kernelINS0_14default_configENS1_22reduce_config_selectorIjEEZNS1_11reduce_implILb1ES3_N6thrust23THRUST_200600_302600_NS6detail15normal_iteratorINS8_10device_ptrIjEEEEPjj9plus_mod3IjEEE10hipError_tPvRmT1_T2_T3_mT4_P12ihipStream_tbEUlT_E1_NS1_11comp_targetILNS1_3genE3ELNS1_11target_archE908ELNS1_3gpuE7ELNS1_3repE0EEENS1_30default_config_static_selectorELNS0_4arch9wavefront6targetE1EEEvSK_,"axG",@progbits,_ZN7rocprim17ROCPRIM_400000_NS6detail17trampoline_kernelINS0_14default_configENS1_22reduce_config_selectorIjEEZNS1_11reduce_implILb1ES3_N6thrust23THRUST_200600_302600_NS6detail15normal_iteratorINS8_10device_ptrIjEEEEPjj9plus_mod3IjEEE10hipError_tPvRmT1_T2_T3_mT4_P12ihipStream_tbEUlT_E1_NS1_11comp_targetILNS1_3genE3ELNS1_11target_archE908ELNS1_3gpuE7ELNS1_3repE0EEENS1_30default_config_static_selectorELNS0_4arch9wavefront6targetE1EEEvSK_,comdat
.Lfunc_end833:
	.size	_ZN7rocprim17ROCPRIM_400000_NS6detail17trampoline_kernelINS0_14default_configENS1_22reduce_config_selectorIjEEZNS1_11reduce_implILb1ES3_N6thrust23THRUST_200600_302600_NS6detail15normal_iteratorINS8_10device_ptrIjEEEEPjj9plus_mod3IjEEE10hipError_tPvRmT1_T2_T3_mT4_P12ihipStream_tbEUlT_E1_NS1_11comp_targetILNS1_3genE3ELNS1_11target_archE908ELNS1_3gpuE7ELNS1_3repE0EEENS1_30default_config_static_selectorELNS0_4arch9wavefront6targetE1EEEvSK_, .Lfunc_end833-_ZN7rocprim17ROCPRIM_400000_NS6detail17trampoline_kernelINS0_14default_configENS1_22reduce_config_selectorIjEEZNS1_11reduce_implILb1ES3_N6thrust23THRUST_200600_302600_NS6detail15normal_iteratorINS8_10device_ptrIjEEEEPjj9plus_mod3IjEEE10hipError_tPvRmT1_T2_T3_mT4_P12ihipStream_tbEUlT_E1_NS1_11comp_targetILNS1_3genE3ELNS1_11target_archE908ELNS1_3gpuE7ELNS1_3repE0EEENS1_30default_config_static_selectorELNS0_4arch9wavefront6targetE1EEEvSK_
                                        ; -- End function
	.set _ZN7rocprim17ROCPRIM_400000_NS6detail17trampoline_kernelINS0_14default_configENS1_22reduce_config_selectorIjEEZNS1_11reduce_implILb1ES3_N6thrust23THRUST_200600_302600_NS6detail15normal_iteratorINS8_10device_ptrIjEEEEPjj9plus_mod3IjEEE10hipError_tPvRmT1_T2_T3_mT4_P12ihipStream_tbEUlT_E1_NS1_11comp_targetILNS1_3genE3ELNS1_11target_archE908ELNS1_3gpuE7ELNS1_3repE0EEENS1_30default_config_static_selectorELNS0_4arch9wavefront6targetE1EEEvSK_.num_vgpr, 0
	.set _ZN7rocprim17ROCPRIM_400000_NS6detail17trampoline_kernelINS0_14default_configENS1_22reduce_config_selectorIjEEZNS1_11reduce_implILb1ES3_N6thrust23THRUST_200600_302600_NS6detail15normal_iteratorINS8_10device_ptrIjEEEEPjj9plus_mod3IjEEE10hipError_tPvRmT1_T2_T3_mT4_P12ihipStream_tbEUlT_E1_NS1_11comp_targetILNS1_3genE3ELNS1_11target_archE908ELNS1_3gpuE7ELNS1_3repE0EEENS1_30default_config_static_selectorELNS0_4arch9wavefront6targetE1EEEvSK_.num_agpr, 0
	.set _ZN7rocprim17ROCPRIM_400000_NS6detail17trampoline_kernelINS0_14default_configENS1_22reduce_config_selectorIjEEZNS1_11reduce_implILb1ES3_N6thrust23THRUST_200600_302600_NS6detail15normal_iteratorINS8_10device_ptrIjEEEEPjj9plus_mod3IjEEE10hipError_tPvRmT1_T2_T3_mT4_P12ihipStream_tbEUlT_E1_NS1_11comp_targetILNS1_3genE3ELNS1_11target_archE908ELNS1_3gpuE7ELNS1_3repE0EEENS1_30default_config_static_selectorELNS0_4arch9wavefront6targetE1EEEvSK_.numbered_sgpr, 0
	.set _ZN7rocprim17ROCPRIM_400000_NS6detail17trampoline_kernelINS0_14default_configENS1_22reduce_config_selectorIjEEZNS1_11reduce_implILb1ES3_N6thrust23THRUST_200600_302600_NS6detail15normal_iteratorINS8_10device_ptrIjEEEEPjj9plus_mod3IjEEE10hipError_tPvRmT1_T2_T3_mT4_P12ihipStream_tbEUlT_E1_NS1_11comp_targetILNS1_3genE3ELNS1_11target_archE908ELNS1_3gpuE7ELNS1_3repE0EEENS1_30default_config_static_selectorELNS0_4arch9wavefront6targetE1EEEvSK_.num_named_barrier, 0
	.set _ZN7rocprim17ROCPRIM_400000_NS6detail17trampoline_kernelINS0_14default_configENS1_22reduce_config_selectorIjEEZNS1_11reduce_implILb1ES3_N6thrust23THRUST_200600_302600_NS6detail15normal_iteratorINS8_10device_ptrIjEEEEPjj9plus_mod3IjEEE10hipError_tPvRmT1_T2_T3_mT4_P12ihipStream_tbEUlT_E1_NS1_11comp_targetILNS1_3genE3ELNS1_11target_archE908ELNS1_3gpuE7ELNS1_3repE0EEENS1_30default_config_static_selectorELNS0_4arch9wavefront6targetE1EEEvSK_.private_seg_size, 0
	.set _ZN7rocprim17ROCPRIM_400000_NS6detail17trampoline_kernelINS0_14default_configENS1_22reduce_config_selectorIjEEZNS1_11reduce_implILb1ES3_N6thrust23THRUST_200600_302600_NS6detail15normal_iteratorINS8_10device_ptrIjEEEEPjj9plus_mod3IjEEE10hipError_tPvRmT1_T2_T3_mT4_P12ihipStream_tbEUlT_E1_NS1_11comp_targetILNS1_3genE3ELNS1_11target_archE908ELNS1_3gpuE7ELNS1_3repE0EEENS1_30default_config_static_selectorELNS0_4arch9wavefront6targetE1EEEvSK_.uses_vcc, 0
	.set _ZN7rocprim17ROCPRIM_400000_NS6detail17trampoline_kernelINS0_14default_configENS1_22reduce_config_selectorIjEEZNS1_11reduce_implILb1ES3_N6thrust23THRUST_200600_302600_NS6detail15normal_iteratorINS8_10device_ptrIjEEEEPjj9plus_mod3IjEEE10hipError_tPvRmT1_T2_T3_mT4_P12ihipStream_tbEUlT_E1_NS1_11comp_targetILNS1_3genE3ELNS1_11target_archE908ELNS1_3gpuE7ELNS1_3repE0EEENS1_30default_config_static_selectorELNS0_4arch9wavefront6targetE1EEEvSK_.uses_flat_scratch, 0
	.set _ZN7rocprim17ROCPRIM_400000_NS6detail17trampoline_kernelINS0_14default_configENS1_22reduce_config_selectorIjEEZNS1_11reduce_implILb1ES3_N6thrust23THRUST_200600_302600_NS6detail15normal_iteratorINS8_10device_ptrIjEEEEPjj9plus_mod3IjEEE10hipError_tPvRmT1_T2_T3_mT4_P12ihipStream_tbEUlT_E1_NS1_11comp_targetILNS1_3genE3ELNS1_11target_archE908ELNS1_3gpuE7ELNS1_3repE0EEENS1_30default_config_static_selectorELNS0_4arch9wavefront6targetE1EEEvSK_.has_dyn_sized_stack, 0
	.set _ZN7rocprim17ROCPRIM_400000_NS6detail17trampoline_kernelINS0_14default_configENS1_22reduce_config_selectorIjEEZNS1_11reduce_implILb1ES3_N6thrust23THRUST_200600_302600_NS6detail15normal_iteratorINS8_10device_ptrIjEEEEPjj9plus_mod3IjEEE10hipError_tPvRmT1_T2_T3_mT4_P12ihipStream_tbEUlT_E1_NS1_11comp_targetILNS1_3genE3ELNS1_11target_archE908ELNS1_3gpuE7ELNS1_3repE0EEENS1_30default_config_static_selectorELNS0_4arch9wavefront6targetE1EEEvSK_.has_recursion, 0
	.set _ZN7rocprim17ROCPRIM_400000_NS6detail17trampoline_kernelINS0_14default_configENS1_22reduce_config_selectorIjEEZNS1_11reduce_implILb1ES3_N6thrust23THRUST_200600_302600_NS6detail15normal_iteratorINS8_10device_ptrIjEEEEPjj9plus_mod3IjEEE10hipError_tPvRmT1_T2_T3_mT4_P12ihipStream_tbEUlT_E1_NS1_11comp_targetILNS1_3genE3ELNS1_11target_archE908ELNS1_3gpuE7ELNS1_3repE0EEENS1_30default_config_static_selectorELNS0_4arch9wavefront6targetE1EEEvSK_.has_indirect_call, 0
	.section	.AMDGPU.csdata,"",@progbits
; Kernel info:
; codeLenInByte = 0
; TotalNumSgprs: 6
; NumVgprs: 0
; NumAgprs: 0
; TotalNumVgprs: 0
; ScratchSize: 0
; MemoryBound: 0
; FloatMode: 240
; IeeeMode: 1
; LDSByteSize: 0 bytes/workgroup (compile time only)
; SGPRBlocks: 0
; VGPRBlocks: 0
; NumSGPRsForWavesPerEU: 6
; NumVGPRsForWavesPerEU: 1
; AccumOffset: 4
; Occupancy: 8
; WaveLimiterHint : 0
; COMPUTE_PGM_RSRC2:SCRATCH_EN: 0
; COMPUTE_PGM_RSRC2:USER_SGPR: 2
; COMPUTE_PGM_RSRC2:TRAP_HANDLER: 0
; COMPUTE_PGM_RSRC2:TGID_X_EN: 1
; COMPUTE_PGM_RSRC2:TGID_Y_EN: 0
; COMPUTE_PGM_RSRC2:TGID_Z_EN: 0
; COMPUTE_PGM_RSRC2:TIDIG_COMP_CNT: 0
; COMPUTE_PGM_RSRC3_GFX90A:ACCUM_OFFSET: 0
; COMPUTE_PGM_RSRC3_GFX90A:TG_SPLIT: 0
	.section	.text._ZN7rocprim17ROCPRIM_400000_NS6detail17trampoline_kernelINS0_14default_configENS1_22reduce_config_selectorIjEEZNS1_11reduce_implILb1ES3_N6thrust23THRUST_200600_302600_NS6detail15normal_iteratorINS8_10device_ptrIjEEEEPjj9plus_mod3IjEEE10hipError_tPvRmT1_T2_T3_mT4_P12ihipStream_tbEUlT_E1_NS1_11comp_targetILNS1_3genE2ELNS1_11target_archE906ELNS1_3gpuE6ELNS1_3repE0EEENS1_30default_config_static_selectorELNS0_4arch9wavefront6targetE1EEEvSK_,"axG",@progbits,_ZN7rocprim17ROCPRIM_400000_NS6detail17trampoline_kernelINS0_14default_configENS1_22reduce_config_selectorIjEEZNS1_11reduce_implILb1ES3_N6thrust23THRUST_200600_302600_NS6detail15normal_iteratorINS8_10device_ptrIjEEEEPjj9plus_mod3IjEEE10hipError_tPvRmT1_T2_T3_mT4_P12ihipStream_tbEUlT_E1_NS1_11comp_targetILNS1_3genE2ELNS1_11target_archE906ELNS1_3gpuE6ELNS1_3repE0EEENS1_30default_config_static_selectorELNS0_4arch9wavefront6targetE1EEEvSK_,comdat
	.protected	_ZN7rocprim17ROCPRIM_400000_NS6detail17trampoline_kernelINS0_14default_configENS1_22reduce_config_selectorIjEEZNS1_11reduce_implILb1ES3_N6thrust23THRUST_200600_302600_NS6detail15normal_iteratorINS8_10device_ptrIjEEEEPjj9plus_mod3IjEEE10hipError_tPvRmT1_T2_T3_mT4_P12ihipStream_tbEUlT_E1_NS1_11comp_targetILNS1_3genE2ELNS1_11target_archE906ELNS1_3gpuE6ELNS1_3repE0EEENS1_30default_config_static_selectorELNS0_4arch9wavefront6targetE1EEEvSK_ ; -- Begin function _ZN7rocprim17ROCPRIM_400000_NS6detail17trampoline_kernelINS0_14default_configENS1_22reduce_config_selectorIjEEZNS1_11reduce_implILb1ES3_N6thrust23THRUST_200600_302600_NS6detail15normal_iteratorINS8_10device_ptrIjEEEEPjj9plus_mod3IjEEE10hipError_tPvRmT1_T2_T3_mT4_P12ihipStream_tbEUlT_E1_NS1_11comp_targetILNS1_3genE2ELNS1_11target_archE906ELNS1_3gpuE6ELNS1_3repE0EEENS1_30default_config_static_selectorELNS0_4arch9wavefront6targetE1EEEvSK_
	.globl	_ZN7rocprim17ROCPRIM_400000_NS6detail17trampoline_kernelINS0_14default_configENS1_22reduce_config_selectorIjEEZNS1_11reduce_implILb1ES3_N6thrust23THRUST_200600_302600_NS6detail15normal_iteratorINS8_10device_ptrIjEEEEPjj9plus_mod3IjEEE10hipError_tPvRmT1_T2_T3_mT4_P12ihipStream_tbEUlT_E1_NS1_11comp_targetILNS1_3genE2ELNS1_11target_archE906ELNS1_3gpuE6ELNS1_3repE0EEENS1_30default_config_static_selectorELNS0_4arch9wavefront6targetE1EEEvSK_
	.p2align	8
	.type	_ZN7rocprim17ROCPRIM_400000_NS6detail17trampoline_kernelINS0_14default_configENS1_22reduce_config_selectorIjEEZNS1_11reduce_implILb1ES3_N6thrust23THRUST_200600_302600_NS6detail15normal_iteratorINS8_10device_ptrIjEEEEPjj9plus_mod3IjEEE10hipError_tPvRmT1_T2_T3_mT4_P12ihipStream_tbEUlT_E1_NS1_11comp_targetILNS1_3genE2ELNS1_11target_archE906ELNS1_3gpuE6ELNS1_3repE0EEENS1_30default_config_static_selectorELNS0_4arch9wavefront6targetE1EEEvSK_,@function
_ZN7rocprim17ROCPRIM_400000_NS6detail17trampoline_kernelINS0_14default_configENS1_22reduce_config_selectorIjEEZNS1_11reduce_implILb1ES3_N6thrust23THRUST_200600_302600_NS6detail15normal_iteratorINS8_10device_ptrIjEEEEPjj9plus_mod3IjEEE10hipError_tPvRmT1_T2_T3_mT4_P12ihipStream_tbEUlT_E1_NS1_11comp_targetILNS1_3genE2ELNS1_11target_archE906ELNS1_3gpuE6ELNS1_3repE0EEENS1_30default_config_static_selectorELNS0_4arch9wavefront6targetE1EEEvSK_: ; @_ZN7rocprim17ROCPRIM_400000_NS6detail17trampoline_kernelINS0_14default_configENS1_22reduce_config_selectorIjEEZNS1_11reduce_implILb1ES3_N6thrust23THRUST_200600_302600_NS6detail15normal_iteratorINS8_10device_ptrIjEEEEPjj9plus_mod3IjEEE10hipError_tPvRmT1_T2_T3_mT4_P12ihipStream_tbEUlT_E1_NS1_11comp_targetILNS1_3genE2ELNS1_11target_archE906ELNS1_3gpuE6ELNS1_3repE0EEENS1_30default_config_static_selectorELNS0_4arch9wavefront6targetE1EEEvSK_
; %bb.0:
	.section	.rodata,"a",@progbits
	.p2align	6, 0x0
	.amdhsa_kernel _ZN7rocprim17ROCPRIM_400000_NS6detail17trampoline_kernelINS0_14default_configENS1_22reduce_config_selectorIjEEZNS1_11reduce_implILb1ES3_N6thrust23THRUST_200600_302600_NS6detail15normal_iteratorINS8_10device_ptrIjEEEEPjj9plus_mod3IjEEE10hipError_tPvRmT1_T2_T3_mT4_P12ihipStream_tbEUlT_E1_NS1_11comp_targetILNS1_3genE2ELNS1_11target_archE906ELNS1_3gpuE6ELNS1_3repE0EEENS1_30default_config_static_selectorELNS0_4arch9wavefront6targetE1EEEvSK_
		.amdhsa_group_segment_fixed_size 0
		.amdhsa_private_segment_fixed_size 0
		.amdhsa_kernarg_size 48
		.amdhsa_user_sgpr_count 2
		.amdhsa_user_sgpr_dispatch_ptr 0
		.amdhsa_user_sgpr_queue_ptr 0
		.amdhsa_user_sgpr_kernarg_segment_ptr 1
		.amdhsa_user_sgpr_dispatch_id 0
		.amdhsa_user_sgpr_kernarg_preload_length 0
		.amdhsa_user_sgpr_kernarg_preload_offset 0
		.amdhsa_user_sgpr_private_segment_size 0
		.amdhsa_uses_dynamic_stack 0
		.amdhsa_enable_private_segment 0
		.amdhsa_system_sgpr_workgroup_id_x 1
		.amdhsa_system_sgpr_workgroup_id_y 0
		.amdhsa_system_sgpr_workgroup_id_z 0
		.amdhsa_system_sgpr_workgroup_info 0
		.amdhsa_system_vgpr_workitem_id 0
		.amdhsa_next_free_vgpr 1
		.amdhsa_next_free_sgpr 0
		.amdhsa_accum_offset 4
		.amdhsa_reserve_vcc 0
		.amdhsa_float_round_mode_32 0
		.amdhsa_float_round_mode_16_64 0
		.amdhsa_float_denorm_mode_32 3
		.amdhsa_float_denorm_mode_16_64 3
		.amdhsa_dx10_clamp 1
		.amdhsa_ieee_mode 1
		.amdhsa_fp16_overflow 0
		.amdhsa_tg_split 0
		.amdhsa_exception_fp_ieee_invalid_op 0
		.amdhsa_exception_fp_denorm_src 0
		.amdhsa_exception_fp_ieee_div_zero 0
		.amdhsa_exception_fp_ieee_overflow 0
		.amdhsa_exception_fp_ieee_underflow 0
		.amdhsa_exception_fp_ieee_inexact 0
		.amdhsa_exception_int_div_zero 0
	.end_amdhsa_kernel
	.section	.text._ZN7rocprim17ROCPRIM_400000_NS6detail17trampoline_kernelINS0_14default_configENS1_22reduce_config_selectorIjEEZNS1_11reduce_implILb1ES3_N6thrust23THRUST_200600_302600_NS6detail15normal_iteratorINS8_10device_ptrIjEEEEPjj9plus_mod3IjEEE10hipError_tPvRmT1_T2_T3_mT4_P12ihipStream_tbEUlT_E1_NS1_11comp_targetILNS1_3genE2ELNS1_11target_archE906ELNS1_3gpuE6ELNS1_3repE0EEENS1_30default_config_static_selectorELNS0_4arch9wavefront6targetE1EEEvSK_,"axG",@progbits,_ZN7rocprim17ROCPRIM_400000_NS6detail17trampoline_kernelINS0_14default_configENS1_22reduce_config_selectorIjEEZNS1_11reduce_implILb1ES3_N6thrust23THRUST_200600_302600_NS6detail15normal_iteratorINS8_10device_ptrIjEEEEPjj9plus_mod3IjEEE10hipError_tPvRmT1_T2_T3_mT4_P12ihipStream_tbEUlT_E1_NS1_11comp_targetILNS1_3genE2ELNS1_11target_archE906ELNS1_3gpuE6ELNS1_3repE0EEENS1_30default_config_static_selectorELNS0_4arch9wavefront6targetE1EEEvSK_,comdat
.Lfunc_end834:
	.size	_ZN7rocprim17ROCPRIM_400000_NS6detail17trampoline_kernelINS0_14default_configENS1_22reduce_config_selectorIjEEZNS1_11reduce_implILb1ES3_N6thrust23THRUST_200600_302600_NS6detail15normal_iteratorINS8_10device_ptrIjEEEEPjj9plus_mod3IjEEE10hipError_tPvRmT1_T2_T3_mT4_P12ihipStream_tbEUlT_E1_NS1_11comp_targetILNS1_3genE2ELNS1_11target_archE906ELNS1_3gpuE6ELNS1_3repE0EEENS1_30default_config_static_selectorELNS0_4arch9wavefront6targetE1EEEvSK_, .Lfunc_end834-_ZN7rocprim17ROCPRIM_400000_NS6detail17trampoline_kernelINS0_14default_configENS1_22reduce_config_selectorIjEEZNS1_11reduce_implILb1ES3_N6thrust23THRUST_200600_302600_NS6detail15normal_iteratorINS8_10device_ptrIjEEEEPjj9plus_mod3IjEEE10hipError_tPvRmT1_T2_T3_mT4_P12ihipStream_tbEUlT_E1_NS1_11comp_targetILNS1_3genE2ELNS1_11target_archE906ELNS1_3gpuE6ELNS1_3repE0EEENS1_30default_config_static_selectorELNS0_4arch9wavefront6targetE1EEEvSK_
                                        ; -- End function
	.set _ZN7rocprim17ROCPRIM_400000_NS6detail17trampoline_kernelINS0_14default_configENS1_22reduce_config_selectorIjEEZNS1_11reduce_implILb1ES3_N6thrust23THRUST_200600_302600_NS6detail15normal_iteratorINS8_10device_ptrIjEEEEPjj9plus_mod3IjEEE10hipError_tPvRmT1_T2_T3_mT4_P12ihipStream_tbEUlT_E1_NS1_11comp_targetILNS1_3genE2ELNS1_11target_archE906ELNS1_3gpuE6ELNS1_3repE0EEENS1_30default_config_static_selectorELNS0_4arch9wavefront6targetE1EEEvSK_.num_vgpr, 0
	.set _ZN7rocprim17ROCPRIM_400000_NS6detail17trampoline_kernelINS0_14default_configENS1_22reduce_config_selectorIjEEZNS1_11reduce_implILb1ES3_N6thrust23THRUST_200600_302600_NS6detail15normal_iteratorINS8_10device_ptrIjEEEEPjj9plus_mod3IjEEE10hipError_tPvRmT1_T2_T3_mT4_P12ihipStream_tbEUlT_E1_NS1_11comp_targetILNS1_3genE2ELNS1_11target_archE906ELNS1_3gpuE6ELNS1_3repE0EEENS1_30default_config_static_selectorELNS0_4arch9wavefront6targetE1EEEvSK_.num_agpr, 0
	.set _ZN7rocprim17ROCPRIM_400000_NS6detail17trampoline_kernelINS0_14default_configENS1_22reduce_config_selectorIjEEZNS1_11reduce_implILb1ES3_N6thrust23THRUST_200600_302600_NS6detail15normal_iteratorINS8_10device_ptrIjEEEEPjj9plus_mod3IjEEE10hipError_tPvRmT1_T2_T3_mT4_P12ihipStream_tbEUlT_E1_NS1_11comp_targetILNS1_3genE2ELNS1_11target_archE906ELNS1_3gpuE6ELNS1_3repE0EEENS1_30default_config_static_selectorELNS0_4arch9wavefront6targetE1EEEvSK_.numbered_sgpr, 0
	.set _ZN7rocprim17ROCPRIM_400000_NS6detail17trampoline_kernelINS0_14default_configENS1_22reduce_config_selectorIjEEZNS1_11reduce_implILb1ES3_N6thrust23THRUST_200600_302600_NS6detail15normal_iteratorINS8_10device_ptrIjEEEEPjj9plus_mod3IjEEE10hipError_tPvRmT1_T2_T3_mT4_P12ihipStream_tbEUlT_E1_NS1_11comp_targetILNS1_3genE2ELNS1_11target_archE906ELNS1_3gpuE6ELNS1_3repE0EEENS1_30default_config_static_selectorELNS0_4arch9wavefront6targetE1EEEvSK_.num_named_barrier, 0
	.set _ZN7rocprim17ROCPRIM_400000_NS6detail17trampoline_kernelINS0_14default_configENS1_22reduce_config_selectorIjEEZNS1_11reduce_implILb1ES3_N6thrust23THRUST_200600_302600_NS6detail15normal_iteratorINS8_10device_ptrIjEEEEPjj9plus_mod3IjEEE10hipError_tPvRmT1_T2_T3_mT4_P12ihipStream_tbEUlT_E1_NS1_11comp_targetILNS1_3genE2ELNS1_11target_archE906ELNS1_3gpuE6ELNS1_3repE0EEENS1_30default_config_static_selectorELNS0_4arch9wavefront6targetE1EEEvSK_.private_seg_size, 0
	.set _ZN7rocprim17ROCPRIM_400000_NS6detail17trampoline_kernelINS0_14default_configENS1_22reduce_config_selectorIjEEZNS1_11reduce_implILb1ES3_N6thrust23THRUST_200600_302600_NS6detail15normal_iteratorINS8_10device_ptrIjEEEEPjj9plus_mod3IjEEE10hipError_tPvRmT1_T2_T3_mT4_P12ihipStream_tbEUlT_E1_NS1_11comp_targetILNS1_3genE2ELNS1_11target_archE906ELNS1_3gpuE6ELNS1_3repE0EEENS1_30default_config_static_selectorELNS0_4arch9wavefront6targetE1EEEvSK_.uses_vcc, 0
	.set _ZN7rocprim17ROCPRIM_400000_NS6detail17trampoline_kernelINS0_14default_configENS1_22reduce_config_selectorIjEEZNS1_11reduce_implILb1ES3_N6thrust23THRUST_200600_302600_NS6detail15normal_iteratorINS8_10device_ptrIjEEEEPjj9plus_mod3IjEEE10hipError_tPvRmT1_T2_T3_mT4_P12ihipStream_tbEUlT_E1_NS1_11comp_targetILNS1_3genE2ELNS1_11target_archE906ELNS1_3gpuE6ELNS1_3repE0EEENS1_30default_config_static_selectorELNS0_4arch9wavefront6targetE1EEEvSK_.uses_flat_scratch, 0
	.set _ZN7rocprim17ROCPRIM_400000_NS6detail17trampoline_kernelINS0_14default_configENS1_22reduce_config_selectorIjEEZNS1_11reduce_implILb1ES3_N6thrust23THRUST_200600_302600_NS6detail15normal_iteratorINS8_10device_ptrIjEEEEPjj9plus_mod3IjEEE10hipError_tPvRmT1_T2_T3_mT4_P12ihipStream_tbEUlT_E1_NS1_11comp_targetILNS1_3genE2ELNS1_11target_archE906ELNS1_3gpuE6ELNS1_3repE0EEENS1_30default_config_static_selectorELNS0_4arch9wavefront6targetE1EEEvSK_.has_dyn_sized_stack, 0
	.set _ZN7rocprim17ROCPRIM_400000_NS6detail17trampoline_kernelINS0_14default_configENS1_22reduce_config_selectorIjEEZNS1_11reduce_implILb1ES3_N6thrust23THRUST_200600_302600_NS6detail15normal_iteratorINS8_10device_ptrIjEEEEPjj9plus_mod3IjEEE10hipError_tPvRmT1_T2_T3_mT4_P12ihipStream_tbEUlT_E1_NS1_11comp_targetILNS1_3genE2ELNS1_11target_archE906ELNS1_3gpuE6ELNS1_3repE0EEENS1_30default_config_static_selectorELNS0_4arch9wavefront6targetE1EEEvSK_.has_recursion, 0
	.set _ZN7rocprim17ROCPRIM_400000_NS6detail17trampoline_kernelINS0_14default_configENS1_22reduce_config_selectorIjEEZNS1_11reduce_implILb1ES3_N6thrust23THRUST_200600_302600_NS6detail15normal_iteratorINS8_10device_ptrIjEEEEPjj9plus_mod3IjEEE10hipError_tPvRmT1_T2_T3_mT4_P12ihipStream_tbEUlT_E1_NS1_11comp_targetILNS1_3genE2ELNS1_11target_archE906ELNS1_3gpuE6ELNS1_3repE0EEENS1_30default_config_static_selectorELNS0_4arch9wavefront6targetE1EEEvSK_.has_indirect_call, 0
	.section	.AMDGPU.csdata,"",@progbits
; Kernel info:
; codeLenInByte = 0
; TotalNumSgprs: 6
; NumVgprs: 0
; NumAgprs: 0
; TotalNumVgprs: 0
; ScratchSize: 0
; MemoryBound: 0
; FloatMode: 240
; IeeeMode: 1
; LDSByteSize: 0 bytes/workgroup (compile time only)
; SGPRBlocks: 0
; VGPRBlocks: 0
; NumSGPRsForWavesPerEU: 6
; NumVGPRsForWavesPerEU: 1
; AccumOffset: 4
; Occupancy: 8
; WaveLimiterHint : 0
; COMPUTE_PGM_RSRC2:SCRATCH_EN: 0
; COMPUTE_PGM_RSRC2:USER_SGPR: 2
; COMPUTE_PGM_RSRC2:TRAP_HANDLER: 0
; COMPUTE_PGM_RSRC2:TGID_X_EN: 1
; COMPUTE_PGM_RSRC2:TGID_Y_EN: 0
; COMPUTE_PGM_RSRC2:TGID_Z_EN: 0
; COMPUTE_PGM_RSRC2:TIDIG_COMP_CNT: 0
; COMPUTE_PGM_RSRC3_GFX90A:ACCUM_OFFSET: 0
; COMPUTE_PGM_RSRC3_GFX90A:TG_SPLIT: 0
	.section	.text._ZN7rocprim17ROCPRIM_400000_NS6detail17trampoline_kernelINS0_14default_configENS1_22reduce_config_selectorIjEEZNS1_11reduce_implILb1ES3_N6thrust23THRUST_200600_302600_NS6detail15normal_iteratorINS8_10device_ptrIjEEEEPjj9plus_mod3IjEEE10hipError_tPvRmT1_T2_T3_mT4_P12ihipStream_tbEUlT_E1_NS1_11comp_targetILNS1_3genE10ELNS1_11target_archE1201ELNS1_3gpuE5ELNS1_3repE0EEENS1_30default_config_static_selectorELNS0_4arch9wavefront6targetE1EEEvSK_,"axG",@progbits,_ZN7rocprim17ROCPRIM_400000_NS6detail17trampoline_kernelINS0_14default_configENS1_22reduce_config_selectorIjEEZNS1_11reduce_implILb1ES3_N6thrust23THRUST_200600_302600_NS6detail15normal_iteratorINS8_10device_ptrIjEEEEPjj9plus_mod3IjEEE10hipError_tPvRmT1_T2_T3_mT4_P12ihipStream_tbEUlT_E1_NS1_11comp_targetILNS1_3genE10ELNS1_11target_archE1201ELNS1_3gpuE5ELNS1_3repE0EEENS1_30default_config_static_selectorELNS0_4arch9wavefront6targetE1EEEvSK_,comdat
	.protected	_ZN7rocprim17ROCPRIM_400000_NS6detail17trampoline_kernelINS0_14default_configENS1_22reduce_config_selectorIjEEZNS1_11reduce_implILb1ES3_N6thrust23THRUST_200600_302600_NS6detail15normal_iteratorINS8_10device_ptrIjEEEEPjj9plus_mod3IjEEE10hipError_tPvRmT1_T2_T3_mT4_P12ihipStream_tbEUlT_E1_NS1_11comp_targetILNS1_3genE10ELNS1_11target_archE1201ELNS1_3gpuE5ELNS1_3repE0EEENS1_30default_config_static_selectorELNS0_4arch9wavefront6targetE1EEEvSK_ ; -- Begin function _ZN7rocprim17ROCPRIM_400000_NS6detail17trampoline_kernelINS0_14default_configENS1_22reduce_config_selectorIjEEZNS1_11reduce_implILb1ES3_N6thrust23THRUST_200600_302600_NS6detail15normal_iteratorINS8_10device_ptrIjEEEEPjj9plus_mod3IjEEE10hipError_tPvRmT1_T2_T3_mT4_P12ihipStream_tbEUlT_E1_NS1_11comp_targetILNS1_3genE10ELNS1_11target_archE1201ELNS1_3gpuE5ELNS1_3repE0EEENS1_30default_config_static_selectorELNS0_4arch9wavefront6targetE1EEEvSK_
	.globl	_ZN7rocprim17ROCPRIM_400000_NS6detail17trampoline_kernelINS0_14default_configENS1_22reduce_config_selectorIjEEZNS1_11reduce_implILb1ES3_N6thrust23THRUST_200600_302600_NS6detail15normal_iteratorINS8_10device_ptrIjEEEEPjj9plus_mod3IjEEE10hipError_tPvRmT1_T2_T3_mT4_P12ihipStream_tbEUlT_E1_NS1_11comp_targetILNS1_3genE10ELNS1_11target_archE1201ELNS1_3gpuE5ELNS1_3repE0EEENS1_30default_config_static_selectorELNS0_4arch9wavefront6targetE1EEEvSK_
	.p2align	8
	.type	_ZN7rocprim17ROCPRIM_400000_NS6detail17trampoline_kernelINS0_14default_configENS1_22reduce_config_selectorIjEEZNS1_11reduce_implILb1ES3_N6thrust23THRUST_200600_302600_NS6detail15normal_iteratorINS8_10device_ptrIjEEEEPjj9plus_mod3IjEEE10hipError_tPvRmT1_T2_T3_mT4_P12ihipStream_tbEUlT_E1_NS1_11comp_targetILNS1_3genE10ELNS1_11target_archE1201ELNS1_3gpuE5ELNS1_3repE0EEENS1_30default_config_static_selectorELNS0_4arch9wavefront6targetE1EEEvSK_,@function
_ZN7rocprim17ROCPRIM_400000_NS6detail17trampoline_kernelINS0_14default_configENS1_22reduce_config_selectorIjEEZNS1_11reduce_implILb1ES3_N6thrust23THRUST_200600_302600_NS6detail15normal_iteratorINS8_10device_ptrIjEEEEPjj9plus_mod3IjEEE10hipError_tPvRmT1_T2_T3_mT4_P12ihipStream_tbEUlT_E1_NS1_11comp_targetILNS1_3genE10ELNS1_11target_archE1201ELNS1_3gpuE5ELNS1_3repE0EEENS1_30default_config_static_selectorELNS0_4arch9wavefront6targetE1EEEvSK_: ; @_ZN7rocprim17ROCPRIM_400000_NS6detail17trampoline_kernelINS0_14default_configENS1_22reduce_config_selectorIjEEZNS1_11reduce_implILb1ES3_N6thrust23THRUST_200600_302600_NS6detail15normal_iteratorINS8_10device_ptrIjEEEEPjj9plus_mod3IjEEE10hipError_tPvRmT1_T2_T3_mT4_P12ihipStream_tbEUlT_E1_NS1_11comp_targetILNS1_3genE10ELNS1_11target_archE1201ELNS1_3gpuE5ELNS1_3repE0EEENS1_30default_config_static_selectorELNS0_4arch9wavefront6targetE1EEEvSK_
; %bb.0:
	.section	.rodata,"a",@progbits
	.p2align	6, 0x0
	.amdhsa_kernel _ZN7rocprim17ROCPRIM_400000_NS6detail17trampoline_kernelINS0_14default_configENS1_22reduce_config_selectorIjEEZNS1_11reduce_implILb1ES3_N6thrust23THRUST_200600_302600_NS6detail15normal_iteratorINS8_10device_ptrIjEEEEPjj9plus_mod3IjEEE10hipError_tPvRmT1_T2_T3_mT4_P12ihipStream_tbEUlT_E1_NS1_11comp_targetILNS1_3genE10ELNS1_11target_archE1201ELNS1_3gpuE5ELNS1_3repE0EEENS1_30default_config_static_selectorELNS0_4arch9wavefront6targetE1EEEvSK_
		.amdhsa_group_segment_fixed_size 0
		.amdhsa_private_segment_fixed_size 0
		.amdhsa_kernarg_size 48
		.amdhsa_user_sgpr_count 2
		.amdhsa_user_sgpr_dispatch_ptr 0
		.amdhsa_user_sgpr_queue_ptr 0
		.amdhsa_user_sgpr_kernarg_segment_ptr 1
		.amdhsa_user_sgpr_dispatch_id 0
		.amdhsa_user_sgpr_kernarg_preload_length 0
		.amdhsa_user_sgpr_kernarg_preload_offset 0
		.amdhsa_user_sgpr_private_segment_size 0
		.amdhsa_uses_dynamic_stack 0
		.amdhsa_enable_private_segment 0
		.amdhsa_system_sgpr_workgroup_id_x 1
		.amdhsa_system_sgpr_workgroup_id_y 0
		.amdhsa_system_sgpr_workgroup_id_z 0
		.amdhsa_system_sgpr_workgroup_info 0
		.amdhsa_system_vgpr_workitem_id 0
		.amdhsa_next_free_vgpr 1
		.amdhsa_next_free_sgpr 0
		.amdhsa_accum_offset 4
		.amdhsa_reserve_vcc 0
		.amdhsa_float_round_mode_32 0
		.amdhsa_float_round_mode_16_64 0
		.amdhsa_float_denorm_mode_32 3
		.amdhsa_float_denorm_mode_16_64 3
		.amdhsa_dx10_clamp 1
		.amdhsa_ieee_mode 1
		.amdhsa_fp16_overflow 0
		.amdhsa_tg_split 0
		.amdhsa_exception_fp_ieee_invalid_op 0
		.amdhsa_exception_fp_denorm_src 0
		.amdhsa_exception_fp_ieee_div_zero 0
		.amdhsa_exception_fp_ieee_overflow 0
		.amdhsa_exception_fp_ieee_underflow 0
		.amdhsa_exception_fp_ieee_inexact 0
		.amdhsa_exception_int_div_zero 0
	.end_amdhsa_kernel
	.section	.text._ZN7rocprim17ROCPRIM_400000_NS6detail17trampoline_kernelINS0_14default_configENS1_22reduce_config_selectorIjEEZNS1_11reduce_implILb1ES3_N6thrust23THRUST_200600_302600_NS6detail15normal_iteratorINS8_10device_ptrIjEEEEPjj9plus_mod3IjEEE10hipError_tPvRmT1_T2_T3_mT4_P12ihipStream_tbEUlT_E1_NS1_11comp_targetILNS1_3genE10ELNS1_11target_archE1201ELNS1_3gpuE5ELNS1_3repE0EEENS1_30default_config_static_selectorELNS0_4arch9wavefront6targetE1EEEvSK_,"axG",@progbits,_ZN7rocprim17ROCPRIM_400000_NS6detail17trampoline_kernelINS0_14default_configENS1_22reduce_config_selectorIjEEZNS1_11reduce_implILb1ES3_N6thrust23THRUST_200600_302600_NS6detail15normal_iteratorINS8_10device_ptrIjEEEEPjj9plus_mod3IjEEE10hipError_tPvRmT1_T2_T3_mT4_P12ihipStream_tbEUlT_E1_NS1_11comp_targetILNS1_3genE10ELNS1_11target_archE1201ELNS1_3gpuE5ELNS1_3repE0EEENS1_30default_config_static_selectorELNS0_4arch9wavefront6targetE1EEEvSK_,comdat
.Lfunc_end835:
	.size	_ZN7rocprim17ROCPRIM_400000_NS6detail17trampoline_kernelINS0_14default_configENS1_22reduce_config_selectorIjEEZNS1_11reduce_implILb1ES3_N6thrust23THRUST_200600_302600_NS6detail15normal_iteratorINS8_10device_ptrIjEEEEPjj9plus_mod3IjEEE10hipError_tPvRmT1_T2_T3_mT4_P12ihipStream_tbEUlT_E1_NS1_11comp_targetILNS1_3genE10ELNS1_11target_archE1201ELNS1_3gpuE5ELNS1_3repE0EEENS1_30default_config_static_selectorELNS0_4arch9wavefront6targetE1EEEvSK_, .Lfunc_end835-_ZN7rocprim17ROCPRIM_400000_NS6detail17trampoline_kernelINS0_14default_configENS1_22reduce_config_selectorIjEEZNS1_11reduce_implILb1ES3_N6thrust23THRUST_200600_302600_NS6detail15normal_iteratorINS8_10device_ptrIjEEEEPjj9plus_mod3IjEEE10hipError_tPvRmT1_T2_T3_mT4_P12ihipStream_tbEUlT_E1_NS1_11comp_targetILNS1_3genE10ELNS1_11target_archE1201ELNS1_3gpuE5ELNS1_3repE0EEENS1_30default_config_static_selectorELNS0_4arch9wavefront6targetE1EEEvSK_
                                        ; -- End function
	.set _ZN7rocprim17ROCPRIM_400000_NS6detail17trampoline_kernelINS0_14default_configENS1_22reduce_config_selectorIjEEZNS1_11reduce_implILb1ES3_N6thrust23THRUST_200600_302600_NS6detail15normal_iteratorINS8_10device_ptrIjEEEEPjj9plus_mod3IjEEE10hipError_tPvRmT1_T2_T3_mT4_P12ihipStream_tbEUlT_E1_NS1_11comp_targetILNS1_3genE10ELNS1_11target_archE1201ELNS1_3gpuE5ELNS1_3repE0EEENS1_30default_config_static_selectorELNS0_4arch9wavefront6targetE1EEEvSK_.num_vgpr, 0
	.set _ZN7rocprim17ROCPRIM_400000_NS6detail17trampoline_kernelINS0_14default_configENS1_22reduce_config_selectorIjEEZNS1_11reduce_implILb1ES3_N6thrust23THRUST_200600_302600_NS6detail15normal_iteratorINS8_10device_ptrIjEEEEPjj9plus_mod3IjEEE10hipError_tPvRmT1_T2_T3_mT4_P12ihipStream_tbEUlT_E1_NS1_11comp_targetILNS1_3genE10ELNS1_11target_archE1201ELNS1_3gpuE5ELNS1_3repE0EEENS1_30default_config_static_selectorELNS0_4arch9wavefront6targetE1EEEvSK_.num_agpr, 0
	.set _ZN7rocprim17ROCPRIM_400000_NS6detail17trampoline_kernelINS0_14default_configENS1_22reduce_config_selectorIjEEZNS1_11reduce_implILb1ES3_N6thrust23THRUST_200600_302600_NS6detail15normal_iteratorINS8_10device_ptrIjEEEEPjj9plus_mod3IjEEE10hipError_tPvRmT1_T2_T3_mT4_P12ihipStream_tbEUlT_E1_NS1_11comp_targetILNS1_3genE10ELNS1_11target_archE1201ELNS1_3gpuE5ELNS1_3repE0EEENS1_30default_config_static_selectorELNS0_4arch9wavefront6targetE1EEEvSK_.numbered_sgpr, 0
	.set _ZN7rocprim17ROCPRIM_400000_NS6detail17trampoline_kernelINS0_14default_configENS1_22reduce_config_selectorIjEEZNS1_11reduce_implILb1ES3_N6thrust23THRUST_200600_302600_NS6detail15normal_iteratorINS8_10device_ptrIjEEEEPjj9plus_mod3IjEEE10hipError_tPvRmT1_T2_T3_mT4_P12ihipStream_tbEUlT_E1_NS1_11comp_targetILNS1_3genE10ELNS1_11target_archE1201ELNS1_3gpuE5ELNS1_3repE0EEENS1_30default_config_static_selectorELNS0_4arch9wavefront6targetE1EEEvSK_.num_named_barrier, 0
	.set _ZN7rocprim17ROCPRIM_400000_NS6detail17trampoline_kernelINS0_14default_configENS1_22reduce_config_selectorIjEEZNS1_11reduce_implILb1ES3_N6thrust23THRUST_200600_302600_NS6detail15normal_iteratorINS8_10device_ptrIjEEEEPjj9plus_mod3IjEEE10hipError_tPvRmT1_T2_T3_mT4_P12ihipStream_tbEUlT_E1_NS1_11comp_targetILNS1_3genE10ELNS1_11target_archE1201ELNS1_3gpuE5ELNS1_3repE0EEENS1_30default_config_static_selectorELNS0_4arch9wavefront6targetE1EEEvSK_.private_seg_size, 0
	.set _ZN7rocprim17ROCPRIM_400000_NS6detail17trampoline_kernelINS0_14default_configENS1_22reduce_config_selectorIjEEZNS1_11reduce_implILb1ES3_N6thrust23THRUST_200600_302600_NS6detail15normal_iteratorINS8_10device_ptrIjEEEEPjj9plus_mod3IjEEE10hipError_tPvRmT1_T2_T3_mT4_P12ihipStream_tbEUlT_E1_NS1_11comp_targetILNS1_3genE10ELNS1_11target_archE1201ELNS1_3gpuE5ELNS1_3repE0EEENS1_30default_config_static_selectorELNS0_4arch9wavefront6targetE1EEEvSK_.uses_vcc, 0
	.set _ZN7rocprim17ROCPRIM_400000_NS6detail17trampoline_kernelINS0_14default_configENS1_22reduce_config_selectorIjEEZNS1_11reduce_implILb1ES3_N6thrust23THRUST_200600_302600_NS6detail15normal_iteratorINS8_10device_ptrIjEEEEPjj9plus_mod3IjEEE10hipError_tPvRmT1_T2_T3_mT4_P12ihipStream_tbEUlT_E1_NS1_11comp_targetILNS1_3genE10ELNS1_11target_archE1201ELNS1_3gpuE5ELNS1_3repE0EEENS1_30default_config_static_selectorELNS0_4arch9wavefront6targetE1EEEvSK_.uses_flat_scratch, 0
	.set _ZN7rocprim17ROCPRIM_400000_NS6detail17trampoline_kernelINS0_14default_configENS1_22reduce_config_selectorIjEEZNS1_11reduce_implILb1ES3_N6thrust23THRUST_200600_302600_NS6detail15normal_iteratorINS8_10device_ptrIjEEEEPjj9plus_mod3IjEEE10hipError_tPvRmT1_T2_T3_mT4_P12ihipStream_tbEUlT_E1_NS1_11comp_targetILNS1_3genE10ELNS1_11target_archE1201ELNS1_3gpuE5ELNS1_3repE0EEENS1_30default_config_static_selectorELNS0_4arch9wavefront6targetE1EEEvSK_.has_dyn_sized_stack, 0
	.set _ZN7rocprim17ROCPRIM_400000_NS6detail17trampoline_kernelINS0_14default_configENS1_22reduce_config_selectorIjEEZNS1_11reduce_implILb1ES3_N6thrust23THRUST_200600_302600_NS6detail15normal_iteratorINS8_10device_ptrIjEEEEPjj9plus_mod3IjEEE10hipError_tPvRmT1_T2_T3_mT4_P12ihipStream_tbEUlT_E1_NS1_11comp_targetILNS1_3genE10ELNS1_11target_archE1201ELNS1_3gpuE5ELNS1_3repE0EEENS1_30default_config_static_selectorELNS0_4arch9wavefront6targetE1EEEvSK_.has_recursion, 0
	.set _ZN7rocprim17ROCPRIM_400000_NS6detail17trampoline_kernelINS0_14default_configENS1_22reduce_config_selectorIjEEZNS1_11reduce_implILb1ES3_N6thrust23THRUST_200600_302600_NS6detail15normal_iteratorINS8_10device_ptrIjEEEEPjj9plus_mod3IjEEE10hipError_tPvRmT1_T2_T3_mT4_P12ihipStream_tbEUlT_E1_NS1_11comp_targetILNS1_3genE10ELNS1_11target_archE1201ELNS1_3gpuE5ELNS1_3repE0EEENS1_30default_config_static_selectorELNS0_4arch9wavefront6targetE1EEEvSK_.has_indirect_call, 0
	.section	.AMDGPU.csdata,"",@progbits
; Kernel info:
; codeLenInByte = 0
; TotalNumSgprs: 6
; NumVgprs: 0
; NumAgprs: 0
; TotalNumVgprs: 0
; ScratchSize: 0
; MemoryBound: 0
; FloatMode: 240
; IeeeMode: 1
; LDSByteSize: 0 bytes/workgroup (compile time only)
; SGPRBlocks: 0
; VGPRBlocks: 0
; NumSGPRsForWavesPerEU: 6
; NumVGPRsForWavesPerEU: 1
; AccumOffset: 4
; Occupancy: 8
; WaveLimiterHint : 0
; COMPUTE_PGM_RSRC2:SCRATCH_EN: 0
; COMPUTE_PGM_RSRC2:USER_SGPR: 2
; COMPUTE_PGM_RSRC2:TRAP_HANDLER: 0
; COMPUTE_PGM_RSRC2:TGID_X_EN: 1
; COMPUTE_PGM_RSRC2:TGID_Y_EN: 0
; COMPUTE_PGM_RSRC2:TGID_Z_EN: 0
; COMPUTE_PGM_RSRC2:TIDIG_COMP_CNT: 0
; COMPUTE_PGM_RSRC3_GFX90A:ACCUM_OFFSET: 0
; COMPUTE_PGM_RSRC3_GFX90A:TG_SPLIT: 0
	.section	.text._ZN7rocprim17ROCPRIM_400000_NS6detail17trampoline_kernelINS0_14default_configENS1_22reduce_config_selectorIjEEZNS1_11reduce_implILb1ES3_N6thrust23THRUST_200600_302600_NS6detail15normal_iteratorINS8_10device_ptrIjEEEEPjj9plus_mod3IjEEE10hipError_tPvRmT1_T2_T3_mT4_P12ihipStream_tbEUlT_E1_NS1_11comp_targetILNS1_3genE10ELNS1_11target_archE1200ELNS1_3gpuE4ELNS1_3repE0EEENS1_30default_config_static_selectorELNS0_4arch9wavefront6targetE1EEEvSK_,"axG",@progbits,_ZN7rocprim17ROCPRIM_400000_NS6detail17trampoline_kernelINS0_14default_configENS1_22reduce_config_selectorIjEEZNS1_11reduce_implILb1ES3_N6thrust23THRUST_200600_302600_NS6detail15normal_iteratorINS8_10device_ptrIjEEEEPjj9plus_mod3IjEEE10hipError_tPvRmT1_T2_T3_mT4_P12ihipStream_tbEUlT_E1_NS1_11comp_targetILNS1_3genE10ELNS1_11target_archE1200ELNS1_3gpuE4ELNS1_3repE0EEENS1_30default_config_static_selectorELNS0_4arch9wavefront6targetE1EEEvSK_,comdat
	.protected	_ZN7rocprim17ROCPRIM_400000_NS6detail17trampoline_kernelINS0_14default_configENS1_22reduce_config_selectorIjEEZNS1_11reduce_implILb1ES3_N6thrust23THRUST_200600_302600_NS6detail15normal_iteratorINS8_10device_ptrIjEEEEPjj9plus_mod3IjEEE10hipError_tPvRmT1_T2_T3_mT4_P12ihipStream_tbEUlT_E1_NS1_11comp_targetILNS1_3genE10ELNS1_11target_archE1200ELNS1_3gpuE4ELNS1_3repE0EEENS1_30default_config_static_selectorELNS0_4arch9wavefront6targetE1EEEvSK_ ; -- Begin function _ZN7rocprim17ROCPRIM_400000_NS6detail17trampoline_kernelINS0_14default_configENS1_22reduce_config_selectorIjEEZNS1_11reduce_implILb1ES3_N6thrust23THRUST_200600_302600_NS6detail15normal_iteratorINS8_10device_ptrIjEEEEPjj9plus_mod3IjEEE10hipError_tPvRmT1_T2_T3_mT4_P12ihipStream_tbEUlT_E1_NS1_11comp_targetILNS1_3genE10ELNS1_11target_archE1200ELNS1_3gpuE4ELNS1_3repE0EEENS1_30default_config_static_selectorELNS0_4arch9wavefront6targetE1EEEvSK_
	.globl	_ZN7rocprim17ROCPRIM_400000_NS6detail17trampoline_kernelINS0_14default_configENS1_22reduce_config_selectorIjEEZNS1_11reduce_implILb1ES3_N6thrust23THRUST_200600_302600_NS6detail15normal_iteratorINS8_10device_ptrIjEEEEPjj9plus_mod3IjEEE10hipError_tPvRmT1_T2_T3_mT4_P12ihipStream_tbEUlT_E1_NS1_11comp_targetILNS1_3genE10ELNS1_11target_archE1200ELNS1_3gpuE4ELNS1_3repE0EEENS1_30default_config_static_selectorELNS0_4arch9wavefront6targetE1EEEvSK_
	.p2align	8
	.type	_ZN7rocprim17ROCPRIM_400000_NS6detail17trampoline_kernelINS0_14default_configENS1_22reduce_config_selectorIjEEZNS1_11reduce_implILb1ES3_N6thrust23THRUST_200600_302600_NS6detail15normal_iteratorINS8_10device_ptrIjEEEEPjj9plus_mod3IjEEE10hipError_tPvRmT1_T2_T3_mT4_P12ihipStream_tbEUlT_E1_NS1_11comp_targetILNS1_3genE10ELNS1_11target_archE1200ELNS1_3gpuE4ELNS1_3repE0EEENS1_30default_config_static_selectorELNS0_4arch9wavefront6targetE1EEEvSK_,@function
_ZN7rocprim17ROCPRIM_400000_NS6detail17trampoline_kernelINS0_14default_configENS1_22reduce_config_selectorIjEEZNS1_11reduce_implILb1ES3_N6thrust23THRUST_200600_302600_NS6detail15normal_iteratorINS8_10device_ptrIjEEEEPjj9plus_mod3IjEEE10hipError_tPvRmT1_T2_T3_mT4_P12ihipStream_tbEUlT_E1_NS1_11comp_targetILNS1_3genE10ELNS1_11target_archE1200ELNS1_3gpuE4ELNS1_3repE0EEENS1_30default_config_static_selectorELNS0_4arch9wavefront6targetE1EEEvSK_: ; @_ZN7rocprim17ROCPRIM_400000_NS6detail17trampoline_kernelINS0_14default_configENS1_22reduce_config_selectorIjEEZNS1_11reduce_implILb1ES3_N6thrust23THRUST_200600_302600_NS6detail15normal_iteratorINS8_10device_ptrIjEEEEPjj9plus_mod3IjEEE10hipError_tPvRmT1_T2_T3_mT4_P12ihipStream_tbEUlT_E1_NS1_11comp_targetILNS1_3genE10ELNS1_11target_archE1200ELNS1_3gpuE4ELNS1_3repE0EEENS1_30default_config_static_selectorELNS0_4arch9wavefront6targetE1EEEvSK_
; %bb.0:
	.section	.rodata,"a",@progbits
	.p2align	6, 0x0
	.amdhsa_kernel _ZN7rocprim17ROCPRIM_400000_NS6detail17trampoline_kernelINS0_14default_configENS1_22reduce_config_selectorIjEEZNS1_11reduce_implILb1ES3_N6thrust23THRUST_200600_302600_NS6detail15normal_iteratorINS8_10device_ptrIjEEEEPjj9plus_mod3IjEEE10hipError_tPvRmT1_T2_T3_mT4_P12ihipStream_tbEUlT_E1_NS1_11comp_targetILNS1_3genE10ELNS1_11target_archE1200ELNS1_3gpuE4ELNS1_3repE0EEENS1_30default_config_static_selectorELNS0_4arch9wavefront6targetE1EEEvSK_
		.amdhsa_group_segment_fixed_size 0
		.amdhsa_private_segment_fixed_size 0
		.amdhsa_kernarg_size 48
		.amdhsa_user_sgpr_count 2
		.amdhsa_user_sgpr_dispatch_ptr 0
		.amdhsa_user_sgpr_queue_ptr 0
		.amdhsa_user_sgpr_kernarg_segment_ptr 1
		.amdhsa_user_sgpr_dispatch_id 0
		.amdhsa_user_sgpr_kernarg_preload_length 0
		.amdhsa_user_sgpr_kernarg_preload_offset 0
		.amdhsa_user_sgpr_private_segment_size 0
		.amdhsa_uses_dynamic_stack 0
		.amdhsa_enable_private_segment 0
		.amdhsa_system_sgpr_workgroup_id_x 1
		.amdhsa_system_sgpr_workgroup_id_y 0
		.amdhsa_system_sgpr_workgroup_id_z 0
		.amdhsa_system_sgpr_workgroup_info 0
		.amdhsa_system_vgpr_workitem_id 0
		.amdhsa_next_free_vgpr 1
		.amdhsa_next_free_sgpr 0
		.amdhsa_accum_offset 4
		.amdhsa_reserve_vcc 0
		.amdhsa_float_round_mode_32 0
		.amdhsa_float_round_mode_16_64 0
		.amdhsa_float_denorm_mode_32 3
		.amdhsa_float_denorm_mode_16_64 3
		.amdhsa_dx10_clamp 1
		.amdhsa_ieee_mode 1
		.amdhsa_fp16_overflow 0
		.amdhsa_tg_split 0
		.amdhsa_exception_fp_ieee_invalid_op 0
		.amdhsa_exception_fp_denorm_src 0
		.amdhsa_exception_fp_ieee_div_zero 0
		.amdhsa_exception_fp_ieee_overflow 0
		.amdhsa_exception_fp_ieee_underflow 0
		.amdhsa_exception_fp_ieee_inexact 0
		.amdhsa_exception_int_div_zero 0
	.end_amdhsa_kernel
	.section	.text._ZN7rocprim17ROCPRIM_400000_NS6detail17trampoline_kernelINS0_14default_configENS1_22reduce_config_selectorIjEEZNS1_11reduce_implILb1ES3_N6thrust23THRUST_200600_302600_NS6detail15normal_iteratorINS8_10device_ptrIjEEEEPjj9plus_mod3IjEEE10hipError_tPvRmT1_T2_T3_mT4_P12ihipStream_tbEUlT_E1_NS1_11comp_targetILNS1_3genE10ELNS1_11target_archE1200ELNS1_3gpuE4ELNS1_3repE0EEENS1_30default_config_static_selectorELNS0_4arch9wavefront6targetE1EEEvSK_,"axG",@progbits,_ZN7rocprim17ROCPRIM_400000_NS6detail17trampoline_kernelINS0_14default_configENS1_22reduce_config_selectorIjEEZNS1_11reduce_implILb1ES3_N6thrust23THRUST_200600_302600_NS6detail15normal_iteratorINS8_10device_ptrIjEEEEPjj9plus_mod3IjEEE10hipError_tPvRmT1_T2_T3_mT4_P12ihipStream_tbEUlT_E1_NS1_11comp_targetILNS1_3genE10ELNS1_11target_archE1200ELNS1_3gpuE4ELNS1_3repE0EEENS1_30default_config_static_selectorELNS0_4arch9wavefront6targetE1EEEvSK_,comdat
.Lfunc_end836:
	.size	_ZN7rocprim17ROCPRIM_400000_NS6detail17trampoline_kernelINS0_14default_configENS1_22reduce_config_selectorIjEEZNS1_11reduce_implILb1ES3_N6thrust23THRUST_200600_302600_NS6detail15normal_iteratorINS8_10device_ptrIjEEEEPjj9plus_mod3IjEEE10hipError_tPvRmT1_T2_T3_mT4_P12ihipStream_tbEUlT_E1_NS1_11comp_targetILNS1_3genE10ELNS1_11target_archE1200ELNS1_3gpuE4ELNS1_3repE0EEENS1_30default_config_static_selectorELNS0_4arch9wavefront6targetE1EEEvSK_, .Lfunc_end836-_ZN7rocprim17ROCPRIM_400000_NS6detail17trampoline_kernelINS0_14default_configENS1_22reduce_config_selectorIjEEZNS1_11reduce_implILb1ES3_N6thrust23THRUST_200600_302600_NS6detail15normal_iteratorINS8_10device_ptrIjEEEEPjj9plus_mod3IjEEE10hipError_tPvRmT1_T2_T3_mT4_P12ihipStream_tbEUlT_E1_NS1_11comp_targetILNS1_3genE10ELNS1_11target_archE1200ELNS1_3gpuE4ELNS1_3repE0EEENS1_30default_config_static_selectorELNS0_4arch9wavefront6targetE1EEEvSK_
                                        ; -- End function
	.set _ZN7rocprim17ROCPRIM_400000_NS6detail17trampoline_kernelINS0_14default_configENS1_22reduce_config_selectorIjEEZNS1_11reduce_implILb1ES3_N6thrust23THRUST_200600_302600_NS6detail15normal_iteratorINS8_10device_ptrIjEEEEPjj9plus_mod3IjEEE10hipError_tPvRmT1_T2_T3_mT4_P12ihipStream_tbEUlT_E1_NS1_11comp_targetILNS1_3genE10ELNS1_11target_archE1200ELNS1_3gpuE4ELNS1_3repE0EEENS1_30default_config_static_selectorELNS0_4arch9wavefront6targetE1EEEvSK_.num_vgpr, 0
	.set _ZN7rocprim17ROCPRIM_400000_NS6detail17trampoline_kernelINS0_14default_configENS1_22reduce_config_selectorIjEEZNS1_11reduce_implILb1ES3_N6thrust23THRUST_200600_302600_NS6detail15normal_iteratorINS8_10device_ptrIjEEEEPjj9plus_mod3IjEEE10hipError_tPvRmT1_T2_T3_mT4_P12ihipStream_tbEUlT_E1_NS1_11comp_targetILNS1_3genE10ELNS1_11target_archE1200ELNS1_3gpuE4ELNS1_3repE0EEENS1_30default_config_static_selectorELNS0_4arch9wavefront6targetE1EEEvSK_.num_agpr, 0
	.set _ZN7rocprim17ROCPRIM_400000_NS6detail17trampoline_kernelINS0_14default_configENS1_22reduce_config_selectorIjEEZNS1_11reduce_implILb1ES3_N6thrust23THRUST_200600_302600_NS6detail15normal_iteratorINS8_10device_ptrIjEEEEPjj9plus_mod3IjEEE10hipError_tPvRmT1_T2_T3_mT4_P12ihipStream_tbEUlT_E1_NS1_11comp_targetILNS1_3genE10ELNS1_11target_archE1200ELNS1_3gpuE4ELNS1_3repE0EEENS1_30default_config_static_selectorELNS0_4arch9wavefront6targetE1EEEvSK_.numbered_sgpr, 0
	.set _ZN7rocprim17ROCPRIM_400000_NS6detail17trampoline_kernelINS0_14default_configENS1_22reduce_config_selectorIjEEZNS1_11reduce_implILb1ES3_N6thrust23THRUST_200600_302600_NS6detail15normal_iteratorINS8_10device_ptrIjEEEEPjj9plus_mod3IjEEE10hipError_tPvRmT1_T2_T3_mT4_P12ihipStream_tbEUlT_E1_NS1_11comp_targetILNS1_3genE10ELNS1_11target_archE1200ELNS1_3gpuE4ELNS1_3repE0EEENS1_30default_config_static_selectorELNS0_4arch9wavefront6targetE1EEEvSK_.num_named_barrier, 0
	.set _ZN7rocprim17ROCPRIM_400000_NS6detail17trampoline_kernelINS0_14default_configENS1_22reduce_config_selectorIjEEZNS1_11reduce_implILb1ES3_N6thrust23THRUST_200600_302600_NS6detail15normal_iteratorINS8_10device_ptrIjEEEEPjj9plus_mod3IjEEE10hipError_tPvRmT1_T2_T3_mT4_P12ihipStream_tbEUlT_E1_NS1_11comp_targetILNS1_3genE10ELNS1_11target_archE1200ELNS1_3gpuE4ELNS1_3repE0EEENS1_30default_config_static_selectorELNS0_4arch9wavefront6targetE1EEEvSK_.private_seg_size, 0
	.set _ZN7rocprim17ROCPRIM_400000_NS6detail17trampoline_kernelINS0_14default_configENS1_22reduce_config_selectorIjEEZNS1_11reduce_implILb1ES3_N6thrust23THRUST_200600_302600_NS6detail15normal_iteratorINS8_10device_ptrIjEEEEPjj9plus_mod3IjEEE10hipError_tPvRmT1_T2_T3_mT4_P12ihipStream_tbEUlT_E1_NS1_11comp_targetILNS1_3genE10ELNS1_11target_archE1200ELNS1_3gpuE4ELNS1_3repE0EEENS1_30default_config_static_selectorELNS0_4arch9wavefront6targetE1EEEvSK_.uses_vcc, 0
	.set _ZN7rocprim17ROCPRIM_400000_NS6detail17trampoline_kernelINS0_14default_configENS1_22reduce_config_selectorIjEEZNS1_11reduce_implILb1ES3_N6thrust23THRUST_200600_302600_NS6detail15normal_iteratorINS8_10device_ptrIjEEEEPjj9plus_mod3IjEEE10hipError_tPvRmT1_T2_T3_mT4_P12ihipStream_tbEUlT_E1_NS1_11comp_targetILNS1_3genE10ELNS1_11target_archE1200ELNS1_3gpuE4ELNS1_3repE0EEENS1_30default_config_static_selectorELNS0_4arch9wavefront6targetE1EEEvSK_.uses_flat_scratch, 0
	.set _ZN7rocprim17ROCPRIM_400000_NS6detail17trampoline_kernelINS0_14default_configENS1_22reduce_config_selectorIjEEZNS1_11reduce_implILb1ES3_N6thrust23THRUST_200600_302600_NS6detail15normal_iteratorINS8_10device_ptrIjEEEEPjj9plus_mod3IjEEE10hipError_tPvRmT1_T2_T3_mT4_P12ihipStream_tbEUlT_E1_NS1_11comp_targetILNS1_3genE10ELNS1_11target_archE1200ELNS1_3gpuE4ELNS1_3repE0EEENS1_30default_config_static_selectorELNS0_4arch9wavefront6targetE1EEEvSK_.has_dyn_sized_stack, 0
	.set _ZN7rocprim17ROCPRIM_400000_NS6detail17trampoline_kernelINS0_14default_configENS1_22reduce_config_selectorIjEEZNS1_11reduce_implILb1ES3_N6thrust23THRUST_200600_302600_NS6detail15normal_iteratorINS8_10device_ptrIjEEEEPjj9plus_mod3IjEEE10hipError_tPvRmT1_T2_T3_mT4_P12ihipStream_tbEUlT_E1_NS1_11comp_targetILNS1_3genE10ELNS1_11target_archE1200ELNS1_3gpuE4ELNS1_3repE0EEENS1_30default_config_static_selectorELNS0_4arch9wavefront6targetE1EEEvSK_.has_recursion, 0
	.set _ZN7rocprim17ROCPRIM_400000_NS6detail17trampoline_kernelINS0_14default_configENS1_22reduce_config_selectorIjEEZNS1_11reduce_implILb1ES3_N6thrust23THRUST_200600_302600_NS6detail15normal_iteratorINS8_10device_ptrIjEEEEPjj9plus_mod3IjEEE10hipError_tPvRmT1_T2_T3_mT4_P12ihipStream_tbEUlT_E1_NS1_11comp_targetILNS1_3genE10ELNS1_11target_archE1200ELNS1_3gpuE4ELNS1_3repE0EEENS1_30default_config_static_selectorELNS0_4arch9wavefront6targetE1EEEvSK_.has_indirect_call, 0
	.section	.AMDGPU.csdata,"",@progbits
; Kernel info:
; codeLenInByte = 0
; TotalNumSgprs: 6
; NumVgprs: 0
; NumAgprs: 0
; TotalNumVgprs: 0
; ScratchSize: 0
; MemoryBound: 0
; FloatMode: 240
; IeeeMode: 1
; LDSByteSize: 0 bytes/workgroup (compile time only)
; SGPRBlocks: 0
; VGPRBlocks: 0
; NumSGPRsForWavesPerEU: 6
; NumVGPRsForWavesPerEU: 1
; AccumOffset: 4
; Occupancy: 8
; WaveLimiterHint : 0
; COMPUTE_PGM_RSRC2:SCRATCH_EN: 0
; COMPUTE_PGM_RSRC2:USER_SGPR: 2
; COMPUTE_PGM_RSRC2:TRAP_HANDLER: 0
; COMPUTE_PGM_RSRC2:TGID_X_EN: 1
; COMPUTE_PGM_RSRC2:TGID_Y_EN: 0
; COMPUTE_PGM_RSRC2:TGID_Z_EN: 0
; COMPUTE_PGM_RSRC2:TIDIG_COMP_CNT: 0
; COMPUTE_PGM_RSRC3_GFX90A:ACCUM_OFFSET: 0
; COMPUTE_PGM_RSRC3_GFX90A:TG_SPLIT: 0
	.section	.text._ZN7rocprim17ROCPRIM_400000_NS6detail17trampoline_kernelINS0_14default_configENS1_22reduce_config_selectorIjEEZNS1_11reduce_implILb1ES3_N6thrust23THRUST_200600_302600_NS6detail15normal_iteratorINS8_10device_ptrIjEEEEPjj9plus_mod3IjEEE10hipError_tPvRmT1_T2_T3_mT4_P12ihipStream_tbEUlT_E1_NS1_11comp_targetILNS1_3genE9ELNS1_11target_archE1100ELNS1_3gpuE3ELNS1_3repE0EEENS1_30default_config_static_selectorELNS0_4arch9wavefront6targetE1EEEvSK_,"axG",@progbits,_ZN7rocprim17ROCPRIM_400000_NS6detail17trampoline_kernelINS0_14default_configENS1_22reduce_config_selectorIjEEZNS1_11reduce_implILb1ES3_N6thrust23THRUST_200600_302600_NS6detail15normal_iteratorINS8_10device_ptrIjEEEEPjj9plus_mod3IjEEE10hipError_tPvRmT1_T2_T3_mT4_P12ihipStream_tbEUlT_E1_NS1_11comp_targetILNS1_3genE9ELNS1_11target_archE1100ELNS1_3gpuE3ELNS1_3repE0EEENS1_30default_config_static_selectorELNS0_4arch9wavefront6targetE1EEEvSK_,comdat
	.protected	_ZN7rocprim17ROCPRIM_400000_NS6detail17trampoline_kernelINS0_14default_configENS1_22reduce_config_selectorIjEEZNS1_11reduce_implILb1ES3_N6thrust23THRUST_200600_302600_NS6detail15normal_iteratorINS8_10device_ptrIjEEEEPjj9plus_mod3IjEEE10hipError_tPvRmT1_T2_T3_mT4_P12ihipStream_tbEUlT_E1_NS1_11comp_targetILNS1_3genE9ELNS1_11target_archE1100ELNS1_3gpuE3ELNS1_3repE0EEENS1_30default_config_static_selectorELNS0_4arch9wavefront6targetE1EEEvSK_ ; -- Begin function _ZN7rocprim17ROCPRIM_400000_NS6detail17trampoline_kernelINS0_14default_configENS1_22reduce_config_selectorIjEEZNS1_11reduce_implILb1ES3_N6thrust23THRUST_200600_302600_NS6detail15normal_iteratorINS8_10device_ptrIjEEEEPjj9plus_mod3IjEEE10hipError_tPvRmT1_T2_T3_mT4_P12ihipStream_tbEUlT_E1_NS1_11comp_targetILNS1_3genE9ELNS1_11target_archE1100ELNS1_3gpuE3ELNS1_3repE0EEENS1_30default_config_static_selectorELNS0_4arch9wavefront6targetE1EEEvSK_
	.globl	_ZN7rocprim17ROCPRIM_400000_NS6detail17trampoline_kernelINS0_14default_configENS1_22reduce_config_selectorIjEEZNS1_11reduce_implILb1ES3_N6thrust23THRUST_200600_302600_NS6detail15normal_iteratorINS8_10device_ptrIjEEEEPjj9plus_mod3IjEEE10hipError_tPvRmT1_T2_T3_mT4_P12ihipStream_tbEUlT_E1_NS1_11comp_targetILNS1_3genE9ELNS1_11target_archE1100ELNS1_3gpuE3ELNS1_3repE0EEENS1_30default_config_static_selectorELNS0_4arch9wavefront6targetE1EEEvSK_
	.p2align	8
	.type	_ZN7rocprim17ROCPRIM_400000_NS6detail17trampoline_kernelINS0_14default_configENS1_22reduce_config_selectorIjEEZNS1_11reduce_implILb1ES3_N6thrust23THRUST_200600_302600_NS6detail15normal_iteratorINS8_10device_ptrIjEEEEPjj9plus_mod3IjEEE10hipError_tPvRmT1_T2_T3_mT4_P12ihipStream_tbEUlT_E1_NS1_11comp_targetILNS1_3genE9ELNS1_11target_archE1100ELNS1_3gpuE3ELNS1_3repE0EEENS1_30default_config_static_selectorELNS0_4arch9wavefront6targetE1EEEvSK_,@function
_ZN7rocprim17ROCPRIM_400000_NS6detail17trampoline_kernelINS0_14default_configENS1_22reduce_config_selectorIjEEZNS1_11reduce_implILb1ES3_N6thrust23THRUST_200600_302600_NS6detail15normal_iteratorINS8_10device_ptrIjEEEEPjj9plus_mod3IjEEE10hipError_tPvRmT1_T2_T3_mT4_P12ihipStream_tbEUlT_E1_NS1_11comp_targetILNS1_3genE9ELNS1_11target_archE1100ELNS1_3gpuE3ELNS1_3repE0EEENS1_30default_config_static_selectorELNS0_4arch9wavefront6targetE1EEEvSK_: ; @_ZN7rocprim17ROCPRIM_400000_NS6detail17trampoline_kernelINS0_14default_configENS1_22reduce_config_selectorIjEEZNS1_11reduce_implILb1ES3_N6thrust23THRUST_200600_302600_NS6detail15normal_iteratorINS8_10device_ptrIjEEEEPjj9plus_mod3IjEEE10hipError_tPvRmT1_T2_T3_mT4_P12ihipStream_tbEUlT_E1_NS1_11comp_targetILNS1_3genE9ELNS1_11target_archE1100ELNS1_3gpuE3ELNS1_3repE0EEENS1_30default_config_static_selectorELNS0_4arch9wavefront6targetE1EEEvSK_
; %bb.0:
	.section	.rodata,"a",@progbits
	.p2align	6, 0x0
	.amdhsa_kernel _ZN7rocprim17ROCPRIM_400000_NS6detail17trampoline_kernelINS0_14default_configENS1_22reduce_config_selectorIjEEZNS1_11reduce_implILb1ES3_N6thrust23THRUST_200600_302600_NS6detail15normal_iteratorINS8_10device_ptrIjEEEEPjj9plus_mod3IjEEE10hipError_tPvRmT1_T2_T3_mT4_P12ihipStream_tbEUlT_E1_NS1_11comp_targetILNS1_3genE9ELNS1_11target_archE1100ELNS1_3gpuE3ELNS1_3repE0EEENS1_30default_config_static_selectorELNS0_4arch9wavefront6targetE1EEEvSK_
		.amdhsa_group_segment_fixed_size 0
		.amdhsa_private_segment_fixed_size 0
		.amdhsa_kernarg_size 48
		.amdhsa_user_sgpr_count 2
		.amdhsa_user_sgpr_dispatch_ptr 0
		.amdhsa_user_sgpr_queue_ptr 0
		.amdhsa_user_sgpr_kernarg_segment_ptr 1
		.amdhsa_user_sgpr_dispatch_id 0
		.amdhsa_user_sgpr_kernarg_preload_length 0
		.amdhsa_user_sgpr_kernarg_preload_offset 0
		.amdhsa_user_sgpr_private_segment_size 0
		.amdhsa_uses_dynamic_stack 0
		.amdhsa_enable_private_segment 0
		.amdhsa_system_sgpr_workgroup_id_x 1
		.amdhsa_system_sgpr_workgroup_id_y 0
		.amdhsa_system_sgpr_workgroup_id_z 0
		.amdhsa_system_sgpr_workgroup_info 0
		.amdhsa_system_vgpr_workitem_id 0
		.amdhsa_next_free_vgpr 1
		.amdhsa_next_free_sgpr 0
		.amdhsa_accum_offset 4
		.amdhsa_reserve_vcc 0
		.amdhsa_float_round_mode_32 0
		.amdhsa_float_round_mode_16_64 0
		.amdhsa_float_denorm_mode_32 3
		.amdhsa_float_denorm_mode_16_64 3
		.amdhsa_dx10_clamp 1
		.amdhsa_ieee_mode 1
		.amdhsa_fp16_overflow 0
		.amdhsa_tg_split 0
		.amdhsa_exception_fp_ieee_invalid_op 0
		.amdhsa_exception_fp_denorm_src 0
		.amdhsa_exception_fp_ieee_div_zero 0
		.amdhsa_exception_fp_ieee_overflow 0
		.amdhsa_exception_fp_ieee_underflow 0
		.amdhsa_exception_fp_ieee_inexact 0
		.amdhsa_exception_int_div_zero 0
	.end_amdhsa_kernel
	.section	.text._ZN7rocprim17ROCPRIM_400000_NS6detail17trampoline_kernelINS0_14default_configENS1_22reduce_config_selectorIjEEZNS1_11reduce_implILb1ES3_N6thrust23THRUST_200600_302600_NS6detail15normal_iteratorINS8_10device_ptrIjEEEEPjj9plus_mod3IjEEE10hipError_tPvRmT1_T2_T3_mT4_P12ihipStream_tbEUlT_E1_NS1_11comp_targetILNS1_3genE9ELNS1_11target_archE1100ELNS1_3gpuE3ELNS1_3repE0EEENS1_30default_config_static_selectorELNS0_4arch9wavefront6targetE1EEEvSK_,"axG",@progbits,_ZN7rocprim17ROCPRIM_400000_NS6detail17trampoline_kernelINS0_14default_configENS1_22reduce_config_selectorIjEEZNS1_11reduce_implILb1ES3_N6thrust23THRUST_200600_302600_NS6detail15normal_iteratorINS8_10device_ptrIjEEEEPjj9plus_mod3IjEEE10hipError_tPvRmT1_T2_T3_mT4_P12ihipStream_tbEUlT_E1_NS1_11comp_targetILNS1_3genE9ELNS1_11target_archE1100ELNS1_3gpuE3ELNS1_3repE0EEENS1_30default_config_static_selectorELNS0_4arch9wavefront6targetE1EEEvSK_,comdat
.Lfunc_end837:
	.size	_ZN7rocprim17ROCPRIM_400000_NS6detail17trampoline_kernelINS0_14default_configENS1_22reduce_config_selectorIjEEZNS1_11reduce_implILb1ES3_N6thrust23THRUST_200600_302600_NS6detail15normal_iteratorINS8_10device_ptrIjEEEEPjj9plus_mod3IjEEE10hipError_tPvRmT1_T2_T3_mT4_P12ihipStream_tbEUlT_E1_NS1_11comp_targetILNS1_3genE9ELNS1_11target_archE1100ELNS1_3gpuE3ELNS1_3repE0EEENS1_30default_config_static_selectorELNS0_4arch9wavefront6targetE1EEEvSK_, .Lfunc_end837-_ZN7rocprim17ROCPRIM_400000_NS6detail17trampoline_kernelINS0_14default_configENS1_22reduce_config_selectorIjEEZNS1_11reduce_implILb1ES3_N6thrust23THRUST_200600_302600_NS6detail15normal_iteratorINS8_10device_ptrIjEEEEPjj9plus_mod3IjEEE10hipError_tPvRmT1_T2_T3_mT4_P12ihipStream_tbEUlT_E1_NS1_11comp_targetILNS1_3genE9ELNS1_11target_archE1100ELNS1_3gpuE3ELNS1_3repE0EEENS1_30default_config_static_selectorELNS0_4arch9wavefront6targetE1EEEvSK_
                                        ; -- End function
	.set _ZN7rocprim17ROCPRIM_400000_NS6detail17trampoline_kernelINS0_14default_configENS1_22reduce_config_selectorIjEEZNS1_11reduce_implILb1ES3_N6thrust23THRUST_200600_302600_NS6detail15normal_iteratorINS8_10device_ptrIjEEEEPjj9plus_mod3IjEEE10hipError_tPvRmT1_T2_T3_mT4_P12ihipStream_tbEUlT_E1_NS1_11comp_targetILNS1_3genE9ELNS1_11target_archE1100ELNS1_3gpuE3ELNS1_3repE0EEENS1_30default_config_static_selectorELNS0_4arch9wavefront6targetE1EEEvSK_.num_vgpr, 0
	.set _ZN7rocprim17ROCPRIM_400000_NS6detail17trampoline_kernelINS0_14default_configENS1_22reduce_config_selectorIjEEZNS1_11reduce_implILb1ES3_N6thrust23THRUST_200600_302600_NS6detail15normal_iteratorINS8_10device_ptrIjEEEEPjj9plus_mod3IjEEE10hipError_tPvRmT1_T2_T3_mT4_P12ihipStream_tbEUlT_E1_NS1_11comp_targetILNS1_3genE9ELNS1_11target_archE1100ELNS1_3gpuE3ELNS1_3repE0EEENS1_30default_config_static_selectorELNS0_4arch9wavefront6targetE1EEEvSK_.num_agpr, 0
	.set _ZN7rocprim17ROCPRIM_400000_NS6detail17trampoline_kernelINS0_14default_configENS1_22reduce_config_selectorIjEEZNS1_11reduce_implILb1ES3_N6thrust23THRUST_200600_302600_NS6detail15normal_iteratorINS8_10device_ptrIjEEEEPjj9plus_mod3IjEEE10hipError_tPvRmT1_T2_T3_mT4_P12ihipStream_tbEUlT_E1_NS1_11comp_targetILNS1_3genE9ELNS1_11target_archE1100ELNS1_3gpuE3ELNS1_3repE0EEENS1_30default_config_static_selectorELNS0_4arch9wavefront6targetE1EEEvSK_.numbered_sgpr, 0
	.set _ZN7rocprim17ROCPRIM_400000_NS6detail17trampoline_kernelINS0_14default_configENS1_22reduce_config_selectorIjEEZNS1_11reduce_implILb1ES3_N6thrust23THRUST_200600_302600_NS6detail15normal_iteratorINS8_10device_ptrIjEEEEPjj9plus_mod3IjEEE10hipError_tPvRmT1_T2_T3_mT4_P12ihipStream_tbEUlT_E1_NS1_11comp_targetILNS1_3genE9ELNS1_11target_archE1100ELNS1_3gpuE3ELNS1_3repE0EEENS1_30default_config_static_selectorELNS0_4arch9wavefront6targetE1EEEvSK_.num_named_barrier, 0
	.set _ZN7rocprim17ROCPRIM_400000_NS6detail17trampoline_kernelINS0_14default_configENS1_22reduce_config_selectorIjEEZNS1_11reduce_implILb1ES3_N6thrust23THRUST_200600_302600_NS6detail15normal_iteratorINS8_10device_ptrIjEEEEPjj9plus_mod3IjEEE10hipError_tPvRmT1_T2_T3_mT4_P12ihipStream_tbEUlT_E1_NS1_11comp_targetILNS1_3genE9ELNS1_11target_archE1100ELNS1_3gpuE3ELNS1_3repE0EEENS1_30default_config_static_selectorELNS0_4arch9wavefront6targetE1EEEvSK_.private_seg_size, 0
	.set _ZN7rocprim17ROCPRIM_400000_NS6detail17trampoline_kernelINS0_14default_configENS1_22reduce_config_selectorIjEEZNS1_11reduce_implILb1ES3_N6thrust23THRUST_200600_302600_NS6detail15normal_iteratorINS8_10device_ptrIjEEEEPjj9plus_mod3IjEEE10hipError_tPvRmT1_T2_T3_mT4_P12ihipStream_tbEUlT_E1_NS1_11comp_targetILNS1_3genE9ELNS1_11target_archE1100ELNS1_3gpuE3ELNS1_3repE0EEENS1_30default_config_static_selectorELNS0_4arch9wavefront6targetE1EEEvSK_.uses_vcc, 0
	.set _ZN7rocprim17ROCPRIM_400000_NS6detail17trampoline_kernelINS0_14default_configENS1_22reduce_config_selectorIjEEZNS1_11reduce_implILb1ES3_N6thrust23THRUST_200600_302600_NS6detail15normal_iteratorINS8_10device_ptrIjEEEEPjj9plus_mod3IjEEE10hipError_tPvRmT1_T2_T3_mT4_P12ihipStream_tbEUlT_E1_NS1_11comp_targetILNS1_3genE9ELNS1_11target_archE1100ELNS1_3gpuE3ELNS1_3repE0EEENS1_30default_config_static_selectorELNS0_4arch9wavefront6targetE1EEEvSK_.uses_flat_scratch, 0
	.set _ZN7rocprim17ROCPRIM_400000_NS6detail17trampoline_kernelINS0_14default_configENS1_22reduce_config_selectorIjEEZNS1_11reduce_implILb1ES3_N6thrust23THRUST_200600_302600_NS6detail15normal_iteratorINS8_10device_ptrIjEEEEPjj9plus_mod3IjEEE10hipError_tPvRmT1_T2_T3_mT4_P12ihipStream_tbEUlT_E1_NS1_11comp_targetILNS1_3genE9ELNS1_11target_archE1100ELNS1_3gpuE3ELNS1_3repE0EEENS1_30default_config_static_selectorELNS0_4arch9wavefront6targetE1EEEvSK_.has_dyn_sized_stack, 0
	.set _ZN7rocprim17ROCPRIM_400000_NS6detail17trampoline_kernelINS0_14default_configENS1_22reduce_config_selectorIjEEZNS1_11reduce_implILb1ES3_N6thrust23THRUST_200600_302600_NS6detail15normal_iteratorINS8_10device_ptrIjEEEEPjj9plus_mod3IjEEE10hipError_tPvRmT1_T2_T3_mT4_P12ihipStream_tbEUlT_E1_NS1_11comp_targetILNS1_3genE9ELNS1_11target_archE1100ELNS1_3gpuE3ELNS1_3repE0EEENS1_30default_config_static_selectorELNS0_4arch9wavefront6targetE1EEEvSK_.has_recursion, 0
	.set _ZN7rocprim17ROCPRIM_400000_NS6detail17trampoline_kernelINS0_14default_configENS1_22reduce_config_selectorIjEEZNS1_11reduce_implILb1ES3_N6thrust23THRUST_200600_302600_NS6detail15normal_iteratorINS8_10device_ptrIjEEEEPjj9plus_mod3IjEEE10hipError_tPvRmT1_T2_T3_mT4_P12ihipStream_tbEUlT_E1_NS1_11comp_targetILNS1_3genE9ELNS1_11target_archE1100ELNS1_3gpuE3ELNS1_3repE0EEENS1_30default_config_static_selectorELNS0_4arch9wavefront6targetE1EEEvSK_.has_indirect_call, 0
	.section	.AMDGPU.csdata,"",@progbits
; Kernel info:
; codeLenInByte = 0
; TotalNumSgprs: 6
; NumVgprs: 0
; NumAgprs: 0
; TotalNumVgprs: 0
; ScratchSize: 0
; MemoryBound: 0
; FloatMode: 240
; IeeeMode: 1
; LDSByteSize: 0 bytes/workgroup (compile time only)
; SGPRBlocks: 0
; VGPRBlocks: 0
; NumSGPRsForWavesPerEU: 6
; NumVGPRsForWavesPerEU: 1
; AccumOffset: 4
; Occupancy: 8
; WaveLimiterHint : 0
; COMPUTE_PGM_RSRC2:SCRATCH_EN: 0
; COMPUTE_PGM_RSRC2:USER_SGPR: 2
; COMPUTE_PGM_RSRC2:TRAP_HANDLER: 0
; COMPUTE_PGM_RSRC2:TGID_X_EN: 1
; COMPUTE_PGM_RSRC2:TGID_Y_EN: 0
; COMPUTE_PGM_RSRC2:TGID_Z_EN: 0
; COMPUTE_PGM_RSRC2:TIDIG_COMP_CNT: 0
; COMPUTE_PGM_RSRC3_GFX90A:ACCUM_OFFSET: 0
; COMPUTE_PGM_RSRC3_GFX90A:TG_SPLIT: 0
	.section	.text._ZN7rocprim17ROCPRIM_400000_NS6detail17trampoline_kernelINS0_14default_configENS1_22reduce_config_selectorIjEEZNS1_11reduce_implILb1ES3_N6thrust23THRUST_200600_302600_NS6detail15normal_iteratorINS8_10device_ptrIjEEEEPjj9plus_mod3IjEEE10hipError_tPvRmT1_T2_T3_mT4_P12ihipStream_tbEUlT_E1_NS1_11comp_targetILNS1_3genE8ELNS1_11target_archE1030ELNS1_3gpuE2ELNS1_3repE0EEENS1_30default_config_static_selectorELNS0_4arch9wavefront6targetE1EEEvSK_,"axG",@progbits,_ZN7rocprim17ROCPRIM_400000_NS6detail17trampoline_kernelINS0_14default_configENS1_22reduce_config_selectorIjEEZNS1_11reduce_implILb1ES3_N6thrust23THRUST_200600_302600_NS6detail15normal_iteratorINS8_10device_ptrIjEEEEPjj9plus_mod3IjEEE10hipError_tPvRmT1_T2_T3_mT4_P12ihipStream_tbEUlT_E1_NS1_11comp_targetILNS1_3genE8ELNS1_11target_archE1030ELNS1_3gpuE2ELNS1_3repE0EEENS1_30default_config_static_selectorELNS0_4arch9wavefront6targetE1EEEvSK_,comdat
	.protected	_ZN7rocprim17ROCPRIM_400000_NS6detail17trampoline_kernelINS0_14default_configENS1_22reduce_config_selectorIjEEZNS1_11reduce_implILb1ES3_N6thrust23THRUST_200600_302600_NS6detail15normal_iteratorINS8_10device_ptrIjEEEEPjj9plus_mod3IjEEE10hipError_tPvRmT1_T2_T3_mT4_P12ihipStream_tbEUlT_E1_NS1_11comp_targetILNS1_3genE8ELNS1_11target_archE1030ELNS1_3gpuE2ELNS1_3repE0EEENS1_30default_config_static_selectorELNS0_4arch9wavefront6targetE1EEEvSK_ ; -- Begin function _ZN7rocprim17ROCPRIM_400000_NS6detail17trampoline_kernelINS0_14default_configENS1_22reduce_config_selectorIjEEZNS1_11reduce_implILb1ES3_N6thrust23THRUST_200600_302600_NS6detail15normal_iteratorINS8_10device_ptrIjEEEEPjj9plus_mod3IjEEE10hipError_tPvRmT1_T2_T3_mT4_P12ihipStream_tbEUlT_E1_NS1_11comp_targetILNS1_3genE8ELNS1_11target_archE1030ELNS1_3gpuE2ELNS1_3repE0EEENS1_30default_config_static_selectorELNS0_4arch9wavefront6targetE1EEEvSK_
	.globl	_ZN7rocprim17ROCPRIM_400000_NS6detail17trampoline_kernelINS0_14default_configENS1_22reduce_config_selectorIjEEZNS1_11reduce_implILb1ES3_N6thrust23THRUST_200600_302600_NS6detail15normal_iteratorINS8_10device_ptrIjEEEEPjj9plus_mod3IjEEE10hipError_tPvRmT1_T2_T3_mT4_P12ihipStream_tbEUlT_E1_NS1_11comp_targetILNS1_3genE8ELNS1_11target_archE1030ELNS1_3gpuE2ELNS1_3repE0EEENS1_30default_config_static_selectorELNS0_4arch9wavefront6targetE1EEEvSK_
	.p2align	8
	.type	_ZN7rocprim17ROCPRIM_400000_NS6detail17trampoline_kernelINS0_14default_configENS1_22reduce_config_selectorIjEEZNS1_11reduce_implILb1ES3_N6thrust23THRUST_200600_302600_NS6detail15normal_iteratorINS8_10device_ptrIjEEEEPjj9plus_mod3IjEEE10hipError_tPvRmT1_T2_T3_mT4_P12ihipStream_tbEUlT_E1_NS1_11comp_targetILNS1_3genE8ELNS1_11target_archE1030ELNS1_3gpuE2ELNS1_3repE0EEENS1_30default_config_static_selectorELNS0_4arch9wavefront6targetE1EEEvSK_,@function
_ZN7rocprim17ROCPRIM_400000_NS6detail17trampoline_kernelINS0_14default_configENS1_22reduce_config_selectorIjEEZNS1_11reduce_implILb1ES3_N6thrust23THRUST_200600_302600_NS6detail15normal_iteratorINS8_10device_ptrIjEEEEPjj9plus_mod3IjEEE10hipError_tPvRmT1_T2_T3_mT4_P12ihipStream_tbEUlT_E1_NS1_11comp_targetILNS1_3genE8ELNS1_11target_archE1030ELNS1_3gpuE2ELNS1_3repE0EEENS1_30default_config_static_selectorELNS0_4arch9wavefront6targetE1EEEvSK_: ; @_ZN7rocprim17ROCPRIM_400000_NS6detail17trampoline_kernelINS0_14default_configENS1_22reduce_config_selectorIjEEZNS1_11reduce_implILb1ES3_N6thrust23THRUST_200600_302600_NS6detail15normal_iteratorINS8_10device_ptrIjEEEEPjj9plus_mod3IjEEE10hipError_tPvRmT1_T2_T3_mT4_P12ihipStream_tbEUlT_E1_NS1_11comp_targetILNS1_3genE8ELNS1_11target_archE1030ELNS1_3gpuE2ELNS1_3repE0EEENS1_30default_config_static_selectorELNS0_4arch9wavefront6targetE1EEEvSK_
; %bb.0:
	.section	.rodata,"a",@progbits
	.p2align	6, 0x0
	.amdhsa_kernel _ZN7rocprim17ROCPRIM_400000_NS6detail17trampoline_kernelINS0_14default_configENS1_22reduce_config_selectorIjEEZNS1_11reduce_implILb1ES3_N6thrust23THRUST_200600_302600_NS6detail15normal_iteratorINS8_10device_ptrIjEEEEPjj9plus_mod3IjEEE10hipError_tPvRmT1_T2_T3_mT4_P12ihipStream_tbEUlT_E1_NS1_11comp_targetILNS1_3genE8ELNS1_11target_archE1030ELNS1_3gpuE2ELNS1_3repE0EEENS1_30default_config_static_selectorELNS0_4arch9wavefront6targetE1EEEvSK_
		.amdhsa_group_segment_fixed_size 0
		.amdhsa_private_segment_fixed_size 0
		.amdhsa_kernarg_size 48
		.amdhsa_user_sgpr_count 2
		.amdhsa_user_sgpr_dispatch_ptr 0
		.amdhsa_user_sgpr_queue_ptr 0
		.amdhsa_user_sgpr_kernarg_segment_ptr 1
		.amdhsa_user_sgpr_dispatch_id 0
		.amdhsa_user_sgpr_kernarg_preload_length 0
		.amdhsa_user_sgpr_kernarg_preload_offset 0
		.amdhsa_user_sgpr_private_segment_size 0
		.amdhsa_uses_dynamic_stack 0
		.amdhsa_enable_private_segment 0
		.amdhsa_system_sgpr_workgroup_id_x 1
		.amdhsa_system_sgpr_workgroup_id_y 0
		.amdhsa_system_sgpr_workgroup_id_z 0
		.amdhsa_system_sgpr_workgroup_info 0
		.amdhsa_system_vgpr_workitem_id 0
		.amdhsa_next_free_vgpr 1
		.amdhsa_next_free_sgpr 0
		.amdhsa_accum_offset 4
		.amdhsa_reserve_vcc 0
		.amdhsa_float_round_mode_32 0
		.amdhsa_float_round_mode_16_64 0
		.amdhsa_float_denorm_mode_32 3
		.amdhsa_float_denorm_mode_16_64 3
		.amdhsa_dx10_clamp 1
		.amdhsa_ieee_mode 1
		.amdhsa_fp16_overflow 0
		.amdhsa_tg_split 0
		.amdhsa_exception_fp_ieee_invalid_op 0
		.amdhsa_exception_fp_denorm_src 0
		.amdhsa_exception_fp_ieee_div_zero 0
		.amdhsa_exception_fp_ieee_overflow 0
		.amdhsa_exception_fp_ieee_underflow 0
		.amdhsa_exception_fp_ieee_inexact 0
		.amdhsa_exception_int_div_zero 0
	.end_amdhsa_kernel
	.section	.text._ZN7rocprim17ROCPRIM_400000_NS6detail17trampoline_kernelINS0_14default_configENS1_22reduce_config_selectorIjEEZNS1_11reduce_implILb1ES3_N6thrust23THRUST_200600_302600_NS6detail15normal_iteratorINS8_10device_ptrIjEEEEPjj9plus_mod3IjEEE10hipError_tPvRmT1_T2_T3_mT4_P12ihipStream_tbEUlT_E1_NS1_11comp_targetILNS1_3genE8ELNS1_11target_archE1030ELNS1_3gpuE2ELNS1_3repE0EEENS1_30default_config_static_selectorELNS0_4arch9wavefront6targetE1EEEvSK_,"axG",@progbits,_ZN7rocprim17ROCPRIM_400000_NS6detail17trampoline_kernelINS0_14default_configENS1_22reduce_config_selectorIjEEZNS1_11reduce_implILb1ES3_N6thrust23THRUST_200600_302600_NS6detail15normal_iteratorINS8_10device_ptrIjEEEEPjj9plus_mod3IjEEE10hipError_tPvRmT1_T2_T3_mT4_P12ihipStream_tbEUlT_E1_NS1_11comp_targetILNS1_3genE8ELNS1_11target_archE1030ELNS1_3gpuE2ELNS1_3repE0EEENS1_30default_config_static_selectorELNS0_4arch9wavefront6targetE1EEEvSK_,comdat
.Lfunc_end838:
	.size	_ZN7rocprim17ROCPRIM_400000_NS6detail17trampoline_kernelINS0_14default_configENS1_22reduce_config_selectorIjEEZNS1_11reduce_implILb1ES3_N6thrust23THRUST_200600_302600_NS6detail15normal_iteratorINS8_10device_ptrIjEEEEPjj9plus_mod3IjEEE10hipError_tPvRmT1_T2_T3_mT4_P12ihipStream_tbEUlT_E1_NS1_11comp_targetILNS1_3genE8ELNS1_11target_archE1030ELNS1_3gpuE2ELNS1_3repE0EEENS1_30default_config_static_selectorELNS0_4arch9wavefront6targetE1EEEvSK_, .Lfunc_end838-_ZN7rocprim17ROCPRIM_400000_NS6detail17trampoline_kernelINS0_14default_configENS1_22reduce_config_selectorIjEEZNS1_11reduce_implILb1ES3_N6thrust23THRUST_200600_302600_NS6detail15normal_iteratorINS8_10device_ptrIjEEEEPjj9plus_mod3IjEEE10hipError_tPvRmT1_T2_T3_mT4_P12ihipStream_tbEUlT_E1_NS1_11comp_targetILNS1_3genE8ELNS1_11target_archE1030ELNS1_3gpuE2ELNS1_3repE0EEENS1_30default_config_static_selectorELNS0_4arch9wavefront6targetE1EEEvSK_
                                        ; -- End function
	.set _ZN7rocprim17ROCPRIM_400000_NS6detail17trampoline_kernelINS0_14default_configENS1_22reduce_config_selectorIjEEZNS1_11reduce_implILb1ES3_N6thrust23THRUST_200600_302600_NS6detail15normal_iteratorINS8_10device_ptrIjEEEEPjj9plus_mod3IjEEE10hipError_tPvRmT1_T2_T3_mT4_P12ihipStream_tbEUlT_E1_NS1_11comp_targetILNS1_3genE8ELNS1_11target_archE1030ELNS1_3gpuE2ELNS1_3repE0EEENS1_30default_config_static_selectorELNS0_4arch9wavefront6targetE1EEEvSK_.num_vgpr, 0
	.set _ZN7rocprim17ROCPRIM_400000_NS6detail17trampoline_kernelINS0_14default_configENS1_22reduce_config_selectorIjEEZNS1_11reduce_implILb1ES3_N6thrust23THRUST_200600_302600_NS6detail15normal_iteratorINS8_10device_ptrIjEEEEPjj9plus_mod3IjEEE10hipError_tPvRmT1_T2_T3_mT4_P12ihipStream_tbEUlT_E1_NS1_11comp_targetILNS1_3genE8ELNS1_11target_archE1030ELNS1_3gpuE2ELNS1_3repE0EEENS1_30default_config_static_selectorELNS0_4arch9wavefront6targetE1EEEvSK_.num_agpr, 0
	.set _ZN7rocprim17ROCPRIM_400000_NS6detail17trampoline_kernelINS0_14default_configENS1_22reduce_config_selectorIjEEZNS1_11reduce_implILb1ES3_N6thrust23THRUST_200600_302600_NS6detail15normal_iteratorINS8_10device_ptrIjEEEEPjj9plus_mod3IjEEE10hipError_tPvRmT1_T2_T3_mT4_P12ihipStream_tbEUlT_E1_NS1_11comp_targetILNS1_3genE8ELNS1_11target_archE1030ELNS1_3gpuE2ELNS1_3repE0EEENS1_30default_config_static_selectorELNS0_4arch9wavefront6targetE1EEEvSK_.numbered_sgpr, 0
	.set _ZN7rocprim17ROCPRIM_400000_NS6detail17trampoline_kernelINS0_14default_configENS1_22reduce_config_selectorIjEEZNS1_11reduce_implILb1ES3_N6thrust23THRUST_200600_302600_NS6detail15normal_iteratorINS8_10device_ptrIjEEEEPjj9plus_mod3IjEEE10hipError_tPvRmT1_T2_T3_mT4_P12ihipStream_tbEUlT_E1_NS1_11comp_targetILNS1_3genE8ELNS1_11target_archE1030ELNS1_3gpuE2ELNS1_3repE0EEENS1_30default_config_static_selectorELNS0_4arch9wavefront6targetE1EEEvSK_.num_named_barrier, 0
	.set _ZN7rocprim17ROCPRIM_400000_NS6detail17trampoline_kernelINS0_14default_configENS1_22reduce_config_selectorIjEEZNS1_11reduce_implILb1ES3_N6thrust23THRUST_200600_302600_NS6detail15normal_iteratorINS8_10device_ptrIjEEEEPjj9plus_mod3IjEEE10hipError_tPvRmT1_T2_T3_mT4_P12ihipStream_tbEUlT_E1_NS1_11comp_targetILNS1_3genE8ELNS1_11target_archE1030ELNS1_3gpuE2ELNS1_3repE0EEENS1_30default_config_static_selectorELNS0_4arch9wavefront6targetE1EEEvSK_.private_seg_size, 0
	.set _ZN7rocprim17ROCPRIM_400000_NS6detail17trampoline_kernelINS0_14default_configENS1_22reduce_config_selectorIjEEZNS1_11reduce_implILb1ES3_N6thrust23THRUST_200600_302600_NS6detail15normal_iteratorINS8_10device_ptrIjEEEEPjj9plus_mod3IjEEE10hipError_tPvRmT1_T2_T3_mT4_P12ihipStream_tbEUlT_E1_NS1_11comp_targetILNS1_3genE8ELNS1_11target_archE1030ELNS1_3gpuE2ELNS1_3repE0EEENS1_30default_config_static_selectorELNS0_4arch9wavefront6targetE1EEEvSK_.uses_vcc, 0
	.set _ZN7rocprim17ROCPRIM_400000_NS6detail17trampoline_kernelINS0_14default_configENS1_22reduce_config_selectorIjEEZNS1_11reduce_implILb1ES3_N6thrust23THRUST_200600_302600_NS6detail15normal_iteratorINS8_10device_ptrIjEEEEPjj9plus_mod3IjEEE10hipError_tPvRmT1_T2_T3_mT4_P12ihipStream_tbEUlT_E1_NS1_11comp_targetILNS1_3genE8ELNS1_11target_archE1030ELNS1_3gpuE2ELNS1_3repE0EEENS1_30default_config_static_selectorELNS0_4arch9wavefront6targetE1EEEvSK_.uses_flat_scratch, 0
	.set _ZN7rocprim17ROCPRIM_400000_NS6detail17trampoline_kernelINS0_14default_configENS1_22reduce_config_selectorIjEEZNS1_11reduce_implILb1ES3_N6thrust23THRUST_200600_302600_NS6detail15normal_iteratorINS8_10device_ptrIjEEEEPjj9plus_mod3IjEEE10hipError_tPvRmT1_T2_T3_mT4_P12ihipStream_tbEUlT_E1_NS1_11comp_targetILNS1_3genE8ELNS1_11target_archE1030ELNS1_3gpuE2ELNS1_3repE0EEENS1_30default_config_static_selectorELNS0_4arch9wavefront6targetE1EEEvSK_.has_dyn_sized_stack, 0
	.set _ZN7rocprim17ROCPRIM_400000_NS6detail17trampoline_kernelINS0_14default_configENS1_22reduce_config_selectorIjEEZNS1_11reduce_implILb1ES3_N6thrust23THRUST_200600_302600_NS6detail15normal_iteratorINS8_10device_ptrIjEEEEPjj9plus_mod3IjEEE10hipError_tPvRmT1_T2_T3_mT4_P12ihipStream_tbEUlT_E1_NS1_11comp_targetILNS1_3genE8ELNS1_11target_archE1030ELNS1_3gpuE2ELNS1_3repE0EEENS1_30default_config_static_selectorELNS0_4arch9wavefront6targetE1EEEvSK_.has_recursion, 0
	.set _ZN7rocprim17ROCPRIM_400000_NS6detail17trampoline_kernelINS0_14default_configENS1_22reduce_config_selectorIjEEZNS1_11reduce_implILb1ES3_N6thrust23THRUST_200600_302600_NS6detail15normal_iteratorINS8_10device_ptrIjEEEEPjj9plus_mod3IjEEE10hipError_tPvRmT1_T2_T3_mT4_P12ihipStream_tbEUlT_E1_NS1_11comp_targetILNS1_3genE8ELNS1_11target_archE1030ELNS1_3gpuE2ELNS1_3repE0EEENS1_30default_config_static_selectorELNS0_4arch9wavefront6targetE1EEEvSK_.has_indirect_call, 0
	.section	.AMDGPU.csdata,"",@progbits
; Kernel info:
; codeLenInByte = 0
; TotalNumSgprs: 6
; NumVgprs: 0
; NumAgprs: 0
; TotalNumVgprs: 0
; ScratchSize: 0
; MemoryBound: 0
; FloatMode: 240
; IeeeMode: 1
; LDSByteSize: 0 bytes/workgroup (compile time only)
; SGPRBlocks: 0
; VGPRBlocks: 0
; NumSGPRsForWavesPerEU: 6
; NumVGPRsForWavesPerEU: 1
; AccumOffset: 4
; Occupancy: 8
; WaveLimiterHint : 0
; COMPUTE_PGM_RSRC2:SCRATCH_EN: 0
; COMPUTE_PGM_RSRC2:USER_SGPR: 2
; COMPUTE_PGM_RSRC2:TRAP_HANDLER: 0
; COMPUTE_PGM_RSRC2:TGID_X_EN: 1
; COMPUTE_PGM_RSRC2:TGID_Y_EN: 0
; COMPUTE_PGM_RSRC2:TGID_Z_EN: 0
; COMPUTE_PGM_RSRC2:TIDIG_COMP_CNT: 0
; COMPUTE_PGM_RSRC3_GFX90A:ACCUM_OFFSET: 0
; COMPUTE_PGM_RSRC3_GFX90A:TG_SPLIT: 0
	.section	.text._ZN7rocprim17ROCPRIM_400000_NS6detail17trampoline_kernelINS0_14default_configENS1_22reduce_config_selectorItEEZNS1_11reduce_implILb1ES3_PtS7_t9plus_mod3ItEEE10hipError_tPvRmT1_T2_T3_mT4_P12ihipStream_tbEUlT_E0_NS1_11comp_targetILNS1_3genE0ELNS1_11target_archE4294967295ELNS1_3gpuE0ELNS1_3repE0EEENS1_30default_config_static_selectorELNS0_4arch9wavefront6targetE1EEEvSD_,"axG",@progbits,_ZN7rocprim17ROCPRIM_400000_NS6detail17trampoline_kernelINS0_14default_configENS1_22reduce_config_selectorItEEZNS1_11reduce_implILb1ES3_PtS7_t9plus_mod3ItEEE10hipError_tPvRmT1_T2_T3_mT4_P12ihipStream_tbEUlT_E0_NS1_11comp_targetILNS1_3genE0ELNS1_11target_archE4294967295ELNS1_3gpuE0ELNS1_3repE0EEENS1_30default_config_static_selectorELNS0_4arch9wavefront6targetE1EEEvSD_,comdat
	.protected	_ZN7rocprim17ROCPRIM_400000_NS6detail17trampoline_kernelINS0_14default_configENS1_22reduce_config_selectorItEEZNS1_11reduce_implILb1ES3_PtS7_t9plus_mod3ItEEE10hipError_tPvRmT1_T2_T3_mT4_P12ihipStream_tbEUlT_E0_NS1_11comp_targetILNS1_3genE0ELNS1_11target_archE4294967295ELNS1_3gpuE0ELNS1_3repE0EEENS1_30default_config_static_selectorELNS0_4arch9wavefront6targetE1EEEvSD_ ; -- Begin function _ZN7rocprim17ROCPRIM_400000_NS6detail17trampoline_kernelINS0_14default_configENS1_22reduce_config_selectorItEEZNS1_11reduce_implILb1ES3_PtS7_t9plus_mod3ItEEE10hipError_tPvRmT1_T2_T3_mT4_P12ihipStream_tbEUlT_E0_NS1_11comp_targetILNS1_3genE0ELNS1_11target_archE4294967295ELNS1_3gpuE0ELNS1_3repE0EEENS1_30default_config_static_selectorELNS0_4arch9wavefront6targetE1EEEvSD_
	.globl	_ZN7rocprim17ROCPRIM_400000_NS6detail17trampoline_kernelINS0_14default_configENS1_22reduce_config_selectorItEEZNS1_11reduce_implILb1ES3_PtS7_t9plus_mod3ItEEE10hipError_tPvRmT1_T2_T3_mT4_P12ihipStream_tbEUlT_E0_NS1_11comp_targetILNS1_3genE0ELNS1_11target_archE4294967295ELNS1_3gpuE0ELNS1_3repE0EEENS1_30default_config_static_selectorELNS0_4arch9wavefront6targetE1EEEvSD_
	.p2align	8
	.type	_ZN7rocprim17ROCPRIM_400000_NS6detail17trampoline_kernelINS0_14default_configENS1_22reduce_config_selectorItEEZNS1_11reduce_implILb1ES3_PtS7_t9plus_mod3ItEEE10hipError_tPvRmT1_T2_T3_mT4_P12ihipStream_tbEUlT_E0_NS1_11comp_targetILNS1_3genE0ELNS1_11target_archE4294967295ELNS1_3gpuE0ELNS1_3repE0EEENS1_30default_config_static_selectorELNS0_4arch9wavefront6targetE1EEEvSD_,@function
_ZN7rocprim17ROCPRIM_400000_NS6detail17trampoline_kernelINS0_14default_configENS1_22reduce_config_selectorItEEZNS1_11reduce_implILb1ES3_PtS7_t9plus_mod3ItEEE10hipError_tPvRmT1_T2_T3_mT4_P12ihipStream_tbEUlT_E0_NS1_11comp_targetILNS1_3genE0ELNS1_11target_archE4294967295ELNS1_3gpuE0ELNS1_3repE0EEENS1_30default_config_static_selectorELNS0_4arch9wavefront6targetE1EEEvSD_: ; @_ZN7rocprim17ROCPRIM_400000_NS6detail17trampoline_kernelINS0_14default_configENS1_22reduce_config_selectorItEEZNS1_11reduce_implILb1ES3_PtS7_t9plus_mod3ItEEE10hipError_tPvRmT1_T2_T3_mT4_P12ihipStream_tbEUlT_E0_NS1_11comp_targetILNS1_3genE0ELNS1_11target_archE4294967295ELNS1_3gpuE0ELNS1_3repE0EEENS1_30default_config_static_selectorELNS0_4arch9wavefront6targetE1EEEvSD_
; %bb.0:
	s_load_dwordx8 s[12:19], s[0:1], 0x0
	s_load_dwordx4 s[20:23], s[0:1], 0x20
	s_load_dwordx2 s[24:25], s[0:1], 0x38
	v_lshlrev_b32_e32 v6, 1, v0
	v_mbcnt_lo_u32_b32 v1, -1, 0
	s_waitcnt lgkmcnt(0)
	s_lshl_b64 s[4:5], s[14:15], 1
	s_add_u32 s10, s12, s4
	s_addc_u32 s11, s13, s5
	s_lshl_b32 s4, s2, 10
	s_mov_b32 s5, 0
	s_lshr_b64 s[6:7], s[16:17], 10
	s_lshl_b64 s[8:9], s[4:5], 1
	s_add_u32 s14, s10, s8
	s_mov_b32 s3, s5
	s_addc_u32 s15, s11, s9
	s_cmp_lg_u64 s[6:7], s[2:3]
	s_cbranch_scc0 .LBB839_6
; %bb.1:
	global_load_ushort v2, v6, s[14:15]
	global_load_ushort v7, v6, s[14:15] offset:256
	global_load_ushort v8, v6, s[14:15] offset:512
	;; [unrolled: 1-line block ×7, first 2 shown]
	v_mov_b32_e32 v3, 0
	s_waitcnt vmcnt(7)
	v_lshlrev_b32_e32 v2, 1, v2
	v_lshl_add_u64 v[4:5], s[24:25], 0, v[2:3]
	s_waitcnt vmcnt(6)
	v_lshlrev_b32_e32 v2, 1, v7
	v_lshl_add_u64 v[4:5], v[4:5], 0, v[2:3]
	global_load_ushort v2, v[4:5], off
	s_waitcnt vmcnt(0)
	v_lshlrev_b32_e32 v2, 1, v2
	v_lshl_add_u64 v[4:5], s[24:25], 0, v[2:3]
	v_lshlrev_b32_e32 v2, 1, v8
	v_lshl_add_u64 v[4:5], v[4:5], 0, v[2:3]
	global_load_ushort v2, v[4:5], off
	v_mov_b32_e32 v8, 1
	s_waitcnt vmcnt(0)
	v_lshlrev_b32_e32 v2, 1, v2
	v_lshl_add_u64 v[4:5], s[24:25], 0, v[2:3]
	v_lshlrev_b32_e32 v2, 1, v9
	v_lshl_add_u64 v[4:5], v[4:5], 0, v[2:3]
	global_load_ushort v2, v[4:5], off
	s_waitcnt vmcnt(0)
	v_lshlrev_b32_e32 v2, 1, v2
	v_lshl_add_u64 v[4:5], s[24:25], 0, v[2:3]
	v_lshlrev_b32_e32 v2, 1, v10
	v_lshl_add_u64 v[4:5], v[4:5], 0, v[2:3]
	global_load_ushort v2, v[4:5], off
	;; [unrolled: 6-line block ×5, first 2 shown]
	s_waitcnt vmcnt(0)
	s_nop 0
	v_mov_b32_dpp v2, v7 quad_perm:[1,0,3,2] row_mask:0xf bank_mask:0xf bound_ctrl:1
	v_lshlrev_b32_sdwa v2, v8, v2 dst_sel:DWORD dst_unused:UNUSED_PAD src0_sel:DWORD src1_sel:WORD_0
	v_lshl_add_u64 v[4:5], s[24:25], 0, v[2:3]
	v_lshlrev_b32_e32 v2, 1, v7
	v_lshl_add_u64 v[4:5], v[4:5], 0, v[2:3]
	global_load_ushort v7, v[4:5], off
	s_waitcnt vmcnt(0)
	s_nop 0
	v_mov_b32_dpp v2, v7 quad_perm:[2,3,0,1] row_mask:0xf bank_mask:0xf bound_ctrl:1
	v_lshlrev_b32_sdwa v2, v8, v2 dst_sel:DWORD dst_unused:UNUSED_PAD src0_sel:DWORD src1_sel:WORD_0
	v_lshl_add_u64 v[4:5], s[24:25], 0, v[2:3]
	v_lshlrev_b32_e32 v2, 1, v7
	v_lshl_add_u64 v[4:5], v[4:5], 0, v[2:3]
	global_load_ushort v7, v[4:5], off
	s_waitcnt vmcnt(0)
	s_nop 0
	v_mov_b32_dpp v2, v7 row_ror:4 row_mask:0xf bank_mask:0xf bound_ctrl:1
	v_lshlrev_b32_sdwa v2, v8, v2 dst_sel:DWORD dst_unused:UNUSED_PAD src0_sel:DWORD src1_sel:WORD_0
	v_lshl_add_u64 v[4:5], s[24:25], 0, v[2:3]
	v_lshlrev_b32_e32 v2, 1, v7
	v_lshl_add_u64 v[4:5], v[4:5], 0, v[2:3]
	global_load_ushort v7, v[4:5], off
	s_waitcnt vmcnt(0)
	s_nop 0
	v_mov_b32_dpp v2, v7 row_ror:8 row_mask:0xf bank_mask:0xf bound_ctrl:1
	v_lshlrev_b32_sdwa v2, v8, v2 dst_sel:DWORD dst_unused:UNUSED_PAD src0_sel:DWORD src1_sel:WORD_0
	v_lshl_add_u64 v[4:5], s[24:25], 0, v[2:3]
	v_lshlrev_b32_e32 v2, 1, v7
	v_lshl_add_u64 v[4:5], v[4:5], 0, v[2:3]
	global_load_ushort v7, v[4:5], off
	s_waitcnt vmcnt(0)
	s_nop 0
	v_mov_b32_dpp v2, v7 row_bcast:15 row_mask:0xf bank_mask:0xf bound_ctrl:1
	v_lshlrev_b32_sdwa v2, v8, v2 dst_sel:DWORD dst_unused:UNUSED_PAD src0_sel:DWORD src1_sel:WORD_0
	v_lshl_add_u64 v[4:5], s[24:25], 0, v[2:3]
	v_lshlrev_b32_e32 v2, 1, v7
	v_lshl_add_u64 v[4:5], v[4:5], 0, v[2:3]
	global_load_ushort v7, v[4:5], off
	s_waitcnt vmcnt(0)
	s_nop 0
	v_mov_b32_dpp v2, v7 row_bcast:31 row_mask:0xf bank_mask:0xf bound_ctrl:1
	v_lshlrev_b32_sdwa v2, v8, v2 dst_sel:DWORD dst_unused:UNUSED_PAD src0_sel:DWORD src1_sel:WORD_0
	v_lshl_add_u64 v[4:5], s[24:25], 0, v[2:3]
	v_lshlrev_b32_e32 v2, 1, v7
	v_lshl_add_u64 v[2:3], v[4:5], 0, v[2:3]
	global_load_ushort v2, v[2:3], off
	v_mbcnt_hi_u32_b32 v4, -1, v1
	v_lshlrev_b32_e32 v3, 2, v4
	v_or_b32_e32 v5, 0xfc, v3
	v_cmp_eq_u32_e32 vcc, 0, v4
	s_waitcnt vmcnt(0)
	ds_bpermute_b32 v2, v5, v2
	s_and_saveexec_b64 s[6:7], vcc
	s_cbranch_execz .LBB839_3
; %bb.2:
	v_lshrrev_b32_e32 v5, 5, v0
	v_and_b32_e32 v5, 2, v5
	s_waitcnt lgkmcnt(0)
	ds_write_b16 v5, v2 offset:4
.LBB839_3:
	s_or_b64 exec, exec, s[6:7]
	v_cmp_gt_u32_e32 vcc, 64, v0
	s_waitcnt lgkmcnt(0)
	s_barrier
	s_and_saveexec_b64 s[6:7], vcc
	s_cbranch_execz .LBB839_5
; %bb.4:
	v_and_b32_e32 v2, 1, v4
	v_lshlrev_b32_e32 v2, 1, v2
	ds_read_u16 v2, v2 offset:4
	v_or_b32_e32 v3, 4, v3
	s_waitcnt lgkmcnt(0)
	ds_bpermute_b32 v7, v3, v2
	v_lshlrev_b32_e32 v2, 1, v2
	v_mov_b32_e32 v3, 0
	v_lshl_add_u64 v[4:5], s[24:25], 0, v[2:3]
	v_mov_b32_e32 v2, 1
	s_waitcnt lgkmcnt(0)
	v_lshlrev_b32_sdwa v2, v2, v7 dst_sel:DWORD dst_unused:UNUSED_PAD src0_sel:DWORD src1_sel:WORD_0
	v_lshl_add_u64 v[2:3], v[4:5], 0, v[2:3]
	global_load_ushort v2, v[2:3], off
.LBB839_5:
	s_or_b64 exec, exec, s[6:7]
	s_load_dword s28, s[0:1], 0x30
	s_branch .LBB839_49
.LBB839_6:
                                        ; implicit-def: $vgpr2
	s_load_dword s28, s[0:1], 0x30
	s_cbranch_execz .LBB839_49
; %bb.7:
	s_sub_i32 s29, s16, s4
	s_waitcnt vmcnt(0)
	v_mov_b32_e32 v2, 0
	v_cmp_gt_u32_e32 vcc, s29, v0
	v_mov_b32_e32 v3, v2
	v_mov_b32_e32 v4, v2
	;; [unrolled: 1-line block ×3, first 2 shown]
	s_and_saveexec_b64 s[0:1], vcc
	s_cbranch_execz .LBB839_9
; %bb.8:
	global_load_ushort v3, v6, s[14:15]
	v_mov_b32_e32 v9, v2
	v_mov_b32_e32 v10, v2
	v_mov_b32_e32 v11, v2
	s_waitcnt vmcnt(0)
	v_and_b32_e32 v8, 0xffff, v3
	v_mov_b64_e32 v[2:3], v[8:9]
	v_mov_b64_e32 v[4:5], v[10:11]
.LBB839_9:
	s_or_b64 exec, exec, s[0:1]
	v_or_b32_e32 v7, 0x80, v0
	v_cmp_gt_u32_e64 s[12:13], s29, v7
	s_and_saveexec_b64 s[0:1], s[12:13]
	s_cbranch_execz .LBB839_11
; %bb.10:
	global_load_ushort v7, v6, s[14:15] offset:256
	s_mov_b32 s4, 0x5040100
	s_waitcnt vmcnt(0)
	v_perm_b32 v2, v7, v2, s4
.LBB839_11:
	s_or_b64 exec, exec, s[0:1]
	v_or_b32_e32 v7, 0x100, v0
	v_cmp_gt_u32_e64 s[10:11], s29, v7
	s_and_saveexec_b64 s[0:1], s[10:11]
	s_cbranch_execz .LBB839_13
; %bb.12:
	global_load_ushort v7, v6, s[14:15] offset:512
	s_mov_b32 s4, 0xffff
	s_waitcnt vmcnt(0)
	v_bfi_b32 v3, s4, v7, v3
.LBB839_13:
	s_or_b64 exec, exec, s[0:1]
	v_or_b32_e32 v7, 0x180, v0
	v_cmp_gt_u32_e64 s[8:9], s29, v7
	s_and_saveexec_b64 s[0:1], s[8:9]
	s_cbranch_execz .LBB839_15
; %bb.14:
	global_load_ushort v7, v6, s[14:15] offset:768
	s_mov_b32 s4, 0x5040100
	s_waitcnt vmcnt(0)
	v_perm_b32 v3, v7, v3, s4
.LBB839_15:
	s_or_b64 exec, exec, s[0:1]
	v_or_b32_e32 v7, 0x200, v0
	v_cmp_gt_u32_e64 s[6:7], s29, v7
	s_and_saveexec_b64 s[0:1], s[6:7]
	s_cbranch_execz .LBB839_17
; %bb.16:
	global_load_ushort v7, v6, s[14:15] offset:1024
	s_mov_b32 s4, 0xffff
	s_waitcnt vmcnt(0)
	v_bfi_b32 v4, s4, v7, v4
.LBB839_17:
	;; [unrolled: 22-line block ×3, first 2 shown]
	s_or_b64 exec, exec, s[26:27]
	v_or_b32_e32 v7, 0x380, v0
	v_cmp_gt_u32_e32 vcc, s29, v7
	s_and_saveexec_b64 s[26:27], vcc
	s_cbranch_execnz .LBB839_52
; %bb.22:
	s_or_b64 exec, exec, s[26:27]
	s_and_saveexec_b64 s[14:15], s[12:13]
	s_cbranch_execnz .LBB839_53
.LBB839_23:
	s_or_b64 exec, exec, s[14:15]
	s_and_saveexec_b64 s[12:13], s[10:11]
	s_cbranch_execnz .LBB839_54
.LBB839_24:
	s_or_b64 exec, exec, s[12:13]
	s_and_saveexec_b64 s[10:11], s[8:9]
	s_cbranch_execnz .LBB839_55
.LBB839_25:
	s_or_b64 exec, exec, s[10:11]
	s_and_saveexec_b64 s[8:9], s[6:7]
	s_cbranch_execnz .LBB839_56
.LBB839_26:
	s_or_b64 exec, exec, s[8:9]
	s_and_saveexec_b64 s[6:7], s[4:5]
	s_cbranch_execnz .LBB839_57
.LBB839_27:
	s_or_b64 exec, exec, s[6:7]
	s_and_saveexec_b64 s[4:5], s[0:1]
	s_cbranch_execnz .LBB839_58
.LBB839_28:
	s_or_b64 exec, exec, s[4:5]
	s_and_saveexec_b64 s[0:1], vcc
	s_cbranch_execz .LBB839_30
.LBB839_29:
	v_mov_b32_e32 v4, 1
	s_waitcnt vmcnt(0)
	v_lshlrev_b32_sdwa v2, v4, v2 dst_sel:DWORD dst_unused:UNUSED_PAD src0_sel:DWORD src1_sel:WORD_0
	v_mov_b32_e32 v3, 0
	v_lshl_add_u64 v[6:7], s[24:25], 0, v[2:3]
	v_lshlrev_b32_sdwa v2, v4, v5 dst_sel:DWORD dst_unused:UNUSED_PAD src0_sel:DWORD src1_sel:WORD_1
	v_lshl_add_u64 v[2:3], v[6:7], 0, v[2:3]
	global_load_ushort v2, v[2:3], off
.LBB839_30:
	s_or_b64 exec, exec, s[0:1]
	v_mbcnt_hi_u32_b32 v1, -1, v1
	v_and_b32_e32 v3, 63, v1
	v_cmp_ne_u32_e32 vcc, 63, v3
	s_waitcnt vmcnt(0)
	v_and_b32_e32 v5, 0xffff, v2
	s_min_u32 s4, s29, 0x80
	v_addc_co_u32_e32 v4, vcc, 0, v1, vcc
	v_lshlrev_b32_e32 v4, 2, v4
	ds_bpermute_b32 v6, v4, v5
	v_and_b32_e32 v4, 64, v0
	v_sub_u32_e64 v4, s4, v4 clamp
	v_add_u32_e32 v7, 1, v3
	v_cmp_lt_u32_e32 vcc, v7, v4
	s_and_saveexec_b64 s[0:1], vcc
	s_xor_b64 s[0:1], exec, s[0:1]
	s_cbranch_execz .LBB839_32
; %bb.31:
	v_mov_b32_e32 v5, 1
	v_lshlrev_b32_sdwa v8, v5, v2 dst_sel:DWORD dst_unused:UNUSED_PAD src0_sel:DWORD src1_sel:WORD_0
	v_mov_b32_e32 v9, 0
	v_lshl_add_u64 v[10:11], s[24:25], 0, v[8:9]
	s_waitcnt lgkmcnt(0)
	v_lshlrev_b32_sdwa v8, v5, v6 dst_sel:DWORD dst_unused:UNUSED_PAD src0_sel:DWORD src1_sel:WORD_0
	v_lshl_add_u64 v[6:7], v[10:11], 0, v[8:9]
	global_load_ushort v2, v[6:7], off
	s_waitcnt vmcnt(0)
	v_and_b32_e32 v5, 0xffff, v2
.LBB839_32:
	s_or_b64 exec, exec, s[0:1]
	v_cmp_gt_u32_e32 vcc, 62, v3
	v_add_u32_e32 v7, 2, v3
	s_waitcnt lgkmcnt(0)
	v_cndmask_b32_e64 v6, 0, 2, vcc
	v_add_lshl_u32 v6, v6, v1, 2
	ds_bpermute_b32 v6, v6, v5
	v_cmp_lt_u32_e32 vcc, v7, v4
	s_and_saveexec_b64 s[0:1], vcc
	s_cbranch_execz .LBB839_34
; %bb.33:
	v_mov_b32_e32 v5, 1
	v_lshlrev_b32_sdwa v8, v5, v2 dst_sel:DWORD dst_unused:UNUSED_PAD src0_sel:DWORD src1_sel:WORD_0
	v_mov_b32_e32 v9, 0
	v_lshl_add_u64 v[10:11], s[24:25], 0, v[8:9]
	s_waitcnt lgkmcnt(0)
	v_lshlrev_b32_sdwa v8, v5, v6 dst_sel:DWORD dst_unused:UNUSED_PAD src0_sel:DWORD src1_sel:WORD_0
	v_lshl_add_u64 v[6:7], v[10:11], 0, v[8:9]
	global_load_ushort v2, v[6:7], off
	s_waitcnt vmcnt(0)
	v_and_b32_e32 v5, 0xffff, v2
.LBB839_34:
	s_or_b64 exec, exec, s[0:1]
	v_cmp_gt_u32_e32 vcc, 60, v3
	v_add_u32_e32 v7, 4, v3
	s_waitcnt lgkmcnt(0)
	v_cndmask_b32_e64 v6, 0, 4, vcc
	v_add_lshl_u32 v6, v6, v1, 2
	ds_bpermute_b32 v6, v6, v5
	v_cmp_lt_u32_e32 vcc, v7, v4
	s_and_saveexec_b64 s[0:1], vcc
	;; [unrolled: 22-line block ×4, first 2 shown]
	s_cbranch_execz .LBB839_40
; %bb.39:
	v_mov_b32_e32 v5, 1
	v_lshlrev_b32_sdwa v8, v5, v2 dst_sel:DWORD dst_unused:UNUSED_PAD src0_sel:DWORD src1_sel:WORD_0
	v_mov_b32_e32 v9, 0
	v_lshl_add_u64 v[10:11], s[24:25], 0, v[8:9]
	s_waitcnt lgkmcnt(0)
	v_lshlrev_b32_sdwa v8, v5, v6 dst_sel:DWORD dst_unused:UNUSED_PAD src0_sel:DWORD src1_sel:WORD_0
	v_lshl_add_u64 v[6:7], v[10:11], 0, v[8:9]
	global_load_ushort v2, v[6:7], off
	s_waitcnt vmcnt(0)
	v_and_b32_e32 v5, 0xffff, v2
.LBB839_40:
	s_or_b64 exec, exec, s[0:1]
	s_waitcnt lgkmcnt(0)
	v_lshlrev_b32_e32 v6, 2, v1
	v_or_b32_e32 v7, 0x80, v6
	ds_bpermute_b32 v5, v7, v5
	v_add_u32_e32 v3, 32, v3
	v_cmp_lt_u32_e32 vcc, v3, v4
	s_and_saveexec_b64 s[0:1], vcc
	s_cbranch_execz .LBB839_42
; %bb.41:
	v_mov_b32_e32 v4, 1
	v_lshlrev_b32_sdwa v2, v4, v2 dst_sel:DWORD dst_unused:UNUSED_PAD src0_sel:DWORD src1_sel:WORD_0
	v_mov_b32_e32 v3, 0
	v_lshl_add_u64 v[8:9], s[24:25], 0, v[2:3]
	s_waitcnt lgkmcnt(0)
	v_lshlrev_b32_sdwa v2, v4, v5 dst_sel:DWORD dst_unused:UNUSED_PAD src0_sel:DWORD src1_sel:WORD_0
	v_lshl_add_u64 v[2:3], v[8:9], 0, v[2:3]
	global_load_ushort v2, v[2:3], off
.LBB839_42:
	s_or_b64 exec, exec, s[0:1]
	v_cmp_eq_u32_e32 vcc, 0, v1
	s_and_saveexec_b64 s[0:1], vcc
	s_cbranch_execz .LBB839_44
; %bb.43:
	v_lshrrev_b32_e32 v3, 5, v0
	v_and_b32_e32 v3, 2, v3
	s_waitcnt vmcnt(0)
	ds_write_b16 v3, v2
.LBB839_44:
	s_or_b64 exec, exec, s[0:1]
	v_cmp_gt_u32_e32 vcc, 2, v0
	s_waitcnt lgkmcnt(0)
	s_barrier
	s_and_saveexec_b64 s[0:1], vcc
	s_cbranch_execz .LBB839_48
; %bb.45:
	s_waitcnt vmcnt(0)
	v_lshlrev_b32_e32 v2, 1, v1
	ds_read_u16 v2, v2
	v_or_b32_e32 v3, 4, v6
	s_add_i32 s4, s4, 63
	v_and_b32_e32 v1, 1, v1
	s_lshr_b32 s4, s4, 6
	s_waitcnt lgkmcnt(0)
	v_and_b32_e32 v4, 0xffff, v2
	ds_bpermute_b32 v3, v3, v4
	v_add_u32_e32 v1, 1, v1
	v_cmp_gt_u32_e32 vcc, s4, v1
	s_and_saveexec_b64 s[4:5], vcc
	s_cbranch_execz .LBB839_47
; %bb.46:
	v_lshlrev_b32_e32 v4, 1, v4
	v_mov_b32_e32 v5, 0
	v_mov_b32_e32 v1, 1
	v_lshl_add_u64 v[6:7], s[24:25], 0, v[4:5]
	s_waitcnt lgkmcnt(0)
	v_lshlrev_b32_sdwa v4, v1, v3 dst_sel:DWORD dst_unused:UNUSED_PAD src0_sel:DWORD src1_sel:WORD_0
	v_lshl_add_u64 v[2:3], v[6:7], 0, v[4:5]
	global_load_ushort v2, v[2:3], off
.LBB839_47:
	s_or_b64 exec, exec, s[4:5]
.LBB839_48:
	s_or_b64 exec, exec, s[0:1]
.LBB839_49:
	v_cmp_eq_u32_e32 vcc, 0, v0
	s_and_saveexec_b64 s[0:1], vcc
	s_cbranch_execnz .LBB839_51
; %bb.50:
	s_endpgm
.LBB839_51:
	s_mul_i32 s0, s22, s21
	s_mul_hi_u32 s1, s22, s20
	s_add_i32 s0, s1, s0
	s_mul_i32 s1, s23, s20
	s_add_i32 s1, s0, s1
	s_mul_i32 s0, s22, s20
	s_lshl_b64 s[0:1], s[0:1], 1
	s_add_u32 s4, s18, s0
	s_addc_u32 s5, s19, s1
	s_cmp_eq_u64 s[16:17], 0
	s_cselect_b64 vcc, -1, 0
	s_lshl_b64 s[0:1], s[2:3], 1
	s_waitcnt lgkmcnt(0)
	v_mov_b32_e32 v0, s28
	s_add_u32 s0, s4, s0
	s_waitcnt vmcnt(0)
	v_cndmask_b32_e32 v0, v2, v0, vcc
	s_addc_u32 s1, s5, s1
	v_mov_b32_e32 v1, 0
	global_store_short v1, v0, s[0:1]
	s_endpgm
.LBB839_52:
	global_load_ushort v6, v6, s[14:15] offset:1792
	s_mov_b32 s14, 0x5040100
	s_waitcnt vmcnt(0)
	v_perm_b32 v5, v6, v5, s14
	s_or_b64 exec, exec, s[26:27]
	s_and_saveexec_b64 s[14:15], s[12:13]
	s_cbranch_execz .LBB839_23
.LBB839_53:
	v_mov_b32_e32 v10, 1
	v_lshlrev_b32_sdwa v6, v10, v2 dst_sel:DWORD dst_unused:UNUSED_PAD src0_sel:DWORD src1_sel:WORD_0
	v_mov_b32_e32 v7, 0
	v_lshl_add_u64 v[8:9], s[24:25], 0, v[6:7]
	v_lshlrev_b32_sdwa v6, v10, v2 dst_sel:DWORD dst_unused:UNUSED_PAD src0_sel:DWORD src1_sel:WORD_1
	v_lshl_add_u64 v[6:7], v[8:9], 0, v[6:7]
	global_load_ushort v2, v[6:7], off
	s_or_b64 exec, exec, s[14:15]
	s_and_saveexec_b64 s[12:13], s[10:11]
	s_cbranch_execz .LBB839_24
.LBB839_54:
	v_mov_b32_e32 v10, 1
	s_waitcnt vmcnt(0)
	v_lshlrev_b32_sdwa v6, v10, v2 dst_sel:DWORD dst_unused:UNUSED_PAD src0_sel:DWORD src1_sel:WORD_0
	v_mov_b32_e32 v7, 0
	v_lshl_add_u64 v[8:9], s[24:25], 0, v[6:7]
	v_lshlrev_b32_sdwa v6, v10, v3 dst_sel:DWORD dst_unused:UNUSED_PAD src0_sel:DWORD src1_sel:WORD_0
	v_lshl_add_u64 v[6:7], v[8:9], 0, v[6:7]
	global_load_ushort v2, v[6:7], off
	s_or_b64 exec, exec, s[12:13]
	s_and_saveexec_b64 s[10:11], s[8:9]
	s_cbranch_execz .LBB839_25
.LBB839_55:
	v_mov_b32_e32 v10, 1
	s_waitcnt vmcnt(0)
	v_lshlrev_b32_sdwa v6, v10, v2 dst_sel:DWORD dst_unused:UNUSED_PAD src0_sel:DWORD src1_sel:WORD_0
	v_mov_b32_e32 v7, 0
	v_lshl_add_u64 v[8:9], s[24:25], 0, v[6:7]
	v_lshlrev_b32_sdwa v6, v10, v3 dst_sel:DWORD dst_unused:UNUSED_PAD src0_sel:DWORD src1_sel:WORD_1
	v_lshl_add_u64 v[2:3], v[8:9], 0, v[6:7]
	global_load_ushort v2, v[2:3], off
	s_or_b64 exec, exec, s[10:11]
	s_and_saveexec_b64 s[8:9], s[6:7]
	s_cbranch_execz .LBB839_26
.LBB839_56:
	v_mov_b32_e32 v8, 1
	s_waitcnt vmcnt(0)
	v_lshlrev_b32_sdwa v2, v8, v2 dst_sel:DWORD dst_unused:UNUSED_PAD src0_sel:DWORD src1_sel:WORD_0
	v_mov_b32_e32 v3, 0
	v_lshl_add_u64 v[6:7], s[24:25], 0, v[2:3]
	v_lshlrev_b32_sdwa v2, v8, v4 dst_sel:DWORD dst_unused:UNUSED_PAD src0_sel:DWORD src1_sel:WORD_0
	v_lshl_add_u64 v[2:3], v[6:7], 0, v[2:3]
	global_load_ushort v2, v[2:3], off
	s_or_b64 exec, exec, s[8:9]
	s_and_saveexec_b64 s[6:7], s[4:5]
	s_cbranch_execz .LBB839_27
.LBB839_57:
	v_mov_b32_e32 v8, 1
	s_waitcnt vmcnt(0)
	v_lshlrev_b32_sdwa v2, v8, v2 dst_sel:DWORD dst_unused:UNUSED_PAD src0_sel:DWORD src1_sel:WORD_0
	v_mov_b32_e32 v3, 0
	v_lshl_add_u64 v[6:7], s[24:25], 0, v[2:3]
	v_lshlrev_b32_sdwa v2, v8, v4 dst_sel:DWORD dst_unused:UNUSED_PAD src0_sel:DWORD src1_sel:WORD_1
	v_lshl_add_u64 v[2:3], v[6:7], 0, v[2:3]
	global_load_ushort v2, v[2:3], off
	s_or_b64 exec, exec, s[6:7]
	s_and_saveexec_b64 s[4:5], s[0:1]
	s_cbranch_execz .LBB839_28
.LBB839_58:
	v_mov_b32_e32 v4, 1
	s_waitcnt vmcnt(0)
	v_lshlrev_b32_sdwa v2, v4, v2 dst_sel:DWORD dst_unused:UNUSED_PAD src0_sel:DWORD src1_sel:WORD_0
	v_mov_b32_e32 v3, 0
	v_lshl_add_u64 v[6:7], s[24:25], 0, v[2:3]
	v_lshlrev_b32_sdwa v2, v4, v5 dst_sel:DWORD dst_unused:UNUSED_PAD src0_sel:DWORD src1_sel:WORD_0
	v_lshl_add_u64 v[2:3], v[6:7], 0, v[2:3]
	global_load_ushort v2, v[2:3], off
	s_or_b64 exec, exec, s[4:5]
	s_and_saveexec_b64 s[0:1], vcc
	s_cbranch_execnz .LBB839_29
	s_branch .LBB839_30
	.section	.rodata,"a",@progbits
	.p2align	6, 0x0
	.amdhsa_kernel _ZN7rocprim17ROCPRIM_400000_NS6detail17trampoline_kernelINS0_14default_configENS1_22reduce_config_selectorItEEZNS1_11reduce_implILb1ES3_PtS7_t9plus_mod3ItEEE10hipError_tPvRmT1_T2_T3_mT4_P12ihipStream_tbEUlT_E0_NS1_11comp_targetILNS1_3genE0ELNS1_11target_archE4294967295ELNS1_3gpuE0ELNS1_3repE0EEENS1_30default_config_static_selectorELNS0_4arch9wavefront6targetE1EEEvSD_
		.amdhsa_group_segment_fixed_size 8
		.amdhsa_private_segment_fixed_size 0
		.amdhsa_kernarg_size 64
		.amdhsa_user_sgpr_count 2
		.amdhsa_user_sgpr_dispatch_ptr 0
		.amdhsa_user_sgpr_queue_ptr 0
		.amdhsa_user_sgpr_kernarg_segment_ptr 1
		.amdhsa_user_sgpr_dispatch_id 0
		.amdhsa_user_sgpr_kernarg_preload_length 0
		.amdhsa_user_sgpr_kernarg_preload_offset 0
		.amdhsa_user_sgpr_private_segment_size 0
		.amdhsa_uses_dynamic_stack 0
		.amdhsa_enable_private_segment 0
		.amdhsa_system_sgpr_workgroup_id_x 1
		.amdhsa_system_sgpr_workgroup_id_y 0
		.amdhsa_system_sgpr_workgroup_id_z 0
		.amdhsa_system_sgpr_workgroup_info 0
		.amdhsa_system_vgpr_workitem_id 0
		.amdhsa_next_free_vgpr 14
		.amdhsa_next_free_sgpr 31
		.amdhsa_accum_offset 16
		.amdhsa_reserve_vcc 1
		.amdhsa_float_round_mode_32 0
		.amdhsa_float_round_mode_16_64 0
		.amdhsa_float_denorm_mode_32 3
		.amdhsa_float_denorm_mode_16_64 3
		.amdhsa_dx10_clamp 1
		.amdhsa_ieee_mode 1
		.amdhsa_fp16_overflow 0
		.amdhsa_tg_split 0
		.amdhsa_exception_fp_ieee_invalid_op 0
		.amdhsa_exception_fp_denorm_src 0
		.amdhsa_exception_fp_ieee_div_zero 0
		.amdhsa_exception_fp_ieee_overflow 0
		.amdhsa_exception_fp_ieee_underflow 0
		.amdhsa_exception_fp_ieee_inexact 0
		.amdhsa_exception_int_div_zero 0
	.end_amdhsa_kernel
	.section	.text._ZN7rocprim17ROCPRIM_400000_NS6detail17trampoline_kernelINS0_14default_configENS1_22reduce_config_selectorItEEZNS1_11reduce_implILb1ES3_PtS7_t9plus_mod3ItEEE10hipError_tPvRmT1_T2_T3_mT4_P12ihipStream_tbEUlT_E0_NS1_11comp_targetILNS1_3genE0ELNS1_11target_archE4294967295ELNS1_3gpuE0ELNS1_3repE0EEENS1_30default_config_static_selectorELNS0_4arch9wavefront6targetE1EEEvSD_,"axG",@progbits,_ZN7rocprim17ROCPRIM_400000_NS6detail17trampoline_kernelINS0_14default_configENS1_22reduce_config_selectorItEEZNS1_11reduce_implILb1ES3_PtS7_t9plus_mod3ItEEE10hipError_tPvRmT1_T2_T3_mT4_P12ihipStream_tbEUlT_E0_NS1_11comp_targetILNS1_3genE0ELNS1_11target_archE4294967295ELNS1_3gpuE0ELNS1_3repE0EEENS1_30default_config_static_selectorELNS0_4arch9wavefront6targetE1EEEvSD_,comdat
.Lfunc_end839:
	.size	_ZN7rocprim17ROCPRIM_400000_NS6detail17trampoline_kernelINS0_14default_configENS1_22reduce_config_selectorItEEZNS1_11reduce_implILb1ES3_PtS7_t9plus_mod3ItEEE10hipError_tPvRmT1_T2_T3_mT4_P12ihipStream_tbEUlT_E0_NS1_11comp_targetILNS1_3genE0ELNS1_11target_archE4294967295ELNS1_3gpuE0ELNS1_3repE0EEENS1_30default_config_static_selectorELNS0_4arch9wavefront6targetE1EEEvSD_, .Lfunc_end839-_ZN7rocprim17ROCPRIM_400000_NS6detail17trampoline_kernelINS0_14default_configENS1_22reduce_config_selectorItEEZNS1_11reduce_implILb1ES3_PtS7_t9plus_mod3ItEEE10hipError_tPvRmT1_T2_T3_mT4_P12ihipStream_tbEUlT_E0_NS1_11comp_targetILNS1_3genE0ELNS1_11target_archE4294967295ELNS1_3gpuE0ELNS1_3repE0EEENS1_30default_config_static_selectorELNS0_4arch9wavefront6targetE1EEEvSD_
                                        ; -- End function
	.set _ZN7rocprim17ROCPRIM_400000_NS6detail17trampoline_kernelINS0_14default_configENS1_22reduce_config_selectorItEEZNS1_11reduce_implILb1ES3_PtS7_t9plus_mod3ItEEE10hipError_tPvRmT1_T2_T3_mT4_P12ihipStream_tbEUlT_E0_NS1_11comp_targetILNS1_3genE0ELNS1_11target_archE4294967295ELNS1_3gpuE0ELNS1_3repE0EEENS1_30default_config_static_selectorELNS0_4arch9wavefront6targetE1EEEvSD_.num_vgpr, 14
	.set _ZN7rocprim17ROCPRIM_400000_NS6detail17trampoline_kernelINS0_14default_configENS1_22reduce_config_selectorItEEZNS1_11reduce_implILb1ES3_PtS7_t9plus_mod3ItEEE10hipError_tPvRmT1_T2_T3_mT4_P12ihipStream_tbEUlT_E0_NS1_11comp_targetILNS1_3genE0ELNS1_11target_archE4294967295ELNS1_3gpuE0ELNS1_3repE0EEENS1_30default_config_static_selectorELNS0_4arch9wavefront6targetE1EEEvSD_.num_agpr, 0
	.set _ZN7rocprim17ROCPRIM_400000_NS6detail17trampoline_kernelINS0_14default_configENS1_22reduce_config_selectorItEEZNS1_11reduce_implILb1ES3_PtS7_t9plus_mod3ItEEE10hipError_tPvRmT1_T2_T3_mT4_P12ihipStream_tbEUlT_E0_NS1_11comp_targetILNS1_3genE0ELNS1_11target_archE4294967295ELNS1_3gpuE0ELNS1_3repE0EEENS1_30default_config_static_selectorELNS0_4arch9wavefront6targetE1EEEvSD_.numbered_sgpr, 31
	.set _ZN7rocprim17ROCPRIM_400000_NS6detail17trampoline_kernelINS0_14default_configENS1_22reduce_config_selectorItEEZNS1_11reduce_implILb1ES3_PtS7_t9plus_mod3ItEEE10hipError_tPvRmT1_T2_T3_mT4_P12ihipStream_tbEUlT_E0_NS1_11comp_targetILNS1_3genE0ELNS1_11target_archE4294967295ELNS1_3gpuE0ELNS1_3repE0EEENS1_30default_config_static_selectorELNS0_4arch9wavefront6targetE1EEEvSD_.num_named_barrier, 0
	.set _ZN7rocprim17ROCPRIM_400000_NS6detail17trampoline_kernelINS0_14default_configENS1_22reduce_config_selectorItEEZNS1_11reduce_implILb1ES3_PtS7_t9plus_mod3ItEEE10hipError_tPvRmT1_T2_T3_mT4_P12ihipStream_tbEUlT_E0_NS1_11comp_targetILNS1_3genE0ELNS1_11target_archE4294967295ELNS1_3gpuE0ELNS1_3repE0EEENS1_30default_config_static_selectorELNS0_4arch9wavefront6targetE1EEEvSD_.private_seg_size, 0
	.set _ZN7rocprim17ROCPRIM_400000_NS6detail17trampoline_kernelINS0_14default_configENS1_22reduce_config_selectorItEEZNS1_11reduce_implILb1ES3_PtS7_t9plus_mod3ItEEE10hipError_tPvRmT1_T2_T3_mT4_P12ihipStream_tbEUlT_E0_NS1_11comp_targetILNS1_3genE0ELNS1_11target_archE4294967295ELNS1_3gpuE0ELNS1_3repE0EEENS1_30default_config_static_selectorELNS0_4arch9wavefront6targetE1EEEvSD_.uses_vcc, 1
	.set _ZN7rocprim17ROCPRIM_400000_NS6detail17trampoline_kernelINS0_14default_configENS1_22reduce_config_selectorItEEZNS1_11reduce_implILb1ES3_PtS7_t9plus_mod3ItEEE10hipError_tPvRmT1_T2_T3_mT4_P12ihipStream_tbEUlT_E0_NS1_11comp_targetILNS1_3genE0ELNS1_11target_archE4294967295ELNS1_3gpuE0ELNS1_3repE0EEENS1_30default_config_static_selectorELNS0_4arch9wavefront6targetE1EEEvSD_.uses_flat_scratch, 0
	.set _ZN7rocprim17ROCPRIM_400000_NS6detail17trampoline_kernelINS0_14default_configENS1_22reduce_config_selectorItEEZNS1_11reduce_implILb1ES3_PtS7_t9plus_mod3ItEEE10hipError_tPvRmT1_T2_T3_mT4_P12ihipStream_tbEUlT_E0_NS1_11comp_targetILNS1_3genE0ELNS1_11target_archE4294967295ELNS1_3gpuE0ELNS1_3repE0EEENS1_30default_config_static_selectorELNS0_4arch9wavefront6targetE1EEEvSD_.has_dyn_sized_stack, 0
	.set _ZN7rocprim17ROCPRIM_400000_NS6detail17trampoline_kernelINS0_14default_configENS1_22reduce_config_selectorItEEZNS1_11reduce_implILb1ES3_PtS7_t9plus_mod3ItEEE10hipError_tPvRmT1_T2_T3_mT4_P12ihipStream_tbEUlT_E0_NS1_11comp_targetILNS1_3genE0ELNS1_11target_archE4294967295ELNS1_3gpuE0ELNS1_3repE0EEENS1_30default_config_static_selectorELNS0_4arch9wavefront6targetE1EEEvSD_.has_recursion, 0
	.set _ZN7rocprim17ROCPRIM_400000_NS6detail17trampoline_kernelINS0_14default_configENS1_22reduce_config_selectorItEEZNS1_11reduce_implILb1ES3_PtS7_t9plus_mod3ItEEE10hipError_tPvRmT1_T2_T3_mT4_P12ihipStream_tbEUlT_E0_NS1_11comp_targetILNS1_3genE0ELNS1_11target_archE4294967295ELNS1_3gpuE0ELNS1_3repE0EEENS1_30default_config_static_selectorELNS0_4arch9wavefront6targetE1EEEvSD_.has_indirect_call, 0
	.section	.AMDGPU.csdata,"",@progbits
; Kernel info:
; codeLenInByte = 2920
; TotalNumSgprs: 37
; NumVgprs: 14
; NumAgprs: 0
; TotalNumVgprs: 14
; ScratchSize: 0
; MemoryBound: 0
; FloatMode: 240
; IeeeMode: 1
; LDSByteSize: 8 bytes/workgroup (compile time only)
; SGPRBlocks: 4
; VGPRBlocks: 1
; NumSGPRsForWavesPerEU: 37
; NumVGPRsForWavesPerEU: 14
; AccumOffset: 16
; Occupancy: 8
; WaveLimiterHint : 1
; COMPUTE_PGM_RSRC2:SCRATCH_EN: 0
; COMPUTE_PGM_RSRC2:USER_SGPR: 2
; COMPUTE_PGM_RSRC2:TRAP_HANDLER: 0
; COMPUTE_PGM_RSRC2:TGID_X_EN: 1
; COMPUTE_PGM_RSRC2:TGID_Y_EN: 0
; COMPUTE_PGM_RSRC2:TGID_Z_EN: 0
; COMPUTE_PGM_RSRC2:TIDIG_COMP_CNT: 0
; COMPUTE_PGM_RSRC3_GFX90A:ACCUM_OFFSET: 3
; COMPUTE_PGM_RSRC3_GFX90A:TG_SPLIT: 0
	.section	.text._ZN7rocprim17ROCPRIM_400000_NS6detail17trampoline_kernelINS0_14default_configENS1_22reduce_config_selectorItEEZNS1_11reduce_implILb1ES3_PtS7_t9plus_mod3ItEEE10hipError_tPvRmT1_T2_T3_mT4_P12ihipStream_tbEUlT_E0_NS1_11comp_targetILNS1_3genE5ELNS1_11target_archE942ELNS1_3gpuE9ELNS1_3repE0EEENS1_30default_config_static_selectorELNS0_4arch9wavefront6targetE1EEEvSD_,"axG",@progbits,_ZN7rocprim17ROCPRIM_400000_NS6detail17trampoline_kernelINS0_14default_configENS1_22reduce_config_selectorItEEZNS1_11reduce_implILb1ES3_PtS7_t9plus_mod3ItEEE10hipError_tPvRmT1_T2_T3_mT4_P12ihipStream_tbEUlT_E0_NS1_11comp_targetILNS1_3genE5ELNS1_11target_archE942ELNS1_3gpuE9ELNS1_3repE0EEENS1_30default_config_static_selectorELNS0_4arch9wavefront6targetE1EEEvSD_,comdat
	.protected	_ZN7rocprim17ROCPRIM_400000_NS6detail17trampoline_kernelINS0_14default_configENS1_22reduce_config_selectorItEEZNS1_11reduce_implILb1ES3_PtS7_t9plus_mod3ItEEE10hipError_tPvRmT1_T2_T3_mT4_P12ihipStream_tbEUlT_E0_NS1_11comp_targetILNS1_3genE5ELNS1_11target_archE942ELNS1_3gpuE9ELNS1_3repE0EEENS1_30default_config_static_selectorELNS0_4arch9wavefront6targetE1EEEvSD_ ; -- Begin function _ZN7rocprim17ROCPRIM_400000_NS6detail17trampoline_kernelINS0_14default_configENS1_22reduce_config_selectorItEEZNS1_11reduce_implILb1ES3_PtS7_t9plus_mod3ItEEE10hipError_tPvRmT1_T2_T3_mT4_P12ihipStream_tbEUlT_E0_NS1_11comp_targetILNS1_3genE5ELNS1_11target_archE942ELNS1_3gpuE9ELNS1_3repE0EEENS1_30default_config_static_selectorELNS0_4arch9wavefront6targetE1EEEvSD_
	.globl	_ZN7rocprim17ROCPRIM_400000_NS6detail17trampoline_kernelINS0_14default_configENS1_22reduce_config_selectorItEEZNS1_11reduce_implILb1ES3_PtS7_t9plus_mod3ItEEE10hipError_tPvRmT1_T2_T3_mT4_P12ihipStream_tbEUlT_E0_NS1_11comp_targetILNS1_3genE5ELNS1_11target_archE942ELNS1_3gpuE9ELNS1_3repE0EEENS1_30default_config_static_selectorELNS0_4arch9wavefront6targetE1EEEvSD_
	.p2align	8
	.type	_ZN7rocprim17ROCPRIM_400000_NS6detail17trampoline_kernelINS0_14default_configENS1_22reduce_config_selectorItEEZNS1_11reduce_implILb1ES3_PtS7_t9plus_mod3ItEEE10hipError_tPvRmT1_T2_T3_mT4_P12ihipStream_tbEUlT_E0_NS1_11comp_targetILNS1_3genE5ELNS1_11target_archE942ELNS1_3gpuE9ELNS1_3repE0EEENS1_30default_config_static_selectorELNS0_4arch9wavefront6targetE1EEEvSD_,@function
_ZN7rocprim17ROCPRIM_400000_NS6detail17trampoline_kernelINS0_14default_configENS1_22reduce_config_selectorItEEZNS1_11reduce_implILb1ES3_PtS7_t9plus_mod3ItEEE10hipError_tPvRmT1_T2_T3_mT4_P12ihipStream_tbEUlT_E0_NS1_11comp_targetILNS1_3genE5ELNS1_11target_archE942ELNS1_3gpuE9ELNS1_3repE0EEENS1_30default_config_static_selectorELNS0_4arch9wavefront6targetE1EEEvSD_: ; @_ZN7rocprim17ROCPRIM_400000_NS6detail17trampoline_kernelINS0_14default_configENS1_22reduce_config_selectorItEEZNS1_11reduce_implILb1ES3_PtS7_t9plus_mod3ItEEE10hipError_tPvRmT1_T2_T3_mT4_P12ihipStream_tbEUlT_E0_NS1_11comp_targetILNS1_3genE5ELNS1_11target_archE942ELNS1_3gpuE9ELNS1_3repE0EEENS1_30default_config_static_selectorELNS0_4arch9wavefront6targetE1EEEvSD_
; %bb.0:
	.section	.rodata,"a",@progbits
	.p2align	6, 0x0
	.amdhsa_kernel _ZN7rocprim17ROCPRIM_400000_NS6detail17trampoline_kernelINS0_14default_configENS1_22reduce_config_selectorItEEZNS1_11reduce_implILb1ES3_PtS7_t9plus_mod3ItEEE10hipError_tPvRmT1_T2_T3_mT4_P12ihipStream_tbEUlT_E0_NS1_11comp_targetILNS1_3genE5ELNS1_11target_archE942ELNS1_3gpuE9ELNS1_3repE0EEENS1_30default_config_static_selectorELNS0_4arch9wavefront6targetE1EEEvSD_
		.amdhsa_group_segment_fixed_size 0
		.amdhsa_private_segment_fixed_size 0
		.amdhsa_kernarg_size 64
		.amdhsa_user_sgpr_count 2
		.amdhsa_user_sgpr_dispatch_ptr 0
		.amdhsa_user_sgpr_queue_ptr 0
		.amdhsa_user_sgpr_kernarg_segment_ptr 1
		.amdhsa_user_sgpr_dispatch_id 0
		.amdhsa_user_sgpr_kernarg_preload_length 0
		.amdhsa_user_sgpr_kernarg_preload_offset 0
		.amdhsa_user_sgpr_private_segment_size 0
		.amdhsa_uses_dynamic_stack 0
		.amdhsa_enable_private_segment 0
		.amdhsa_system_sgpr_workgroup_id_x 1
		.amdhsa_system_sgpr_workgroup_id_y 0
		.amdhsa_system_sgpr_workgroup_id_z 0
		.amdhsa_system_sgpr_workgroup_info 0
		.amdhsa_system_vgpr_workitem_id 0
		.amdhsa_next_free_vgpr 1
		.amdhsa_next_free_sgpr 0
		.amdhsa_accum_offset 4
		.amdhsa_reserve_vcc 0
		.amdhsa_float_round_mode_32 0
		.amdhsa_float_round_mode_16_64 0
		.amdhsa_float_denorm_mode_32 3
		.amdhsa_float_denorm_mode_16_64 3
		.amdhsa_dx10_clamp 1
		.amdhsa_ieee_mode 1
		.amdhsa_fp16_overflow 0
		.amdhsa_tg_split 0
		.amdhsa_exception_fp_ieee_invalid_op 0
		.amdhsa_exception_fp_denorm_src 0
		.amdhsa_exception_fp_ieee_div_zero 0
		.amdhsa_exception_fp_ieee_overflow 0
		.amdhsa_exception_fp_ieee_underflow 0
		.amdhsa_exception_fp_ieee_inexact 0
		.amdhsa_exception_int_div_zero 0
	.end_amdhsa_kernel
	.section	.text._ZN7rocprim17ROCPRIM_400000_NS6detail17trampoline_kernelINS0_14default_configENS1_22reduce_config_selectorItEEZNS1_11reduce_implILb1ES3_PtS7_t9plus_mod3ItEEE10hipError_tPvRmT1_T2_T3_mT4_P12ihipStream_tbEUlT_E0_NS1_11comp_targetILNS1_3genE5ELNS1_11target_archE942ELNS1_3gpuE9ELNS1_3repE0EEENS1_30default_config_static_selectorELNS0_4arch9wavefront6targetE1EEEvSD_,"axG",@progbits,_ZN7rocprim17ROCPRIM_400000_NS6detail17trampoline_kernelINS0_14default_configENS1_22reduce_config_selectorItEEZNS1_11reduce_implILb1ES3_PtS7_t9plus_mod3ItEEE10hipError_tPvRmT1_T2_T3_mT4_P12ihipStream_tbEUlT_E0_NS1_11comp_targetILNS1_3genE5ELNS1_11target_archE942ELNS1_3gpuE9ELNS1_3repE0EEENS1_30default_config_static_selectorELNS0_4arch9wavefront6targetE1EEEvSD_,comdat
.Lfunc_end840:
	.size	_ZN7rocprim17ROCPRIM_400000_NS6detail17trampoline_kernelINS0_14default_configENS1_22reduce_config_selectorItEEZNS1_11reduce_implILb1ES3_PtS7_t9plus_mod3ItEEE10hipError_tPvRmT1_T2_T3_mT4_P12ihipStream_tbEUlT_E0_NS1_11comp_targetILNS1_3genE5ELNS1_11target_archE942ELNS1_3gpuE9ELNS1_3repE0EEENS1_30default_config_static_selectorELNS0_4arch9wavefront6targetE1EEEvSD_, .Lfunc_end840-_ZN7rocprim17ROCPRIM_400000_NS6detail17trampoline_kernelINS0_14default_configENS1_22reduce_config_selectorItEEZNS1_11reduce_implILb1ES3_PtS7_t9plus_mod3ItEEE10hipError_tPvRmT1_T2_T3_mT4_P12ihipStream_tbEUlT_E0_NS1_11comp_targetILNS1_3genE5ELNS1_11target_archE942ELNS1_3gpuE9ELNS1_3repE0EEENS1_30default_config_static_selectorELNS0_4arch9wavefront6targetE1EEEvSD_
                                        ; -- End function
	.set _ZN7rocprim17ROCPRIM_400000_NS6detail17trampoline_kernelINS0_14default_configENS1_22reduce_config_selectorItEEZNS1_11reduce_implILb1ES3_PtS7_t9plus_mod3ItEEE10hipError_tPvRmT1_T2_T3_mT4_P12ihipStream_tbEUlT_E0_NS1_11comp_targetILNS1_3genE5ELNS1_11target_archE942ELNS1_3gpuE9ELNS1_3repE0EEENS1_30default_config_static_selectorELNS0_4arch9wavefront6targetE1EEEvSD_.num_vgpr, 0
	.set _ZN7rocprim17ROCPRIM_400000_NS6detail17trampoline_kernelINS0_14default_configENS1_22reduce_config_selectorItEEZNS1_11reduce_implILb1ES3_PtS7_t9plus_mod3ItEEE10hipError_tPvRmT1_T2_T3_mT4_P12ihipStream_tbEUlT_E0_NS1_11comp_targetILNS1_3genE5ELNS1_11target_archE942ELNS1_3gpuE9ELNS1_3repE0EEENS1_30default_config_static_selectorELNS0_4arch9wavefront6targetE1EEEvSD_.num_agpr, 0
	.set _ZN7rocprim17ROCPRIM_400000_NS6detail17trampoline_kernelINS0_14default_configENS1_22reduce_config_selectorItEEZNS1_11reduce_implILb1ES3_PtS7_t9plus_mod3ItEEE10hipError_tPvRmT1_T2_T3_mT4_P12ihipStream_tbEUlT_E0_NS1_11comp_targetILNS1_3genE5ELNS1_11target_archE942ELNS1_3gpuE9ELNS1_3repE0EEENS1_30default_config_static_selectorELNS0_4arch9wavefront6targetE1EEEvSD_.numbered_sgpr, 0
	.set _ZN7rocprim17ROCPRIM_400000_NS6detail17trampoline_kernelINS0_14default_configENS1_22reduce_config_selectorItEEZNS1_11reduce_implILb1ES3_PtS7_t9plus_mod3ItEEE10hipError_tPvRmT1_T2_T3_mT4_P12ihipStream_tbEUlT_E0_NS1_11comp_targetILNS1_3genE5ELNS1_11target_archE942ELNS1_3gpuE9ELNS1_3repE0EEENS1_30default_config_static_selectorELNS0_4arch9wavefront6targetE1EEEvSD_.num_named_barrier, 0
	.set _ZN7rocprim17ROCPRIM_400000_NS6detail17trampoline_kernelINS0_14default_configENS1_22reduce_config_selectorItEEZNS1_11reduce_implILb1ES3_PtS7_t9plus_mod3ItEEE10hipError_tPvRmT1_T2_T3_mT4_P12ihipStream_tbEUlT_E0_NS1_11comp_targetILNS1_3genE5ELNS1_11target_archE942ELNS1_3gpuE9ELNS1_3repE0EEENS1_30default_config_static_selectorELNS0_4arch9wavefront6targetE1EEEvSD_.private_seg_size, 0
	.set _ZN7rocprim17ROCPRIM_400000_NS6detail17trampoline_kernelINS0_14default_configENS1_22reduce_config_selectorItEEZNS1_11reduce_implILb1ES3_PtS7_t9plus_mod3ItEEE10hipError_tPvRmT1_T2_T3_mT4_P12ihipStream_tbEUlT_E0_NS1_11comp_targetILNS1_3genE5ELNS1_11target_archE942ELNS1_3gpuE9ELNS1_3repE0EEENS1_30default_config_static_selectorELNS0_4arch9wavefront6targetE1EEEvSD_.uses_vcc, 0
	.set _ZN7rocprim17ROCPRIM_400000_NS6detail17trampoline_kernelINS0_14default_configENS1_22reduce_config_selectorItEEZNS1_11reduce_implILb1ES3_PtS7_t9plus_mod3ItEEE10hipError_tPvRmT1_T2_T3_mT4_P12ihipStream_tbEUlT_E0_NS1_11comp_targetILNS1_3genE5ELNS1_11target_archE942ELNS1_3gpuE9ELNS1_3repE0EEENS1_30default_config_static_selectorELNS0_4arch9wavefront6targetE1EEEvSD_.uses_flat_scratch, 0
	.set _ZN7rocprim17ROCPRIM_400000_NS6detail17trampoline_kernelINS0_14default_configENS1_22reduce_config_selectorItEEZNS1_11reduce_implILb1ES3_PtS7_t9plus_mod3ItEEE10hipError_tPvRmT1_T2_T3_mT4_P12ihipStream_tbEUlT_E0_NS1_11comp_targetILNS1_3genE5ELNS1_11target_archE942ELNS1_3gpuE9ELNS1_3repE0EEENS1_30default_config_static_selectorELNS0_4arch9wavefront6targetE1EEEvSD_.has_dyn_sized_stack, 0
	.set _ZN7rocprim17ROCPRIM_400000_NS6detail17trampoline_kernelINS0_14default_configENS1_22reduce_config_selectorItEEZNS1_11reduce_implILb1ES3_PtS7_t9plus_mod3ItEEE10hipError_tPvRmT1_T2_T3_mT4_P12ihipStream_tbEUlT_E0_NS1_11comp_targetILNS1_3genE5ELNS1_11target_archE942ELNS1_3gpuE9ELNS1_3repE0EEENS1_30default_config_static_selectorELNS0_4arch9wavefront6targetE1EEEvSD_.has_recursion, 0
	.set _ZN7rocprim17ROCPRIM_400000_NS6detail17trampoline_kernelINS0_14default_configENS1_22reduce_config_selectorItEEZNS1_11reduce_implILb1ES3_PtS7_t9plus_mod3ItEEE10hipError_tPvRmT1_T2_T3_mT4_P12ihipStream_tbEUlT_E0_NS1_11comp_targetILNS1_3genE5ELNS1_11target_archE942ELNS1_3gpuE9ELNS1_3repE0EEENS1_30default_config_static_selectorELNS0_4arch9wavefront6targetE1EEEvSD_.has_indirect_call, 0
	.section	.AMDGPU.csdata,"",@progbits
; Kernel info:
; codeLenInByte = 0
; TotalNumSgprs: 6
; NumVgprs: 0
; NumAgprs: 0
; TotalNumVgprs: 0
; ScratchSize: 0
; MemoryBound: 0
; FloatMode: 240
; IeeeMode: 1
; LDSByteSize: 0 bytes/workgroup (compile time only)
; SGPRBlocks: 0
; VGPRBlocks: 0
; NumSGPRsForWavesPerEU: 6
; NumVGPRsForWavesPerEU: 1
; AccumOffset: 4
; Occupancy: 8
; WaveLimiterHint : 0
; COMPUTE_PGM_RSRC2:SCRATCH_EN: 0
; COMPUTE_PGM_RSRC2:USER_SGPR: 2
; COMPUTE_PGM_RSRC2:TRAP_HANDLER: 0
; COMPUTE_PGM_RSRC2:TGID_X_EN: 1
; COMPUTE_PGM_RSRC2:TGID_Y_EN: 0
; COMPUTE_PGM_RSRC2:TGID_Z_EN: 0
; COMPUTE_PGM_RSRC2:TIDIG_COMP_CNT: 0
; COMPUTE_PGM_RSRC3_GFX90A:ACCUM_OFFSET: 0
; COMPUTE_PGM_RSRC3_GFX90A:TG_SPLIT: 0
	.section	.text._ZN7rocprim17ROCPRIM_400000_NS6detail17trampoline_kernelINS0_14default_configENS1_22reduce_config_selectorItEEZNS1_11reduce_implILb1ES3_PtS7_t9plus_mod3ItEEE10hipError_tPvRmT1_T2_T3_mT4_P12ihipStream_tbEUlT_E0_NS1_11comp_targetILNS1_3genE4ELNS1_11target_archE910ELNS1_3gpuE8ELNS1_3repE0EEENS1_30default_config_static_selectorELNS0_4arch9wavefront6targetE1EEEvSD_,"axG",@progbits,_ZN7rocprim17ROCPRIM_400000_NS6detail17trampoline_kernelINS0_14default_configENS1_22reduce_config_selectorItEEZNS1_11reduce_implILb1ES3_PtS7_t9plus_mod3ItEEE10hipError_tPvRmT1_T2_T3_mT4_P12ihipStream_tbEUlT_E0_NS1_11comp_targetILNS1_3genE4ELNS1_11target_archE910ELNS1_3gpuE8ELNS1_3repE0EEENS1_30default_config_static_selectorELNS0_4arch9wavefront6targetE1EEEvSD_,comdat
	.protected	_ZN7rocprim17ROCPRIM_400000_NS6detail17trampoline_kernelINS0_14default_configENS1_22reduce_config_selectorItEEZNS1_11reduce_implILb1ES3_PtS7_t9plus_mod3ItEEE10hipError_tPvRmT1_T2_T3_mT4_P12ihipStream_tbEUlT_E0_NS1_11comp_targetILNS1_3genE4ELNS1_11target_archE910ELNS1_3gpuE8ELNS1_3repE0EEENS1_30default_config_static_selectorELNS0_4arch9wavefront6targetE1EEEvSD_ ; -- Begin function _ZN7rocprim17ROCPRIM_400000_NS6detail17trampoline_kernelINS0_14default_configENS1_22reduce_config_selectorItEEZNS1_11reduce_implILb1ES3_PtS7_t9plus_mod3ItEEE10hipError_tPvRmT1_T2_T3_mT4_P12ihipStream_tbEUlT_E0_NS1_11comp_targetILNS1_3genE4ELNS1_11target_archE910ELNS1_3gpuE8ELNS1_3repE0EEENS1_30default_config_static_selectorELNS0_4arch9wavefront6targetE1EEEvSD_
	.globl	_ZN7rocprim17ROCPRIM_400000_NS6detail17trampoline_kernelINS0_14default_configENS1_22reduce_config_selectorItEEZNS1_11reduce_implILb1ES3_PtS7_t9plus_mod3ItEEE10hipError_tPvRmT1_T2_T3_mT4_P12ihipStream_tbEUlT_E0_NS1_11comp_targetILNS1_3genE4ELNS1_11target_archE910ELNS1_3gpuE8ELNS1_3repE0EEENS1_30default_config_static_selectorELNS0_4arch9wavefront6targetE1EEEvSD_
	.p2align	8
	.type	_ZN7rocprim17ROCPRIM_400000_NS6detail17trampoline_kernelINS0_14default_configENS1_22reduce_config_selectorItEEZNS1_11reduce_implILb1ES3_PtS7_t9plus_mod3ItEEE10hipError_tPvRmT1_T2_T3_mT4_P12ihipStream_tbEUlT_E0_NS1_11comp_targetILNS1_3genE4ELNS1_11target_archE910ELNS1_3gpuE8ELNS1_3repE0EEENS1_30default_config_static_selectorELNS0_4arch9wavefront6targetE1EEEvSD_,@function
_ZN7rocprim17ROCPRIM_400000_NS6detail17trampoline_kernelINS0_14default_configENS1_22reduce_config_selectorItEEZNS1_11reduce_implILb1ES3_PtS7_t9plus_mod3ItEEE10hipError_tPvRmT1_T2_T3_mT4_P12ihipStream_tbEUlT_E0_NS1_11comp_targetILNS1_3genE4ELNS1_11target_archE910ELNS1_3gpuE8ELNS1_3repE0EEENS1_30default_config_static_selectorELNS0_4arch9wavefront6targetE1EEEvSD_: ; @_ZN7rocprim17ROCPRIM_400000_NS6detail17trampoline_kernelINS0_14default_configENS1_22reduce_config_selectorItEEZNS1_11reduce_implILb1ES3_PtS7_t9plus_mod3ItEEE10hipError_tPvRmT1_T2_T3_mT4_P12ihipStream_tbEUlT_E0_NS1_11comp_targetILNS1_3genE4ELNS1_11target_archE910ELNS1_3gpuE8ELNS1_3repE0EEENS1_30default_config_static_selectorELNS0_4arch9wavefront6targetE1EEEvSD_
; %bb.0:
	.section	.rodata,"a",@progbits
	.p2align	6, 0x0
	.amdhsa_kernel _ZN7rocprim17ROCPRIM_400000_NS6detail17trampoline_kernelINS0_14default_configENS1_22reduce_config_selectorItEEZNS1_11reduce_implILb1ES3_PtS7_t9plus_mod3ItEEE10hipError_tPvRmT1_T2_T3_mT4_P12ihipStream_tbEUlT_E0_NS1_11comp_targetILNS1_3genE4ELNS1_11target_archE910ELNS1_3gpuE8ELNS1_3repE0EEENS1_30default_config_static_selectorELNS0_4arch9wavefront6targetE1EEEvSD_
		.amdhsa_group_segment_fixed_size 0
		.amdhsa_private_segment_fixed_size 0
		.amdhsa_kernarg_size 64
		.amdhsa_user_sgpr_count 2
		.amdhsa_user_sgpr_dispatch_ptr 0
		.amdhsa_user_sgpr_queue_ptr 0
		.amdhsa_user_sgpr_kernarg_segment_ptr 1
		.amdhsa_user_sgpr_dispatch_id 0
		.amdhsa_user_sgpr_kernarg_preload_length 0
		.amdhsa_user_sgpr_kernarg_preload_offset 0
		.amdhsa_user_sgpr_private_segment_size 0
		.amdhsa_uses_dynamic_stack 0
		.amdhsa_enable_private_segment 0
		.amdhsa_system_sgpr_workgroup_id_x 1
		.amdhsa_system_sgpr_workgroup_id_y 0
		.amdhsa_system_sgpr_workgroup_id_z 0
		.amdhsa_system_sgpr_workgroup_info 0
		.amdhsa_system_vgpr_workitem_id 0
		.amdhsa_next_free_vgpr 1
		.amdhsa_next_free_sgpr 0
		.amdhsa_accum_offset 4
		.amdhsa_reserve_vcc 0
		.amdhsa_float_round_mode_32 0
		.amdhsa_float_round_mode_16_64 0
		.amdhsa_float_denorm_mode_32 3
		.amdhsa_float_denorm_mode_16_64 3
		.amdhsa_dx10_clamp 1
		.amdhsa_ieee_mode 1
		.amdhsa_fp16_overflow 0
		.amdhsa_tg_split 0
		.amdhsa_exception_fp_ieee_invalid_op 0
		.amdhsa_exception_fp_denorm_src 0
		.amdhsa_exception_fp_ieee_div_zero 0
		.amdhsa_exception_fp_ieee_overflow 0
		.amdhsa_exception_fp_ieee_underflow 0
		.amdhsa_exception_fp_ieee_inexact 0
		.amdhsa_exception_int_div_zero 0
	.end_amdhsa_kernel
	.section	.text._ZN7rocprim17ROCPRIM_400000_NS6detail17trampoline_kernelINS0_14default_configENS1_22reduce_config_selectorItEEZNS1_11reduce_implILb1ES3_PtS7_t9plus_mod3ItEEE10hipError_tPvRmT1_T2_T3_mT4_P12ihipStream_tbEUlT_E0_NS1_11comp_targetILNS1_3genE4ELNS1_11target_archE910ELNS1_3gpuE8ELNS1_3repE0EEENS1_30default_config_static_selectorELNS0_4arch9wavefront6targetE1EEEvSD_,"axG",@progbits,_ZN7rocprim17ROCPRIM_400000_NS6detail17trampoline_kernelINS0_14default_configENS1_22reduce_config_selectorItEEZNS1_11reduce_implILb1ES3_PtS7_t9plus_mod3ItEEE10hipError_tPvRmT1_T2_T3_mT4_P12ihipStream_tbEUlT_E0_NS1_11comp_targetILNS1_3genE4ELNS1_11target_archE910ELNS1_3gpuE8ELNS1_3repE0EEENS1_30default_config_static_selectorELNS0_4arch9wavefront6targetE1EEEvSD_,comdat
.Lfunc_end841:
	.size	_ZN7rocprim17ROCPRIM_400000_NS6detail17trampoline_kernelINS0_14default_configENS1_22reduce_config_selectorItEEZNS1_11reduce_implILb1ES3_PtS7_t9plus_mod3ItEEE10hipError_tPvRmT1_T2_T3_mT4_P12ihipStream_tbEUlT_E0_NS1_11comp_targetILNS1_3genE4ELNS1_11target_archE910ELNS1_3gpuE8ELNS1_3repE0EEENS1_30default_config_static_selectorELNS0_4arch9wavefront6targetE1EEEvSD_, .Lfunc_end841-_ZN7rocprim17ROCPRIM_400000_NS6detail17trampoline_kernelINS0_14default_configENS1_22reduce_config_selectorItEEZNS1_11reduce_implILb1ES3_PtS7_t9plus_mod3ItEEE10hipError_tPvRmT1_T2_T3_mT4_P12ihipStream_tbEUlT_E0_NS1_11comp_targetILNS1_3genE4ELNS1_11target_archE910ELNS1_3gpuE8ELNS1_3repE0EEENS1_30default_config_static_selectorELNS0_4arch9wavefront6targetE1EEEvSD_
                                        ; -- End function
	.set _ZN7rocprim17ROCPRIM_400000_NS6detail17trampoline_kernelINS0_14default_configENS1_22reduce_config_selectorItEEZNS1_11reduce_implILb1ES3_PtS7_t9plus_mod3ItEEE10hipError_tPvRmT1_T2_T3_mT4_P12ihipStream_tbEUlT_E0_NS1_11comp_targetILNS1_3genE4ELNS1_11target_archE910ELNS1_3gpuE8ELNS1_3repE0EEENS1_30default_config_static_selectorELNS0_4arch9wavefront6targetE1EEEvSD_.num_vgpr, 0
	.set _ZN7rocprim17ROCPRIM_400000_NS6detail17trampoline_kernelINS0_14default_configENS1_22reduce_config_selectorItEEZNS1_11reduce_implILb1ES3_PtS7_t9plus_mod3ItEEE10hipError_tPvRmT1_T2_T3_mT4_P12ihipStream_tbEUlT_E0_NS1_11comp_targetILNS1_3genE4ELNS1_11target_archE910ELNS1_3gpuE8ELNS1_3repE0EEENS1_30default_config_static_selectorELNS0_4arch9wavefront6targetE1EEEvSD_.num_agpr, 0
	.set _ZN7rocprim17ROCPRIM_400000_NS6detail17trampoline_kernelINS0_14default_configENS1_22reduce_config_selectorItEEZNS1_11reduce_implILb1ES3_PtS7_t9plus_mod3ItEEE10hipError_tPvRmT1_T2_T3_mT4_P12ihipStream_tbEUlT_E0_NS1_11comp_targetILNS1_3genE4ELNS1_11target_archE910ELNS1_3gpuE8ELNS1_3repE0EEENS1_30default_config_static_selectorELNS0_4arch9wavefront6targetE1EEEvSD_.numbered_sgpr, 0
	.set _ZN7rocprim17ROCPRIM_400000_NS6detail17trampoline_kernelINS0_14default_configENS1_22reduce_config_selectorItEEZNS1_11reduce_implILb1ES3_PtS7_t9plus_mod3ItEEE10hipError_tPvRmT1_T2_T3_mT4_P12ihipStream_tbEUlT_E0_NS1_11comp_targetILNS1_3genE4ELNS1_11target_archE910ELNS1_3gpuE8ELNS1_3repE0EEENS1_30default_config_static_selectorELNS0_4arch9wavefront6targetE1EEEvSD_.num_named_barrier, 0
	.set _ZN7rocprim17ROCPRIM_400000_NS6detail17trampoline_kernelINS0_14default_configENS1_22reduce_config_selectorItEEZNS1_11reduce_implILb1ES3_PtS7_t9plus_mod3ItEEE10hipError_tPvRmT1_T2_T3_mT4_P12ihipStream_tbEUlT_E0_NS1_11comp_targetILNS1_3genE4ELNS1_11target_archE910ELNS1_3gpuE8ELNS1_3repE0EEENS1_30default_config_static_selectorELNS0_4arch9wavefront6targetE1EEEvSD_.private_seg_size, 0
	.set _ZN7rocprim17ROCPRIM_400000_NS6detail17trampoline_kernelINS0_14default_configENS1_22reduce_config_selectorItEEZNS1_11reduce_implILb1ES3_PtS7_t9plus_mod3ItEEE10hipError_tPvRmT1_T2_T3_mT4_P12ihipStream_tbEUlT_E0_NS1_11comp_targetILNS1_3genE4ELNS1_11target_archE910ELNS1_3gpuE8ELNS1_3repE0EEENS1_30default_config_static_selectorELNS0_4arch9wavefront6targetE1EEEvSD_.uses_vcc, 0
	.set _ZN7rocprim17ROCPRIM_400000_NS6detail17trampoline_kernelINS0_14default_configENS1_22reduce_config_selectorItEEZNS1_11reduce_implILb1ES3_PtS7_t9plus_mod3ItEEE10hipError_tPvRmT1_T2_T3_mT4_P12ihipStream_tbEUlT_E0_NS1_11comp_targetILNS1_3genE4ELNS1_11target_archE910ELNS1_3gpuE8ELNS1_3repE0EEENS1_30default_config_static_selectorELNS0_4arch9wavefront6targetE1EEEvSD_.uses_flat_scratch, 0
	.set _ZN7rocprim17ROCPRIM_400000_NS6detail17trampoline_kernelINS0_14default_configENS1_22reduce_config_selectorItEEZNS1_11reduce_implILb1ES3_PtS7_t9plus_mod3ItEEE10hipError_tPvRmT1_T2_T3_mT4_P12ihipStream_tbEUlT_E0_NS1_11comp_targetILNS1_3genE4ELNS1_11target_archE910ELNS1_3gpuE8ELNS1_3repE0EEENS1_30default_config_static_selectorELNS0_4arch9wavefront6targetE1EEEvSD_.has_dyn_sized_stack, 0
	.set _ZN7rocprim17ROCPRIM_400000_NS6detail17trampoline_kernelINS0_14default_configENS1_22reduce_config_selectorItEEZNS1_11reduce_implILb1ES3_PtS7_t9plus_mod3ItEEE10hipError_tPvRmT1_T2_T3_mT4_P12ihipStream_tbEUlT_E0_NS1_11comp_targetILNS1_3genE4ELNS1_11target_archE910ELNS1_3gpuE8ELNS1_3repE0EEENS1_30default_config_static_selectorELNS0_4arch9wavefront6targetE1EEEvSD_.has_recursion, 0
	.set _ZN7rocprim17ROCPRIM_400000_NS6detail17trampoline_kernelINS0_14default_configENS1_22reduce_config_selectorItEEZNS1_11reduce_implILb1ES3_PtS7_t9plus_mod3ItEEE10hipError_tPvRmT1_T2_T3_mT4_P12ihipStream_tbEUlT_E0_NS1_11comp_targetILNS1_3genE4ELNS1_11target_archE910ELNS1_3gpuE8ELNS1_3repE0EEENS1_30default_config_static_selectorELNS0_4arch9wavefront6targetE1EEEvSD_.has_indirect_call, 0
	.section	.AMDGPU.csdata,"",@progbits
; Kernel info:
; codeLenInByte = 0
; TotalNumSgprs: 6
; NumVgprs: 0
; NumAgprs: 0
; TotalNumVgprs: 0
; ScratchSize: 0
; MemoryBound: 0
; FloatMode: 240
; IeeeMode: 1
; LDSByteSize: 0 bytes/workgroup (compile time only)
; SGPRBlocks: 0
; VGPRBlocks: 0
; NumSGPRsForWavesPerEU: 6
; NumVGPRsForWavesPerEU: 1
; AccumOffset: 4
; Occupancy: 8
; WaveLimiterHint : 0
; COMPUTE_PGM_RSRC2:SCRATCH_EN: 0
; COMPUTE_PGM_RSRC2:USER_SGPR: 2
; COMPUTE_PGM_RSRC2:TRAP_HANDLER: 0
; COMPUTE_PGM_RSRC2:TGID_X_EN: 1
; COMPUTE_PGM_RSRC2:TGID_Y_EN: 0
; COMPUTE_PGM_RSRC2:TGID_Z_EN: 0
; COMPUTE_PGM_RSRC2:TIDIG_COMP_CNT: 0
; COMPUTE_PGM_RSRC3_GFX90A:ACCUM_OFFSET: 0
; COMPUTE_PGM_RSRC3_GFX90A:TG_SPLIT: 0
	.section	.text._ZN7rocprim17ROCPRIM_400000_NS6detail17trampoline_kernelINS0_14default_configENS1_22reduce_config_selectorItEEZNS1_11reduce_implILb1ES3_PtS7_t9plus_mod3ItEEE10hipError_tPvRmT1_T2_T3_mT4_P12ihipStream_tbEUlT_E0_NS1_11comp_targetILNS1_3genE3ELNS1_11target_archE908ELNS1_3gpuE7ELNS1_3repE0EEENS1_30default_config_static_selectorELNS0_4arch9wavefront6targetE1EEEvSD_,"axG",@progbits,_ZN7rocprim17ROCPRIM_400000_NS6detail17trampoline_kernelINS0_14default_configENS1_22reduce_config_selectorItEEZNS1_11reduce_implILb1ES3_PtS7_t9plus_mod3ItEEE10hipError_tPvRmT1_T2_T3_mT4_P12ihipStream_tbEUlT_E0_NS1_11comp_targetILNS1_3genE3ELNS1_11target_archE908ELNS1_3gpuE7ELNS1_3repE0EEENS1_30default_config_static_selectorELNS0_4arch9wavefront6targetE1EEEvSD_,comdat
	.protected	_ZN7rocprim17ROCPRIM_400000_NS6detail17trampoline_kernelINS0_14default_configENS1_22reduce_config_selectorItEEZNS1_11reduce_implILb1ES3_PtS7_t9plus_mod3ItEEE10hipError_tPvRmT1_T2_T3_mT4_P12ihipStream_tbEUlT_E0_NS1_11comp_targetILNS1_3genE3ELNS1_11target_archE908ELNS1_3gpuE7ELNS1_3repE0EEENS1_30default_config_static_selectorELNS0_4arch9wavefront6targetE1EEEvSD_ ; -- Begin function _ZN7rocprim17ROCPRIM_400000_NS6detail17trampoline_kernelINS0_14default_configENS1_22reduce_config_selectorItEEZNS1_11reduce_implILb1ES3_PtS7_t9plus_mod3ItEEE10hipError_tPvRmT1_T2_T3_mT4_P12ihipStream_tbEUlT_E0_NS1_11comp_targetILNS1_3genE3ELNS1_11target_archE908ELNS1_3gpuE7ELNS1_3repE0EEENS1_30default_config_static_selectorELNS0_4arch9wavefront6targetE1EEEvSD_
	.globl	_ZN7rocprim17ROCPRIM_400000_NS6detail17trampoline_kernelINS0_14default_configENS1_22reduce_config_selectorItEEZNS1_11reduce_implILb1ES3_PtS7_t9plus_mod3ItEEE10hipError_tPvRmT1_T2_T3_mT4_P12ihipStream_tbEUlT_E0_NS1_11comp_targetILNS1_3genE3ELNS1_11target_archE908ELNS1_3gpuE7ELNS1_3repE0EEENS1_30default_config_static_selectorELNS0_4arch9wavefront6targetE1EEEvSD_
	.p2align	8
	.type	_ZN7rocprim17ROCPRIM_400000_NS6detail17trampoline_kernelINS0_14default_configENS1_22reduce_config_selectorItEEZNS1_11reduce_implILb1ES3_PtS7_t9plus_mod3ItEEE10hipError_tPvRmT1_T2_T3_mT4_P12ihipStream_tbEUlT_E0_NS1_11comp_targetILNS1_3genE3ELNS1_11target_archE908ELNS1_3gpuE7ELNS1_3repE0EEENS1_30default_config_static_selectorELNS0_4arch9wavefront6targetE1EEEvSD_,@function
_ZN7rocprim17ROCPRIM_400000_NS6detail17trampoline_kernelINS0_14default_configENS1_22reduce_config_selectorItEEZNS1_11reduce_implILb1ES3_PtS7_t9plus_mod3ItEEE10hipError_tPvRmT1_T2_T3_mT4_P12ihipStream_tbEUlT_E0_NS1_11comp_targetILNS1_3genE3ELNS1_11target_archE908ELNS1_3gpuE7ELNS1_3repE0EEENS1_30default_config_static_selectorELNS0_4arch9wavefront6targetE1EEEvSD_: ; @_ZN7rocprim17ROCPRIM_400000_NS6detail17trampoline_kernelINS0_14default_configENS1_22reduce_config_selectorItEEZNS1_11reduce_implILb1ES3_PtS7_t9plus_mod3ItEEE10hipError_tPvRmT1_T2_T3_mT4_P12ihipStream_tbEUlT_E0_NS1_11comp_targetILNS1_3genE3ELNS1_11target_archE908ELNS1_3gpuE7ELNS1_3repE0EEENS1_30default_config_static_selectorELNS0_4arch9wavefront6targetE1EEEvSD_
; %bb.0:
	.section	.rodata,"a",@progbits
	.p2align	6, 0x0
	.amdhsa_kernel _ZN7rocprim17ROCPRIM_400000_NS6detail17trampoline_kernelINS0_14default_configENS1_22reduce_config_selectorItEEZNS1_11reduce_implILb1ES3_PtS7_t9plus_mod3ItEEE10hipError_tPvRmT1_T2_T3_mT4_P12ihipStream_tbEUlT_E0_NS1_11comp_targetILNS1_3genE3ELNS1_11target_archE908ELNS1_3gpuE7ELNS1_3repE0EEENS1_30default_config_static_selectorELNS0_4arch9wavefront6targetE1EEEvSD_
		.amdhsa_group_segment_fixed_size 0
		.amdhsa_private_segment_fixed_size 0
		.amdhsa_kernarg_size 64
		.amdhsa_user_sgpr_count 2
		.amdhsa_user_sgpr_dispatch_ptr 0
		.amdhsa_user_sgpr_queue_ptr 0
		.amdhsa_user_sgpr_kernarg_segment_ptr 1
		.amdhsa_user_sgpr_dispatch_id 0
		.amdhsa_user_sgpr_kernarg_preload_length 0
		.amdhsa_user_sgpr_kernarg_preload_offset 0
		.amdhsa_user_sgpr_private_segment_size 0
		.amdhsa_uses_dynamic_stack 0
		.amdhsa_enable_private_segment 0
		.amdhsa_system_sgpr_workgroup_id_x 1
		.amdhsa_system_sgpr_workgroup_id_y 0
		.amdhsa_system_sgpr_workgroup_id_z 0
		.amdhsa_system_sgpr_workgroup_info 0
		.amdhsa_system_vgpr_workitem_id 0
		.amdhsa_next_free_vgpr 1
		.amdhsa_next_free_sgpr 0
		.amdhsa_accum_offset 4
		.amdhsa_reserve_vcc 0
		.amdhsa_float_round_mode_32 0
		.amdhsa_float_round_mode_16_64 0
		.amdhsa_float_denorm_mode_32 3
		.amdhsa_float_denorm_mode_16_64 3
		.amdhsa_dx10_clamp 1
		.amdhsa_ieee_mode 1
		.amdhsa_fp16_overflow 0
		.amdhsa_tg_split 0
		.amdhsa_exception_fp_ieee_invalid_op 0
		.amdhsa_exception_fp_denorm_src 0
		.amdhsa_exception_fp_ieee_div_zero 0
		.amdhsa_exception_fp_ieee_overflow 0
		.amdhsa_exception_fp_ieee_underflow 0
		.amdhsa_exception_fp_ieee_inexact 0
		.amdhsa_exception_int_div_zero 0
	.end_amdhsa_kernel
	.section	.text._ZN7rocprim17ROCPRIM_400000_NS6detail17trampoline_kernelINS0_14default_configENS1_22reduce_config_selectorItEEZNS1_11reduce_implILb1ES3_PtS7_t9plus_mod3ItEEE10hipError_tPvRmT1_T2_T3_mT4_P12ihipStream_tbEUlT_E0_NS1_11comp_targetILNS1_3genE3ELNS1_11target_archE908ELNS1_3gpuE7ELNS1_3repE0EEENS1_30default_config_static_selectorELNS0_4arch9wavefront6targetE1EEEvSD_,"axG",@progbits,_ZN7rocprim17ROCPRIM_400000_NS6detail17trampoline_kernelINS0_14default_configENS1_22reduce_config_selectorItEEZNS1_11reduce_implILb1ES3_PtS7_t9plus_mod3ItEEE10hipError_tPvRmT1_T2_T3_mT4_P12ihipStream_tbEUlT_E0_NS1_11comp_targetILNS1_3genE3ELNS1_11target_archE908ELNS1_3gpuE7ELNS1_3repE0EEENS1_30default_config_static_selectorELNS0_4arch9wavefront6targetE1EEEvSD_,comdat
.Lfunc_end842:
	.size	_ZN7rocprim17ROCPRIM_400000_NS6detail17trampoline_kernelINS0_14default_configENS1_22reduce_config_selectorItEEZNS1_11reduce_implILb1ES3_PtS7_t9plus_mod3ItEEE10hipError_tPvRmT1_T2_T3_mT4_P12ihipStream_tbEUlT_E0_NS1_11comp_targetILNS1_3genE3ELNS1_11target_archE908ELNS1_3gpuE7ELNS1_3repE0EEENS1_30default_config_static_selectorELNS0_4arch9wavefront6targetE1EEEvSD_, .Lfunc_end842-_ZN7rocprim17ROCPRIM_400000_NS6detail17trampoline_kernelINS0_14default_configENS1_22reduce_config_selectorItEEZNS1_11reduce_implILb1ES3_PtS7_t9plus_mod3ItEEE10hipError_tPvRmT1_T2_T3_mT4_P12ihipStream_tbEUlT_E0_NS1_11comp_targetILNS1_3genE3ELNS1_11target_archE908ELNS1_3gpuE7ELNS1_3repE0EEENS1_30default_config_static_selectorELNS0_4arch9wavefront6targetE1EEEvSD_
                                        ; -- End function
	.set _ZN7rocprim17ROCPRIM_400000_NS6detail17trampoline_kernelINS0_14default_configENS1_22reduce_config_selectorItEEZNS1_11reduce_implILb1ES3_PtS7_t9plus_mod3ItEEE10hipError_tPvRmT1_T2_T3_mT4_P12ihipStream_tbEUlT_E0_NS1_11comp_targetILNS1_3genE3ELNS1_11target_archE908ELNS1_3gpuE7ELNS1_3repE0EEENS1_30default_config_static_selectorELNS0_4arch9wavefront6targetE1EEEvSD_.num_vgpr, 0
	.set _ZN7rocprim17ROCPRIM_400000_NS6detail17trampoline_kernelINS0_14default_configENS1_22reduce_config_selectorItEEZNS1_11reduce_implILb1ES3_PtS7_t9plus_mod3ItEEE10hipError_tPvRmT1_T2_T3_mT4_P12ihipStream_tbEUlT_E0_NS1_11comp_targetILNS1_3genE3ELNS1_11target_archE908ELNS1_3gpuE7ELNS1_3repE0EEENS1_30default_config_static_selectorELNS0_4arch9wavefront6targetE1EEEvSD_.num_agpr, 0
	.set _ZN7rocprim17ROCPRIM_400000_NS6detail17trampoline_kernelINS0_14default_configENS1_22reduce_config_selectorItEEZNS1_11reduce_implILb1ES3_PtS7_t9plus_mod3ItEEE10hipError_tPvRmT1_T2_T3_mT4_P12ihipStream_tbEUlT_E0_NS1_11comp_targetILNS1_3genE3ELNS1_11target_archE908ELNS1_3gpuE7ELNS1_3repE0EEENS1_30default_config_static_selectorELNS0_4arch9wavefront6targetE1EEEvSD_.numbered_sgpr, 0
	.set _ZN7rocprim17ROCPRIM_400000_NS6detail17trampoline_kernelINS0_14default_configENS1_22reduce_config_selectorItEEZNS1_11reduce_implILb1ES3_PtS7_t9plus_mod3ItEEE10hipError_tPvRmT1_T2_T3_mT4_P12ihipStream_tbEUlT_E0_NS1_11comp_targetILNS1_3genE3ELNS1_11target_archE908ELNS1_3gpuE7ELNS1_3repE0EEENS1_30default_config_static_selectorELNS0_4arch9wavefront6targetE1EEEvSD_.num_named_barrier, 0
	.set _ZN7rocprim17ROCPRIM_400000_NS6detail17trampoline_kernelINS0_14default_configENS1_22reduce_config_selectorItEEZNS1_11reduce_implILb1ES3_PtS7_t9plus_mod3ItEEE10hipError_tPvRmT1_T2_T3_mT4_P12ihipStream_tbEUlT_E0_NS1_11comp_targetILNS1_3genE3ELNS1_11target_archE908ELNS1_3gpuE7ELNS1_3repE0EEENS1_30default_config_static_selectorELNS0_4arch9wavefront6targetE1EEEvSD_.private_seg_size, 0
	.set _ZN7rocprim17ROCPRIM_400000_NS6detail17trampoline_kernelINS0_14default_configENS1_22reduce_config_selectorItEEZNS1_11reduce_implILb1ES3_PtS7_t9plus_mod3ItEEE10hipError_tPvRmT1_T2_T3_mT4_P12ihipStream_tbEUlT_E0_NS1_11comp_targetILNS1_3genE3ELNS1_11target_archE908ELNS1_3gpuE7ELNS1_3repE0EEENS1_30default_config_static_selectorELNS0_4arch9wavefront6targetE1EEEvSD_.uses_vcc, 0
	.set _ZN7rocprim17ROCPRIM_400000_NS6detail17trampoline_kernelINS0_14default_configENS1_22reduce_config_selectorItEEZNS1_11reduce_implILb1ES3_PtS7_t9plus_mod3ItEEE10hipError_tPvRmT1_T2_T3_mT4_P12ihipStream_tbEUlT_E0_NS1_11comp_targetILNS1_3genE3ELNS1_11target_archE908ELNS1_3gpuE7ELNS1_3repE0EEENS1_30default_config_static_selectorELNS0_4arch9wavefront6targetE1EEEvSD_.uses_flat_scratch, 0
	.set _ZN7rocprim17ROCPRIM_400000_NS6detail17trampoline_kernelINS0_14default_configENS1_22reduce_config_selectorItEEZNS1_11reduce_implILb1ES3_PtS7_t9plus_mod3ItEEE10hipError_tPvRmT1_T2_T3_mT4_P12ihipStream_tbEUlT_E0_NS1_11comp_targetILNS1_3genE3ELNS1_11target_archE908ELNS1_3gpuE7ELNS1_3repE0EEENS1_30default_config_static_selectorELNS0_4arch9wavefront6targetE1EEEvSD_.has_dyn_sized_stack, 0
	.set _ZN7rocprim17ROCPRIM_400000_NS6detail17trampoline_kernelINS0_14default_configENS1_22reduce_config_selectorItEEZNS1_11reduce_implILb1ES3_PtS7_t9plus_mod3ItEEE10hipError_tPvRmT1_T2_T3_mT4_P12ihipStream_tbEUlT_E0_NS1_11comp_targetILNS1_3genE3ELNS1_11target_archE908ELNS1_3gpuE7ELNS1_3repE0EEENS1_30default_config_static_selectorELNS0_4arch9wavefront6targetE1EEEvSD_.has_recursion, 0
	.set _ZN7rocprim17ROCPRIM_400000_NS6detail17trampoline_kernelINS0_14default_configENS1_22reduce_config_selectorItEEZNS1_11reduce_implILb1ES3_PtS7_t9plus_mod3ItEEE10hipError_tPvRmT1_T2_T3_mT4_P12ihipStream_tbEUlT_E0_NS1_11comp_targetILNS1_3genE3ELNS1_11target_archE908ELNS1_3gpuE7ELNS1_3repE0EEENS1_30default_config_static_selectorELNS0_4arch9wavefront6targetE1EEEvSD_.has_indirect_call, 0
	.section	.AMDGPU.csdata,"",@progbits
; Kernel info:
; codeLenInByte = 0
; TotalNumSgprs: 6
; NumVgprs: 0
; NumAgprs: 0
; TotalNumVgprs: 0
; ScratchSize: 0
; MemoryBound: 0
; FloatMode: 240
; IeeeMode: 1
; LDSByteSize: 0 bytes/workgroup (compile time only)
; SGPRBlocks: 0
; VGPRBlocks: 0
; NumSGPRsForWavesPerEU: 6
; NumVGPRsForWavesPerEU: 1
; AccumOffset: 4
; Occupancy: 8
; WaveLimiterHint : 0
; COMPUTE_PGM_RSRC2:SCRATCH_EN: 0
; COMPUTE_PGM_RSRC2:USER_SGPR: 2
; COMPUTE_PGM_RSRC2:TRAP_HANDLER: 0
; COMPUTE_PGM_RSRC2:TGID_X_EN: 1
; COMPUTE_PGM_RSRC2:TGID_Y_EN: 0
; COMPUTE_PGM_RSRC2:TGID_Z_EN: 0
; COMPUTE_PGM_RSRC2:TIDIG_COMP_CNT: 0
; COMPUTE_PGM_RSRC3_GFX90A:ACCUM_OFFSET: 0
; COMPUTE_PGM_RSRC3_GFX90A:TG_SPLIT: 0
	.section	.text._ZN7rocprim17ROCPRIM_400000_NS6detail17trampoline_kernelINS0_14default_configENS1_22reduce_config_selectorItEEZNS1_11reduce_implILb1ES3_PtS7_t9plus_mod3ItEEE10hipError_tPvRmT1_T2_T3_mT4_P12ihipStream_tbEUlT_E0_NS1_11comp_targetILNS1_3genE2ELNS1_11target_archE906ELNS1_3gpuE6ELNS1_3repE0EEENS1_30default_config_static_selectorELNS0_4arch9wavefront6targetE1EEEvSD_,"axG",@progbits,_ZN7rocprim17ROCPRIM_400000_NS6detail17trampoline_kernelINS0_14default_configENS1_22reduce_config_selectorItEEZNS1_11reduce_implILb1ES3_PtS7_t9plus_mod3ItEEE10hipError_tPvRmT1_T2_T3_mT4_P12ihipStream_tbEUlT_E0_NS1_11comp_targetILNS1_3genE2ELNS1_11target_archE906ELNS1_3gpuE6ELNS1_3repE0EEENS1_30default_config_static_selectorELNS0_4arch9wavefront6targetE1EEEvSD_,comdat
	.protected	_ZN7rocprim17ROCPRIM_400000_NS6detail17trampoline_kernelINS0_14default_configENS1_22reduce_config_selectorItEEZNS1_11reduce_implILb1ES3_PtS7_t9plus_mod3ItEEE10hipError_tPvRmT1_T2_T3_mT4_P12ihipStream_tbEUlT_E0_NS1_11comp_targetILNS1_3genE2ELNS1_11target_archE906ELNS1_3gpuE6ELNS1_3repE0EEENS1_30default_config_static_selectorELNS0_4arch9wavefront6targetE1EEEvSD_ ; -- Begin function _ZN7rocprim17ROCPRIM_400000_NS6detail17trampoline_kernelINS0_14default_configENS1_22reduce_config_selectorItEEZNS1_11reduce_implILb1ES3_PtS7_t9plus_mod3ItEEE10hipError_tPvRmT1_T2_T3_mT4_P12ihipStream_tbEUlT_E0_NS1_11comp_targetILNS1_3genE2ELNS1_11target_archE906ELNS1_3gpuE6ELNS1_3repE0EEENS1_30default_config_static_selectorELNS0_4arch9wavefront6targetE1EEEvSD_
	.globl	_ZN7rocprim17ROCPRIM_400000_NS6detail17trampoline_kernelINS0_14default_configENS1_22reduce_config_selectorItEEZNS1_11reduce_implILb1ES3_PtS7_t9plus_mod3ItEEE10hipError_tPvRmT1_T2_T3_mT4_P12ihipStream_tbEUlT_E0_NS1_11comp_targetILNS1_3genE2ELNS1_11target_archE906ELNS1_3gpuE6ELNS1_3repE0EEENS1_30default_config_static_selectorELNS0_4arch9wavefront6targetE1EEEvSD_
	.p2align	8
	.type	_ZN7rocprim17ROCPRIM_400000_NS6detail17trampoline_kernelINS0_14default_configENS1_22reduce_config_selectorItEEZNS1_11reduce_implILb1ES3_PtS7_t9plus_mod3ItEEE10hipError_tPvRmT1_T2_T3_mT4_P12ihipStream_tbEUlT_E0_NS1_11comp_targetILNS1_3genE2ELNS1_11target_archE906ELNS1_3gpuE6ELNS1_3repE0EEENS1_30default_config_static_selectorELNS0_4arch9wavefront6targetE1EEEvSD_,@function
_ZN7rocprim17ROCPRIM_400000_NS6detail17trampoline_kernelINS0_14default_configENS1_22reduce_config_selectorItEEZNS1_11reduce_implILb1ES3_PtS7_t9plus_mod3ItEEE10hipError_tPvRmT1_T2_T3_mT4_P12ihipStream_tbEUlT_E0_NS1_11comp_targetILNS1_3genE2ELNS1_11target_archE906ELNS1_3gpuE6ELNS1_3repE0EEENS1_30default_config_static_selectorELNS0_4arch9wavefront6targetE1EEEvSD_: ; @_ZN7rocprim17ROCPRIM_400000_NS6detail17trampoline_kernelINS0_14default_configENS1_22reduce_config_selectorItEEZNS1_11reduce_implILb1ES3_PtS7_t9plus_mod3ItEEE10hipError_tPvRmT1_T2_T3_mT4_P12ihipStream_tbEUlT_E0_NS1_11comp_targetILNS1_3genE2ELNS1_11target_archE906ELNS1_3gpuE6ELNS1_3repE0EEENS1_30default_config_static_selectorELNS0_4arch9wavefront6targetE1EEEvSD_
; %bb.0:
	.section	.rodata,"a",@progbits
	.p2align	6, 0x0
	.amdhsa_kernel _ZN7rocprim17ROCPRIM_400000_NS6detail17trampoline_kernelINS0_14default_configENS1_22reduce_config_selectorItEEZNS1_11reduce_implILb1ES3_PtS7_t9plus_mod3ItEEE10hipError_tPvRmT1_T2_T3_mT4_P12ihipStream_tbEUlT_E0_NS1_11comp_targetILNS1_3genE2ELNS1_11target_archE906ELNS1_3gpuE6ELNS1_3repE0EEENS1_30default_config_static_selectorELNS0_4arch9wavefront6targetE1EEEvSD_
		.amdhsa_group_segment_fixed_size 0
		.amdhsa_private_segment_fixed_size 0
		.amdhsa_kernarg_size 64
		.amdhsa_user_sgpr_count 2
		.amdhsa_user_sgpr_dispatch_ptr 0
		.amdhsa_user_sgpr_queue_ptr 0
		.amdhsa_user_sgpr_kernarg_segment_ptr 1
		.amdhsa_user_sgpr_dispatch_id 0
		.amdhsa_user_sgpr_kernarg_preload_length 0
		.amdhsa_user_sgpr_kernarg_preload_offset 0
		.amdhsa_user_sgpr_private_segment_size 0
		.amdhsa_uses_dynamic_stack 0
		.amdhsa_enable_private_segment 0
		.amdhsa_system_sgpr_workgroup_id_x 1
		.amdhsa_system_sgpr_workgroup_id_y 0
		.amdhsa_system_sgpr_workgroup_id_z 0
		.amdhsa_system_sgpr_workgroup_info 0
		.amdhsa_system_vgpr_workitem_id 0
		.amdhsa_next_free_vgpr 1
		.amdhsa_next_free_sgpr 0
		.amdhsa_accum_offset 4
		.amdhsa_reserve_vcc 0
		.amdhsa_float_round_mode_32 0
		.amdhsa_float_round_mode_16_64 0
		.amdhsa_float_denorm_mode_32 3
		.amdhsa_float_denorm_mode_16_64 3
		.amdhsa_dx10_clamp 1
		.amdhsa_ieee_mode 1
		.amdhsa_fp16_overflow 0
		.amdhsa_tg_split 0
		.amdhsa_exception_fp_ieee_invalid_op 0
		.amdhsa_exception_fp_denorm_src 0
		.amdhsa_exception_fp_ieee_div_zero 0
		.amdhsa_exception_fp_ieee_overflow 0
		.amdhsa_exception_fp_ieee_underflow 0
		.amdhsa_exception_fp_ieee_inexact 0
		.amdhsa_exception_int_div_zero 0
	.end_amdhsa_kernel
	.section	.text._ZN7rocprim17ROCPRIM_400000_NS6detail17trampoline_kernelINS0_14default_configENS1_22reduce_config_selectorItEEZNS1_11reduce_implILb1ES3_PtS7_t9plus_mod3ItEEE10hipError_tPvRmT1_T2_T3_mT4_P12ihipStream_tbEUlT_E0_NS1_11comp_targetILNS1_3genE2ELNS1_11target_archE906ELNS1_3gpuE6ELNS1_3repE0EEENS1_30default_config_static_selectorELNS0_4arch9wavefront6targetE1EEEvSD_,"axG",@progbits,_ZN7rocprim17ROCPRIM_400000_NS6detail17trampoline_kernelINS0_14default_configENS1_22reduce_config_selectorItEEZNS1_11reduce_implILb1ES3_PtS7_t9plus_mod3ItEEE10hipError_tPvRmT1_T2_T3_mT4_P12ihipStream_tbEUlT_E0_NS1_11comp_targetILNS1_3genE2ELNS1_11target_archE906ELNS1_3gpuE6ELNS1_3repE0EEENS1_30default_config_static_selectorELNS0_4arch9wavefront6targetE1EEEvSD_,comdat
.Lfunc_end843:
	.size	_ZN7rocprim17ROCPRIM_400000_NS6detail17trampoline_kernelINS0_14default_configENS1_22reduce_config_selectorItEEZNS1_11reduce_implILb1ES3_PtS7_t9plus_mod3ItEEE10hipError_tPvRmT1_T2_T3_mT4_P12ihipStream_tbEUlT_E0_NS1_11comp_targetILNS1_3genE2ELNS1_11target_archE906ELNS1_3gpuE6ELNS1_3repE0EEENS1_30default_config_static_selectorELNS0_4arch9wavefront6targetE1EEEvSD_, .Lfunc_end843-_ZN7rocprim17ROCPRIM_400000_NS6detail17trampoline_kernelINS0_14default_configENS1_22reduce_config_selectorItEEZNS1_11reduce_implILb1ES3_PtS7_t9plus_mod3ItEEE10hipError_tPvRmT1_T2_T3_mT4_P12ihipStream_tbEUlT_E0_NS1_11comp_targetILNS1_3genE2ELNS1_11target_archE906ELNS1_3gpuE6ELNS1_3repE0EEENS1_30default_config_static_selectorELNS0_4arch9wavefront6targetE1EEEvSD_
                                        ; -- End function
	.set _ZN7rocprim17ROCPRIM_400000_NS6detail17trampoline_kernelINS0_14default_configENS1_22reduce_config_selectorItEEZNS1_11reduce_implILb1ES3_PtS7_t9plus_mod3ItEEE10hipError_tPvRmT1_T2_T3_mT4_P12ihipStream_tbEUlT_E0_NS1_11comp_targetILNS1_3genE2ELNS1_11target_archE906ELNS1_3gpuE6ELNS1_3repE0EEENS1_30default_config_static_selectorELNS0_4arch9wavefront6targetE1EEEvSD_.num_vgpr, 0
	.set _ZN7rocprim17ROCPRIM_400000_NS6detail17trampoline_kernelINS0_14default_configENS1_22reduce_config_selectorItEEZNS1_11reduce_implILb1ES3_PtS7_t9plus_mod3ItEEE10hipError_tPvRmT1_T2_T3_mT4_P12ihipStream_tbEUlT_E0_NS1_11comp_targetILNS1_3genE2ELNS1_11target_archE906ELNS1_3gpuE6ELNS1_3repE0EEENS1_30default_config_static_selectorELNS0_4arch9wavefront6targetE1EEEvSD_.num_agpr, 0
	.set _ZN7rocprim17ROCPRIM_400000_NS6detail17trampoline_kernelINS0_14default_configENS1_22reduce_config_selectorItEEZNS1_11reduce_implILb1ES3_PtS7_t9plus_mod3ItEEE10hipError_tPvRmT1_T2_T3_mT4_P12ihipStream_tbEUlT_E0_NS1_11comp_targetILNS1_3genE2ELNS1_11target_archE906ELNS1_3gpuE6ELNS1_3repE0EEENS1_30default_config_static_selectorELNS0_4arch9wavefront6targetE1EEEvSD_.numbered_sgpr, 0
	.set _ZN7rocprim17ROCPRIM_400000_NS6detail17trampoline_kernelINS0_14default_configENS1_22reduce_config_selectorItEEZNS1_11reduce_implILb1ES3_PtS7_t9plus_mod3ItEEE10hipError_tPvRmT1_T2_T3_mT4_P12ihipStream_tbEUlT_E0_NS1_11comp_targetILNS1_3genE2ELNS1_11target_archE906ELNS1_3gpuE6ELNS1_3repE0EEENS1_30default_config_static_selectorELNS0_4arch9wavefront6targetE1EEEvSD_.num_named_barrier, 0
	.set _ZN7rocprim17ROCPRIM_400000_NS6detail17trampoline_kernelINS0_14default_configENS1_22reduce_config_selectorItEEZNS1_11reduce_implILb1ES3_PtS7_t9plus_mod3ItEEE10hipError_tPvRmT1_T2_T3_mT4_P12ihipStream_tbEUlT_E0_NS1_11comp_targetILNS1_3genE2ELNS1_11target_archE906ELNS1_3gpuE6ELNS1_3repE0EEENS1_30default_config_static_selectorELNS0_4arch9wavefront6targetE1EEEvSD_.private_seg_size, 0
	.set _ZN7rocprim17ROCPRIM_400000_NS6detail17trampoline_kernelINS0_14default_configENS1_22reduce_config_selectorItEEZNS1_11reduce_implILb1ES3_PtS7_t9plus_mod3ItEEE10hipError_tPvRmT1_T2_T3_mT4_P12ihipStream_tbEUlT_E0_NS1_11comp_targetILNS1_3genE2ELNS1_11target_archE906ELNS1_3gpuE6ELNS1_3repE0EEENS1_30default_config_static_selectorELNS0_4arch9wavefront6targetE1EEEvSD_.uses_vcc, 0
	.set _ZN7rocprim17ROCPRIM_400000_NS6detail17trampoline_kernelINS0_14default_configENS1_22reduce_config_selectorItEEZNS1_11reduce_implILb1ES3_PtS7_t9plus_mod3ItEEE10hipError_tPvRmT1_T2_T3_mT4_P12ihipStream_tbEUlT_E0_NS1_11comp_targetILNS1_3genE2ELNS1_11target_archE906ELNS1_3gpuE6ELNS1_3repE0EEENS1_30default_config_static_selectorELNS0_4arch9wavefront6targetE1EEEvSD_.uses_flat_scratch, 0
	.set _ZN7rocprim17ROCPRIM_400000_NS6detail17trampoline_kernelINS0_14default_configENS1_22reduce_config_selectorItEEZNS1_11reduce_implILb1ES3_PtS7_t9plus_mod3ItEEE10hipError_tPvRmT1_T2_T3_mT4_P12ihipStream_tbEUlT_E0_NS1_11comp_targetILNS1_3genE2ELNS1_11target_archE906ELNS1_3gpuE6ELNS1_3repE0EEENS1_30default_config_static_selectorELNS0_4arch9wavefront6targetE1EEEvSD_.has_dyn_sized_stack, 0
	.set _ZN7rocprim17ROCPRIM_400000_NS6detail17trampoline_kernelINS0_14default_configENS1_22reduce_config_selectorItEEZNS1_11reduce_implILb1ES3_PtS7_t9plus_mod3ItEEE10hipError_tPvRmT1_T2_T3_mT4_P12ihipStream_tbEUlT_E0_NS1_11comp_targetILNS1_3genE2ELNS1_11target_archE906ELNS1_3gpuE6ELNS1_3repE0EEENS1_30default_config_static_selectorELNS0_4arch9wavefront6targetE1EEEvSD_.has_recursion, 0
	.set _ZN7rocprim17ROCPRIM_400000_NS6detail17trampoline_kernelINS0_14default_configENS1_22reduce_config_selectorItEEZNS1_11reduce_implILb1ES3_PtS7_t9plus_mod3ItEEE10hipError_tPvRmT1_T2_T3_mT4_P12ihipStream_tbEUlT_E0_NS1_11comp_targetILNS1_3genE2ELNS1_11target_archE906ELNS1_3gpuE6ELNS1_3repE0EEENS1_30default_config_static_selectorELNS0_4arch9wavefront6targetE1EEEvSD_.has_indirect_call, 0
	.section	.AMDGPU.csdata,"",@progbits
; Kernel info:
; codeLenInByte = 0
; TotalNumSgprs: 6
; NumVgprs: 0
; NumAgprs: 0
; TotalNumVgprs: 0
; ScratchSize: 0
; MemoryBound: 0
; FloatMode: 240
; IeeeMode: 1
; LDSByteSize: 0 bytes/workgroup (compile time only)
; SGPRBlocks: 0
; VGPRBlocks: 0
; NumSGPRsForWavesPerEU: 6
; NumVGPRsForWavesPerEU: 1
; AccumOffset: 4
; Occupancy: 8
; WaveLimiterHint : 0
; COMPUTE_PGM_RSRC2:SCRATCH_EN: 0
; COMPUTE_PGM_RSRC2:USER_SGPR: 2
; COMPUTE_PGM_RSRC2:TRAP_HANDLER: 0
; COMPUTE_PGM_RSRC2:TGID_X_EN: 1
; COMPUTE_PGM_RSRC2:TGID_Y_EN: 0
; COMPUTE_PGM_RSRC2:TGID_Z_EN: 0
; COMPUTE_PGM_RSRC2:TIDIG_COMP_CNT: 0
; COMPUTE_PGM_RSRC3_GFX90A:ACCUM_OFFSET: 0
; COMPUTE_PGM_RSRC3_GFX90A:TG_SPLIT: 0
	.section	.text._ZN7rocprim17ROCPRIM_400000_NS6detail17trampoline_kernelINS0_14default_configENS1_22reduce_config_selectorItEEZNS1_11reduce_implILb1ES3_PtS7_t9plus_mod3ItEEE10hipError_tPvRmT1_T2_T3_mT4_P12ihipStream_tbEUlT_E0_NS1_11comp_targetILNS1_3genE10ELNS1_11target_archE1201ELNS1_3gpuE5ELNS1_3repE0EEENS1_30default_config_static_selectorELNS0_4arch9wavefront6targetE1EEEvSD_,"axG",@progbits,_ZN7rocprim17ROCPRIM_400000_NS6detail17trampoline_kernelINS0_14default_configENS1_22reduce_config_selectorItEEZNS1_11reduce_implILb1ES3_PtS7_t9plus_mod3ItEEE10hipError_tPvRmT1_T2_T3_mT4_P12ihipStream_tbEUlT_E0_NS1_11comp_targetILNS1_3genE10ELNS1_11target_archE1201ELNS1_3gpuE5ELNS1_3repE0EEENS1_30default_config_static_selectorELNS0_4arch9wavefront6targetE1EEEvSD_,comdat
	.protected	_ZN7rocprim17ROCPRIM_400000_NS6detail17trampoline_kernelINS0_14default_configENS1_22reduce_config_selectorItEEZNS1_11reduce_implILb1ES3_PtS7_t9plus_mod3ItEEE10hipError_tPvRmT1_T2_T3_mT4_P12ihipStream_tbEUlT_E0_NS1_11comp_targetILNS1_3genE10ELNS1_11target_archE1201ELNS1_3gpuE5ELNS1_3repE0EEENS1_30default_config_static_selectorELNS0_4arch9wavefront6targetE1EEEvSD_ ; -- Begin function _ZN7rocprim17ROCPRIM_400000_NS6detail17trampoline_kernelINS0_14default_configENS1_22reduce_config_selectorItEEZNS1_11reduce_implILb1ES3_PtS7_t9plus_mod3ItEEE10hipError_tPvRmT1_T2_T3_mT4_P12ihipStream_tbEUlT_E0_NS1_11comp_targetILNS1_3genE10ELNS1_11target_archE1201ELNS1_3gpuE5ELNS1_3repE0EEENS1_30default_config_static_selectorELNS0_4arch9wavefront6targetE1EEEvSD_
	.globl	_ZN7rocprim17ROCPRIM_400000_NS6detail17trampoline_kernelINS0_14default_configENS1_22reduce_config_selectorItEEZNS1_11reduce_implILb1ES3_PtS7_t9plus_mod3ItEEE10hipError_tPvRmT1_T2_T3_mT4_P12ihipStream_tbEUlT_E0_NS1_11comp_targetILNS1_3genE10ELNS1_11target_archE1201ELNS1_3gpuE5ELNS1_3repE0EEENS1_30default_config_static_selectorELNS0_4arch9wavefront6targetE1EEEvSD_
	.p2align	8
	.type	_ZN7rocprim17ROCPRIM_400000_NS6detail17trampoline_kernelINS0_14default_configENS1_22reduce_config_selectorItEEZNS1_11reduce_implILb1ES3_PtS7_t9plus_mod3ItEEE10hipError_tPvRmT1_T2_T3_mT4_P12ihipStream_tbEUlT_E0_NS1_11comp_targetILNS1_3genE10ELNS1_11target_archE1201ELNS1_3gpuE5ELNS1_3repE0EEENS1_30default_config_static_selectorELNS0_4arch9wavefront6targetE1EEEvSD_,@function
_ZN7rocprim17ROCPRIM_400000_NS6detail17trampoline_kernelINS0_14default_configENS1_22reduce_config_selectorItEEZNS1_11reduce_implILb1ES3_PtS7_t9plus_mod3ItEEE10hipError_tPvRmT1_T2_T3_mT4_P12ihipStream_tbEUlT_E0_NS1_11comp_targetILNS1_3genE10ELNS1_11target_archE1201ELNS1_3gpuE5ELNS1_3repE0EEENS1_30default_config_static_selectorELNS0_4arch9wavefront6targetE1EEEvSD_: ; @_ZN7rocprim17ROCPRIM_400000_NS6detail17trampoline_kernelINS0_14default_configENS1_22reduce_config_selectorItEEZNS1_11reduce_implILb1ES3_PtS7_t9plus_mod3ItEEE10hipError_tPvRmT1_T2_T3_mT4_P12ihipStream_tbEUlT_E0_NS1_11comp_targetILNS1_3genE10ELNS1_11target_archE1201ELNS1_3gpuE5ELNS1_3repE0EEENS1_30default_config_static_selectorELNS0_4arch9wavefront6targetE1EEEvSD_
; %bb.0:
	.section	.rodata,"a",@progbits
	.p2align	6, 0x0
	.amdhsa_kernel _ZN7rocprim17ROCPRIM_400000_NS6detail17trampoline_kernelINS0_14default_configENS1_22reduce_config_selectorItEEZNS1_11reduce_implILb1ES3_PtS7_t9plus_mod3ItEEE10hipError_tPvRmT1_T2_T3_mT4_P12ihipStream_tbEUlT_E0_NS1_11comp_targetILNS1_3genE10ELNS1_11target_archE1201ELNS1_3gpuE5ELNS1_3repE0EEENS1_30default_config_static_selectorELNS0_4arch9wavefront6targetE1EEEvSD_
		.amdhsa_group_segment_fixed_size 0
		.amdhsa_private_segment_fixed_size 0
		.amdhsa_kernarg_size 64
		.amdhsa_user_sgpr_count 2
		.amdhsa_user_sgpr_dispatch_ptr 0
		.amdhsa_user_sgpr_queue_ptr 0
		.amdhsa_user_sgpr_kernarg_segment_ptr 1
		.amdhsa_user_sgpr_dispatch_id 0
		.amdhsa_user_sgpr_kernarg_preload_length 0
		.amdhsa_user_sgpr_kernarg_preload_offset 0
		.amdhsa_user_sgpr_private_segment_size 0
		.amdhsa_uses_dynamic_stack 0
		.amdhsa_enable_private_segment 0
		.amdhsa_system_sgpr_workgroup_id_x 1
		.amdhsa_system_sgpr_workgroup_id_y 0
		.amdhsa_system_sgpr_workgroup_id_z 0
		.amdhsa_system_sgpr_workgroup_info 0
		.amdhsa_system_vgpr_workitem_id 0
		.amdhsa_next_free_vgpr 1
		.amdhsa_next_free_sgpr 0
		.amdhsa_accum_offset 4
		.amdhsa_reserve_vcc 0
		.amdhsa_float_round_mode_32 0
		.amdhsa_float_round_mode_16_64 0
		.amdhsa_float_denorm_mode_32 3
		.amdhsa_float_denorm_mode_16_64 3
		.amdhsa_dx10_clamp 1
		.amdhsa_ieee_mode 1
		.amdhsa_fp16_overflow 0
		.amdhsa_tg_split 0
		.amdhsa_exception_fp_ieee_invalid_op 0
		.amdhsa_exception_fp_denorm_src 0
		.amdhsa_exception_fp_ieee_div_zero 0
		.amdhsa_exception_fp_ieee_overflow 0
		.amdhsa_exception_fp_ieee_underflow 0
		.amdhsa_exception_fp_ieee_inexact 0
		.amdhsa_exception_int_div_zero 0
	.end_amdhsa_kernel
	.section	.text._ZN7rocprim17ROCPRIM_400000_NS6detail17trampoline_kernelINS0_14default_configENS1_22reduce_config_selectorItEEZNS1_11reduce_implILb1ES3_PtS7_t9plus_mod3ItEEE10hipError_tPvRmT1_T2_T3_mT4_P12ihipStream_tbEUlT_E0_NS1_11comp_targetILNS1_3genE10ELNS1_11target_archE1201ELNS1_3gpuE5ELNS1_3repE0EEENS1_30default_config_static_selectorELNS0_4arch9wavefront6targetE1EEEvSD_,"axG",@progbits,_ZN7rocprim17ROCPRIM_400000_NS6detail17trampoline_kernelINS0_14default_configENS1_22reduce_config_selectorItEEZNS1_11reduce_implILb1ES3_PtS7_t9plus_mod3ItEEE10hipError_tPvRmT1_T2_T3_mT4_P12ihipStream_tbEUlT_E0_NS1_11comp_targetILNS1_3genE10ELNS1_11target_archE1201ELNS1_3gpuE5ELNS1_3repE0EEENS1_30default_config_static_selectorELNS0_4arch9wavefront6targetE1EEEvSD_,comdat
.Lfunc_end844:
	.size	_ZN7rocprim17ROCPRIM_400000_NS6detail17trampoline_kernelINS0_14default_configENS1_22reduce_config_selectorItEEZNS1_11reduce_implILb1ES3_PtS7_t9plus_mod3ItEEE10hipError_tPvRmT1_T2_T3_mT4_P12ihipStream_tbEUlT_E0_NS1_11comp_targetILNS1_3genE10ELNS1_11target_archE1201ELNS1_3gpuE5ELNS1_3repE0EEENS1_30default_config_static_selectorELNS0_4arch9wavefront6targetE1EEEvSD_, .Lfunc_end844-_ZN7rocprim17ROCPRIM_400000_NS6detail17trampoline_kernelINS0_14default_configENS1_22reduce_config_selectorItEEZNS1_11reduce_implILb1ES3_PtS7_t9plus_mod3ItEEE10hipError_tPvRmT1_T2_T3_mT4_P12ihipStream_tbEUlT_E0_NS1_11comp_targetILNS1_3genE10ELNS1_11target_archE1201ELNS1_3gpuE5ELNS1_3repE0EEENS1_30default_config_static_selectorELNS0_4arch9wavefront6targetE1EEEvSD_
                                        ; -- End function
	.set _ZN7rocprim17ROCPRIM_400000_NS6detail17trampoline_kernelINS0_14default_configENS1_22reduce_config_selectorItEEZNS1_11reduce_implILb1ES3_PtS7_t9plus_mod3ItEEE10hipError_tPvRmT1_T2_T3_mT4_P12ihipStream_tbEUlT_E0_NS1_11comp_targetILNS1_3genE10ELNS1_11target_archE1201ELNS1_3gpuE5ELNS1_3repE0EEENS1_30default_config_static_selectorELNS0_4arch9wavefront6targetE1EEEvSD_.num_vgpr, 0
	.set _ZN7rocprim17ROCPRIM_400000_NS6detail17trampoline_kernelINS0_14default_configENS1_22reduce_config_selectorItEEZNS1_11reduce_implILb1ES3_PtS7_t9plus_mod3ItEEE10hipError_tPvRmT1_T2_T3_mT4_P12ihipStream_tbEUlT_E0_NS1_11comp_targetILNS1_3genE10ELNS1_11target_archE1201ELNS1_3gpuE5ELNS1_3repE0EEENS1_30default_config_static_selectorELNS0_4arch9wavefront6targetE1EEEvSD_.num_agpr, 0
	.set _ZN7rocprim17ROCPRIM_400000_NS6detail17trampoline_kernelINS0_14default_configENS1_22reduce_config_selectorItEEZNS1_11reduce_implILb1ES3_PtS7_t9plus_mod3ItEEE10hipError_tPvRmT1_T2_T3_mT4_P12ihipStream_tbEUlT_E0_NS1_11comp_targetILNS1_3genE10ELNS1_11target_archE1201ELNS1_3gpuE5ELNS1_3repE0EEENS1_30default_config_static_selectorELNS0_4arch9wavefront6targetE1EEEvSD_.numbered_sgpr, 0
	.set _ZN7rocprim17ROCPRIM_400000_NS6detail17trampoline_kernelINS0_14default_configENS1_22reduce_config_selectorItEEZNS1_11reduce_implILb1ES3_PtS7_t9plus_mod3ItEEE10hipError_tPvRmT1_T2_T3_mT4_P12ihipStream_tbEUlT_E0_NS1_11comp_targetILNS1_3genE10ELNS1_11target_archE1201ELNS1_3gpuE5ELNS1_3repE0EEENS1_30default_config_static_selectorELNS0_4arch9wavefront6targetE1EEEvSD_.num_named_barrier, 0
	.set _ZN7rocprim17ROCPRIM_400000_NS6detail17trampoline_kernelINS0_14default_configENS1_22reduce_config_selectorItEEZNS1_11reduce_implILb1ES3_PtS7_t9plus_mod3ItEEE10hipError_tPvRmT1_T2_T3_mT4_P12ihipStream_tbEUlT_E0_NS1_11comp_targetILNS1_3genE10ELNS1_11target_archE1201ELNS1_3gpuE5ELNS1_3repE0EEENS1_30default_config_static_selectorELNS0_4arch9wavefront6targetE1EEEvSD_.private_seg_size, 0
	.set _ZN7rocprim17ROCPRIM_400000_NS6detail17trampoline_kernelINS0_14default_configENS1_22reduce_config_selectorItEEZNS1_11reduce_implILb1ES3_PtS7_t9plus_mod3ItEEE10hipError_tPvRmT1_T2_T3_mT4_P12ihipStream_tbEUlT_E0_NS1_11comp_targetILNS1_3genE10ELNS1_11target_archE1201ELNS1_3gpuE5ELNS1_3repE0EEENS1_30default_config_static_selectorELNS0_4arch9wavefront6targetE1EEEvSD_.uses_vcc, 0
	.set _ZN7rocprim17ROCPRIM_400000_NS6detail17trampoline_kernelINS0_14default_configENS1_22reduce_config_selectorItEEZNS1_11reduce_implILb1ES3_PtS7_t9plus_mod3ItEEE10hipError_tPvRmT1_T2_T3_mT4_P12ihipStream_tbEUlT_E0_NS1_11comp_targetILNS1_3genE10ELNS1_11target_archE1201ELNS1_3gpuE5ELNS1_3repE0EEENS1_30default_config_static_selectorELNS0_4arch9wavefront6targetE1EEEvSD_.uses_flat_scratch, 0
	.set _ZN7rocprim17ROCPRIM_400000_NS6detail17trampoline_kernelINS0_14default_configENS1_22reduce_config_selectorItEEZNS1_11reduce_implILb1ES3_PtS7_t9plus_mod3ItEEE10hipError_tPvRmT1_T2_T3_mT4_P12ihipStream_tbEUlT_E0_NS1_11comp_targetILNS1_3genE10ELNS1_11target_archE1201ELNS1_3gpuE5ELNS1_3repE0EEENS1_30default_config_static_selectorELNS0_4arch9wavefront6targetE1EEEvSD_.has_dyn_sized_stack, 0
	.set _ZN7rocprim17ROCPRIM_400000_NS6detail17trampoline_kernelINS0_14default_configENS1_22reduce_config_selectorItEEZNS1_11reduce_implILb1ES3_PtS7_t9plus_mod3ItEEE10hipError_tPvRmT1_T2_T3_mT4_P12ihipStream_tbEUlT_E0_NS1_11comp_targetILNS1_3genE10ELNS1_11target_archE1201ELNS1_3gpuE5ELNS1_3repE0EEENS1_30default_config_static_selectorELNS0_4arch9wavefront6targetE1EEEvSD_.has_recursion, 0
	.set _ZN7rocprim17ROCPRIM_400000_NS6detail17trampoline_kernelINS0_14default_configENS1_22reduce_config_selectorItEEZNS1_11reduce_implILb1ES3_PtS7_t9plus_mod3ItEEE10hipError_tPvRmT1_T2_T3_mT4_P12ihipStream_tbEUlT_E0_NS1_11comp_targetILNS1_3genE10ELNS1_11target_archE1201ELNS1_3gpuE5ELNS1_3repE0EEENS1_30default_config_static_selectorELNS0_4arch9wavefront6targetE1EEEvSD_.has_indirect_call, 0
	.section	.AMDGPU.csdata,"",@progbits
; Kernel info:
; codeLenInByte = 0
; TotalNumSgprs: 6
; NumVgprs: 0
; NumAgprs: 0
; TotalNumVgprs: 0
; ScratchSize: 0
; MemoryBound: 0
; FloatMode: 240
; IeeeMode: 1
; LDSByteSize: 0 bytes/workgroup (compile time only)
; SGPRBlocks: 0
; VGPRBlocks: 0
; NumSGPRsForWavesPerEU: 6
; NumVGPRsForWavesPerEU: 1
; AccumOffset: 4
; Occupancy: 8
; WaveLimiterHint : 0
; COMPUTE_PGM_RSRC2:SCRATCH_EN: 0
; COMPUTE_PGM_RSRC2:USER_SGPR: 2
; COMPUTE_PGM_RSRC2:TRAP_HANDLER: 0
; COMPUTE_PGM_RSRC2:TGID_X_EN: 1
; COMPUTE_PGM_RSRC2:TGID_Y_EN: 0
; COMPUTE_PGM_RSRC2:TGID_Z_EN: 0
; COMPUTE_PGM_RSRC2:TIDIG_COMP_CNT: 0
; COMPUTE_PGM_RSRC3_GFX90A:ACCUM_OFFSET: 0
; COMPUTE_PGM_RSRC3_GFX90A:TG_SPLIT: 0
	.section	.text._ZN7rocprim17ROCPRIM_400000_NS6detail17trampoline_kernelINS0_14default_configENS1_22reduce_config_selectorItEEZNS1_11reduce_implILb1ES3_PtS7_t9plus_mod3ItEEE10hipError_tPvRmT1_T2_T3_mT4_P12ihipStream_tbEUlT_E0_NS1_11comp_targetILNS1_3genE10ELNS1_11target_archE1200ELNS1_3gpuE4ELNS1_3repE0EEENS1_30default_config_static_selectorELNS0_4arch9wavefront6targetE1EEEvSD_,"axG",@progbits,_ZN7rocprim17ROCPRIM_400000_NS6detail17trampoline_kernelINS0_14default_configENS1_22reduce_config_selectorItEEZNS1_11reduce_implILb1ES3_PtS7_t9plus_mod3ItEEE10hipError_tPvRmT1_T2_T3_mT4_P12ihipStream_tbEUlT_E0_NS1_11comp_targetILNS1_3genE10ELNS1_11target_archE1200ELNS1_3gpuE4ELNS1_3repE0EEENS1_30default_config_static_selectorELNS0_4arch9wavefront6targetE1EEEvSD_,comdat
	.protected	_ZN7rocprim17ROCPRIM_400000_NS6detail17trampoline_kernelINS0_14default_configENS1_22reduce_config_selectorItEEZNS1_11reduce_implILb1ES3_PtS7_t9plus_mod3ItEEE10hipError_tPvRmT1_T2_T3_mT4_P12ihipStream_tbEUlT_E0_NS1_11comp_targetILNS1_3genE10ELNS1_11target_archE1200ELNS1_3gpuE4ELNS1_3repE0EEENS1_30default_config_static_selectorELNS0_4arch9wavefront6targetE1EEEvSD_ ; -- Begin function _ZN7rocprim17ROCPRIM_400000_NS6detail17trampoline_kernelINS0_14default_configENS1_22reduce_config_selectorItEEZNS1_11reduce_implILb1ES3_PtS7_t9plus_mod3ItEEE10hipError_tPvRmT1_T2_T3_mT4_P12ihipStream_tbEUlT_E0_NS1_11comp_targetILNS1_3genE10ELNS1_11target_archE1200ELNS1_3gpuE4ELNS1_3repE0EEENS1_30default_config_static_selectorELNS0_4arch9wavefront6targetE1EEEvSD_
	.globl	_ZN7rocprim17ROCPRIM_400000_NS6detail17trampoline_kernelINS0_14default_configENS1_22reduce_config_selectorItEEZNS1_11reduce_implILb1ES3_PtS7_t9plus_mod3ItEEE10hipError_tPvRmT1_T2_T3_mT4_P12ihipStream_tbEUlT_E0_NS1_11comp_targetILNS1_3genE10ELNS1_11target_archE1200ELNS1_3gpuE4ELNS1_3repE0EEENS1_30default_config_static_selectorELNS0_4arch9wavefront6targetE1EEEvSD_
	.p2align	8
	.type	_ZN7rocprim17ROCPRIM_400000_NS6detail17trampoline_kernelINS0_14default_configENS1_22reduce_config_selectorItEEZNS1_11reduce_implILb1ES3_PtS7_t9plus_mod3ItEEE10hipError_tPvRmT1_T2_T3_mT4_P12ihipStream_tbEUlT_E0_NS1_11comp_targetILNS1_3genE10ELNS1_11target_archE1200ELNS1_3gpuE4ELNS1_3repE0EEENS1_30default_config_static_selectorELNS0_4arch9wavefront6targetE1EEEvSD_,@function
_ZN7rocprim17ROCPRIM_400000_NS6detail17trampoline_kernelINS0_14default_configENS1_22reduce_config_selectorItEEZNS1_11reduce_implILb1ES3_PtS7_t9plus_mod3ItEEE10hipError_tPvRmT1_T2_T3_mT4_P12ihipStream_tbEUlT_E0_NS1_11comp_targetILNS1_3genE10ELNS1_11target_archE1200ELNS1_3gpuE4ELNS1_3repE0EEENS1_30default_config_static_selectorELNS0_4arch9wavefront6targetE1EEEvSD_: ; @_ZN7rocprim17ROCPRIM_400000_NS6detail17trampoline_kernelINS0_14default_configENS1_22reduce_config_selectorItEEZNS1_11reduce_implILb1ES3_PtS7_t9plus_mod3ItEEE10hipError_tPvRmT1_T2_T3_mT4_P12ihipStream_tbEUlT_E0_NS1_11comp_targetILNS1_3genE10ELNS1_11target_archE1200ELNS1_3gpuE4ELNS1_3repE0EEENS1_30default_config_static_selectorELNS0_4arch9wavefront6targetE1EEEvSD_
; %bb.0:
	.section	.rodata,"a",@progbits
	.p2align	6, 0x0
	.amdhsa_kernel _ZN7rocprim17ROCPRIM_400000_NS6detail17trampoline_kernelINS0_14default_configENS1_22reduce_config_selectorItEEZNS1_11reduce_implILb1ES3_PtS7_t9plus_mod3ItEEE10hipError_tPvRmT1_T2_T3_mT4_P12ihipStream_tbEUlT_E0_NS1_11comp_targetILNS1_3genE10ELNS1_11target_archE1200ELNS1_3gpuE4ELNS1_3repE0EEENS1_30default_config_static_selectorELNS0_4arch9wavefront6targetE1EEEvSD_
		.amdhsa_group_segment_fixed_size 0
		.amdhsa_private_segment_fixed_size 0
		.amdhsa_kernarg_size 64
		.amdhsa_user_sgpr_count 2
		.amdhsa_user_sgpr_dispatch_ptr 0
		.amdhsa_user_sgpr_queue_ptr 0
		.amdhsa_user_sgpr_kernarg_segment_ptr 1
		.amdhsa_user_sgpr_dispatch_id 0
		.amdhsa_user_sgpr_kernarg_preload_length 0
		.amdhsa_user_sgpr_kernarg_preload_offset 0
		.amdhsa_user_sgpr_private_segment_size 0
		.amdhsa_uses_dynamic_stack 0
		.amdhsa_enable_private_segment 0
		.amdhsa_system_sgpr_workgroup_id_x 1
		.amdhsa_system_sgpr_workgroup_id_y 0
		.amdhsa_system_sgpr_workgroup_id_z 0
		.amdhsa_system_sgpr_workgroup_info 0
		.amdhsa_system_vgpr_workitem_id 0
		.amdhsa_next_free_vgpr 1
		.amdhsa_next_free_sgpr 0
		.amdhsa_accum_offset 4
		.amdhsa_reserve_vcc 0
		.amdhsa_float_round_mode_32 0
		.amdhsa_float_round_mode_16_64 0
		.amdhsa_float_denorm_mode_32 3
		.amdhsa_float_denorm_mode_16_64 3
		.amdhsa_dx10_clamp 1
		.amdhsa_ieee_mode 1
		.amdhsa_fp16_overflow 0
		.amdhsa_tg_split 0
		.amdhsa_exception_fp_ieee_invalid_op 0
		.amdhsa_exception_fp_denorm_src 0
		.amdhsa_exception_fp_ieee_div_zero 0
		.amdhsa_exception_fp_ieee_overflow 0
		.amdhsa_exception_fp_ieee_underflow 0
		.amdhsa_exception_fp_ieee_inexact 0
		.amdhsa_exception_int_div_zero 0
	.end_amdhsa_kernel
	.section	.text._ZN7rocprim17ROCPRIM_400000_NS6detail17trampoline_kernelINS0_14default_configENS1_22reduce_config_selectorItEEZNS1_11reduce_implILb1ES3_PtS7_t9plus_mod3ItEEE10hipError_tPvRmT1_T2_T3_mT4_P12ihipStream_tbEUlT_E0_NS1_11comp_targetILNS1_3genE10ELNS1_11target_archE1200ELNS1_3gpuE4ELNS1_3repE0EEENS1_30default_config_static_selectorELNS0_4arch9wavefront6targetE1EEEvSD_,"axG",@progbits,_ZN7rocprim17ROCPRIM_400000_NS6detail17trampoline_kernelINS0_14default_configENS1_22reduce_config_selectorItEEZNS1_11reduce_implILb1ES3_PtS7_t9plus_mod3ItEEE10hipError_tPvRmT1_T2_T3_mT4_P12ihipStream_tbEUlT_E0_NS1_11comp_targetILNS1_3genE10ELNS1_11target_archE1200ELNS1_3gpuE4ELNS1_3repE0EEENS1_30default_config_static_selectorELNS0_4arch9wavefront6targetE1EEEvSD_,comdat
.Lfunc_end845:
	.size	_ZN7rocprim17ROCPRIM_400000_NS6detail17trampoline_kernelINS0_14default_configENS1_22reduce_config_selectorItEEZNS1_11reduce_implILb1ES3_PtS7_t9plus_mod3ItEEE10hipError_tPvRmT1_T2_T3_mT4_P12ihipStream_tbEUlT_E0_NS1_11comp_targetILNS1_3genE10ELNS1_11target_archE1200ELNS1_3gpuE4ELNS1_3repE0EEENS1_30default_config_static_selectorELNS0_4arch9wavefront6targetE1EEEvSD_, .Lfunc_end845-_ZN7rocprim17ROCPRIM_400000_NS6detail17trampoline_kernelINS0_14default_configENS1_22reduce_config_selectorItEEZNS1_11reduce_implILb1ES3_PtS7_t9plus_mod3ItEEE10hipError_tPvRmT1_T2_T3_mT4_P12ihipStream_tbEUlT_E0_NS1_11comp_targetILNS1_3genE10ELNS1_11target_archE1200ELNS1_3gpuE4ELNS1_3repE0EEENS1_30default_config_static_selectorELNS0_4arch9wavefront6targetE1EEEvSD_
                                        ; -- End function
	.set _ZN7rocprim17ROCPRIM_400000_NS6detail17trampoline_kernelINS0_14default_configENS1_22reduce_config_selectorItEEZNS1_11reduce_implILb1ES3_PtS7_t9plus_mod3ItEEE10hipError_tPvRmT1_T2_T3_mT4_P12ihipStream_tbEUlT_E0_NS1_11comp_targetILNS1_3genE10ELNS1_11target_archE1200ELNS1_3gpuE4ELNS1_3repE0EEENS1_30default_config_static_selectorELNS0_4arch9wavefront6targetE1EEEvSD_.num_vgpr, 0
	.set _ZN7rocprim17ROCPRIM_400000_NS6detail17trampoline_kernelINS0_14default_configENS1_22reduce_config_selectorItEEZNS1_11reduce_implILb1ES3_PtS7_t9plus_mod3ItEEE10hipError_tPvRmT1_T2_T3_mT4_P12ihipStream_tbEUlT_E0_NS1_11comp_targetILNS1_3genE10ELNS1_11target_archE1200ELNS1_3gpuE4ELNS1_3repE0EEENS1_30default_config_static_selectorELNS0_4arch9wavefront6targetE1EEEvSD_.num_agpr, 0
	.set _ZN7rocprim17ROCPRIM_400000_NS6detail17trampoline_kernelINS0_14default_configENS1_22reduce_config_selectorItEEZNS1_11reduce_implILb1ES3_PtS7_t9plus_mod3ItEEE10hipError_tPvRmT1_T2_T3_mT4_P12ihipStream_tbEUlT_E0_NS1_11comp_targetILNS1_3genE10ELNS1_11target_archE1200ELNS1_3gpuE4ELNS1_3repE0EEENS1_30default_config_static_selectorELNS0_4arch9wavefront6targetE1EEEvSD_.numbered_sgpr, 0
	.set _ZN7rocprim17ROCPRIM_400000_NS6detail17trampoline_kernelINS0_14default_configENS1_22reduce_config_selectorItEEZNS1_11reduce_implILb1ES3_PtS7_t9plus_mod3ItEEE10hipError_tPvRmT1_T2_T3_mT4_P12ihipStream_tbEUlT_E0_NS1_11comp_targetILNS1_3genE10ELNS1_11target_archE1200ELNS1_3gpuE4ELNS1_3repE0EEENS1_30default_config_static_selectorELNS0_4arch9wavefront6targetE1EEEvSD_.num_named_barrier, 0
	.set _ZN7rocprim17ROCPRIM_400000_NS6detail17trampoline_kernelINS0_14default_configENS1_22reduce_config_selectorItEEZNS1_11reduce_implILb1ES3_PtS7_t9plus_mod3ItEEE10hipError_tPvRmT1_T2_T3_mT4_P12ihipStream_tbEUlT_E0_NS1_11comp_targetILNS1_3genE10ELNS1_11target_archE1200ELNS1_3gpuE4ELNS1_3repE0EEENS1_30default_config_static_selectorELNS0_4arch9wavefront6targetE1EEEvSD_.private_seg_size, 0
	.set _ZN7rocprim17ROCPRIM_400000_NS6detail17trampoline_kernelINS0_14default_configENS1_22reduce_config_selectorItEEZNS1_11reduce_implILb1ES3_PtS7_t9plus_mod3ItEEE10hipError_tPvRmT1_T2_T3_mT4_P12ihipStream_tbEUlT_E0_NS1_11comp_targetILNS1_3genE10ELNS1_11target_archE1200ELNS1_3gpuE4ELNS1_3repE0EEENS1_30default_config_static_selectorELNS0_4arch9wavefront6targetE1EEEvSD_.uses_vcc, 0
	.set _ZN7rocprim17ROCPRIM_400000_NS6detail17trampoline_kernelINS0_14default_configENS1_22reduce_config_selectorItEEZNS1_11reduce_implILb1ES3_PtS7_t9plus_mod3ItEEE10hipError_tPvRmT1_T2_T3_mT4_P12ihipStream_tbEUlT_E0_NS1_11comp_targetILNS1_3genE10ELNS1_11target_archE1200ELNS1_3gpuE4ELNS1_3repE0EEENS1_30default_config_static_selectorELNS0_4arch9wavefront6targetE1EEEvSD_.uses_flat_scratch, 0
	.set _ZN7rocprim17ROCPRIM_400000_NS6detail17trampoline_kernelINS0_14default_configENS1_22reduce_config_selectorItEEZNS1_11reduce_implILb1ES3_PtS7_t9plus_mod3ItEEE10hipError_tPvRmT1_T2_T3_mT4_P12ihipStream_tbEUlT_E0_NS1_11comp_targetILNS1_3genE10ELNS1_11target_archE1200ELNS1_3gpuE4ELNS1_3repE0EEENS1_30default_config_static_selectorELNS0_4arch9wavefront6targetE1EEEvSD_.has_dyn_sized_stack, 0
	.set _ZN7rocprim17ROCPRIM_400000_NS6detail17trampoline_kernelINS0_14default_configENS1_22reduce_config_selectorItEEZNS1_11reduce_implILb1ES3_PtS7_t9plus_mod3ItEEE10hipError_tPvRmT1_T2_T3_mT4_P12ihipStream_tbEUlT_E0_NS1_11comp_targetILNS1_3genE10ELNS1_11target_archE1200ELNS1_3gpuE4ELNS1_3repE0EEENS1_30default_config_static_selectorELNS0_4arch9wavefront6targetE1EEEvSD_.has_recursion, 0
	.set _ZN7rocprim17ROCPRIM_400000_NS6detail17trampoline_kernelINS0_14default_configENS1_22reduce_config_selectorItEEZNS1_11reduce_implILb1ES3_PtS7_t9plus_mod3ItEEE10hipError_tPvRmT1_T2_T3_mT4_P12ihipStream_tbEUlT_E0_NS1_11comp_targetILNS1_3genE10ELNS1_11target_archE1200ELNS1_3gpuE4ELNS1_3repE0EEENS1_30default_config_static_selectorELNS0_4arch9wavefront6targetE1EEEvSD_.has_indirect_call, 0
	.section	.AMDGPU.csdata,"",@progbits
; Kernel info:
; codeLenInByte = 0
; TotalNumSgprs: 6
; NumVgprs: 0
; NumAgprs: 0
; TotalNumVgprs: 0
; ScratchSize: 0
; MemoryBound: 0
; FloatMode: 240
; IeeeMode: 1
; LDSByteSize: 0 bytes/workgroup (compile time only)
; SGPRBlocks: 0
; VGPRBlocks: 0
; NumSGPRsForWavesPerEU: 6
; NumVGPRsForWavesPerEU: 1
; AccumOffset: 4
; Occupancy: 8
; WaveLimiterHint : 0
; COMPUTE_PGM_RSRC2:SCRATCH_EN: 0
; COMPUTE_PGM_RSRC2:USER_SGPR: 2
; COMPUTE_PGM_RSRC2:TRAP_HANDLER: 0
; COMPUTE_PGM_RSRC2:TGID_X_EN: 1
; COMPUTE_PGM_RSRC2:TGID_Y_EN: 0
; COMPUTE_PGM_RSRC2:TGID_Z_EN: 0
; COMPUTE_PGM_RSRC2:TIDIG_COMP_CNT: 0
; COMPUTE_PGM_RSRC3_GFX90A:ACCUM_OFFSET: 0
; COMPUTE_PGM_RSRC3_GFX90A:TG_SPLIT: 0
	.section	.text._ZN7rocprim17ROCPRIM_400000_NS6detail17trampoline_kernelINS0_14default_configENS1_22reduce_config_selectorItEEZNS1_11reduce_implILb1ES3_PtS7_t9plus_mod3ItEEE10hipError_tPvRmT1_T2_T3_mT4_P12ihipStream_tbEUlT_E0_NS1_11comp_targetILNS1_3genE9ELNS1_11target_archE1100ELNS1_3gpuE3ELNS1_3repE0EEENS1_30default_config_static_selectorELNS0_4arch9wavefront6targetE1EEEvSD_,"axG",@progbits,_ZN7rocprim17ROCPRIM_400000_NS6detail17trampoline_kernelINS0_14default_configENS1_22reduce_config_selectorItEEZNS1_11reduce_implILb1ES3_PtS7_t9plus_mod3ItEEE10hipError_tPvRmT1_T2_T3_mT4_P12ihipStream_tbEUlT_E0_NS1_11comp_targetILNS1_3genE9ELNS1_11target_archE1100ELNS1_3gpuE3ELNS1_3repE0EEENS1_30default_config_static_selectorELNS0_4arch9wavefront6targetE1EEEvSD_,comdat
	.protected	_ZN7rocprim17ROCPRIM_400000_NS6detail17trampoline_kernelINS0_14default_configENS1_22reduce_config_selectorItEEZNS1_11reduce_implILb1ES3_PtS7_t9plus_mod3ItEEE10hipError_tPvRmT1_T2_T3_mT4_P12ihipStream_tbEUlT_E0_NS1_11comp_targetILNS1_3genE9ELNS1_11target_archE1100ELNS1_3gpuE3ELNS1_3repE0EEENS1_30default_config_static_selectorELNS0_4arch9wavefront6targetE1EEEvSD_ ; -- Begin function _ZN7rocprim17ROCPRIM_400000_NS6detail17trampoline_kernelINS0_14default_configENS1_22reduce_config_selectorItEEZNS1_11reduce_implILb1ES3_PtS7_t9plus_mod3ItEEE10hipError_tPvRmT1_T2_T3_mT4_P12ihipStream_tbEUlT_E0_NS1_11comp_targetILNS1_3genE9ELNS1_11target_archE1100ELNS1_3gpuE3ELNS1_3repE0EEENS1_30default_config_static_selectorELNS0_4arch9wavefront6targetE1EEEvSD_
	.globl	_ZN7rocprim17ROCPRIM_400000_NS6detail17trampoline_kernelINS0_14default_configENS1_22reduce_config_selectorItEEZNS1_11reduce_implILb1ES3_PtS7_t9plus_mod3ItEEE10hipError_tPvRmT1_T2_T3_mT4_P12ihipStream_tbEUlT_E0_NS1_11comp_targetILNS1_3genE9ELNS1_11target_archE1100ELNS1_3gpuE3ELNS1_3repE0EEENS1_30default_config_static_selectorELNS0_4arch9wavefront6targetE1EEEvSD_
	.p2align	8
	.type	_ZN7rocprim17ROCPRIM_400000_NS6detail17trampoline_kernelINS0_14default_configENS1_22reduce_config_selectorItEEZNS1_11reduce_implILb1ES3_PtS7_t9plus_mod3ItEEE10hipError_tPvRmT1_T2_T3_mT4_P12ihipStream_tbEUlT_E0_NS1_11comp_targetILNS1_3genE9ELNS1_11target_archE1100ELNS1_3gpuE3ELNS1_3repE0EEENS1_30default_config_static_selectorELNS0_4arch9wavefront6targetE1EEEvSD_,@function
_ZN7rocprim17ROCPRIM_400000_NS6detail17trampoline_kernelINS0_14default_configENS1_22reduce_config_selectorItEEZNS1_11reduce_implILb1ES3_PtS7_t9plus_mod3ItEEE10hipError_tPvRmT1_T2_T3_mT4_P12ihipStream_tbEUlT_E0_NS1_11comp_targetILNS1_3genE9ELNS1_11target_archE1100ELNS1_3gpuE3ELNS1_3repE0EEENS1_30default_config_static_selectorELNS0_4arch9wavefront6targetE1EEEvSD_: ; @_ZN7rocprim17ROCPRIM_400000_NS6detail17trampoline_kernelINS0_14default_configENS1_22reduce_config_selectorItEEZNS1_11reduce_implILb1ES3_PtS7_t9plus_mod3ItEEE10hipError_tPvRmT1_T2_T3_mT4_P12ihipStream_tbEUlT_E0_NS1_11comp_targetILNS1_3genE9ELNS1_11target_archE1100ELNS1_3gpuE3ELNS1_3repE0EEENS1_30default_config_static_selectorELNS0_4arch9wavefront6targetE1EEEvSD_
; %bb.0:
	.section	.rodata,"a",@progbits
	.p2align	6, 0x0
	.amdhsa_kernel _ZN7rocprim17ROCPRIM_400000_NS6detail17trampoline_kernelINS0_14default_configENS1_22reduce_config_selectorItEEZNS1_11reduce_implILb1ES3_PtS7_t9plus_mod3ItEEE10hipError_tPvRmT1_T2_T3_mT4_P12ihipStream_tbEUlT_E0_NS1_11comp_targetILNS1_3genE9ELNS1_11target_archE1100ELNS1_3gpuE3ELNS1_3repE0EEENS1_30default_config_static_selectorELNS0_4arch9wavefront6targetE1EEEvSD_
		.amdhsa_group_segment_fixed_size 0
		.amdhsa_private_segment_fixed_size 0
		.amdhsa_kernarg_size 64
		.amdhsa_user_sgpr_count 2
		.amdhsa_user_sgpr_dispatch_ptr 0
		.amdhsa_user_sgpr_queue_ptr 0
		.amdhsa_user_sgpr_kernarg_segment_ptr 1
		.amdhsa_user_sgpr_dispatch_id 0
		.amdhsa_user_sgpr_kernarg_preload_length 0
		.amdhsa_user_sgpr_kernarg_preload_offset 0
		.amdhsa_user_sgpr_private_segment_size 0
		.amdhsa_uses_dynamic_stack 0
		.amdhsa_enable_private_segment 0
		.amdhsa_system_sgpr_workgroup_id_x 1
		.amdhsa_system_sgpr_workgroup_id_y 0
		.amdhsa_system_sgpr_workgroup_id_z 0
		.amdhsa_system_sgpr_workgroup_info 0
		.amdhsa_system_vgpr_workitem_id 0
		.amdhsa_next_free_vgpr 1
		.amdhsa_next_free_sgpr 0
		.amdhsa_accum_offset 4
		.amdhsa_reserve_vcc 0
		.amdhsa_float_round_mode_32 0
		.amdhsa_float_round_mode_16_64 0
		.amdhsa_float_denorm_mode_32 3
		.amdhsa_float_denorm_mode_16_64 3
		.amdhsa_dx10_clamp 1
		.amdhsa_ieee_mode 1
		.amdhsa_fp16_overflow 0
		.amdhsa_tg_split 0
		.amdhsa_exception_fp_ieee_invalid_op 0
		.amdhsa_exception_fp_denorm_src 0
		.amdhsa_exception_fp_ieee_div_zero 0
		.amdhsa_exception_fp_ieee_overflow 0
		.amdhsa_exception_fp_ieee_underflow 0
		.amdhsa_exception_fp_ieee_inexact 0
		.amdhsa_exception_int_div_zero 0
	.end_amdhsa_kernel
	.section	.text._ZN7rocprim17ROCPRIM_400000_NS6detail17trampoline_kernelINS0_14default_configENS1_22reduce_config_selectorItEEZNS1_11reduce_implILb1ES3_PtS7_t9plus_mod3ItEEE10hipError_tPvRmT1_T2_T3_mT4_P12ihipStream_tbEUlT_E0_NS1_11comp_targetILNS1_3genE9ELNS1_11target_archE1100ELNS1_3gpuE3ELNS1_3repE0EEENS1_30default_config_static_selectorELNS0_4arch9wavefront6targetE1EEEvSD_,"axG",@progbits,_ZN7rocprim17ROCPRIM_400000_NS6detail17trampoline_kernelINS0_14default_configENS1_22reduce_config_selectorItEEZNS1_11reduce_implILb1ES3_PtS7_t9plus_mod3ItEEE10hipError_tPvRmT1_T2_T3_mT4_P12ihipStream_tbEUlT_E0_NS1_11comp_targetILNS1_3genE9ELNS1_11target_archE1100ELNS1_3gpuE3ELNS1_3repE0EEENS1_30default_config_static_selectorELNS0_4arch9wavefront6targetE1EEEvSD_,comdat
.Lfunc_end846:
	.size	_ZN7rocprim17ROCPRIM_400000_NS6detail17trampoline_kernelINS0_14default_configENS1_22reduce_config_selectorItEEZNS1_11reduce_implILb1ES3_PtS7_t9plus_mod3ItEEE10hipError_tPvRmT1_T2_T3_mT4_P12ihipStream_tbEUlT_E0_NS1_11comp_targetILNS1_3genE9ELNS1_11target_archE1100ELNS1_3gpuE3ELNS1_3repE0EEENS1_30default_config_static_selectorELNS0_4arch9wavefront6targetE1EEEvSD_, .Lfunc_end846-_ZN7rocprim17ROCPRIM_400000_NS6detail17trampoline_kernelINS0_14default_configENS1_22reduce_config_selectorItEEZNS1_11reduce_implILb1ES3_PtS7_t9plus_mod3ItEEE10hipError_tPvRmT1_T2_T3_mT4_P12ihipStream_tbEUlT_E0_NS1_11comp_targetILNS1_3genE9ELNS1_11target_archE1100ELNS1_3gpuE3ELNS1_3repE0EEENS1_30default_config_static_selectorELNS0_4arch9wavefront6targetE1EEEvSD_
                                        ; -- End function
	.set _ZN7rocprim17ROCPRIM_400000_NS6detail17trampoline_kernelINS0_14default_configENS1_22reduce_config_selectorItEEZNS1_11reduce_implILb1ES3_PtS7_t9plus_mod3ItEEE10hipError_tPvRmT1_T2_T3_mT4_P12ihipStream_tbEUlT_E0_NS1_11comp_targetILNS1_3genE9ELNS1_11target_archE1100ELNS1_3gpuE3ELNS1_3repE0EEENS1_30default_config_static_selectorELNS0_4arch9wavefront6targetE1EEEvSD_.num_vgpr, 0
	.set _ZN7rocprim17ROCPRIM_400000_NS6detail17trampoline_kernelINS0_14default_configENS1_22reduce_config_selectorItEEZNS1_11reduce_implILb1ES3_PtS7_t9plus_mod3ItEEE10hipError_tPvRmT1_T2_T3_mT4_P12ihipStream_tbEUlT_E0_NS1_11comp_targetILNS1_3genE9ELNS1_11target_archE1100ELNS1_3gpuE3ELNS1_3repE0EEENS1_30default_config_static_selectorELNS0_4arch9wavefront6targetE1EEEvSD_.num_agpr, 0
	.set _ZN7rocprim17ROCPRIM_400000_NS6detail17trampoline_kernelINS0_14default_configENS1_22reduce_config_selectorItEEZNS1_11reduce_implILb1ES3_PtS7_t9plus_mod3ItEEE10hipError_tPvRmT1_T2_T3_mT4_P12ihipStream_tbEUlT_E0_NS1_11comp_targetILNS1_3genE9ELNS1_11target_archE1100ELNS1_3gpuE3ELNS1_3repE0EEENS1_30default_config_static_selectorELNS0_4arch9wavefront6targetE1EEEvSD_.numbered_sgpr, 0
	.set _ZN7rocprim17ROCPRIM_400000_NS6detail17trampoline_kernelINS0_14default_configENS1_22reduce_config_selectorItEEZNS1_11reduce_implILb1ES3_PtS7_t9plus_mod3ItEEE10hipError_tPvRmT1_T2_T3_mT4_P12ihipStream_tbEUlT_E0_NS1_11comp_targetILNS1_3genE9ELNS1_11target_archE1100ELNS1_3gpuE3ELNS1_3repE0EEENS1_30default_config_static_selectorELNS0_4arch9wavefront6targetE1EEEvSD_.num_named_barrier, 0
	.set _ZN7rocprim17ROCPRIM_400000_NS6detail17trampoline_kernelINS0_14default_configENS1_22reduce_config_selectorItEEZNS1_11reduce_implILb1ES3_PtS7_t9plus_mod3ItEEE10hipError_tPvRmT1_T2_T3_mT4_P12ihipStream_tbEUlT_E0_NS1_11comp_targetILNS1_3genE9ELNS1_11target_archE1100ELNS1_3gpuE3ELNS1_3repE0EEENS1_30default_config_static_selectorELNS0_4arch9wavefront6targetE1EEEvSD_.private_seg_size, 0
	.set _ZN7rocprim17ROCPRIM_400000_NS6detail17trampoline_kernelINS0_14default_configENS1_22reduce_config_selectorItEEZNS1_11reduce_implILb1ES3_PtS7_t9plus_mod3ItEEE10hipError_tPvRmT1_T2_T3_mT4_P12ihipStream_tbEUlT_E0_NS1_11comp_targetILNS1_3genE9ELNS1_11target_archE1100ELNS1_3gpuE3ELNS1_3repE0EEENS1_30default_config_static_selectorELNS0_4arch9wavefront6targetE1EEEvSD_.uses_vcc, 0
	.set _ZN7rocprim17ROCPRIM_400000_NS6detail17trampoline_kernelINS0_14default_configENS1_22reduce_config_selectorItEEZNS1_11reduce_implILb1ES3_PtS7_t9plus_mod3ItEEE10hipError_tPvRmT1_T2_T3_mT4_P12ihipStream_tbEUlT_E0_NS1_11comp_targetILNS1_3genE9ELNS1_11target_archE1100ELNS1_3gpuE3ELNS1_3repE0EEENS1_30default_config_static_selectorELNS0_4arch9wavefront6targetE1EEEvSD_.uses_flat_scratch, 0
	.set _ZN7rocprim17ROCPRIM_400000_NS6detail17trampoline_kernelINS0_14default_configENS1_22reduce_config_selectorItEEZNS1_11reduce_implILb1ES3_PtS7_t9plus_mod3ItEEE10hipError_tPvRmT1_T2_T3_mT4_P12ihipStream_tbEUlT_E0_NS1_11comp_targetILNS1_3genE9ELNS1_11target_archE1100ELNS1_3gpuE3ELNS1_3repE0EEENS1_30default_config_static_selectorELNS0_4arch9wavefront6targetE1EEEvSD_.has_dyn_sized_stack, 0
	.set _ZN7rocprim17ROCPRIM_400000_NS6detail17trampoline_kernelINS0_14default_configENS1_22reduce_config_selectorItEEZNS1_11reduce_implILb1ES3_PtS7_t9plus_mod3ItEEE10hipError_tPvRmT1_T2_T3_mT4_P12ihipStream_tbEUlT_E0_NS1_11comp_targetILNS1_3genE9ELNS1_11target_archE1100ELNS1_3gpuE3ELNS1_3repE0EEENS1_30default_config_static_selectorELNS0_4arch9wavefront6targetE1EEEvSD_.has_recursion, 0
	.set _ZN7rocprim17ROCPRIM_400000_NS6detail17trampoline_kernelINS0_14default_configENS1_22reduce_config_selectorItEEZNS1_11reduce_implILb1ES3_PtS7_t9plus_mod3ItEEE10hipError_tPvRmT1_T2_T3_mT4_P12ihipStream_tbEUlT_E0_NS1_11comp_targetILNS1_3genE9ELNS1_11target_archE1100ELNS1_3gpuE3ELNS1_3repE0EEENS1_30default_config_static_selectorELNS0_4arch9wavefront6targetE1EEEvSD_.has_indirect_call, 0
	.section	.AMDGPU.csdata,"",@progbits
; Kernel info:
; codeLenInByte = 0
; TotalNumSgprs: 6
; NumVgprs: 0
; NumAgprs: 0
; TotalNumVgprs: 0
; ScratchSize: 0
; MemoryBound: 0
; FloatMode: 240
; IeeeMode: 1
; LDSByteSize: 0 bytes/workgroup (compile time only)
; SGPRBlocks: 0
; VGPRBlocks: 0
; NumSGPRsForWavesPerEU: 6
; NumVGPRsForWavesPerEU: 1
; AccumOffset: 4
; Occupancy: 8
; WaveLimiterHint : 0
; COMPUTE_PGM_RSRC2:SCRATCH_EN: 0
; COMPUTE_PGM_RSRC2:USER_SGPR: 2
; COMPUTE_PGM_RSRC2:TRAP_HANDLER: 0
; COMPUTE_PGM_RSRC2:TGID_X_EN: 1
; COMPUTE_PGM_RSRC2:TGID_Y_EN: 0
; COMPUTE_PGM_RSRC2:TGID_Z_EN: 0
; COMPUTE_PGM_RSRC2:TIDIG_COMP_CNT: 0
; COMPUTE_PGM_RSRC3_GFX90A:ACCUM_OFFSET: 0
; COMPUTE_PGM_RSRC3_GFX90A:TG_SPLIT: 0
	.section	.text._ZN7rocprim17ROCPRIM_400000_NS6detail17trampoline_kernelINS0_14default_configENS1_22reduce_config_selectorItEEZNS1_11reduce_implILb1ES3_PtS7_t9plus_mod3ItEEE10hipError_tPvRmT1_T2_T3_mT4_P12ihipStream_tbEUlT_E0_NS1_11comp_targetILNS1_3genE8ELNS1_11target_archE1030ELNS1_3gpuE2ELNS1_3repE0EEENS1_30default_config_static_selectorELNS0_4arch9wavefront6targetE1EEEvSD_,"axG",@progbits,_ZN7rocprim17ROCPRIM_400000_NS6detail17trampoline_kernelINS0_14default_configENS1_22reduce_config_selectorItEEZNS1_11reduce_implILb1ES3_PtS7_t9plus_mod3ItEEE10hipError_tPvRmT1_T2_T3_mT4_P12ihipStream_tbEUlT_E0_NS1_11comp_targetILNS1_3genE8ELNS1_11target_archE1030ELNS1_3gpuE2ELNS1_3repE0EEENS1_30default_config_static_selectorELNS0_4arch9wavefront6targetE1EEEvSD_,comdat
	.protected	_ZN7rocprim17ROCPRIM_400000_NS6detail17trampoline_kernelINS0_14default_configENS1_22reduce_config_selectorItEEZNS1_11reduce_implILb1ES3_PtS7_t9plus_mod3ItEEE10hipError_tPvRmT1_T2_T3_mT4_P12ihipStream_tbEUlT_E0_NS1_11comp_targetILNS1_3genE8ELNS1_11target_archE1030ELNS1_3gpuE2ELNS1_3repE0EEENS1_30default_config_static_selectorELNS0_4arch9wavefront6targetE1EEEvSD_ ; -- Begin function _ZN7rocprim17ROCPRIM_400000_NS6detail17trampoline_kernelINS0_14default_configENS1_22reduce_config_selectorItEEZNS1_11reduce_implILb1ES3_PtS7_t9plus_mod3ItEEE10hipError_tPvRmT1_T2_T3_mT4_P12ihipStream_tbEUlT_E0_NS1_11comp_targetILNS1_3genE8ELNS1_11target_archE1030ELNS1_3gpuE2ELNS1_3repE0EEENS1_30default_config_static_selectorELNS0_4arch9wavefront6targetE1EEEvSD_
	.globl	_ZN7rocprim17ROCPRIM_400000_NS6detail17trampoline_kernelINS0_14default_configENS1_22reduce_config_selectorItEEZNS1_11reduce_implILb1ES3_PtS7_t9plus_mod3ItEEE10hipError_tPvRmT1_T2_T3_mT4_P12ihipStream_tbEUlT_E0_NS1_11comp_targetILNS1_3genE8ELNS1_11target_archE1030ELNS1_3gpuE2ELNS1_3repE0EEENS1_30default_config_static_selectorELNS0_4arch9wavefront6targetE1EEEvSD_
	.p2align	8
	.type	_ZN7rocprim17ROCPRIM_400000_NS6detail17trampoline_kernelINS0_14default_configENS1_22reduce_config_selectorItEEZNS1_11reduce_implILb1ES3_PtS7_t9plus_mod3ItEEE10hipError_tPvRmT1_T2_T3_mT4_P12ihipStream_tbEUlT_E0_NS1_11comp_targetILNS1_3genE8ELNS1_11target_archE1030ELNS1_3gpuE2ELNS1_3repE0EEENS1_30default_config_static_selectorELNS0_4arch9wavefront6targetE1EEEvSD_,@function
_ZN7rocprim17ROCPRIM_400000_NS6detail17trampoline_kernelINS0_14default_configENS1_22reduce_config_selectorItEEZNS1_11reduce_implILb1ES3_PtS7_t9plus_mod3ItEEE10hipError_tPvRmT1_T2_T3_mT4_P12ihipStream_tbEUlT_E0_NS1_11comp_targetILNS1_3genE8ELNS1_11target_archE1030ELNS1_3gpuE2ELNS1_3repE0EEENS1_30default_config_static_selectorELNS0_4arch9wavefront6targetE1EEEvSD_: ; @_ZN7rocprim17ROCPRIM_400000_NS6detail17trampoline_kernelINS0_14default_configENS1_22reduce_config_selectorItEEZNS1_11reduce_implILb1ES3_PtS7_t9plus_mod3ItEEE10hipError_tPvRmT1_T2_T3_mT4_P12ihipStream_tbEUlT_E0_NS1_11comp_targetILNS1_3genE8ELNS1_11target_archE1030ELNS1_3gpuE2ELNS1_3repE0EEENS1_30default_config_static_selectorELNS0_4arch9wavefront6targetE1EEEvSD_
; %bb.0:
	.section	.rodata,"a",@progbits
	.p2align	6, 0x0
	.amdhsa_kernel _ZN7rocprim17ROCPRIM_400000_NS6detail17trampoline_kernelINS0_14default_configENS1_22reduce_config_selectorItEEZNS1_11reduce_implILb1ES3_PtS7_t9plus_mod3ItEEE10hipError_tPvRmT1_T2_T3_mT4_P12ihipStream_tbEUlT_E0_NS1_11comp_targetILNS1_3genE8ELNS1_11target_archE1030ELNS1_3gpuE2ELNS1_3repE0EEENS1_30default_config_static_selectorELNS0_4arch9wavefront6targetE1EEEvSD_
		.amdhsa_group_segment_fixed_size 0
		.amdhsa_private_segment_fixed_size 0
		.amdhsa_kernarg_size 64
		.amdhsa_user_sgpr_count 2
		.amdhsa_user_sgpr_dispatch_ptr 0
		.amdhsa_user_sgpr_queue_ptr 0
		.amdhsa_user_sgpr_kernarg_segment_ptr 1
		.amdhsa_user_sgpr_dispatch_id 0
		.amdhsa_user_sgpr_kernarg_preload_length 0
		.amdhsa_user_sgpr_kernarg_preload_offset 0
		.amdhsa_user_sgpr_private_segment_size 0
		.amdhsa_uses_dynamic_stack 0
		.amdhsa_enable_private_segment 0
		.amdhsa_system_sgpr_workgroup_id_x 1
		.amdhsa_system_sgpr_workgroup_id_y 0
		.amdhsa_system_sgpr_workgroup_id_z 0
		.amdhsa_system_sgpr_workgroup_info 0
		.amdhsa_system_vgpr_workitem_id 0
		.amdhsa_next_free_vgpr 1
		.amdhsa_next_free_sgpr 0
		.amdhsa_accum_offset 4
		.amdhsa_reserve_vcc 0
		.amdhsa_float_round_mode_32 0
		.amdhsa_float_round_mode_16_64 0
		.amdhsa_float_denorm_mode_32 3
		.amdhsa_float_denorm_mode_16_64 3
		.amdhsa_dx10_clamp 1
		.amdhsa_ieee_mode 1
		.amdhsa_fp16_overflow 0
		.amdhsa_tg_split 0
		.amdhsa_exception_fp_ieee_invalid_op 0
		.amdhsa_exception_fp_denorm_src 0
		.amdhsa_exception_fp_ieee_div_zero 0
		.amdhsa_exception_fp_ieee_overflow 0
		.amdhsa_exception_fp_ieee_underflow 0
		.amdhsa_exception_fp_ieee_inexact 0
		.amdhsa_exception_int_div_zero 0
	.end_amdhsa_kernel
	.section	.text._ZN7rocprim17ROCPRIM_400000_NS6detail17trampoline_kernelINS0_14default_configENS1_22reduce_config_selectorItEEZNS1_11reduce_implILb1ES3_PtS7_t9plus_mod3ItEEE10hipError_tPvRmT1_T2_T3_mT4_P12ihipStream_tbEUlT_E0_NS1_11comp_targetILNS1_3genE8ELNS1_11target_archE1030ELNS1_3gpuE2ELNS1_3repE0EEENS1_30default_config_static_selectorELNS0_4arch9wavefront6targetE1EEEvSD_,"axG",@progbits,_ZN7rocprim17ROCPRIM_400000_NS6detail17trampoline_kernelINS0_14default_configENS1_22reduce_config_selectorItEEZNS1_11reduce_implILb1ES3_PtS7_t9plus_mod3ItEEE10hipError_tPvRmT1_T2_T3_mT4_P12ihipStream_tbEUlT_E0_NS1_11comp_targetILNS1_3genE8ELNS1_11target_archE1030ELNS1_3gpuE2ELNS1_3repE0EEENS1_30default_config_static_selectorELNS0_4arch9wavefront6targetE1EEEvSD_,comdat
.Lfunc_end847:
	.size	_ZN7rocprim17ROCPRIM_400000_NS6detail17trampoline_kernelINS0_14default_configENS1_22reduce_config_selectorItEEZNS1_11reduce_implILb1ES3_PtS7_t9plus_mod3ItEEE10hipError_tPvRmT1_T2_T3_mT4_P12ihipStream_tbEUlT_E0_NS1_11comp_targetILNS1_3genE8ELNS1_11target_archE1030ELNS1_3gpuE2ELNS1_3repE0EEENS1_30default_config_static_selectorELNS0_4arch9wavefront6targetE1EEEvSD_, .Lfunc_end847-_ZN7rocprim17ROCPRIM_400000_NS6detail17trampoline_kernelINS0_14default_configENS1_22reduce_config_selectorItEEZNS1_11reduce_implILb1ES3_PtS7_t9plus_mod3ItEEE10hipError_tPvRmT1_T2_T3_mT4_P12ihipStream_tbEUlT_E0_NS1_11comp_targetILNS1_3genE8ELNS1_11target_archE1030ELNS1_3gpuE2ELNS1_3repE0EEENS1_30default_config_static_selectorELNS0_4arch9wavefront6targetE1EEEvSD_
                                        ; -- End function
	.set _ZN7rocprim17ROCPRIM_400000_NS6detail17trampoline_kernelINS0_14default_configENS1_22reduce_config_selectorItEEZNS1_11reduce_implILb1ES3_PtS7_t9plus_mod3ItEEE10hipError_tPvRmT1_T2_T3_mT4_P12ihipStream_tbEUlT_E0_NS1_11comp_targetILNS1_3genE8ELNS1_11target_archE1030ELNS1_3gpuE2ELNS1_3repE0EEENS1_30default_config_static_selectorELNS0_4arch9wavefront6targetE1EEEvSD_.num_vgpr, 0
	.set _ZN7rocprim17ROCPRIM_400000_NS6detail17trampoline_kernelINS0_14default_configENS1_22reduce_config_selectorItEEZNS1_11reduce_implILb1ES3_PtS7_t9plus_mod3ItEEE10hipError_tPvRmT1_T2_T3_mT4_P12ihipStream_tbEUlT_E0_NS1_11comp_targetILNS1_3genE8ELNS1_11target_archE1030ELNS1_3gpuE2ELNS1_3repE0EEENS1_30default_config_static_selectorELNS0_4arch9wavefront6targetE1EEEvSD_.num_agpr, 0
	.set _ZN7rocprim17ROCPRIM_400000_NS6detail17trampoline_kernelINS0_14default_configENS1_22reduce_config_selectorItEEZNS1_11reduce_implILb1ES3_PtS7_t9plus_mod3ItEEE10hipError_tPvRmT1_T2_T3_mT4_P12ihipStream_tbEUlT_E0_NS1_11comp_targetILNS1_3genE8ELNS1_11target_archE1030ELNS1_3gpuE2ELNS1_3repE0EEENS1_30default_config_static_selectorELNS0_4arch9wavefront6targetE1EEEvSD_.numbered_sgpr, 0
	.set _ZN7rocprim17ROCPRIM_400000_NS6detail17trampoline_kernelINS0_14default_configENS1_22reduce_config_selectorItEEZNS1_11reduce_implILb1ES3_PtS7_t9plus_mod3ItEEE10hipError_tPvRmT1_T2_T3_mT4_P12ihipStream_tbEUlT_E0_NS1_11comp_targetILNS1_3genE8ELNS1_11target_archE1030ELNS1_3gpuE2ELNS1_3repE0EEENS1_30default_config_static_selectorELNS0_4arch9wavefront6targetE1EEEvSD_.num_named_barrier, 0
	.set _ZN7rocprim17ROCPRIM_400000_NS6detail17trampoline_kernelINS0_14default_configENS1_22reduce_config_selectorItEEZNS1_11reduce_implILb1ES3_PtS7_t9plus_mod3ItEEE10hipError_tPvRmT1_T2_T3_mT4_P12ihipStream_tbEUlT_E0_NS1_11comp_targetILNS1_3genE8ELNS1_11target_archE1030ELNS1_3gpuE2ELNS1_3repE0EEENS1_30default_config_static_selectorELNS0_4arch9wavefront6targetE1EEEvSD_.private_seg_size, 0
	.set _ZN7rocprim17ROCPRIM_400000_NS6detail17trampoline_kernelINS0_14default_configENS1_22reduce_config_selectorItEEZNS1_11reduce_implILb1ES3_PtS7_t9plus_mod3ItEEE10hipError_tPvRmT1_T2_T3_mT4_P12ihipStream_tbEUlT_E0_NS1_11comp_targetILNS1_3genE8ELNS1_11target_archE1030ELNS1_3gpuE2ELNS1_3repE0EEENS1_30default_config_static_selectorELNS0_4arch9wavefront6targetE1EEEvSD_.uses_vcc, 0
	.set _ZN7rocprim17ROCPRIM_400000_NS6detail17trampoline_kernelINS0_14default_configENS1_22reduce_config_selectorItEEZNS1_11reduce_implILb1ES3_PtS7_t9plus_mod3ItEEE10hipError_tPvRmT1_T2_T3_mT4_P12ihipStream_tbEUlT_E0_NS1_11comp_targetILNS1_3genE8ELNS1_11target_archE1030ELNS1_3gpuE2ELNS1_3repE0EEENS1_30default_config_static_selectorELNS0_4arch9wavefront6targetE1EEEvSD_.uses_flat_scratch, 0
	.set _ZN7rocprim17ROCPRIM_400000_NS6detail17trampoline_kernelINS0_14default_configENS1_22reduce_config_selectorItEEZNS1_11reduce_implILb1ES3_PtS7_t9plus_mod3ItEEE10hipError_tPvRmT1_T2_T3_mT4_P12ihipStream_tbEUlT_E0_NS1_11comp_targetILNS1_3genE8ELNS1_11target_archE1030ELNS1_3gpuE2ELNS1_3repE0EEENS1_30default_config_static_selectorELNS0_4arch9wavefront6targetE1EEEvSD_.has_dyn_sized_stack, 0
	.set _ZN7rocprim17ROCPRIM_400000_NS6detail17trampoline_kernelINS0_14default_configENS1_22reduce_config_selectorItEEZNS1_11reduce_implILb1ES3_PtS7_t9plus_mod3ItEEE10hipError_tPvRmT1_T2_T3_mT4_P12ihipStream_tbEUlT_E0_NS1_11comp_targetILNS1_3genE8ELNS1_11target_archE1030ELNS1_3gpuE2ELNS1_3repE0EEENS1_30default_config_static_selectorELNS0_4arch9wavefront6targetE1EEEvSD_.has_recursion, 0
	.set _ZN7rocprim17ROCPRIM_400000_NS6detail17trampoline_kernelINS0_14default_configENS1_22reduce_config_selectorItEEZNS1_11reduce_implILb1ES3_PtS7_t9plus_mod3ItEEE10hipError_tPvRmT1_T2_T3_mT4_P12ihipStream_tbEUlT_E0_NS1_11comp_targetILNS1_3genE8ELNS1_11target_archE1030ELNS1_3gpuE2ELNS1_3repE0EEENS1_30default_config_static_selectorELNS0_4arch9wavefront6targetE1EEEvSD_.has_indirect_call, 0
	.section	.AMDGPU.csdata,"",@progbits
; Kernel info:
; codeLenInByte = 0
; TotalNumSgprs: 6
; NumVgprs: 0
; NumAgprs: 0
; TotalNumVgprs: 0
; ScratchSize: 0
; MemoryBound: 0
; FloatMode: 240
; IeeeMode: 1
; LDSByteSize: 0 bytes/workgroup (compile time only)
; SGPRBlocks: 0
; VGPRBlocks: 0
; NumSGPRsForWavesPerEU: 6
; NumVGPRsForWavesPerEU: 1
; AccumOffset: 4
; Occupancy: 8
; WaveLimiterHint : 0
; COMPUTE_PGM_RSRC2:SCRATCH_EN: 0
; COMPUTE_PGM_RSRC2:USER_SGPR: 2
; COMPUTE_PGM_RSRC2:TRAP_HANDLER: 0
; COMPUTE_PGM_RSRC2:TGID_X_EN: 1
; COMPUTE_PGM_RSRC2:TGID_Y_EN: 0
; COMPUTE_PGM_RSRC2:TGID_Z_EN: 0
; COMPUTE_PGM_RSRC2:TIDIG_COMP_CNT: 0
; COMPUTE_PGM_RSRC3_GFX90A:ACCUM_OFFSET: 0
; COMPUTE_PGM_RSRC3_GFX90A:TG_SPLIT: 0
	.section	.text._ZN7rocprim17ROCPRIM_400000_NS6detail17trampoline_kernelINS0_14default_configENS1_22reduce_config_selectorItEEZNS1_11reduce_implILb1ES3_PtS7_t9plus_mod3ItEEE10hipError_tPvRmT1_T2_T3_mT4_P12ihipStream_tbEUlT_E1_NS1_11comp_targetILNS1_3genE0ELNS1_11target_archE4294967295ELNS1_3gpuE0ELNS1_3repE0EEENS1_30default_config_static_selectorELNS0_4arch9wavefront6targetE1EEEvSD_,"axG",@progbits,_ZN7rocprim17ROCPRIM_400000_NS6detail17trampoline_kernelINS0_14default_configENS1_22reduce_config_selectorItEEZNS1_11reduce_implILb1ES3_PtS7_t9plus_mod3ItEEE10hipError_tPvRmT1_T2_T3_mT4_P12ihipStream_tbEUlT_E1_NS1_11comp_targetILNS1_3genE0ELNS1_11target_archE4294967295ELNS1_3gpuE0ELNS1_3repE0EEENS1_30default_config_static_selectorELNS0_4arch9wavefront6targetE1EEEvSD_,comdat
	.protected	_ZN7rocprim17ROCPRIM_400000_NS6detail17trampoline_kernelINS0_14default_configENS1_22reduce_config_selectorItEEZNS1_11reduce_implILb1ES3_PtS7_t9plus_mod3ItEEE10hipError_tPvRmT1_T2_T3_mT4_P12ihipStream_tbEUlT_E1_NS1_11comp_targetILNS1_3genE0ELNS1_11target_archE4294967295ELNS1_3gpuE0ELNS1_3repE0EEENS1_30default_config_static_selectorELNS0_4arch9wavefront6targetE1EEEvSD_ ; -- Begin function _ZN7rocprim17ROCPRIM_400000_NS6detail17trampoline_kernelINS0_14default_configENS1_22reduce_config_selectorItEEZNS1_11reduce_implILb1ES3_PtS7_t9plus_mod3ItEEE10hipError_tPvRmT1_T2_T3_mT4_P12ihipStream_tbEUlT_E1_NS1_11comp_targetILNS1_3genE0ELNS1_11target_archE4294967295ELNS1_3gpuE0ELNS1_3repE0EEENS1_30default_config_static_selectorELNS0_4arch9wavefront6targetE1EEEvSD_
	.globl	_ZN7rocprim17ROCPRIM_400000_NS6detail17trampoline_kernelINS0_14default_configENS1_22reduce_config_selectorItEEZNS1_11reduce_implILb1ES3_PtS7_t9plus_mod3ItEEE10hipError_tPvRmT1_T2_T3_mT4_P12ihipStream_tbEUlT_E1_NS1_11comp_targetILNS1_3genE0ELNS1_11target_archE4294967295ELNS1_3gpuE0ELNS1_3repE0EEENS1_30default_config_static_selectorELNS0_4arch9wavefront6targetE1EEEvSD_
	.p2align	8
	.type	_ZN7rocprim17ROCPRIM_400000_NS6detail17trampoline_kernelINS0_14default_configENS1_22reduce_config_selectorItEEZNS1_11reduce_implILb1ES3_PtS7_t9plus_mod3ItEEE10hipError_tPvRmT1_T2_T3_mT4_P12ihipStream_tbEUlT_E1_NS1_11comp_targetILNS1_3genE0ELNS1_11target_archE4294967295ELNS1_3gpuE0ELNS1_3repE0EEENS1_30default_config_static_selectorELNS0_4arch9wavefront6targetE1EEEvSD_,@function
_ZN7rocprim17ROCPRIM_400000_NS6detail17trampoline_kernelINS0_14default_configENS1_22reduce_config_selectorItEEZNS1_11reduce_implILb1ES3_PtS7_t9plus_mod3ItEEE10hipError_tPvRmT1_T2_T3_mT4_P12ihipStream_tbEUlT_E1_NS1_11comp_targetILNS1_3genE0ELNS1_11target_archE4294967295ELNS1_3gpuE0ELNS1_3repE0EEENS1_30default_config_static_selectorELNS0_4arch9wavefront6targetE1EEEvSD_: ; @_ZN7rocprim17ROCPRIM_400000_NS6detail17trampoline_kernelINS0_14default_configENS1_22reduce_config_selectorItEEZNS1_11reduce_implILb1ES3_PtS7_t9plus_mod3ItEEE10hipError_tPvRmT1_T2_T3_mT4_P12ihipStream_tbEUlT_E1_NS1_11comp_targetILNS1_3genE0ELNS1_11target_archE4294967295ELNS1_3gpuE0ELNS1_3repE0EEENS1_30default_config_static_selectorELNS0_4arch9wavefront6targetE1EEEvSD_
; %bb.0:
	s_load_dword s80, s[0:1], 0x4
	s_load_dwordx4 s[68:71], s[0:1], 0x8
	s_load_dword s33, s[0:1], 0x20
	s_load_dwordx2 s[66:67], s[0:1], 0x28
	s_waitcnt lgkmcnt(0)
	s_cmp_lt_i32 s80, 8
	s_cbranch_scc1 .LBB848_10
; %bb.1:
	s_cmp_gt_i32 s80, 31
	s_cbranch_scc0 .LBB848_11
; %bb.2:
	s_cmp_gt_i32 s80, 63
	s_cbranch_scc0 .LBB848_12
; %bb.3:
	s_cmp_eq_u32 s80, 64
	s_mov_b64 s[40:41], 0
	s_cbranch_scc0 .LBB848_13
; %bb.4:
	s_mov_b32 s3, 0
	s_lshl_b32 s4, s2, 13
	s_mov_b32 s5, s3
	s_lshr_b64 s[6:7], s[70:71], 13
	s_lshl_b64 s[8:9], s[4:5], 1
	s_add_u32 s42, s68, s8
	s_addc_u32 s43, s69, s9
	s_cmp_lg_u64 s[6:7], s[2:3]
	s_cbranch_scc0 .LBB848_22
; %bb.5:
	v_lshlrev_b32_e32 v2, 1, v0
	global_load_ushort v1, v2, s[42:43]
	global_load_ushort v8, v2, s[42:43] offset:256
	v_mov_b32_e32 v3, 0
	v_lshl_add_u64 v[4:5], s[42:43], 0, v[2:3]
	global_load_ushort v9, v2, s[42:43] offset:512
	global_load_ushort v10, v2, s[42:43] offset:768
	;; [unrolled: 1-line block ×14, first 2 shown]
	s_movk_i32 s5, 0x2000
	s_waitcnt vmcnt(15)
	v_lshlrev_b32_e32 v2, 1, v1
	v_lshl_add_u64 v[6:7], s[66:67], 0, v[2:3]
	s_waitcnt vmcnt(14)
	v_lshlrev_b32_e32 v2, 1, v8
	v_lshl_add_u64 v[6:7], v[6:7], 0, v[2:3]
	global_load_ushort v1, v[6:7], off
	s_waitcnt vmcnt(0)
	v_lshlrev_b32_e32 v2, 1, v1
	v_lshl_add_u64 v[6:7], s[66:67], 0, v[2:3]
	v_lshlrev_b32_e32 v2, 1, v9
	v_lshl_add_u64 v[6:7], v[6:7], 0, v[2:3]
	global_load_ushort v1, v[6:7], off
	s_waitcnt vmcnt(0)
	v_lshlrev_b32_e32 v2, 1, v1
	v_lshl_add_u64 v[6:7], s[66:67], 0, v[2:3]
	;; [unrolled: 6-line block ×14, first 2 shown]
	v_lshlrev_b32_e32 v2, 1, v22
	v_lshl_add_u64 v[6:7], v[6:7], 0, v[2:3]
	global_load_ushort v1, v[6:7], off
	v_add_co_u32_e32 v6, vcc, s5, v4
	s_movk_i32 s5, 0x1000
	s_nop 0
	v_addc_co_u32_e32 v7, vcc, 0, v5, vcc
	global_load_ushort v10, v[6:7], off offset:-4096
	global_load_ushort v12, v[6:7], off
	global_load_ushort v13, v[6:7], off offset:256
	global_load_ushort v14, v[6:7], off offset:512
	;; [unrolled: 1-line block ×6, first 2 shown]
	s_waitcnt vmcnt(8)
	v_lshlrev_b32_e32 v2, 1, v1
	v_lshl_add_u64 v[8:9], s[66:67], 0, v[2:3]
	s_waitcnt vmcnt(7)
	v_lshlrev_b32_e32 v2, 1, v10
	v_lshl_add_u64 v[8:9], v[8:9], 0, v[2:3]
	global_load_ushort v1, v[8:9], off
	v_add_co_u32_e32 v8, vcc, s5, v4
	s_movk_i32 s5, 0x3000
	s_nop 0
	v_addc_co_u32_e32 v9, vcc, 0, v5, vcc
	global_load_ushort v19, v[8:9], off offset:256
	global_load_ushort v20, v[8:9], off offset:512
	;; [unrolled: 1-line block ×8, first 2 shown]
	v_add_co_u32_e32 v4, vcc, s5, v4
	s_waitcnt vmcnt(8)
	v_lshlrev_b32_e32 v2, 1, v1
	v_lshl_add_u64 v[10:11], s[66:67], 0, v[2:3]
	s_waitcnt vmcnt(7)
	v_lshlrev_b32_e32 v2, 1, v19
	v_lshl_add_u64 v[10:11], v[10:11], 0, v[2:3]
	global_load_ushort v1, v[10:11], off
	v_addc_co_u32_e32 v5, vcc, 0, v5, vcc
	s_waitcnt vmcnt(0)
	v_lshlrev_b32_e32 v2, 1, v1
	v_lshl_add_u64 v[10:11], s[66:67], 0, v[2:3]
	v_lshlrev_b32_e32 v2, 1, v20
	v_lshl_add_u64 v[10:11], v[10:11], 0, v[2:3]
	global_load_ushort v1, v[10:11], off
	s_waitcnt vmcnt(0)
	v_lshlrev_b32_e32 v2, 1, v1
	v_lshl_add_u64 v[10:11], s[66:67], 0, v[2:3]
	v_lshlrev_b32_e32 v2, 1, v21
	v_lshl_add_u64 v[10:11], v[10:11], 0, v[2:3]
	global_load_ushort v1, v[10:11], off
	;; [unrolled: 6-line block ×7, first 2 shown]
	global_load_ushort v19, v[8:9], off offset:2304
	s_nop 0
	global_load_ushort v10, v[8:9], off offset:2560
	global_load_ushort v11, v[8:9], off offset:2816
	;; [unrolled: 1-line block ×6, first 2 shown]
	global_load_ushort v24, v[4:5], off
	s_waitcnt vmcnt(8)
	v_lshlrev_b32_e32 v2, 1, v1
	v_lshl_add_u64 v[8:9], s[66:67], 0, v[2:3]
	s_waitcnt vmcnt(7)
	v_lshlrev_b32_e32 v2, 1, v19
	v_lshl_add_u64 v[8:9], v[8:9], 0, v[2:3]
	global_load_ushort v1, v[8:9], off
	s_waitcnt vmcnt(0)
	v_lshlrev_b32_e32 v2, 1, v1
	v_lshl_add_u64 v[8:9], s[66:67], 0, v[2:3]
	v_lshlrev_b32_e32 v2, 1, v10
	v_lshl_add_u64 v[8:9], v[8:9], 0, v[2:3]
	global_load_ushort v1, v[8:9], off
	s_waitcnt vmcnt(0)
	v_lshlrev_b32_e32 v2, 1, v1
	v_lshl_add_u64 v[8:9], s[66:67], 0, v[2:3]
	;; [unrolled: 6-line block ×13, first 2 shown]
	v_lshlrev_b32_e32 v2, 1, v18
	v_lshl_add_u64 v[8:9], v[8:9], 0, v[2:3]
	global_load_ushort v1, v[8:9], off
	global_load_ushort v10, v[6:7], off offset:1792
	global_load_ushort v11, v[6:7], off offset:2048
	;; [unrolled: 1-line block ×8, first 2 shown]
	s_waitcnt vmcnt(8)
	v_lshlrev_b32_e32 v2, 1, v1
	v_lshl_add_u64 v[8:9], s[66:67], 0, v[2:3]
	s_waitcnt vmcnt(7)
	v_lshlrev_b32_e32 v2, 1, v10
	v_lshl_add_u64 v[8:9], v[8:9], 0, v[2:3]
	global_load_ushort v1, v[8:9], off
	s_waitcnt vmcnt(0)
	v_lshlrev_b32_e32 v2, 1, v1
	v_lshl_add_u64 v[8:9], s[66:67], 0, v[2:3]
	v_lshlrev_b32_e32 v2, 1, v11
	v_lshl_add_u64 v[8:9], v[8:9], 0, v[2:3]
	global_load_ushort v1, v[8:9], off
	s_waitcnt vmcnt(0)
	v_lshlrev_b32_e32 v2, 1, v1
	v_lshl_add_u64 v[8:9], s[66:67], 0, v[2:3]
	;; [unrolled: 6-line block ×7, first 2 shown]
	v_lshlrev_b32_e32 v2, 1, v17
	v_lshl_add_u64 v[8:9], v[8:9], 0, v[2:3]
	global_load_ushort v1, v[8:9], off
	global_load_ushort v10, v[6:7], off offset:3840
	s_waitcnt vmcnt(1)
	v_lshlrev_b32_e32 v2, 1, v1
	v_lshl_add_u64 v[6:7], s[66:67], 0, v[2:3]
	s_waitcnt vmcnt(0)
	v_lshlrev_b32_e32 v2, 1, v10
	v_lshl_add_u64 v[6:7], v[6:7], 0, v[2:3]
	global_load_ushort v1, v[6:7], off
	s_waitcnt vmcnt(0)
	v_lshlrev_b32_e32 v2, 1, v1
	v_lshl_add_u64 v[6:7], s[66:67], 0, v[2:3]
	v_lshlrev_b32_e32 v2, 1, v24
	v_lshl_add_u64 v[6:7], v[6:7], 0, v[2:3]
	global_load_ushort v1, v[6:7], off
	global_load_ushort v8, v[4:5], off offset:256
	global_load_ushort v9, v[4:5], off offset:512
	;; [unrolled: 1-line block ×8, first 2 shown]
	s_waitcnt vmcnt(8)
	v_lshlrev_b32_e32 v2, 1, v1
	v_lshl_add_u64 v[6:7], s[66:67], 0, v[2:3]
	s_waitcnt vmcnt(7)
	v_lshlrev_b32_e32 v2, 1, v8
	v_lshl_add_u64 v[6:7], v[6:7], 0, v[2:3]
	global_load_ushort v1, v[6:7], off
	s_waitcnt vmcnt(0)
	v_lshlrev_b32_e32 v2, 1, v1
	v_lshl_add_u64 v[6:7], s[66:67], 0, v[2:3]
	v_lshlrev_b32_e32 v2, 1, v9
	v_lshl_add_u64 v[6:7], v[6:7], 0, v[2:3]
	global_load_ushort v1, v[6:7], off
	s_waitcnt vmcnt(0)
	v_lshlrev_b32_e32 v2, 1, v1
	v_lshl_add_u64 v[6:7], s[66:67], 0, v[2:3]
	;; [unrolled: 6-line block ×7, first 2 shown]
	v_lshlrev_b32_e32 v2, 1, v15
	v_lshl_add_u64 v[6:7], v[6:7], 0, v[2:3]
	global_load_ushort v1, v[6:7], off
	global_load_ushort v8, v[4:5], off offset:2304
	global_load_ushort v9, v[4:5], off offset:2560
	;; [unrolled: 1-line block ×7, first 2 shown]
	v_mov_b32_e32 v6, 1
	s_waitcnt vmcnt(7)
	v_lshlrev_b32_e32 v2, 1, v1
	v_lshl_add_u64 v[4:5], s[66:67], 0, v[2:3]
	s_waitcnt vmcnt(6)
	v_lshlrev_b32_e32 v2, 1, v8
	v_lshl_add_u64 v[4:5], v[4:5], 0, v[2:3]
	global_load_ushort v1, v[4:5], off
	s_waitcnt vmcnt(0)
	v_lshlrev_b32_e32 v2, 1, v1
	v_lshl_add_u64 v[4:5], s[66:67], 0, v[2:3]
	v_lshlrev_b32_e32 v2, 1, v9
	v_lshl_add_u64 v[4:5], v[4:5], 0, v[2:3]
	global_load_ushort v1, v[4:5], off
	s_waitcnt vmcnt(0)
	v_lshlrev_b32_e32 v2, 1, v1
	v_lshl_add_u64 v[4:5], s[66:67], 0, v[2:3]
	;; [unrolled: 6-line block ×6, first 2 shown]
	v_lshlrev_b32_e32 v2, 1, v14
	v_lshl_add_u64 v[4:5], v[4:5], 0, v[2:3]
	global_load_ushort v1, v[4:5], off
	s_waitcnt vmcnt(0)
	s_nop 0
	v_mov_b32_dpp v2, v1 quad_perm:[1,0,3,2] row_mask:0xf bank_mask:0xf bound_ctrl:1
	v_lshlrev_b32_sdwa v2, v6, v2 dst_sel:DWORD dst_unused:UNUSED_PAD src0_sel:DWORD src1_sel:WORD_0
	v_lshl_add_u64 v[4:5], s[66:67], 0, v[2:3]
	v_lshlrev_b32_e32 v2, 1, v1
	v_lshl_add_u64 v[4:5], v[4:5], 0, v[2:3]
	global_load_ushort v1, v[4:5], off
	s_waitcnt vmcnt(0)
	s_nop 0
	v_mov_b32_dpp v2, v1 quad_perm:[2,3,0,1] row_mask:0xf bank_mask:0xf bound_ctrl:1
	v_lshlrev_b32_sdwa v2, v6, v2 dst_sel:DWORD dst_unused:UNUSED_PAD src0_sel:DWORD src1_sel:WORD_0
	v_lshl_add_u64 v[4:5], s[66:67], 0, v[2:3]
	v_lshlrev_b32_e32 v2, 1, v1
	v_lshl_add_u64 v[4:5], v[4:5], 0, v[2:3]
	global_load_ushort v1, v[4:5], off
	s_waitcnt vmcnt(0)
	s_nop 0
	v_mov_b32_dpp v2, v1 row_ror:4 row_mask:0xf bank_mask:0xf bound_ctrl:1
	v_lshlrev_b32_sdwa v2, v6, v2 dst_sel:DWORD dst_unused:UNUSED_PAD src0_sel:DWORD src1_sel:WORD_0
	v_lshl_add_u64 v[4:5], s[66:67], 0, v[2:3]
	v_lshlrev_b32_e32 v2, 1, v1
	v_lshl_add_u64 v[4:5], v[4:5], 0, v[2:3]
	global_load_ushort v1, v[4:5], off
	s_waitcnt vmcnt(0)
	s_nop 0
	v_mov_b32_dpp v2, v1 row_ror:8 row_mask:0xf bank_mask:0xf bound_ctrl:1
	v_lshlrev_b32_sdwa v2, v6, v2 dst_sel:DWORD dst_unused:UNUSED_PAD src0_sel:DWORD src1_sel:WORD_0
	v_lshl_add_u64 v[4:5], s[66:67], 0, v[2:3]
	v_lshlrev_b32_e32 v2, 1, v1
	v_lshl_add_u64 v[4:5], v[4:5], 0, v[2:3]
	global_load_ushort v1, v[4:5], off
	s_waitcnt vmcnt(0)
	s_nop 0
	v_mov_b32_dpp v2, v1 row_bcast:15 row_mask:0xf bank_mask:0xf bound_ctrl:1
	v_lshlrev_b32_sdwa v2, v6, v2 dst_sel:DWORD dst_unused:UNUSED_PAD src0_sel:DWORD src1_sel:WORD_0
	v_lshl_add_u64 v[4:5], s[66:67], 0, v[2:3]
	v_lshlrev_b32_e32 v2, 1, v1
	v_lshl_add_u64 v[4:5], v[4:5], 0, v[2:3]
	global_load_ushort v1, v[4:5], off
	s_waitcnt vmcnt(0)
	s_nop 0
	v_mov_b32_dpp v2, v1 row_bcast:31 row_mask:0xf bank_mask:0xf bound_ctrl:1
	v_lshlrev_b32_sdwa v2, v6, v2 dst_sel:DWORD dst_unused:UNUSED_PAD src0_sel:DWORD src1_sel:WORD_0
	v_lshl_add_u64 v[4:5], s[66:67], 0, v[2:3]
	v_lshlrev_b32_e32 v2, 1, v1
	v_lshl_add_u64 v[2:3], v[4:5], 0, v[2:3]
	global_load_ushort v2, v[2:3], off
	v_mbcnt_lo_u32_b32 v1, -1, 0
	v_mbcnt_hi_u32_b32 v3, -1, v1
	v_lshlrev_b32_e32 v1, 2, v3
	v_or_b32_e32 v4, 0xfc, v1
	v_cmp_eq_u32_e32 vcc, 0, v3
	s_waitcnt vmcnt(0)
	ds_bpermute_b32 v2, v4, v2
	s_and_saveexec_b64 s[6:7], vcc
	s_cbranch_execz .LBB848_7
; %bb.6:
	v_lshrrev_b32_e32 v4, 5, v0
	v_and_b32_e32 v4, 2, v4
	s_waitcnt lgkmcnt(0)
	ds_write_b16 v4, v2 offset:24
.LBB848_7:
	s_or_b64 exec, exec, s[6:7]
	v_cmp_gt_u32_e32 vcc, 64, v0
	s_waitcnt lgkmcnt(0)
	s_barrier
	s_and_saveexec_b64 s[6:7], vcc
	s_cbranch_execz .LBB848_9
; %bb.8:
	v_and_b32_e32 v2, 1, v3
	v_lshlrev_b32_e32 v2, 1, v2
	ds_read_u16 v2, v2 offset:24
	v_or_b32_e32 v1, 4, v1
	v_mov_b32_e32 v3, 0
	s_waitcnt lgkmcnt(0)
	ds_bpermute_b32 v1, v1, v2
	v_lshlrev_b32_e32 v2, 1, v2
	v_lshl_add_u64 v[4:5], s[66:67], 0, v[2:3]
	v_mov_b32_e32 v2, 1
	s_waitcnt lgkmcnt(0)
	v_lshlrev_b32_sdwa v2, v2, v1 dst_sel:DWORD dst_unused:UNUSED_PAD src0_sel:DWORD src1_sel:WORD_0
	v_lshl_add_u64 v[2:3], v[4:5], 0, v[2:3]
	global_load_ushort v2, v[2:3], off
.LBB848_9:
	s_or_b64 exec, exec, s[6:7]
	s_mov_b64 s[6:7], 0
	s_branch .LBB848_23
.LBB848_10:
	s_mov_b64 s[74:75], 0
	s_mov_b64 s[72:73], 0
                                        ; implicit-def: $vgpr2
	s_cbranch_execz .LBB848_707
	s_branch .LBB848_556
.LBB848_11:
	s_mov_b64 s[74:75], 0
	s_mov_b64 s[72:73], 0
                                        ; implicit-def: $vgpr2
	s_cbranch_execnz .LBB848_451
	s_branch .LBB848_555
.LBB848_12:
	s_mov_b64 s[40:41], -1
.LBB848_13:
	s_mov_b64 s[74:75], 0
	s_mov_b64 s[72:73], 0
                                        ; implicit-def: $vgpr2
	s_and_b64 vcc, exec, s[40:41]
	s_cbranch_vccz .LBB848_260
.LBB848_14:
	s_cmp_eq_u32 s80, 32
	s_cbranch_scc0 .LBB848_21
; %bb.15:
	s_mov_b32 s3, 0
	s_lshl_b32 s4, s2, 12
	s_mov_b32 s5, s3
	s_lshr_b64 s[6:7], s[70:71], 12
	s_lshl_b64 s[8:9], s[4:5], 1
	s_add_u32 s76, s68, s8
	s_addc_u32 s77, s69, s9
	s_cmp_lg_u64 s[6:7], s[2:3]
	s_cbranch_scc0 .LBB848_261
; %bb.16:
	s_waitcnt vmcnt(0)
	v_lshlrev_b32_e32 v2, 1, v0
	global_load_ushort v1, v2, s[76:77]
	global_load_ushort v8, v2, s[76:77] offset:256
	s_waitcnt lgkmcnt(0)
	v_mov_b32_e32 v3, 0
	v_lshl_add_u64 v[4:5], s[76:77], 0, v[2:3]
	global_load_ushort v9, v2, s[76:77] offset:512
	global_load_ushort v10, v2, s[76:77] offset:768
	;; [unrolled: 1-line block ×14, first 2 shown]
	s_movk_i32 s5, 0x1000
	v_add_co_u32_e32 v4, vcc, s5, v4
	s_waitcnt vmcnt(15)
	v_lshlrev_b32_e32 v2, 1, v1
	v_lshl_add_u64 v[6:7], s[66:67], 0, v[2:3]
	s_waitcnt vmcnt(14)
	v_lshlrev_b32_e32 v2, 1, v8
	v_lshl_add_u64 v[6:7], v[6:7], 0, v[2:3]
	global_load_ushort v1, v[6:7], off
	v_addc_co_u32_e32 v5, vcc, 0, v5, vcc
	s_waitcnt vmcnt(0)
	v_lshlrev_b32_e32 v2, 1, v1
	v_lshl_add_u64 v[6:7], s[66:67], 0, v[2:3]
	v_lshlrev_b32_e32 v2, 1, v9
	v_lshl_add_u64 v[6:7], v[6:7], 0, v[2:3]
	global_load_ushort v1, v[6:7], off
	s_waitcnt vmcnt(0)
	v_lshlrev_b32_e32 v2, 1, v1
	v_lshl_add_u64 v[6:7], s[66:67], 0, v[2:3]
	v_lshlrev_b32_e32 v2, 1, v10
	v_lshl_add_u64 v[6:7], v[6:7], 0, v[2:3]
	global_load_ushort v1, v[6:7], off
	;; [unrolled: 6-line block ×14, first 2 shown]
	global_load_ushort v8, v[4:5], off
	global_load_ushort v9, v[4:5], off offset:256
	global_load_ushort v10, v[4:5], off offset:512
	;; [unrolled: 1-line block ×7, first 2 shown]
	s_waitcnt vmcnt(8)
	v_lshlrev_b32_e32 v2, 1, v1
	v_lshl_add_u64 v[6:7], s[66:67], 0, v[2:3]
	s_waitcnt vmcnt(7)
	v_lshlrev_b32_e32 v2, 1, v8
	v_lshl_add_u64 v[6:7], v[6:7], 0, v[2:3]
	global_load_ushort v1, v[6:7], off
	s_waitcnt vmcnt(0)
	v_lshlrev_b32_e32 v2, 1, v1
	v_lshl_add_u64 v[6:7], s[66:67], 0, v[2:3]
	v_lshlrev_b32_e32 v2, 1, v9
	v_lshl_add_u64 v[6:7], v[6:7], 0, v[2:3]
	global_load_ushort v1, v[6:7], off
	s_waitcnt vmcnt(0)
	v_lshlrev_b32_e32 v2, 1, v1
	v_lshl_add_u64 v[6:7], s[66:67], 0, v[2:3]
	;; [unrolled: 6-line block ×7, first 2 shown]
	v_lshlrev_b32_e32 v2, 1, v15
	v_lshl_add_u64 v[6:7], v[6:7], 0, v[2:3]
	global_load_ushort v1, v[6:7], off
	global_load_ushort v8, v[4:5], off offset:2048
	global_load_ushort v9, v[4:5], off offset:2304
	;; [unrolled: 1-line block ×8, first 2 shown]
	v_mov_b32_e32 v6, 1
	s_waitcnt vmcnt(8)
	v_lshlrev_b32_e32 v2, 1, v1
	v_lshl_add_u64 v[4:5], s[66:67], 0, v[2:3]
	s_waitcnt vmcnt(7)
	v_lshlrev_b32_e32 v2, 1, v8
	v_lshl_add_u64 v[4:5], v[4:5], 0, v[2:3]
	global_load_ushort v1, v[4:5], off
	s_waitcnt vmcnt(0)
	v_lshlrev_b32_e32 v2, 1, v1
	v_lshl_add_u64 v[4:5], s[66:67], 0, v[2:3]
	v_lshlrev_b32_e32 v2, 1, v9
	v_lshl_add_u64 v[4:5], v[4:5], 0, v[2:3]
	global_load_ushort v1, v[4:5], off
	s_waitcnt vmcnt(0)
	v_lshlrev_b32_e32 v2, 1, v1
	v_lshl_add_u64 v[4:5], s[66:67], 0, v[2:3]
	;; [unrolled: 6-line block ×7, first 2 shown]
	v_lshlrev_b32_e32 v2, 1, v15
	v_lshl_add_u64 v[4:5], v[4:5], 0, v[2:3]
	global_load_ushort v1, v[4:5], off
	s_waitcnt vmcnt(0)
	s_nop 0
	v_mov_b32_dpp v2, v1 quad_perm:[1,0,3,2] row_mask:0xf bank_mask:0xf bound_ctrl:1
	v_lshlrev_b32_sdwa v2, v6, v2 dst_sel:DWORD dst_unused:UNUSED_PAD src0_sel:DWORD src1_sel:WORD_0
	v_lshl_add_u64 v[4:5], s[66:67], 0, v[2:3]
	v_lshlrev_b32_e32 v2, 1, v1
	v_lshl_add_u64 v[4:5], v[4:5], 0, v[2:3]
	global_load_ushort v1, v[4:5], off
	s_waitcnt vmcnt(0)
	s_nop 0
	v_mov_b32_dpp v2, v1 quad_perm:[2,3,0,1] row_mask:0xf bank_mask:0xf bound_ctrl:1
	v_lshlrev_b32_sdwa v2, v6, v2 dst_sel:DWORD dst_unused:UNUSED_PAD src0_sel:DWORD src1_sel:WORD_0
	v_lshl_add_u64 v[4:5], s[66:67], 0, v[2:3]
	v_lshlrev_b32_e32 v2, 1, v1
	v_lshl_add_u64 v[4:5], v[4:5], 0, v[2:3]
	global_load_ushort v1, v[4:5], off
	s_waitcnt vmcnt(0)
	s_nop 0
	v_mov_b32_dpp v2, v1 row_ror:4 row_mask:0xf bank_mask:0xf bound_ctrl:1
	v_lshlrev_b32_sdwa v2, v6, v2 dst_sel:DWORD dst_unused:UNUSED_PAD src0_sel:DWORD src1_sel:WORD_0
	v_lshl_add_u64 v[4:5], s[66:67], 0, v[2:3]
	v_lshlrev_b32_e32 v2, 1, v1
	v_lshl_add_u64 v[4:5], v[4:5], 0, v[2:3]
	global_load_ushort v1, v[4:5], off
	s_waitcnt vmcnt(0)
	s_nop 0
	v_mov_b32_dpp v2, v1 row_ror:8 row_mask:0xf bank_mask:0xf bound_ctrl:1
	v_lshlrev_b32_sdwa v2, v6, v2 dst_sel:DWORD dst_unused:UNUSED_PAD src0_sel:DWORD src1_sel:WORD_0
	v_lshl_add_u64 v[4:5], s[66:67], 0, v[2:3]
	v_lshlrev_b32_e32 v2, 1, v1
	v_lshl_add_u64 v[4:5], v[4:5], 0, v[2:3]
	global_load_ushort v1, v[4:5], off
	s_waitcnt vmcnt(0)
	s_nop 0
	v_mov_b32_dpp v2, v1 row_bcast:15 row_mask:0xf bank_mask:0xf bound_ctrl:1
	v_lshlrev_b32_sdwa v2, v6, v2 dst_sel:DWORD dst_unused:UNUSED_PAD src0_sel:DWORD src1_sel:WORD_0
	v_lshl_add_u64 v[4:5], s[66:67], 0, v[2:3]
	v_lshlrev_b32_e32 v2, 1, v1
	v_lshl_add_u64 v[4:5], v[4:5], 0, v[2:3]
	global_load_ushort v1, v[4:5], off
	s_waitcnt vmcnt(0)
	s_nop 0
	v_mov_b32_dpp v2, v1 row_bcast:31 row_mask:0xf bank_mask:0xf bound_ctrl:1
	v_lshlrev_b32_sdwa v2, v6, v2 dst_sel:DWORD dst_unused:UNUSED_PAD src0_sel:DWORD src1_sel:WORD_0
	v_lshl_add_u64 v[4:5], s[66:67], 0, v[2:3]
	v_lshlrev_b32_e32 v2, 1, v1
	v_lshl_add_u64 v[2:3], v[4:5], 0, v[2:3]
	global_load_ushort v2, v[2:3], off
	v_mbcnt_lo_u32_b32 v1, -1, 0
	v_mbcnt_hi_u32_b32 v3, -1, v1
	v_lshlrev_b32_e32 v1, 2, v3
	v_or_b32_e32 v4, 0xfc, v1
	v_cmp_eq_u32_e32 vcc, 0, v3
	s_waitcnt vmcnt(0)
	ds_bpermute_b32 v2, v4, v2
	s_and_saveexec_b64 s[6:7], vcc
	s_cbranch_execz .LBB848_18
; %bb.17:
	v_lshrrev_b32_e32 v4, 5, v0
	v_and_b32_e32 v4, 2, v4
	s_waitcnt lgkmcnt(0)
	ds_write_b16 v4, v2 offset:16
.LBB848_18:
	s_or_b64 exec, exec, s[6:7]
	v_cmp_gt_u32_e32 vcc, 64, v0
	s_waitcnt lgkmcnt(0)
	s_barrier
	s_and_saveexec_b64 s[6:7], vcc
	s_cbranch_execz .LBB848_20
; %bb.19:
	v_and_b32_e32 v2, 1, v3
	v_lshlrev_b32_e32 v2, 1, v2
	ds_read_u16 v2, v2 offset:16
	v_or_b32_e32 v1, 4, v1
	v_mov_b32_e32 v3, 0
	s_waitcnt lgkmcnt(0)
	ds_bpermute_b32 v1, v1, v2
	v_lshlrev_b32_e32 v2, 1, v2
	v_lshl_add_u64 v[4:5], s[66:67], 0, v[2:3]
	v_mov_b32_e32 v2, 1
	s_waitcnt lgkmcnt(0)
	v_lshlrev_b32_sdwa v2, v2, v1 dst_sel:DWORD dst_unused:UNUSED_PAD src0_sel:DWORD src1_sel:WORD_0
	v_lshl_add_u64 v[2:3], v[4:5], 0, v[2:3]
	global_load_ushort v2, v[2:3], off
.LBB848_20:
	s_or_b64 exec, exec, s[6:7]
	s_mov_b64 s[6:7], 0
	s_branch .LBB848_262
.LBB848_21:
                                        ; implicit-def: $vgpr2
	s_branch .LBB848_555
.LBB848_22:
	s_mov_b64 s[6:7], -1
                                        ; implicit-def: $vgpr2
.LBB848_23:
	s_and_b64 vcc, exec, s[6:7]
	s_cbranch_vccz .LBB848_257
; %bb.24:
	s_sub_i32 s81, s70, s4
	s_mov_b32 s4, 0
	s_mov_b32 s5, s4
	;; [unrolled: 1-line block ×16, first 2 shown]
	s_waitcnt vmcnt(0)
	v_mov_b64_e32 v[2:3], s[4:5]
	v_mov_b64_e32 v[16:17], s[18:19]
	;; [unrolled: 1-line block ×9, first 2 shown]
	v_cmp_gt_u32_e32 vcc, s81, v0
	v_mov_b64_e32 v[30:31], v[14:15]
	v_mov_b64_e32 v[28:29], v[12:13]
	;; [unrolled: 1-line block ×7, first 2 shown]
	s_and_saveexec_b64 s[4:5], vcc
	s_cbranch_execz .LBB848_26
; %bb.25:
	v_lshlrev_b32_e32 v1, 1, v0
	global_load_ushort v1, v1, s[42:43]
	v_mov_b32_e32 v3, 0
	v_mov_b32_e32 v4, v3
	;; [unrolled: 1-line block ×31, first 2 shown]
	s_waitcnt vmcnt(0)
	v_and_b32_e32 v2, 0xffff, v1
.LBB848_26:
	s_or_b64 exec, exec, s[4:5]
	v_or_b32_e32 v1, 0x80, v0
	v_cmp_gt_u32_e64 s[6:7], s81, v1
	s_mov_b64 s[4:5], exec
                                        ; implicit-def: $vgpr38 : SGPR spill to VGPR lane
	s_nop 0
	v_writelane_b32 v38, s6, 0
	s_nop 1
	v_writelane_b32 v38, s7, 1
	s_and_b64 s[6:7], s[4:5], s[6:7]
	s_mov_b64 exec, s[6:7]
	s_cbranch_execz .LBB848_28
; %bb.27:
	v_lshlrev_b32_e32 v1, 1, v0
	global_load_ushort v1, v1, s[42:43] offset:256
	s_mov_b32 s6, 0x5040100
	s_waitcnt vmcnt(0)
	v_perm_b32 v2, v1, v2, s6
.LBB848_28:
	s_or_b64 exec, exec, s[4:5]
	v_or_b32_e32 v1, 0x100, v0
	v_cmp_gt_u32_e64 s[6:7], s81, v1
	s_mov_b64 s[4:5], exec
	s_nop 0
	v_writelane_b32 v38, s6, 2
	s_nop 1
	v_writelane_b32 v38, s7, 3
	s_and_b64 s[6:7], s[4:5], s[6:7]
	s_mov_b64 exec, s[6:7]
	s_cbranch_execz .LBB848_30
; %bb.29:
	v_lshlrev_b32_e32 v1, 1, v0
	global_load_ushort v1, v1, s[42:43] offset:512
	s_mov_b32 s6, 0xffff
	s_waitcnt vmcnt(0)
	v_bfi_b32 v3, s6, v1, v3
.LBB848_30:
	s_or_b64 exec, exec, s[4:5]
	v_or_b32_e32 v1, 0x180, v0
	v_cmp_gt_u32_e64 s[6:7], s81, v1
	s_mov_b64 s[4:5], exec
	s_nop 0
	v_writelane_b32 v38, s6, 4
	s_nop 1
	v_writelane_b32 v38, s7, 5
	s_and_b64 s[6:7], s[4:5], s[6:7]
	s_mov_b64 exec, s[6:7]
	s_cbranch_execz .LBB848_32
; %bb.31:
	v_lshlrev_b32_e32 v1, 1, v0
	global_load_ushort v1, v1, s[42:43] offset:768
	s_mov_b32 s6, 0x5040100
	s_waitcnt vmcnt(0)
	v_perm_b32 v3, v1, v3, s6
.LBB848_32:
	s_or_b64 exec, exec, s[4:5]
	v_or_b32_e32 v1, 0x200, v0
	v_cmp_gt_u32_e64 s[6:7], s81, v1
	s_mov_b64 s[4:5], exec
	s_nop 0
	v_writelane_b32 v38, s6, 6
	s_nop 1
	v_writelane_b32 v38, s7, 7
	s_and_b64 s[6:7], s[4:5], s[6:7]
	s_mov_b64 exec, s[6:7]
	s_cbranch_execz .LBB848_34
; %bb.33:
	v_lshlrev_b32_e32 v1, 1, v0
	global_load_ushort v1, v1, s[42:43] offset:1024
	s_mov_b32 s6, 0xffff
	s_waitcnt vmcnt(0)
	v_bfi_b32 v4, s6, v1, v4
.LBB848_34:
	s_or_b64 exec, exec, s[4:5]
	v_or_b32_e32 v1, 0x280, v0
	v_cmp_gt_u32_e64 s[6:7], s81, v1
	s_mov_b64 s[4:5], exec
	;; [unrolled: 36-line block ×7, first 2 shown]
	s_nop 0
	v_writelane_b32 v38, s6, 28
	s_nop 1
	v_writelane_b32 v38, s7, 29
	s_and_b64 s[6:7], s[4:5], s[6:7]
	s_mov_b64 exec, s[6:7]
	s_cbranch_execz .LBB848_56
; %bb.55:
	v_lshlrev_b32_e32 v1, 1, v0
	global_load_ushort v1, v1, s[42:43] offset:3840
	s_mov_b32 s6, 0x5040100
	s_waitcnt vmcnt(0)
	v_perm_b32 v9, v1, v9, s6
.LBB848_56:
	s_or_b64 exec, exec, s[4:5]
	v_or_b32_e32 v1, 0x800, v0
	v_cmp_gt_u32_e64 s[6:7], s81, v1
	s_mov_b64 s[4:5], exec
	s_nop 0
	v_writelane_b32 v38, s6, 30
	s_nop 1
	v_writelane_b32 v38, s7, 31
	s_and_b64 s[6:7], s[4:5], s[6:7]
	s_mov_b64 exec, s[6:7]
	s_cbranch_execz .LBB848_58
; %bb.57:
	v_lshlrev_b32_e32 v1, 1, v1
	global_load_ushort v1, v1, s[42:43]
	s_mov_b32 s6, 0xffff
	s_waitcnt vmcnt(0)
	v_bfi_b32 v10, s6, v1, v10
.LBB848_58:
	s_or_b64 exec, exec, s[4:5]
	v_or_b32_e32 v1, 0x880, v0
	v_cmp_gt_u32_e64 s[6:7], s81, v1
	s_mov_b64 s[4:5], exec
	s_nop 0
	v_writelane_b32 v38, s6, 32
	s_nop 1
	v_writelane_b32 v38, s7, 33
	s_and_b64 s[6:7], s[4:5], s[6:7]
	s_mov_b64 exec, s[6:7]
	s_cbranch_execz .LBB848_60
; %bb.59:
	v_lshlrev_b32_e32 v1, 1, v1
	global_load_ushort v1, v1, s[42:43]
	s_mov_b32 s6, 0x5040100
	s_waitcnt vmcnt(0)
	v_perm_b32 v10, v1, v10, s6
.LBB848_60:
	s_or_b64 exec, exec, s[4:5]
	v_or_b32_e32 v1, 0x900, v0
	v_cmp_gt_u32_e64 s[6:7], s81, v1
	s_mov_b64 s[4:5], exec
	s_nop 0
	v_writelane_b32 v38, s6, 34
	s_nop 1
	v_writelane_b32 v38, s7, 35
	s_and_b64 s[6:7], s[4:5], s[6:7]
	s_mov_b64 exec, s[6:7]
	s_cbranch_execz .LBB848_62
; %bb.61:
	v_lshlrev_b32_e32 v1, 1, v1
	global_load_ushort v1, v1, s[42:43]
	s_mov_b32 s6, 0xffff
	s_waitcnt vmcnt(0)
	v_bfi_b32 v11, s6, v1, v11
.LBB848_62:
	s_or_b64 exec, exec, s[4:5]
	v_or_b32_e32 v1, 0x980, v0
	v_cmp_gt_u32_e64 s[6:7], s81, v1
	s_mov_b64 s[4:5], exec
	s_nop 0
	v_writelane_b32 v38, s6, 36
	s_nop 1
	v_writelane_b32 v38, s7, 37
	s_and_b64 s[6:7], s[4:5], s[6:7]
	s_mov_b64 exec, s[6:7]
	s_cbranch_execz .LBB848_64
; %bb.63:
	v_lshlrev_b32_e32 v1, 1, v1
	global_load_ushort v1, v1, s[42:43]
	s_mov_b32 s6, 0x5040100
	s_waitcnt vmcnt(0)
	v_perm_b32 v11, v1, v11, s6
.LBB848_64:
	;; [unrolled: 36-line block ×4, first 2 shown]
	s_or_b64 exec, exec, s[4:5]
	v_or_b32_e32 v1, 0xc00, v0
	v_cmp_gt_u32_e64 s[50:51], s81, v1
	s_and_saveexec_b64 s[4:5], s[50:51]
	s_cbranch_execz .LBB848_74
; %bb.73:
	v_lshlrev_b32_e32 v1, 1, v1
	global_load_ushort v1, v1, s[42:43]
	s_mov_b32 s6, 0xffff
	s_waitcnt vmcnt(0)
	v_bfi_b32 v14, s6, v1, v14
.LBB848_74:
	s_or_b64 exec, exec, s[4:5]
	v_or_b32_e32 v1, 0xc80, v0
	v_cmp_gt_u32_e64 s[52:53], s81, v1
	s_and_saveexec_b64 s[4:5], s[52:53]
	s_cbranch_execz .LBB848_76
; %bb.75:
	v_lshlrev_b32_e32 v1, 1, v1
	global_load_ushort v1, v1, s[42:43]
	s_mov_b32 s6, 0x5040100
	s_waitcnt vmcnt(0)
	v_perm_b32 v14, v1, v14, s6
.LBB848_76:
	s_or_b64 exec, exec, s[4:5]
	v_or_b32_e32 v1, 0xd00, v0
	v_cmp_gt_u32_e64 s[54:55], s81, v1
	s_and_saveexec_b64 s[4:5], s[54:55]
	s_cbranch_execz .LBB848_78
; %bb.77:
	v_lshlrev_b32_e32 v1, 1, v1
	global_load_ushort v1, v1, s[42:43]
	s_mov_b32 s6, 0xffff
	s_waitcnt vmcnt(0)
	v_bfi_b32 v15, s6, v1, v15
.LBB848_78:
	s_or_b64 exec, exec, s[4:5]
	v_or_b32_e32 v1, 0xd80, v0
	v_cmp_gt_u32_e64 s[56:57], s81, v1
	s_and_saveexec_b64 s[4:5], s[56:57]
	s_cbranch_execz .LBB848_80
; %bb.79:
	v_lshlrev_b32_e32 v1, 1, v1
	global_load_ushort v1, v1, s[42:43]
	s_mov_b32 s6, 0x5040100
	s_waitcnt vmcnt(0)
	v_perm_b32 v15, v1, v15, s6
.LBB848_80:
	;; [unrolled: 24-line block ×19, first 2 shown]
	s_or_b64 exec, exec, s[30:31]
	v_or_b32_e32 v1, 0x1f00, v0
	v_cmp_gt_u32_e64 s[30:31], s81, v1
	s_and_saveexec_b64 vcc, s[30:31]
	s_cbranch_execz .LBB848_150
; %bb.149:
	v_lshlrev_b32_e32 v1, 1, v1
	global_load_ushort v1, v1, s[42:43]
	s_mov_b32 s44, 0xffff
	s_waitcnt vmcnt(0)
	v_bfi_b32 v33, s44, v1, v33
.LBB848_150:
	s_or_b64 exec, exec, vcc
	v_or_b32_e32 v1, 0x1f80, v0
	v_cmp_gt_u32_e32 vcc, s81, v1
	s_and_saveexec_b64 s[44:45], vcc
	s_cbranch_execz .LBB848_152
; %bb.151:
	v_lshlrev_b32_e32 v1, 1, v1
	global_load_ushort v1, v1, s[42:43]
	s_mov_b32 s42, 0x5040100
	s_waitcnt vmcnt(0)
	v_perm_b32 v33, v1, v33, s42
.LBB848_152:
	s_or_b64 exec, exec, s[44:45]
	s_mov_b64 s[42:43], exec
	v_readlane_b32 s44, v38, 0
	v_readlane_b32 s45, v38, 1
	s_and_b64 s[44:45], s[42:43], s[44:45]
	s_mov_b64 exec, s[44:45]
	s_cbranch_execz .LBB848_154
; %bb.153:
	v_mov_b32_e32 v1, 1
	v_lshlrev_b32_sdwa v34, v1, v2 dst_sel:DWORD dst_unused:UNUSED_PAD src0_sel:DWORD src1_sel:WORD_0
	v_mov_b32_e32 v35, 0
	v_lshl_add_u64 v[36:37], s[66:67], 0, v[34:35]
	v_lshlrev_b32_sdwa v34, v1, v2 dst_sel:DWORD dst_unused:UNUSED_PAD src0_sel:DWORD src1_sel:WORD_1
	v_lshl_add_u64 v[34:35], v[36:37], 0, v[34:35]
	global_load_ushort v2, v[34:35], off
.LBB848_154:
	s_or_b64 exec, exec, s[42:43]
	s_mov_b64 s[42:43], exec
	v_readlane_b32 s44, v38, 2
	v_readlane_b32 s45, v38, 3
	s_and_b64 s[44:45], s[42:43], s[44:45]
	s_mov_b64 exec, s[44:45]
	s_cbranch_execz .LBB848_156
; %bb.155:
	v_mov_b32_e32 v1, 1
	s_waitcnt vmcnt(0)
	v_lshlrev_b32_sdwa v34, v1, v2 dst_sel:DWORD dst_unused:UNUSED_PAD src0_sel:DWORD src1_sel:WORD_0
	v_mov_b32_e32 v35, 0
	v_lshl_add_u64 v[36:37], s[66:67], 0, v[34:35]
	v_lshlrev_b32_sdwa v34, v1, v3 dst_sel:DWORD dst_unused:UNUSED_PAD src0_sel:DWORD src1_sel:WORD_0
	v_lshl_add_u64 v[34:35], v[36:37], 0, v[34:35]
	global_load_ushort v2, v[34:35], off
.LBB848_156:
	s_or_b64 exec, exec, s[42:43]
	s_mov_b64 s[42:43], exec
	v_readlane_b32 s44, v38, 4
	v_readlane_b32 s45, v38, 5
	s_and_b64 s[44:45], s[42:43], s[44:45]
	s_mov_b64 exec, s[44:45]
	s_cbranch_execz .LBB848_158
; %bb.157:
	v_mov_b32_e32 v1, 1
	s_waitcnt vmcnt(0)
	v_lshlrev_b32_sdwa v34, v1, v2 dst_sel:DWORD dst_unused:UNUSED_PAD src0_sel:DWORD src1_sel:WORD_0
	v_mov_b32_e32 v35, 0
	v_lshl_add_u64 v[36:37], s[66:67], 0, v[34:35]
	v_lshlrev_b32_sdwa v34, v1, v3 dst_sel:DWORD dst_unused:UNUSED_PAD src0_sel:DWORD src1_sel:WORD_1
	v_lshl_add_u64 v[2:3], v[36:37], 0, v[34:35]
	global_load_ushort v2, v[2:3], off
.LBB848_158:
	s_or_b64 exec, exec, s[42:43]
	s_mov_b64 s[42:43], exec
	v_readlane_b32 s44, v38, 6
	v_readlane_b32 s45, v38, 7
	s_and_b64 s[44:45], s[42:43], s[44:45]
	s_mov_b64 exec, s[44:45]
	s_cbranch_execz .LBB848_160
; %bb.159:
	v_mov_b32_e32 v1, 1
	s_waitcnt vmcnt(0)
	v_lshlrev_b32_sdwa v2, v1, v2 dst_sel:DWORD dst_unused:UNUSED_PAD src0_sel:DWORD src1_sel:WORD_0
	v_mov_b32_e32 v3, 0
	v_lshl_add_u64 v[34:35], s[66:67], 0, v[2:3]
	v_lshlrev_b32_sdwa v2, v1, v4 dst_sel:DWORD dst_unused:UNUSED_PAD src0_sel:DWORD src1_sel:WORD_0
	v_lshl_add_u64 v[2:3], v[34:35], 0, v[2:3]
	global_load_ushort v2, v[2:3], off
.LBB848_160:
	s_or_b64 exec, exec, s[42:43]
	s_mov_b64 s[42:43], exec
	v_readlane_b32 s44, v38, 8
	v_readlane_b32 s45, v38, 9
	s_and_b64 s[44:45], s[42:43], s[44:45]
	s_mov_b64 exec, s[44:45]
	s_cbranch_execz .LBB848_162
; %bb.161:
	v_mov_b32_e32 v1, 1
	s_waitcnt vmcnt(0)
	v_lshlrev_b32_sdwa v2, v1, v2 dst_sel:DWORD dst_unused:UNUSED_PAD src0_sel:DWORD src1_sel:WORD_0
	v_mov_b32_e32 v3, 0
	v_lshl_add_u64 v[34:35], s[66:67], 0, v[2:3]
	v_lshlrev_b32_sdwa v2, v1, v4 dst_sel:DWORD dst_unused:UNUSED_PAD src0_sel:DWORD src1_sel:WORD_1
	v_lshl_add_u64 v[2:3], v[34:35], 0, v[2:3]
	global_load_ushort v2, v[2:3], off
.LBB848_162:
	;; [unrolled: 34-line block ×10, first 2 shown]
	s_or_b64 exec, exec, s[42:43]
	s_mov_b64 s[42:43], exec
	v_readlane_b32 s44, v38, 42
	v_readlane_b32 s45, v38, 43
	s_and_b64 s[44:45], s[42:43], s[44:45]
	s_mov_b64 exec, s[44:45]
	s_cbranch_execz .LBB848_196
; %bb.195:
	v_mov_b32_e32 v1, 1
	s_waitcnt vmcnt(0)
	v_lshlrev_b32_sdwa v2, v1, v2 dst_sel:DWORD dst_unused:UNUSED_PAD src0_sel:DWORD src1_sel:WORD_0
	v_mov_b32_e32 v3, 0
	v_lshl_add_u64 v[4:5], s[66:67], 0, v[2:3]
	v_lshlrev_b32_sdwa v2, v1, v13 dst_sel:DWORD dst_unused:UNUSED_PAD src0_sel:DWORD src1_sel:WORD_0
	v_lshl_add_u64 v[2:3], v[4:5], 0, v[2:3]
	global_load_ushort v2, v[2:3], off
.LBB848_196:
	s_or_b64 exec, exec, s[42:43]
	s_mov_b64 s[42:43], exec
	v_readlane_b32 s44, v38, 44
	v_readlane_b32 s45, v38, 45
	s_and_b64 s[44:45], s[42:43], s[44:45]
	s_mov_b64 exec, s[44:45]
	s_cbranch_execz .LBB848_357
; %bb.197:
	v_mov_b32_e32 v1, 1
	s_waitcnt vmcnt(0)
	v_lshlrev_b32_sdwa v2, v1, v2 dst_sel:DWORD dst_unused:UNUSED_PAD src0_sel:DWORD src1_sel:WORD_0
	v_mov_b32_e32 v3, 0
	v_lshl_add_u64 v[4:5], s[66:67], 0, v[2:3]
	v_lshlrev_b32_sdwa v2, v1, v13 dst_sel:DWORD dst_unused:UNUSED_PAD src0_sel:DWORD src1_sel:WORD_1
	v_lshl_add_u64 v[2:3], v[4:5], 0, v[2:3]
	global_load_ushort v2, v[2:3], off
	s_or_b64 exec, exec, s[42:43]
	s_and_saveexec_b64 s[42:43], s[50:51]
	s_cbranch_execnz .LBB848_358
.LBB848_198:
	s_or_b64 exec, exec, s[42:43]
	s_and_saveexec_b64 s[42:43], s[52:53]
	s_cbranch_execz .LBB848_359
.LBB848_199:
	v_mov_b32_e32 v1, 1
	s_waitcnt vmcnt(0)
	v_lshlrev_b32_sdwa v2, v1, v2 dst_sel:DWORD dst_unused:UNUSED_PAD src0_sel:DWORD src1_sel:WORD_0
	v_mov_b32_e32 v3, 0
	v_lshl_add_u64 v[4:5], s[66:67], 0, v[2:3]
	v_lshlrev_b32_sdwa v2, v1, v14 dst_sel:DWORD dst_unused:UNUSED_PAD src0_sel:DWORD src1_sel:WORD_1
	v_lshl_add_u64 v[2:3], v[4:5], 0, v[2:3]
	global_load_ushort v2, v[2:3], off
	s_or_b64 exec, exec, s[42:43]
	s_and_saveexec_b64 s[42:43], s[54:55]
	s_cbranch_execnz .LBB848_360
.LBB848_200:
	s_or_b64 exec, exec, s[42:43]
	s_and_saveexec_b64 s[42:43], s[56:57]
	s_cbranch_execz .LBB848_361
.LBB848_201:
	v_mov_b32_e32 v1, 1
	s_waitcnt vmcnt(0)
	v_lshlrev_b32_sdwa v2, v1, v2 dst_sel:DWORD dst_unused:UNUSED_PAD src0_sel:DWORD src1_sel:WORD_0
	v_mov_b32_e32 v3, 0
	v_lshl_add_u64 v[4:5], s[66:67], 0, v[2:3]
	v_lshlrev_b32_sdwa v2, v1, v15 dst_sel:DWORD dst_unused:UNUSED_PAD src0_sel:DWORD src1_sel:WORD_1
	v_lshl_add_u64 v[2:3], v[4:5], 0, v[2:3]
	global_load_ushort v2, v[2:3], off
	s_or_b64 exec, exec, s[42:43]
	s_and_saveexec_b64 s[42:43], s[58:59]
	s_cbranch_execnz .LBB848_362
.LBB848_202:
	s_or_b64 exec, exec, s[42:43]
	s_and_saveexec_b64 s[42:43], s[60:61]
	s_cbranch_execz .LBB848_363
.LBB848_203:
	v_mov_b32_e32 v1, 1
	s_waitcnt vmcnt(0)
	v_lshlrev_b32_sdwa v2, v1, v2 dst_sel:DWORD dst_unused:UNUSED_PAD src0_sel:DWORD src1_sel:WORD_0
	v_mov_b32_e32 v3, 0
	v_lshl_add_u64 v[4:5], s[66:67], 0, v[2:3]
	v_lshlrev_b32_sdwa v2, v1, v16 dst_sel:DWORD dst_unused:UNUSED_PAD src0_sel:DWORD src1_sel:WORD_1
	v_lshl_add_u64 v[2:3], v[4:5], 0, v[2:3]
	global_load_ushort v2, v[2:3], off
	s_or_b64 exec, exec, s[42:43]
	s_and_saveexec_b64 s[42:43], s[62:63]
	s_cbranch_execnz .LBB848_364
.LBB848_204:
	s_or_b64 exec, exec, s[42:43]
	s_and_saveexec_b64 s[42:43], s[64:65]
	s_cbranch_execz .LBB848_365
.LBB848_205:
	v_mov_b32_e32 v1, 1
	s_waitcnt vmcnt(0)
	v_lshlrev_b32_sdwa v2, v1, v2 dst_sel:DWORD dst_unused:UNUSED_PAD src0_sel:DWORD src1_sel:WORD_0
	v_mov_b32_e32 v3, 0
	v_lshl_add_u64 v[4:5], s[66:67], 0, v[2:3]
	v_lshlrev_b32_sdwa v2, v1, v17 dst_sel:DWORD dst_unused:UNUSED_PAD src0_sel:DWORD src1_sel:WORD_1
	v_lshl_add_u64 v[2:3], v[4:5], 0, v[2:3]
	global_load_ushort v2, v[2:3], off
	s_or_b64 exec, exec, s[42:43]
	s_and_saveexec_b64 s[42:43], s[38:39]
	s_cbranch_execnz .LBB848_366
.LBB848_206:
	s_or_b64 exec, exec, s[42:43]
	s_and_saveexec_b64 s[38:39], s[34:35]
	s_cbranch_execz .LBB848_367
.LBB848_207:
	v_mov_b32_e32 v1, 1
	s_waitcnt vmcnt(0)
	v_lshlrev_b32_sdwa v2, v1, v2 dst_sel:DWORD dst_unused:UNUSED_PAD src0_sel:DWORD src1_sel:WORD_0
	v_mov_b32_e32 v3, 0
	v_lshl_add_u64 v[4:5], s[66:67], 0, v[2:3]
	v_lshlrev_b32_sdwa v2, v1, v18 dst_sel:DWORD dst_unused:UNUSED_PAD src0_sel:DWORD src1_sel:WORD_1
	v_lshl_add_u64 v[2:3], v[4:5], 0, v[2:3]
	global_load_ushort v2, v[2:3], off
	s_or_b64 exec, exec, s[38:39]
	s_and_saveexec_b64 s[34:35], s[36:37]
	s_cbranch_execnz .LBB848_368
.LBB848_208:
	s_or_b64 exec, exec, s[34:35]
	s_and_saveexec_b64 s[34:35], s[72:73]
	s_cbranch_execz .LBB848_369
.LBB848_209:
	v_mov_b32_e32 v1, 1
	s_waitcnt vmcnt(0)
	v_lshlrev_b32_sdwa v2, v1, v2 dst_sel:DWORD dst_unused:UNUSED_PAD src0_sel:DWORD src1_sel:WORD_0
	v_mov_b32_e32 v3, 0
	v_lshl_add_u64 v[4:5], s[66:67], 0, v[2:3]
	v_lshlrev_b32_sdwa v2, v1, v19 dst_sel:DWORD dst_unused:UNUSED_PAD src0_sel:DWORD src1_sel:WORD_1
	v_lshl_add_u64 v[2:3], v[4:5], 0, v[2:3]
	global_load_ushort v2, v[2:3], off
	s_or_b64 exec, exec, s[34:35]
	s_and_saveexec_b64 s[34:35], s[74:75]
	s_cbranch_execnz .LBB848_370
.LBB848_210:
	s_or_b64 exec, exec, s[34:35]
	s_and_saveexec_b64 s[34:35], s[76:77]
	s_cbranch_execz .LBB848_371
.LBB848_211:
	v_mov_b32_e32 v1, 1
	s_waitcnt vmcnt(0)
	v_lshlrev_b32_sdwa v2, v1, v2 dst_sel:DWORD dst_unused:UNUSED_PAD src0_sel:DWORD src1_sel:WORD_0
	v_mov_b32_e32 v3, 0
	v_lshl_add_u64 v[4:5], s[66:67], 0, v[2:3]
	v_lshlrev_b32_sdwa v2, v1, v20 dst_sel:DWORD dst_unused:UNUSED_PAD src0_sel:DWORD src1_sel:WORD_1
	v_lshl_add_u64 v[2:3], v[4:5], 0, v[2:3]
	global_load_ushort v2, v[2:3], off
	s_or_b64 exec, exec, s[34:35]
	s_and_saveexec_b64 s[34:35], s[78:79]
	s_cbranch_execnz .LBB848_372
.LBB848_212:
	s_or_b64 exec, exec, s[34:35]
	s_and_saveexec_b64 s[34:35], s[46:47]
	s_cbranch_execz .LBB848_373
.LBB848_213:
	v_mov_b32_e32 v1, 1
	s_waitcnt vmcnt(0)
	v_lshlrev_b32_sdwa v2, v1, v2 dst_sel:DWORD dst_unused:UNUSED_PAD src0_sel:DWORD src1_sel:WORD_0
	v_mov_b32_e32 v3, 0
	v_lshl_add_u64 v[4:5], s[66:67], 0, v[2:3]
	v_lshlrev_b32_sdwa v2, v1, v21 dst_sel:DWORD dst_unused:UNUSED_PAD src0_sel:DWORD src1_sel:WORD_1
	v_lshl_add_u64 v[2:3], v[4:5], 0, v[2:3]
	global_load_ushort v2, v[2:3], off
	s_or_b64 exec, exec, s[34:35]
	s_and_saveexec_b64 s[34:35], s[82:83]
	s_cbranch_execnz .LBB848_374
.LBB848_214:
	s_or_b64 exec, exec, s[34:35]
	s_and_saveexec_b64 s[34:35], s[84:85]
	s_cbranch_execz .LBB848_375
.LBB848_215:
	v_mov_b32_e32 v1, 1
	s_waitcnt vmcnt(0)
	v_lshlrev_b32_sdwa v2, v1, v2 dst_sel:DWORD dst_unused:UNUSED_PAD src0_sel:DWORD src1_sel:WORD_0
	v_mov_b32_e32 v3, 0
	v_lshl_add_u64 v[4:5], s[66:67], 0, v[2:3]
	v_lshlrev_b32_sdwa v2, v1, v22 dst_sel:DWORD dst_unused:UNUSED_PAD src0_sel:DWORD src1_sel:WORD_1
	v_lshl_add_u64 v[2:3], v[4:5], 0, v[2:3]
	global_load_ushort v2, v[2:3], off
	s_or_b64 exec, exec, s[34:35]
	s_and_saveexec_b64 s[34:35], s[86:87]
	s_cbranch_execnz .LBB848_376
.LBB848_216:
	s_or_b64 exec, exec, s[34:35]
	s_and_saveexec_b64 s[34:35], s[88:89]
	s_cbranch_execz .LBB848_377
.LBB848_217:
	v_mov_b32_e32 v1, 1
	s_waitcnt vmcnt(0)
	v_lshlrev_b32_sdwa v2, v1, v2 dst_sel:DWORD dst_unused:UNUSED_PAD src0_sel:DWORD src1_sel:WORD_0
	v_mov_b32_e32 v3, 0
	v_lshl_add_u64 v[4:5], s[66:67], 0, v[2:3]
	v_lshlrev_b32_sdwa v2, v1, v23 dst_sel:DWORD dst_unused:UNUSED_PAD src0_sel:DWORD src1_sel:WORD_1
	v_lshl_add_u64 v[2:3], v[4:5], 0, v[2:3]
	global_load_ushort v2, v[2:3], off
	s_or_b64 exec, exec, s[34:35]
	s_and_saveexec_b64 s[34:35], s[90:91]
	s_cbranch_execnz .LBB848_378
.LBB848_218:
	s_or_b64 exec, exec, s[34:35]
	s_and_saveexec_b64 s[34:35], s[92:93]
	s_cbranch_execz .LBB848_379
.LBB848_219:
	v_mov_b32_e32 v1, 1
	s_waitcnt vmcnt(0)
	v_lshlrev_b32_sdwa v2, v1, v2 dst_sel:DWORD dst_unused:UNUSED_PAD src0_sel:DWORD src1_sel:WORD_0
	v_mov_b32_e32 v3, 0
	v_lshl_add_u64 v[4:5], s[66:67], 0, v[2:3]
	v_lshlrev_b32_sdwa v2, v1, v24 dst_sel:DWORD dst_unused:UNUSED_PAD src0_sel:DWORD src1_sel:WORD_1
	v_lshl_add_u64 v[2:3], v[4:5], 0, v[2:3]
	global_load_ushort v2, v[2:3], off
	s_or_b64 exec, exec, s[34:35]
	s_and_saveexec_b64 s[34:35], s[94:95]
	s_cbranch_execnz .LBB848_380
.LBB848_220:
	s_or_b64 exec, exec, s[34:35]
	s_and_saveexec_b64 s[34:35], s[96:97]
	s_cbranch_execz .LBB848_381
.LBB848_221:
	v_mov_b32_e32 v1, 1
	s_waitcnt vmcnt(0)
	v_lshlrev_b32_sdwa v2, v1, v2 dst_sel:DWORD dst_unused:UNUSED_PAD src0_sel:DWORD src1_sel:WORD_0
	v_mov_b32_e32 v3, 0
	v_lshl_add_u64 v[4:5], s[66:67], 0, v[2:3]
	v_lshlrev_b32_sdwa v2, v1, v25 dst_sel:DWORD dst_unused:UNUSED_PAD src0_sel:DWORD src1_sel:WORD_1
	v_lshl_add_u64 v[2:3], v[4:5], 0, v[2:3]
	global_load_ushort v2, v[2:3], off
	s_or_b64 exec, exec, s[34:35]
	s_and_saveexec_b64 s[34:35], s[98:99]
	s_cbranch_execnz .LBB848_382
.LBB848_222:
	s_or_b64 exec, exec, s[34:35]
	s_and_saveexec_b64 s[34:35], s[4:5]
	s_cbranch_execz .LBB848_383
.LBB848_223:
	v_mov_b32_e32 v1, 1
	s_waitcnt vmcnt(0)
	v_lshlrev_b32_sdwa v2, v1, v2 dst_sel:DWORD dst_unused:UNUSED_PAD src0_sel:DWORD src1_sel:WORD_0
	v_mov_b32_e32 v3, 0
	v_lshl_add_u64 v[4:5], s[66:67], 0, v[2:3]
	v_lshlrev_b32_sdwa v2, v1, v26 dst_sel:DWORD dst_unused:UNUSED_PAD src0_sel:DWORD src1_sel:WORD_1
	v_lshl_add_u64 v[2:3], v[4:5], 0, v[2:3]
	global_load_ushort v2, v[2:3], off
	s_or_b64 exec, exec, s[34:35]
	s_and_saveexec_b64 s[4:5], s[6:7]
	s_cbranch_execnz .LBB848_384
.LBB848_224:
	s_or_b64 exec, exec, s[4:5]
	s_and_saveexec_b64 s[4:5], s[8:9]
	s_cbranch_execz .LBB848_385
.LBB848_225:
	v_mov_b32_e32 v1, 1
	s_waitcnt vmcnt(0)
	v_lshlrev_b32_sdwa v2, v1, v2 dst_sel:DWORD dst_unused:UNUSED_PAD src0_sel:DWORD src1_sel:WORD_0
	v_mov_b32_e32 v3, 0
	v_lshl_add_u64 v[4:5], s[66:67], 0, v[2:3]
	v_lshlrev_b32_sdwa v2, v1, v27 dst_sel:DWORD dst_unused:UNUSED_PAD src0_sel:DWORD src1_sel:WORD_1
	v_lshl_add_u64 v[2:3], v[4:5], 0, v[2:3]
	global_load_ushort v2, v[2:3], off
	s_or_b64 exec, exec, s[4:5]
	s_and_saveexec_b64 s[4:5], s[10:11]
	s_cbranch_execnz .LBB848_386
.LBB848_226:
	s_or_b64 exec, exec, s[4:5]
	s_and_saveexec_b64 s[4:5], s[12:13]
	s_cbranch_execz .LBB848_387
.LBB848_227:
	v_mov_b32_e32 v1, 1
	s_waitcnt vmcnt(0)
	v_lshlrev_b32_sdwa v2, v1, v2 dst_sel:DWORD dst_unused:UNUSED_PAD src0_sel:DWORD src1_sel:WORD_0
	v_mov_b32_e32 v3, 0
	v_lshl_add_u64 v[4:5], s[66:67], 0, v[2:3]
	v_lshlrev_b32_sdwa v2, v1, v28 dst_sel:DWORD dst_unused:UNUSED_PAD src0_sel:DWORD src1_sel:WORD_1
	v_lshl_add_u64 v[2:3], v[4:5], 0, v[2:3]
	global_load_ushort v2, v[2:3], off
	s_or_b64 exec, exec, s[4:5]
	s_and_saveexec_b64 s[4:5], s[14:15]
	s_cbranch_execnz .LBB848_388
.LBB848_228:
	s_or_b64 exec, exec, s[4:5]
	s_and_saveexec_b64 s[4:5], s[16:17]
	s_cbranch_execz .LBB848_389
.LBB848_229:
	v_mov_b32_e32 v1, 1
	s_waitcnt vmcnt(0)
	v_lshlrev_b32_sdwa v2, v1, v2 dst_sel:DWORD dst_unused:UNUSED_PAD src0_sel:DWORD src1_sel:WORD_0
	v_mov_b32_e32 v3, 0
	v_lshl_add_u64 v[4:5], s[66:67], 0, v[2:3]
	v_lshlrev_b32_sdwa v2, v1, v29 dst_sel:DWORD dst_unused:UNUSED_PAD src0_sel:DWORD src1_sel:WORD_1
	v_lshl_add_u64 v[2:3], v[4:5], 0, v[2:3]
	global_load_ushort v2, v[2:3], off
	s_or_b64 exec, exec, s[4:5]
	s_and_saveexec_b64 s[4:5], s[18:19]
	s_cbranch_execnz .LBB848_390
.LBB848_230:
	s_or_b64 exec, exec, s[4:5]
	s_and_saveexec_b64 s[4:5], s[20:21]
	s_cbranch_execz .LBB848_391
.LBB848_231:
	v_mov_b32_e32 v1, 1
	s_waitcnt vmcnt(0)
	v_lshlrev_b32_sdwa v2, v1, v2 dst_sel:DWORD dst_unused:UNUSED_PAD src0_sel:DWORD src1_sel:WORD_0
	v_mov_b32_e32 v3, 0
	v_lshl_add_u64 v[4:5], s[66:67], 0, v[2:3]
	v_lshlrev_b32_sdwa v2, v1, v30 dst_sel:DWORD dst_unused:UNUSED_PAD src0_sel:DWORD src1_sel:WORD_1
	v_lshl_add_u64 v[2:3], v[4:5], 0, v[2:3]
	global_load_ushort v2, v[2:3], off
	s_or_b64 exec, exec, s[4:5]
	s_and_saveexec_b64 s[4:5], s[22:23]
	s_cbranch_execnz .LBB848_392
.LBB848_232:
	s_or_b64 exec, exec, s[4:5]
	s_and_saveexec_b64 s[4:5], s[24:25]
	s_cbranch_execz .LBB848_393
.LBB848_233:
	v_mov_b32_e32 v1, 1
	s_waitcnt vmcnt(0)
	v_lshlrev_b32_sdwa v2, v1, v2 dst_sel:DWORD dst_unused:UNUSED_PAD src0_sel:DWORD src1_sel:WORD_0
	v_mov_b32_e32 v3, 0
	v_lshl_add_u64 v[4:5], s[66:67], 0, v[2:3]
	v_lshlrev_b32_sdwa v2, v1, v31 dst_sel:DWORD dst_unused:UNUSED_PAD src0_sel:DWORD src1_sel:WORD_1
	v_lshl_add_u64 v[2:3], v[4:5], 0, v[2:3]
	global_load_ushort v2, v[2:3], off
	s_or_b64 exec, exec, s[4:5]
	s_and_saveexec_b64 s[4:5], s[26:27]
	s_cbranch_execnz .LBB848_394
.LBB848_234:
	s_or_b64 exec, exec, s[4:5]
	s_and_saveexec_b64 s[4:5], s[28:29]
	s_cbranch_execz .LBB848_395
.LBB848_235:
	v_mov_b32_e32 v1, 1
	s_waitcnt vmcnt(0)
	v_lshlrev_b32_sdwa v2, v1, v2 dst_sel:DWORD dst_unused:UNUSED_PAD src0_sel:DWORD src1_sel:WORD_0
	v_mov_b32_e32 v3, 0
	v_lshl_add_u64 v[4:5], s[66:67], 0, v[2:3]
	v_lshlrev_b32_sdwa v2, v1, v32 dst_sel:DWORD dst_unused:UNUSED_PAD src0_sel:DWORD src1_sel:WORD_1
	v_lshl_add_u64 v[2:3], v[4:5], 0, v[2:3]
	global_load_ushort v2, v[2:3], off
	s_or_b64 exec, exec, s[4:5]
	s_and_saveexec_b64 s[4:5], s[30:31]
	s_cbranch_execnz .LBB848_396
.LBB848_236:
	s_or_b64 exec, exec, s[4:5]
	s_and_saveexec_b64 s[4:5], vcc
	s_cbranch_execz .LBB848_238
.LBB848_237:
	v_mov_b32_e32 v1, 1
	s_waitcnt vmcnt(0)
	v_lshlrev_b32_sdwa v2, v1, v2 dst_sel:DWORD dst_unused:UNUSED_PAD src0_sel:DWORD src1_sel:WORD_0
	v_mov_b32_e32 v3, 0
	v_lshl_add_u64 v[4:5], s[66:67], 0, v[2:3]
	v_lshlrev_b32_sdwa v2, v1, v33 dst_sel:DWORD dst_unused:UNUSED_PAD src0_sel:DWORD src1_sel:WORD_1
	v_lshl_add_u64 v[2:3], v[4:5], 0, v[2:3]
	global_load_ushort v2, v[2:3], off
.LBB848_238:
	s_or_b64 exec, exec, s[4:5]
	v_mbcnt_lo_u32_b32 v1, -1, 0
	v_mbcnt_hi_u32_b32 v1, -1, v1
	v_and_b32_e32 v3, 63, v1
	v_cmp_ne_u32_e32 vcc, 63, v3
	s_waitcnt vmcnt(0)
	v_and_b32_e32 v5, 0xffff, v2
	s_min_u32 s6, s81, 0x80
	v_addc_co_u32_e32 v4, vcc, 0, v1, vcc
	v_lshlrev_b32_e32 v4, 2, v4
	ds_bpermute_b32 v6, v4, v5
	v_and_b32_e32 v4, 64, v0
	v_sub_u32_e64 v4, s6, v4 clamp
	v_add_u32_e32 v7, 1, v3
	v_cmp_lt_u32_e32 vcc, v7, v4
	s_and_saveexec_b64 s[4:5], vcc
	s_xor_b64 s[4:5], exec, s[4:5]
	s_cbranch_execz .LBB848_240
; %bb.239:
	v_mov_b32_e32 v5, 1
	v_lshlrev_b32_sdwa v8, v5, v2 dst_sel:DWORD dst_unused:UNUSED_PAD src0_sel:DWORD src1_sel:WORD_0
	v_mov_b32_e32 v9, 0
	v_lshl_add_u64 v[10:11], s[66:67], 0, v[8:9]
	s_waitcnt lgkmcnt(0)
	v_lshlrev_b32_sdwa v8, v5, v6 dst_sel:DWORD dst_unused:UNUSED_PAD src0_sel:DWORD src1_sel:WORD_0
	v_lshl_add_u64 v[6:7], v[10:11], 0, v[8:9]
	global_load_ushort v2, v[6:7], off
	s_waitcnt vmcnt(0)
	v_and_b32_e32 v5, 0xffff, v2
.LBB848_240:
	s_or_b64 exec, exec, s[4:5]
	v_cmp_gt_u32_e32 vcc, 62, v3
	v_add_u32_e32 v7, 2, v3
	s_waitcnt lgkmcnt(0)
	v_cndmask_b32_e64 v6, 0, 2, vcc
	v_add_lshl_u32 v6, v6, v1, 2
	ds_bpermute_b32 v6, v6, v5
	v_cmp_lt_u32_e32 vcc, v7, v4
	s_and_saveexec_b64 s[4:5], vcc
	s_cbranch_execz .LBB848_242
; %bb.241:
	v_mov_b32_e32 v5, 1
	v_lshlrev_b32_sdwa v8, v5, v2 dst_sel:DWORD dst_unused:UNUSED_PAD src0_sel:DWORD src1_sel:WORD_0
	v_mov_b32_e32 v9, 0
	v_lshl_add_u64 v[10:11], s[66:67], 0, v[8:9]
	s_waitcnt lgkmcnt(0)
	v_lshlrev_b32_sdwa v8, v5, v6 dst_sel:DWORD dst_unused:UNUSED_PAD src0_sel:DWORD src1_sel:WORD_0
	v_lshl_add_u64 v[6:7], v[10:11], 0, v[8:9]
	global_load_ushort v2, v[6:7], off
	s_waitcnt vmcnt(0)
	v_and_b32_e32 v5, 0xffff, v2
.LBB848_242:
	s_or_b64 exec, exec, s[4:5]
	v_cmp_gt_u32_e32 vcc, 60, v3
	v_add_u32_e32 v7, 4, v3
	s_waitcnt lgkmcnt(0)
	v_cndmask_b32_e64 v6, 0, 4, vcc
	v_add_lshl_u32 v6, v6, v1, 2
	ds_bpermute_b32 v6, v6, v5
	v_cmp_lt_u32_e32 vcc, v7, v4
	s_and_saveexec_b64 s[4:5], vcc
	;; [unrolled: 22-line block ×4, first 2 shown]
	s_cbranch_execz .LBB848_248
; %bb.247:
	v_mov_b32_e32 v5, 1
	v_lshlrev_b32_sdwa v8, v5, v2 dst_sel:DWORD dst_unused:UNUSED_PAD src0_sel:DWORD src1_sel:WORD_0
	v_mov_b32_e32 v9, 0
	v_lshl_add_u64 v[10:11], s[66:67], 0, v[8:9]
	s_waitcnt lgkmcnt(0)
	v_lshlrev_b32_sdwa v8, v5, v6 dst_sel:DWORD dst_unused:UNUSED_PAD src0_sel:DWORD src1_sel:WORD_0
	v_lshl_add_u64 v[6:7], v[10:11], 0, v[8:9]
	global_load_ushort v2, v[6:7], off
	s_waitcnt vmcnt(0)
	v_and_b32_e32 v5, 0xffff, v2
.LBB848_248:
	s_or_b64 exec, exec, s[4:5]
	s_waitcnt lgkmcnt(0)
	v_lshlrev_b32_e32 v6, 2, v1
	v_or_b32_e32 v7, 0x80, v6
	ds_bpermute_b32 v5, v7, v5
	v_add_u32_e32 v3, 32, v3
	v_cmp_lt_u32_e32 vcc, v3, v4
	s_and_saveexec_b64 s[4:5], vcc
	s_cbranch_execz .LBB848_250
; %bb.249:
	v_mov_b32_e32 v4, 1
	v_lshlrev_b32_sdwa v2, v4, v2 dst_sel:DWORD dst_unused:UNUSED_PAD src0_sel:DWORD src1_sel:WORD_0
	v_mov_b32_e32 v3, 0
	v_lshl_add_u64 v[8:9], s[66:67], 0, v[2:3]
	s_waitcnt lgkmcnt(0)
	v_lshlrev_b32_sdwa v2, v4, v5 dst_sel:DWORD dst_unused:UNUSED_PAD src0_sel:DWORD src1_sel:WORD_0
	v_lshl_add_u64 v[2:3], v[8:9], 0, v[2:3]
	global_load_ushort v2, v[2:3], off
.LBB848_250:
	s_or_b64 exec, exec, s[4:5]
	v_cmp_eq_u32_e32 vcc, 0, v1
	s_and_saveexec_b64 s[4:5], vcc
	s_cbranch_execz .LBB848_252
; %bb.251:
	v_lshrrev_b32_e32 v3, 5, v0
	v_and_b32_e32 v3, 2, v3
	s_waitcnt vmcnt(0)
	ds_write_b16 v3, v2
.LBB848_252:
	s_or_b64 exec, exec, s[4:5]
	v_cmp_gt_u32_e32 vcc, 2, v0
	s_waitcnt lgkmcnt(0)
	s_barrier
	s_and_saveexec_b64 s[4:5], vcc
	s_cbranch_execz .LBB848_256
; %bb.253:
	s_waitcnt vmcnt(0)
	v_lshlrev_b32_e32 v2, 1, v1
	ds_read_u16 v2, v2
	v_or_b32_e32 v3, 4, v6
	s_add_i32 s6, s6, 63
	v_and_b32_e32 v1, 1, v1
	s_lshr_b32 s6, s6, 6
	s_waitcnt lgkmcnt(0)
	v_and_b32_e32 v4, 0xffff, v2
	ds_bpermute_b32 v3, v3, v4
	v_add_u32_e32 v1, 1, v1
	v_cmp_gt_u32_e32 vcc, s6, v1
	s_and_saveexec_b64 s[6:7], vcc
	s_cbranch_execz .LBB848_255
; %bb.254:
	v_lshlrev_b32_e32 v4, 1, v4
	v_mov_b32_e32 v5, 0
	v_mov_b32_e32 v1, 1
	v_lshl_add_u64 v[6:7], s[66:67], 0, v[4:5]
	s_waitcnt lgkmcnt(0)
	v_lshlrev_b32_sdwa v4, v1, v3 dst_sel:DWORD dst_unused:UNUSED_PAD src0_sel:DWORD src1_sel:WORD_0
	v_lshl_add_u64 v[2:3], v[6:7], 0, v[4:5]
	global_load_ushort v2, v[2:3], off
.LBB848_255:
	s_or_b64 exec, exec, s[6:7]
.LBB848_256:
	s_or_b64 exec, exec, s[4:5]
.LBB848_257:
	v_cmp_eq_u32_e32 vcc, 0, v0
	s_mov_b64 s[74:75], 0
	s_mov_b64 s[72:73], 0
	s_and_saveexec_b64 s[4:5], vcc
	s_xor_b64 s[4:5], exec, s[4:5]
; %bb.258:
	s_cmp_eq_u64 s[70:71], 0
	s_cselect_b64 s[6:7], -1, 0
	s_cmp_lg_u64 s[70:71], 0
	s_cselect_b64 s[8:9], -1, 0
	s_and_b64 s[72:73], s[6:7], exec
	s_and_b64 s[74:75], s[8:9], exec
; %bb.259:
	s_or_b64 exec, exec, s[4:5]
	s_and_b64 vcc, exec, s[40:41]
	s_cbranch_vccnz .LBB848_14
.LBB848_260:
	s_branch .LBB848_555
.LBB848_261:
	s_mov_b64 s[6:7], -1
                                        ; implicit-def: $vgpr2
.LBB848_262:
	s_and_b64 vcc, exec, s[6:7]
	s_cbranch_vccz .LBB848_448
; %bb.263:
	s_sub_i32 s81, s70, s4
	s_waitcnt vmcnt(0)
	v_mov_b32_e32 v2, 0
	v_cmp_gt_u32_e32 vcc, s81, v0
	s_waitcnt lgkmcnt(0)
	v_mov_b32_e32 v3, v2
	v_mov_b32_e32 v4, v2
	;; [unrolled: 1-line block ×15, first 2 shown]
	s_and_saveexec_b64 s[4:5], vcc
	s_cbranch_execz .LBB848_265
; %bb.264:
	v_lshlrev_b32_e32 v1, 1, v0
	global_load_ushort v1, v1, s[76:77]
	v_mov_b32_e32 v5, v2
	v_mov_b32_e32 v6, v2
	;; [unrolled: 1-line block ×15, first 2 shown]
	s_waitcnt vmcnt(0)
	v_and_b32_e32 v4, 0xffff, v1
	v_mov_b64_e32 v[2:3], v[4:5]
	v_mov_b64_e32 v[4:5], v[6:7]
	;; [unrolled: 1-line block ×8, first 2 shown]
.LBB848_265:
	s_or_b64 exec, exec, s[4:5]
	v_or_b32_e32 v1, 0x80, v0
	v_cmp_gt_u32_e32 vcc, s81, v1
	s_and_saveexec_b64 s[4:5], vcc
	s_cbranch_execz .LBB848_267
; %bb.266:
	v_lshlrev_b32_e32 v1, 1, v0
	global_load_ushort v1, v1, s[76:77] offset:256
	s_mov_b32 s6, 0x5040100
	s_waitcnt vmcnt(0)
	v_perm_b32 v2, v1, v2, s6
.LBB848_267:
	s_or_b64 exec, exec, s[4:5]
	v_or_b32_e32 v1, 0x100, v0
	v_cmp_gt_u32_e64 s[4:5], s81, v1
	s_and_saveexec_b64 s[6:7], s[4:5]
	s_cbranch_execz .LBB848_269
; %bb.268:
	v_lshlrev_b32_e32 v1, 1, v0
	global_load_ushort v1, v1, s[76:77] offset:512
	s_mov_b32 s8, 0xffff
	s_waitcnt vmcnt(0)
	v_bfi_b32 v3, s8, v1, v3
.LBB848_269:
	s_or_b64 exec, exec, s[6:7]
	v_or_b32_e32 v1, 0x180, v0
	v_cmp_gt_u32_e64 s[6:7], s81, v1
	s_and_saveexec_b64 s[8:9], s[6:7]
	s_cbranch_execz .LBB848_271
; %bb.270:
	v_lshlrev_b32_e32 v1, 1, v0
	global_load_ushort v1, v1, s[76:77] offset:768
	s_mov_b32 s10, 0x5040100
	s_waitcnt vmcnt(0)
	v_perm_b32 v3, v1, v3, s10
.LBB848_271:
	s_or_b64 exec, exec, s[8:9]
	v_or_b32_e32 v1, 0x200, v0
	v_cmp_gt_u32_e64 s[8:9], s81, v1
	s_and_saveexec_b64 s[10:11], s[8:9]
	s_cbranch_execz .LBB848_273
; %bb.272:
	v_lshlrev_b32_e32 v1, 1, v0
	global_load_ushort v1, v1, s[76:77] offset:1024
	s_mov_b32 s12, 0xffff
	s_waitcnt vmcnt(0)
	v_bfi_b32 v4, s12, v1, v4
.LBB848_273:
	s_or_b64 exec, exec, s[10:11]
	v_or_b32_e32 v1, 0x280, v0
	v_cmp_gt_u32_e64 s[10:11], s81, v1
	s_and_saveexec_b64 s[12:13], s[10:11]
	;; [unrolled: 24-line block ×7, first 2 shown]
	s_cbranch_execz .LBB848_295
; %bb.294:
	v_lshlrev_b32_e32 v1, 1, v0
	global_load_ushort v1, v1, s[76:77] offset:3840
	s_mov_b32 s36, 0x5040100
	s_waitcnt vmcnt(0)
	v_perm_b32 v9, v1, v9, s36
.LBB848_295:
	s_or_b64 exec, exec, s[34:35]
	v_or_b32_e32 v1, 0x800, v0
	v_cmp_gt_u32_e64 s[34:35], s81, v1
	s_and_saveexec_b64 s[36:37], s[34:35]
	s_cbranch_execz .LBB848_297
; %bb.296:
	v_lshlrev_b32_e32 v1, 1, v1
	global_load_ushort v1, v1, s[76:77]
	s_mov_b32 s38, 0xffff
	s_waitcnt vmcnt(0)
	v_bfi_b32 v10, s38, v1, v10
.LBB848_297:
	s_or_b64 exec, exec, s[36:37]
	v_or_b32_e32 v1, 0x880, v0
	v_cmp_gt_u32_e64 s[36:37], s81, v1
	s_and_saveexec_b64 s[38:39], s[36:37]
	s_cbranch_execz .LBB848_299
; %bb.298:
	v_lshlrev_b32_e32 v1, 1, v1
	global_load_ushort v1, v1, s[76:77]
	s_mov_b32 s40, 0x5040100
	s_waitcnt vmcnt(0)
	v_perm_b32 v10, v1, v10, s40
.LBB848_299:
	s_or_b64 exec, exec, s[38:39]
	v_or_b32_e32 v1, 0x900, v0
	v_cmp_gt_u32_e64 s[38:39], s81, v1
	s_and_saveexec_b64 s[40:41], s[38:39]
	s_cbranch_execz .LBB848_301
; %bb.300:
	v_lshlrev_b32_e32 v1, 1, v1
	global_load_ushort v1, v1, s[76:77]
	s_mov_b32 s42, 0xffff
	s_waitcnt vmcnt(0)
	v_bfi_b32 v11, s42, v1, v11
.LBB848_301:
	s_or_b64 exec, exec, s[40:41]
	v_or_b32_e32 v1, 0x980, v0
	v_cmp_gt_u32_e64 s[40:41], s81, v1
	s_and_saveexec_b64 s[42:43], s[40:41]
	s_cbranch_execz .LBB848_303
; %bb.302:
	v_lshlrev_b32_e32 v1, 1, v1
	global_load_ushort v1, v1, s[76:77]
	s_mov_b32 s44, 0x5040100
	s_waitcnt vmcnt(0)
	v_perm_b32 v11, v1, v11, s44
.LBB848_303:
	;; [unrolled: 24-line block ×7, first 2 shown]
	s_or_b64 exec, exec, s[62:63]
	v_or_b32_e32 v1, 0xf00, v0
	v_cmp_gt_u32_e64 s[62:63], s81, v1
	s_and_saveexec_b64 s[64:65], s[62:63]
	s_cbranch_execz .LBB848_325
; %bb.324:
	v_lshlrev_b32_e32 v1, 1, v1
	global_load_ushort v1, v1, s[76:77]
	s_mov_b32 s78, 0xffff
	s_waitcnt vmcnt(0)
	v_bfi_b32 v17, s78, v1, v17
.LBB848_325:
	s_or_b64 exec, exec, s[64:65]
	v_or_b32_e32 v1, 0xf80, v0
	v_cmp_gt_u32_e64 s[64:65], s81, v1
	s_and_saveexec_b64 s[78:79], s[64:65]
	s_cbranch_execz .LBB848_397
; %bb.326:
	v_lshlrev_b32_e32 v1, 1, v1
	global_load_ushort v1, v1, s[76:77]
	s_mov_b32 s76, 0x5040100
	s_waitcnt vmcnt(0)
	v_perm_b32 v17, v1, v17, s76
	s_or_b64 exec, exec, s[78:79]
	s_and_saveexec_b64 s[76:77], vcc
	s_cbranch_execnz .LBB848_398
.LBB848_327:
	s_or_b64 exec, exec, s[76:77]
	s_and_saveexec_b64 s[76:77], s[4:5]
	s_cbranch_execz .LBB848_399
.LBB848_328:
	v_mov_b32_e32 v1, 1
	s_waitcnt vmcnt(0)
	v_lshlrev_b32_sdwa v18, v1, v2 dst_sel:DWORD dst_unused:UNUSED_PAD src0_sel:DWORD src1_sel:WORD_0
	v_mov_b32_e32 v19, 0
	v_lshl_add_u64 v[20:21], s[66:67], 0, v[18:19]
	v_lshlrev_b32_sdwa v18, v1, v3 dst_sel:DWORD dst_unused:UNUSED_PAD src0_sel:DWORD src1_sel:WORD_0
	v_lshl_add_u64 v[18:19], v[20:21], 0, v[18:19]
	global_load_ushort v2, v[18:19], off
	s_or_b64 exec, exec, s[76:77]
	s_and_saveexec_b64 s[4:5], s[6:7]
	s_cbranch_execnz .LBB848_400
.LBB848_329:
	s_or_b64 exec, exec, s[4:5]
	s_and_saveexec_b64 s[4:5], s[8:9]
	s_cbranch_execz .LBB848_401
.LBB848_330:
	v_mov_b32_e32 v1, 1
	s_waitcnt vmcnt(0)
	v_lshlrev_b32_sdwa v2, v1, v2 dst_sel:DWORD dst_unused:UNUSED_PAD src0_sel:DWORD src1_sel:WORD_0
	v_mov_b32_e32 v3, 0
	v_lshl_add_u64 v[18:19], s[66:67], 0, v[2:3]
	v_lshlrev_b32_sdwa v2, v1, v4 dst_sel:DWORD dst_unused:UNUSED_PAD src0_sel:DWORD src1_sel:WORD_0
	v_lshl_add_u64 v[2:3], v[18:19], 0, v[2:3]
	global_load_ushort v2, v[2:3], off
	s_or_b64 exec, exec, s[4:5]
	s_and_saveexec_b64 s[4:5], s[10:11]
	s_cbranch_execnz .LBB848_402
.LBB848_331:
	s_or_b64 exec, exec, s[4:5]
	s_and_saveexec_b64 s[4:5], s[12:13]
	s_cbranch_execz .LBB848_403
.LBB848_332:
	v_mov_b32_e32 v1, 1
	s_waitcnt vmcnt(0)
	v_lshlrev_b32_sdwa v2, v1, v2 dst_sel:DWORD dst_unused:UNUSED_PAD src0_sel:DWORD src1_sel:WORD_0
	v_mov_b32_e32 v3, 0
	v_lshl_add_u64 v[18:19], s[66:67], 0, v[2:3]
	v_lshlrev_b32_sdwa v2, v1, v5 dst_sel:DWORD dst_unused:UNUSED_PAD src0_sel:DWORD src1_sel:WORD_0
	v_lshl_add_u64 v[2:3], v[18:19], 0, v[2:3]
	global_load_ushort v2, v[2:3], off
	s_or_b64 exec, exec, s[4:5]
	s_and_saveexec_b64 s[4:5], s[14:15]
	s_cbranch_execnz .LBB848_404
.LBB848_333:
	s_or_b64 exec, exec, s[4:5]
	s_and_saveexec_b64 s[4:5], s[16:17]
	s_cbranch_execz .LBB848_405
.LBB848_334:
	v_mov_b32_e32 v1, 1
	s_waitcnt vmcnt(0)
	v_lshlrev_b32_sdwa v2, v1, v2 dst_sel:DWORD dst_unused:UNUSED_PAD src0_sel:DWORD src1_sel:WORD_0
	v_mov_b32_e32 v3, 0
	v_lshl_add_u64 v[4:5], s[66:67], 0, v[2:3]
	v_lshlrev_b32_sdwa v2, v1, v6 dst_sel:DWORD dst_unused:UNUSED_PAD src0_sel:DWORD src1_sel:WORD_0
	v_lshl_add_u64 v[2:3], v[4:5], 0, v[2:3]
	global_load_ushort v2, v[2:3], off
	s_or_b64 exec, exec, s[4:5]
	s_and_saveexec_b64 s[4:5], s[18:19]
	s_cbranch_execnz .LBB848_406
.LBB848_335:
	s_or_b64 exec, exec, s[4:5]
	s_and_saveexec_b64 s[4:5], s[20:21]
	s_cbranch_execz .LBB848_407
.LBB848_336:
	v_mov_b32_e32 v1, 1
	s_waitcnt vmcnt(0)
	v_lshlrev_b32_sdwa v2, v1, v2 dst_sel:DWORD dst_unused:UNUSED_PAD src0_sel:DWORD src1_sel:WORD_0
	v_mov_b32_e32 v3, 0
	v_lshl_add_u64 v[4:5], s[66:67], 0, v[2:3]
	v_lshlrev_b32_sdwa v2, v1, v7 dst_sel:DWORD dst_unused:UNUSED_PAD src0_sel:DWORD src1_sel:WORD_0
	v_lshl_add_u64 v[2:3], v[4:5], 0, v[2:3]
	global_load_ushort v2, v[2:3], off
	s_or_b64 exec, exec, s[4:5]
	s_and_saveexec_b64 s[4:5], s[22:23]
	s_cbranch_execnz .LBB848_408
.LBB848_337:
	s_or_b64 exec, exec, s[4:5]
	s_and_saveexec_b64 s[4:5], s[24:25]
	s_cbranch_execz .LBB848_409
.LBB848_338:
	v_mov_b32_e32 v1, 1
	s_waitcnt vmcnt(0)
	v_lshlrev_b32_sdwa v2, v1, v2 dst_sel:DWORD dst_unused:UNUSED_PAD src0_sel:DWORD src1_sel:WORD_0
	v_mov_b32_e32 v3, 0
	v_lshl_add_u64 v[4:5], s[66:67], 0, v[2:3]
	v_lshlrev_b32_sdwa v2, v1, v8 dst_sel:DWORD dst_unused:UNUSED_PAD src0_sel:DWORD src1_sel:WORD_0
	v_lshl_add_u64 v[2:3], v[4:5], 0, v[2:3]
	global_load_ushort v2, v[2:3], off
	s_or_b64 exec, exec, s[4:5]
	s_and_saveexec_b64 s[4:5], s[26:27]
	s_cbranch_execnz .LBB848_410
.LBB848_339:
	s_or_b64 exec, exec, s[4:5]
	s_and_saveexec_b64 s[4:5], s[28:29]
	s_cbranch_execz .LBB848_411
.LBB848_340:
	v_mov_b32_e32 v1, 1
	s_waitcnt vmcnt(0)
	v_lshlrev_b32_sdwa v2, v1, v2 dst_sel:DWORD dst_unused:UNUSED_PAD src0_sel:DWORD src1_sel:WORD_0
	v_mov_b32_e32 v3, 0
	v_lshl_add_u64 v[4:5], s[66:67], 0, v[2:3]
	v_lshlrev_b32_sdwa v2, v1, v9 dst_sel:DWORD dst_unused:UNUSED_PAD src0_sel:DWORD src1_sel:WORD_0
	v_lshl_add_u64 v[2:3], v[4:5], 0, v[2:3]
	global_load_ushort v2, v[2:3], off
	s_or_b64 exec, exec, s[4:5]
	s_and_saveexec_b64 s[4:5], s[30:31]
	s_cbranch_execnz .LBB848_412
.LBB848_341:
	s_or_b64 exec, exec, s[4:5]
	s_and_saveexec_b64 s[4:5], s[34:35]
	s_cbranch_execz .LBB848_413
.LBB848_342:
	v_mov_b32_e32 v1, 1
	s_waitcnt vmcnt(0)
	v_lshlrev_b32_sdwa v2, v1, v2 dst_sel:DWORD dst_unused:UNUSED_PAD src0_sel:DWORD src1_sel:WORD_0
	v_mov_b32_e32 v3, 0
	v_lshl_add_u64 v[4:5], s[66:67], 0, v[2:3]
	v_lshlrev_b32_sdwa v2, v1, v10 dst_sel:DWORD dst_unused:UNUSED_PAD src0_sel:DWORD src1_sel:WORD_0
	v_lshl_add_u64 v[2:3], v[4:5], 0, v[2:3]
	global_load_ushort v2, v[2:3], off
	s_or_b64 exec, exec, s[4:5]
	s_and_saveexec_b64 s[4:5], s[36:37]
	s_cbranch_execnz .LBB848_414
.LBB848_343:
	s_or_b64 exec, exec, s[4:5]
	s_and_saveexec_b64 s[4:5], s[38:39]
	s_cbranch_execz .LBB848_415
.LBB848_344:
	v_mov_b32_e32 v1, 1
	s_waitcnt vmcnt(0)
	v_lshlrev_b32_sdwa v2, v1, v2 dst_sel:DWORD dst_unused:UNUSED_PAD src0_sel:DWORD src1_sel:WORD_0
	v_mov_b32_e32 v3, 0
	v_lshl_add_u64 v[4:5], s[66:67], 0, v[2:3]
	v_lshlrev_b32_sdwa v2, v1, v11 dst_sel:DWORD dst_unused:UNUSED_PAD src0_sel:DWORD src1_sel:WORD_0
	v_lshl_add_u64 v[2:3], v[4:5], 0, v[2:3]
	global_load_ushort v2, v[2:3], off
	s_or_b64 exec, exec, s[4:5]
	s_and_saveexec_b64 s[4:5], s[40:41]
	s_cbranch_execnz .LBB848_416
.LBB848_345:
	s_or_b64 exec, exec, s[4:5]
	s_and_saveexec_b64 s[4:5], s[42:43]
	s_cbranch_execz .LBB848_417
.LBB848_346:
	v_mov_b32_e32 v1, 1
	s_waitcnt vmcnt(0)
	v_lshlrev_b32_sdwa v2, v1, v2 dst_sel:DWORD dst_unused:UNUSED_PAD src0_sel:DWORD src1_sel:WORD_0
	v_mov_b32_e32 v3, 0
	v_lshl_add_u64 v[4:5], s[66:67], 0, v[2:3]
	v_lshlrev_b32_sdwa v2, v1, v12 dst_sel:DWORD dst_unused:UNUSED_PAD src0_sel:DWORD src1_sel:WORD_0
	v_lshl_add_u64 v[2:3], v[4:5], 0, v[2:3]
	global_load_ushort v2, v[2:3], off
	s_or_b64 exec, exec, s[4:5]
	s_and_saveexec_b64 s[4:5], s[44:45]
	s_cbranch_execnz .LBB848_418
.LBB848_347:
	s_or_b64 exec, exec, s[4:5]
	s_and_saveexec_b64 s[4:5], s[46:47]
	s_cbranch_execz .LBB848_419
.LBB848_348:
	v_mov_b32_e32 v1, 1
	s_waitcnt vmcnt(0)
	v_lshlrev_b32_sdwa v2, v1, v2 dst_sel:DWORD dst_unused:UNUSED_PAD src0_sel:DWORD src1_sel:WORD_0
	v_mov_b32_e32 v3, 0
	v_lshl_add_u64 v[4:5], s[66:67], 0, v[2:3]
	v_lshlrev_b32_sdwa v2, v1, v13 dst_sel:DWORD dst_unused:UNUSED_PAD src0_sel:DWORD src1_sel:WORD_0
	v_lshl_add_u64 v[2:3], v[4:5], 0, v[2:3]
	global_load_ushort v2, v[2:3], off
	s_or_b64 exec, exec, s[4:5]
	s_and_saveexec_b64 s[4:5], s[48:49]
	s_cbranch_execnz .LBB848_420
.LBB848_349:
	s_or_b64 exec, exec, s[4:5]
	s_and_saveexec_b64 s[4:5], s[50:51]
	s_cbranch_execz .LBB848_421
.LBB848_350:
	v_mov_b32_e32 v1, 1
	s_waitcnt vmcnt(0)
	v_lshlrev_b32_sdwa v2, v1, v2 dst_sel:DWORD dst_unused:UNUSED_PAD src0_sel:DWORD src1_sel:WORD_0
	v_mov_b32_e32 v3, 0
	v_lshl_add_u64 v[4:5], s[66:67], 0, v[2:3]
	v_lshlrev_b32_sdwa v2, v1, v14 dst_sel:DWORD dst_unused:UNUSED_PAD src0_sel:DWORD src1_sel:WORD_0
	v_lshl_add_u64 v[2:3], v[4:5], 0, v[2:3]
	global_load_ushort v2, v[2:3], off
	s_or_b64 exec, exec, s[4:5]
	s_and_saveexec_b64 s[4:5], s[52:53]
	s_cbranch_execnz .LBB848_422
.LBB848_351:
	s_or_b64 exec, exec, s[4:5]
	s_and_saveexec_b64 s[4:5], s[54:55]
	s_cbranch_execz .LBB848_423
.LBB848_352:
	v_mov_b32_e32 v1, 1
	s_waitcnt vmcnt(0)
	v_lshlrev_b32_sdwa v2, v1, v2 dst_sel:DWORD dst_unused:UNUSED_PAD src0_sel:DWORD src1_sel:WORD_0
	v_mov_b32_e32 v3, 0
	v_lshl_add_u64 v[4:5], s[66:67], 0, v[2:3]
	v_lshlrev_b32_sdwa v2, v1, v15 dst_sel:DWORD dst_unused:UNUSED_PAD src0_sel:DWORD src1_sel:WORD_0
	v_lshl_add_u64 v[2:3], v[4:5], 0, v[2:3]
	global_load_ushort v2, v[2:3], off
	s_or_b64 exec, exec, s[4:5]
	s_and_saveexec_b64 s[4:5], s[56:57]
	s_cbranch_execnz .LBB848_424
.LBB848_353:
	s_or_b64 exec, exec, s[4:5]
	s_and_saveexec_b64 s[4:5], s[58:59]
	s_cbranch_execz .LBB848_425
.LBB848_354:
	v_mov_b32_e32 v1, 1
	s_waitcnt vmcnt(0)
	v_lshlrev_b32_sdwa v2, v1, v2 dst_sel:DWORD dst_unused:UNUSED_PAD src0_sel:DWORD src1_sel:WORD_0
	v_mov_b32_e32 v3, 0
	v_lshl_add_u64 v[4:5], s[66:67], 0, v[2:3]
	v_lshlrev_b32_sdwa v2, v1, v16 dst_sel:DWORD dst_unused:UNUSED_PAD src0_sel:DWORD src1_sel:WORD_0
	v_lshl_add_u64 v[2:3], v[4:5], 0, v[2:3]
	global_load_ushort v2, v[2:3], off
	s_or_b64 exec, exec, s[4:5]
	s_and_saveexec_b64 s[4:5], s[60:61]
	s_cbranch_execnz .LBB848_426
.LBB848_355:
	s_or_b64 exec, exec, s[4:5]
	s_and_saveexec_b64 s[4:5], s[62:63]
	s_cbranch_execz .LBB848_427
.LBB848_356:
	v_mov_b32_e32 v1, 1
	s_waitcnt vmcnt(0)
	v_lshlrev_b32_sdwa v2, v1, v2 dst_sel:DWORD dst_unused:UNUSED_PAD src0_sel:DWORD src1_sel:WORD_0
	v_mov_b32_e32 v3, 0
	v_lshl_add_u64 v[4:5], s[66:67], 0, v[2:3]
	v_lshlrev_b32_sdwa v2, v1, v17 dst_sel:DWORD dst_unused:UNUSED_PAD src0_sel:DWORD src1_sel:WORD_0
	v_lshl_add_u64 v[2:3], v[4:5], 0, v[2:3]
	global_load_ushort v2, v[2:3], off
	s_or_b64 exec, exec, s[4:5]
	s_and_saveexec_b64 s[4:5], s[64:65]
	s_cbranch_execnz .LBB848_428
	s_branch .LBB848_429
.LBB848_357:
	s_or_b64 exec, exec, s[42:43]
	s_and_saveexec_b64 s[42:43], s[50:51]
	s_cbranch_execz .LBB848_198
.LBB848_358:
	v_mov_b32_e32 v1, 1
	s_waitcnt vmcnt(0)
	v_lshlrev_b32_sdwa v2, v1, v2 dst_sel:DWORD dst_unused:UNUSED_PAD src0_sel:DWORD src1_sel:WORD_0
	v_mov_b32_e32 v3, 0
	v_lshl_add_u64 v[4:5], s[66:67], 0, v[2:3]
	v_lshlrev_b32_sdwa v2, v1, v14 dst_sel:DWORD dst_unused:UNUSED_PAD src0_sel:DWORD src1_sel:WORD_0
	v_lshl_add_u64 v[2:3], v[4:5], 0, v[2:3]
	global_load_ushort v2, v[2:3], off
	s_or_b64 exec, exec, s[42:43]
	s_and_saveexec_b64 s[42:43], s[52:53]
	s_cbranch_execnz .LBB848_199
.LBB848_359:
	s_or_b64 exec, exec, s[42:43]
	s_and_saveexec_b64 s[42:43], s[54:55]
	s_cbranch_execz .LBB848_200
.LBB848_360:
	v_mov_b32_e32 v1, 1
	s_waitcnt vmcnt(0)
	v_lshlrev_b32_sdwa v2, v1, v2 dst_sel:DWORD dst_unused:UNUSED_PAD src0_sel:DWORD src1_sel:WORD_0
	v_mov_b32_e32 v3, 0
	v_lshl_add_u64 v[4:5], s[66:67], 0, v[2:3]
	v_lshlrev_b32_sdwa v2, v1, v15 dst_sel:DWORD dst_unused:UNUSED_PAD src0_sel:DWORD src1_sel:WORD_0
	v_lshl_add_u64 v[2:3], v[4:5], 0, v[2:3]
	global_load_ushort v2, v[2:3], off
	s_or_b64 exec, exec, s[42:43]
	s_and_saveexec_b64 s[42:43], s[56:57]
	s_cbranch_execnz .LBB848_201
.LBB848_361:
	s_or_b64 exec, exec, s[42:43]
	s_and_saveexec_b64 s[42:43], s[58:59]
	s_cbranch_execz .LBB848_202
.LBB848_362:
	v_mov_b32_e32 v1, 1
	s_waitcnt vmcnt(0)
	v_lshlrev_b32_sdwa v2, v1, v2 dst_sel:DWORD dst_unused:UNUSED_PAD src0_sel:DWORD src1_sel:WORD_0
	v_mov_b32_e32 v3, 0
	v_lshl_add_u64 v[4:5], s[66:67], 0, v[2:3]
	v_lshlrev_b32_sdwa v2, v1, v16 dst_sel:DWORD dst_unused:UNUSED_PAD src0_sel:DWORD src1_sel:WORD_0
	v_lshl_add_u64 v[2:3], v[4:5], 0, v[2:3]
	global_load_ushort v2, v[2:3], off
	s_or_b64 exec, exec, s[42:43]
	s_and_saveexec_b64 s[42:43], s[60:61]
	s_cbranch_execnz .LBB848_203
.LBB848_363:
	s_or_b64 exec, exec, s[42:43]
	s_and_saveexec_b64 s[42:43], s[62:63]
	s_cbranch_execz .LBB848_204
.LBB848_364:
	v_mov_b32_e32 v1, 1
	s_waitcnt vmcnt(0)
	v_lshlrev_b32_sdwa v2, v1, v2 dst_sel:DWORD dst_unused:UNUSED_PAD src0_sel:DWORD src1_sel:WORD_0
	v_mov_b32_e32 v3, 0
	v_lshl_add_u64 v[4:5], s[66:67], 0, v[2:3]
	v_lshlrev_b32_sdwa v2, v1, v17 dst_sel:DWORD dst_unused:UNUSED_PAD src0_sel:DWORD src1_sel:WORD_0
	v_lshl_add_u64 v[2:3], v[4:5], 0, v[2:3]
	global_load_ushort v2, v[2:3], off
	s_or_b64 exec, exec, s[42:43]
	s_and_saveexec_b64 s[42:43], s[64:65]
	s_cbranch_execnz .LBB848_205
.LBB848_365:
	s_or_b64 exec, exec, s[42:43]
	s_and_saveexec_b64 s[42:43], s[38:39]
	s_cbranch_execz .LBB848_206
.LBB848_366:
	v_mov_b32_e32 v1, 1
	s_waitcnt vmcnt(0)
	v_lshlrev_b32_sdwa v2, v1, v2 dst_sel:DWORD dst_unused:UNUSED_PAD src0_sel:DWORD src1_sel:WORD_0
	v_mov_b32_e32 v3, 0
	v_lshl_add_u64 v[4:5], s[66:67], 0, v[2:3]
	v_lshlrev_b32_sdwa v2, v1, v18 dst_sel:DWORD dst_unused:UNUSED_PAD src0_sel:DWORD src1_sel:WORD_0
	v_lshl_add_u64 v[2:3], v[4:5], 0, v[2:3]
	global_load_ushort v2, v[2:3], off
	s_or_b64 exec, exec, s[42:43]
	s_and_saveexec_b64 s[38:39], s[34:35]
	s_cbranch_execnz .LBB848_207
.LBB848_367:
	s_or_b64 exec, exec, s[38:39]
	s_and_saveexec_b64 s[34:35], s[36:37]
	s_cbranch_execz .LBB848_208
.LBB848_368:
	v_mov_b32_e32 v1, 1
	s_waitcnt vmcnt(0)
	v_lshlrev_b32_sdwa v2, v1, v2 dst_sel:DWORD dst_unused:UNUSED_PAD src0_sel:DWORD src1_sel:WORD_0
	v_mov_b32_e32 v3, 0
	v_lshl_add_u64 v[4:5], s[66:67], 0, v[2:3]
	v_lshlrev_b32_sdwa v2, v1, v19 dst_sel:DWORD dst_unused:UNUSED_PAD src0_sel:DWORD src1_sel:WORD_0
	v_lshl_add_u64 v[2:3], v[4:5], 0, v[2:3]
	global_load_ushort v2, v[2:3], off
	s_or_b64 exec, exec, s[34:35]
	s_and_saveexec_b64 s[34:35], s[72:73]
	s_cbranch_execnz .LBB848_209
.LBB848_369:
	s_or_b64 exec, exec, s[34:35]
	s_and_saveexec_b64 s[34:35], s[74:75]
	s_cbranch_execz .LBB848_210
.LBB848_370:
	v_mov_b32_e32 v1, 1
	s_waitcnt vmcnt(0)
	v_lshlrev_b32_sdwa v2, v1, v2 dst_sel:DWORD dst_unused:UNUSED_PAD src0_sel:DWORD src1_sel:WORD_0
	v_mov_b32_e32 v3, 0
	v_lshl_add_u64 v[4:5], s[66:67], 0, v[2:3]
	v_lshlrev_b32_sdwa v2, v1, v20 dst_sel:DWORD dst_unused:UNUSED_PAD src0_sel:DWORD src1_sel:WORD_0
	v_lshl_add_u64 v[2:3], v[4:5], 0, v[2:3]
	global_load_ushort v2, v[2:3], off
	s_or_b64 exec, exec, s[34:35]
	s_and_saveexec_b64 s[34:35], s[76:77]
	s_cbranch_execnz .LBB848_211
.LBB848_371:
	s_or_b64 exec, exec, s[34:35]
	s_and_saveexec_b64 s[34:35], s[78:79]
	s_cbranch_execz .LBB848_212
.LBB848_372:
	v_mov_b32_e32 v1, 1
	s_waitcnt vmcnt(0)
	v_lshlrev_b32_sdwa v2, v1, v2 dst_sel:DWORD dst_unused:UNUSED_PAD src0_sel:DWORD src1_sel:WORD_0
	v_mov_b32_e32 v3, 0
	v_lshl_add_u64 v[4:5], s[66:67], 0, v[2:3]
	v_lshlrev_b32_sdwa v2, v1, v21 dst_sel:DWORD dst_unused:UNUSED_PAD src0_sel:DWORD src1_sel:WORD_0
	v_lshl_add_u64 v[2:3], v[4:5], 0, v[2:3]
	global_load_ushort v2, v[2:3], off
	s_or_b64 exec, exec, s[34:35]
	s_and_saveexec_b64 s[34:35], s[46:47]
	s_cbranch_execnz .LBB848_213
.LBB848_373:
	s_or_b64 exec, exec, s[34:35]
	s_and_saveexec_b64 s[34:35], s[82:83]
	s_cbranch_execz .LBB848_214
.LBB848_374:
	v_mov_b32_e32 v1, 1
	s_waitcnt vmcnt(0)
	v_lshlrev_b32_sdwa v2, v1, v2 dst_sel:DWORD dst_unused:UNUSED_PAD src0_sel:DWORD src1_sel:WORD_0
	v_mov_b32_e32 v3, 0
	v_lshl_add_u64 v[4:5], s[66:67], 0, v[2:3]
	v_lshlrev_b32_sdwa v2, v1, v22 dst_sel:DWORD dst_unused:UNUSED_PAD src0_sel:DWORD src1_sel:WORD_0
	v_lshl_add_u64 v[2:3], v[4:5], 0, v[2:3]
	global_load_ushort v2, v[2:3], off
	s_or_b64 exec, exec, s[34:35]
	s_and_saveexec_b64 s[34:35], s[84:85]
	s_cbranch_execnz .LBB848_215
.LBB848_375:
	s_or_b64 exec, exec, s[34:35]
	s_and_saveexec_b64 s[34:35], s[86:87]
	s_cbranch_execz .LBB848_216
.LBB848_376:
	v_mov_b32_e32 v1, 1
	s_waitcnt vmcnt(0)
	v_lshlrev_b32_sdwa v2, v1, v2 dst_sel:DWORD dst_unused:UNUSED_PAD src0_sel:DWORD src1_sel:WORD_0
	v_mov_b32_e32 v3, 0
	v_lshl_add_u64 v[4:5], s[66:67], 0, v[2:3]
	v_lshlrev_b32_sdwa v2, v1, v23 dst_sel:DWORD dst_unused:UNUSED_PAD src0_sel:DWORD src1_sel:WORD_0
	v_lshl_add_u64 v[2:3], v[4:5], 0, v[2:3]
	global_load_ushort v2, v[2:3], off
	s_or_b64 exec, exec, s[34:35]
	s_and_saveexec_b64 s[34:35], s[88:89]
	s_cbranch_execnz .LBB848_217
.LBB848_377:
	s_or_b64 exec, exec, s[34:35]
	s_and_saveexec_b64 s[34:35], s[90:91]
	s_cbranch_execz .LBB848_218
.LBB848_378:
	v_mov_b32_e32 v1, 1
	s_waitcnt vmcnt(0)
	v_lshlrev_b32_sdwa v2, v1, v2 dst_sel:DWORD dst_unused:UNUSED_PAD src0_sel:DWORD src1_sel:WORD_0
	v_mov_b32_e32 v3, 0
	v_lshl_add_u64 v[4:5], s[66:67], 0, v[2:3]
	v_lshlrev_b32_sdwa v2, v1, v24 dst_sel:DWORD dst_unused:UNUSED_PAD src0_sel:DWORD src1_sel:WORD_0
	v_lshl_add_u64 v[2:3], v[4:5], 0, v[2:3]
	global_load_ushort v2, v[2:3], off
	s_or_b64 exec, exec, s[34:35]
	s_and_saveexec_b64 s[34:35], s[92:93]
	s_cbranch_execnz .LBB848_219
.LBB848_379:
	s_or_b64 exec, exec, s[34:35]
	s_and_saveexec_b64 s[34:35], s[94:95]
	s_cbranch_execz .LBB848_220
.LBB848_380:
	v_mov_b32_e32 v1, 1
	s_waitcnt vmcnt(0)
	v_lshlrev_b32_sdwa v2, v1, v2 dst_sel:DWORD dst_unused:UNUSED_PAD src0_sel:DWORD src1_sel:WORD_0
	v_mov_b32_e32 v3, 0
	v_lshl_add_u64 v[4:5], s[66:67], 0, v[2:3]
	v_lshlrev_b32_sdwa v2, v1, v25 dst_sel:DWORD dst_unused:UNUSED_PAD src0_sel:DWORD src1_sel:WORD_0
	v_lshl_add_u64 v[2:3], v[4:5], 0, v[2:3]
	global_load_ushort v2, v[2:3], off
	s_or_b64 exec, exec, s[34:35]
	s_and_saveexec_b64 s[34:35], s[96:97]
	s_cbranch_execnz .LBB848_221
.LBB848_381:
	s_or_b64 exec, exec, s[34:35]
	s_and_saveexec_b64 s[34:35], s[98:99]
	s_cbranch_execz .LBB848_222
.LBB848_382:
	v_mov_b32_e32 v1, 1
	s_waitcnt vmcnt(0)
	v_lshlrev_b32_sdwa v2, v1, v2 dst_sel:DWORD dst_unused:UNUSED_PAD src0_sel:DWORD src1_sel:WORD_0
	v_mov_b32_e32 v3, 0
	v_lshl_add_u64 v[4:5], s[66:67], 0, v[2:3]
	v_lshlrev_b32_sdwa v2, v1, v26 dst_sel:DWORD dst_unused:UNUSED_PAD src0_sel:DWORD src1_sel:WORD_0
	v_lshl_add_u64 v[2:3], v[4:5], 0, v[2:3]
	global_load_ushort v2, v[2:3], off
	s_or_b64 exec, exec, s[34:35]
	s_and_saveexec_b64 s[34:35], s[4:5]
	s_cbranch_execnz .LBB848_223
.LBB848_383:
	s_or_b64 exec, exec, s[34:35]
	s_and_saveexec_b64 s[4:5], s[6:7]
	s_cbranch_execz .LBB848_224
.LBB848_384:
	v_mov_b32_e32 v1, 1
	s_waitcnt vmcnt(0)
	v_lshlrev_b32_sdwa v2, v1, v2 dst_sel:DWORD dst_unused:UNUSED_PAD src0_sel:DWORD src1_sel:WORD_0
	v_mov_b32_e32 v3, 0
	v_lshl_add_u64 v[4:5], s[66:67], 0, v[2:3]
	v_lshlrev_b32_sdwa v2, v1, v27 dst_sel:DWORD dst_unused:UNUSED_PAD src0_sel:DWORD src1_sel:WORD_0
	v_lshl_add_u64 v[2:3], v[4:5], 0, v[2:3]
	global_load_ushort v2, v[2:3], off
	s_or_b64 exec, exec, s[4:5]
	s_and_saveexec_b64 s[4:5], s[8:9]
	s_cbranch_execnz .LBB848_225
.LBB848_385:
	s_or_b64 exec, exec, s[4:5]
	s_and_saveexec_b64 s[4:5], s[10:11]
	s_cbranch_execz .LBB848_226
.LBB848_386:
	v_mov_b32_e32 v1, 1
	s_waitcnt vmcnt(0)
	v_lshlrev_b32_sdwa v2, v1, v2 dst_sel:DWORD dst_unused:UNUSED_PAD src0_sel:DWORD src1_sel:WORD_0
	v_mov_b32_e32 v3, 0
	v_lshl_add_u64 v[4:5], s[66:67], 0, v[2:3]
	v_lshlrev_b32_sdwa v2, v1, v28 dst_sel:DWORD dst_unused:UNUSED_PAD src0_sel:DWORD src1_sel:WORD_0
	v_lshl_add_u64 v[2:3], v[4:5], 0, v[2:3]
	global_load_ushort v2, v[2:3], off
	s_or_b64 exec, exec, s[4:5]
	s_and_saveexec_b64 s[4:5], s[12:13]
	s_cbranch_execnz .LBB848_227
.LBB848_387:
	s_or_b64 exec, exec, s[4:5]
	s_and_saveexec_b64 s[4:5], s[14:15]
	s_cbranch_execz .LBB848_228
.LBB848_388:
	v_mov_b32_e32 v1, 1
	s_waitcnt vmcnt(0)
	v_lshlrev_b32_sdwa v2, v1, v2 dst_sel:DWORD dst_unused:UNUSED_PAD src0_sel:DWORD src1_sel:WORD_0
	v_mov_b32_e32 v3, 0
	v_lshl_add_u64 v[4:5], s[66:67], 0, v[2:3]
	v_lshlrev_b32_sdwa v2, v1, v29 dst_sel:DWORD dst_unused:UNUSED_PAD src0_sel:DWORD src1_sel:WORD_0
	v_lshl_add_u64 v[2:3], v[4:5], 0, v[2:3]
	global_load_ushort v2, v[2:3], off
	s_or_b64 exec, exec, s[4:5]
	s_and_saveexec_b64 s[4:5], s[16:17]
	s_cbranch_execnz .LBB848_229
.LBB848_389:
	s_or_b64 exec, exec, s[4:5]
	s_and_saveexec_b64 s[4:5], s[18:19]
	s_cbranch_execz .LBB848_230
.LBB848_390:
	v_mov_b32_e32 v1, 1
	s_waitcnt vmcnt(0)
	v_lshlrev_b32_sdwa v2, v1, v2 dst_sel:DWORD dst_unused:UNUSED_PAD src0_sel:DWORD src1_sel:WORD_0
	v_mov_b32_e32 v3, 0
	v_lshl_add_u64 v[4:5], s[66:67], 0, v[2:3]
	v_lshlrev_b32_sdwa v2, v1, v30 dst_sel:DWORD dst_unused:UNUSED_PAD src0_sel:DWORD src1_sel:WORD_0
	v_lshl_add_u64 v[2:3], v[4:5], 0, v[2:3]
	global_load_ushort v2, v[2:3], off
	s_or_b64 exec, exec, s[4:5]
	s_and_saveexec_b64 s[4:5], s[20:21]
	s_cbranch_execnz .LBB848_231
.LBB848_391:
	s_or_b64 exec, exec, s[4:5]
	s_and_saveexec_b64 s[4:5], s[22:23]
	s_cbranch_execz .LBB848_232
.LBB848_392:
	v_mov_b32_e32 v1, 1
	s_waitcnt vmcnt(0)
	v_lshlrev_b32_sdwa v2, v1, v2 dst_sel:DWORD dst_unused:UNUSED_PAD src0_sel:DWORD src1_sel:WORD_0
	v_mov_b32_e32 v3, 0
	v_lshl_add_u64 v[4:5], s[66:67], 0, v[2:3]
	v_lshlrev_b32_sdwa v2, v1, v31 dst_sel:DWORD dst_unused:UNUSED_PAD src0_sel:DWORD src1_sel:WORD_0
	v_lshl_add_u64 v[2:3], v[4:5], 0, v[2:3]
	global_load_ushort v2, v[2:3], off
	s_or_b64 exec, exec, s[4:5]
	s_and_saveexec_b64 s[4:5], s[24:25]
	s_cbranch_execnz .LBB848_233
.LBB848_393:
	s_or_b64 exec, exec, s[4:5]
	s_and_saveexec_b64 s[4:5], s[26:27]
	s_cbranch_execz .LBB848_234
.LBB848_394:
	v_mov_b32_e32 v1, 1
	s_waitcnt vmcnt(0)
	v_lshlrev_b32_sdwa v2, v1, v2 dst_sel:DWORD dst_unused:UNUSED_PAD src0_sel:DWORD src1_sel:WORD_0
	v_mov_b32_e32 v3, 0
	v_lshl_add_u64 v[4:5], s[66:67], 0, v[2:3]
	v_lshlrev_b32_sdwa v2, v1, v32 dst_sel:DWORD dst_unused:UNUSED_PAD src0_sel:DWORD src1_sel:WORD_0
	v_lshl_add_u64 v[2:3], v[4:5], 0, v[2:3]
	global_load_ushort v2, v[2:3], off
	s_or_b64 exec, exec, s[4:5]
	s_and_saveexec_b64 s[4:5], s[28:29]
	s_cbranch_execnz .LBB848_235
.LBB848_395:
	s_or_b64 exec, exec, s[4:5]
	s_and_saveexec_b64 s[4:5], s[30:31]
	s_cbranch_execz .LBB848_236
.LBB848_396:
	v_mov_b32_e32 v1, 1
	s_waitcnt vmcnt(0)
	v_lshlrev_b32_sdwa v2, v1, v2 dst_sel:DWORD dst_unused:UNUSED_PAD src0_sel:DWORD src1_sel:WORD_0
	v_mov_b32_e32 v3, 0
	v_lshl_add_u64 v[4:5], s[66:67], 0, v[2:3]
	v_lshlrev_b32_sdwa v2, v1, v33 dst_sel:DWORD dst_unused:UNUSED_PAD src0_sel:DWORD src1_sel:WORD_0
	v_lshl_add_u64 v[2:3], v[4:5], 0, v[2:3]
	global_load_ushort v2, v[2:3], off
	s_or_b64 exec, exec, s[4:5]
	s_and_saveexec_b64 s[4:5], vcc
	s_cbranch_execnz .LBB848_237
	s_branch .LBB848_238
.LBB848_397:
	s_or_b64 exec, exec, s[78:79]
	s_and_saveexec_b64 s[76:77], vcc
	s_cbranch_execz .LBB848_327
.LBB848_398:
	v_mov_b32_e32 v1, 1
	v_lshlrev_b32_sdwa v18, v1, v2 dst_sel:DWORD dst_unused:UNUSED_PAD src0_sel:DWORD src1_sel:WORD_0
	v_mov_b32_e32 v19, 0
	v_lshl_add_u64 v[20:21], s[66:67], 0, v[18:19]
	v_lshlrev_b32_sdwa v18, v1, v2 dst_sel:DWORD dst_unused:UNUSED_PAD src0_sel:DWORD src1_sel:WORD_1
	v_lshl_add_u64 v[18:19], v[20:21], 0, v[18:19]
	global_load_ushort v2, v[18:19], off
	s_or_b64 exec, exec, s[76:77]
	s_and_saveexec_b64 s[76:77], s[4:5]
	s_cbranch_execnz .LBB848_328
.LBB848_399:
	s_or_b64 exec, exec, s[76:77]
	s_and_saveexec_b64 s[4:5], s[6:7]
	s_cbranch_execz .LBB848_329
.LBB848_400:
	v_mov_b32_e32 v1, 1
	s_waitcnt vmcnt(0)
	v_lshlrev_b32_sdwa v18, v1, v2 dst_sel:DWORD dst_unused:UNUSED_PAD src0_sel:DWORD src1_sel:WORD_0
	v_mov_b32_e32 v19, 0
	v_lshl_add_u64 v[20:21], s[66:67], 0, v[18:19]
	v_lshlrev_b32_sdwa v18, v1, v3 dst_sel:DWORD dst_unused:UNUSED_PAD src0_sel:DWORD src1_sel:WORD_1
	v_lshl_add_u64 v[2:3], v[20:21], 0, v[18:19]
	global_load_ushort v2, v[2:3], off
	s_or_b64 exec, exec, s[4:5]
	s_and_saveexec_b64 s[4:5], s[8:9]
	s_cbranch_execnz .LBB848_330
.LBB848_401:
	s_or_b64 exec, exec, s[4:5]
	s_and_saveexec_b64 s[4:5], s[10:11]
	s_cbranch_execz .LBB848_331
.LBB848_402:
	v_mov_b32_e32 v1, 1
	s_waitcnt vmcnt(0)
	v_lshlrev_b32_sdwa v2, v1, v2 dst_sel:DWORD dst_unused:UNUSED_PAD src0_sel:DWORD src1_sel:WORD_0
	v_mov_b32_e32 v3, 0
	v_lshl_add_u64 v[18:19], s[66:67], 0, v[2:3]
	v_lshlrev_b32_sdwa v2, v1, v4 dst_sel:DWORD dst_unused:UNUSED_PAD src0_sel:DWORD src1_sel:WORD_1
	v_lshl_add_u64 v[2:3], v[18:19], 0, v[2:3]
	global_load_ushort v2, v[2:3], off
	s_or_b64 exec, exec, s[4:5]
	s_and_saveexec_b64 s[4:5], s[12:13]
	s_cbranch_execnz .LBB848_332
.LBB848_403:
	s_or_b64 exec, exec, s[4:5]
	s_and_saveexec_b64 s[4:5], s[14:15]
	s_cbranch_execz .LBB848_333
.LBB848_404:
	v_mov_b32_e32 v1, 1
	s_waitcnt vmcnt(0)
	v_lshlrev_b32_sdwa v2, v1, v2 dst_sel:DWORD dst_unused:UNUSED_PAD src0_sel:DWORD src1_sel:WORD_0
	v_mov_b32_e32 v3, 0
	v_lshl_add_u64 v[18:19], s[66:67], 0, v[2:3]
	v_lshlrev_b32_sdwa v2, v1, v5 dst_sel:DWORD dst_unused:UNUSED_PAD src0_sel:DWORD src1_sel:WORD_1
	v_lshl_add_u64 v[2:3], v[18:19], 0, v[2:3]
	global_load_ushort v2, v[2:3], off
	s_or_b64 exec, exec, s[4:5]
	s_and_saveexec_b64 s[4:5], s[16:17]
	s_cbranch_execnz .LBB848_334
.LBB848_405:
	s_or_b64 exec, exec, s[4:5]
	s_and_saveexec_b64 s[4:5], s[18:19]
	s_cbranch_execz .LBB848_335
.LBB848_406:
	v_mov_b32_e32 v1, 1
	s_waitcnt vmcnt(0)
	v_lshlrev_b32_sdwa v2, v1, v2 dst_sel:DWORD dst_unused:UNUSED_PAD src0_sel:DWORD src1_sel:WORD_0
	v_mov_b32_e32 v3, 0
	v_lshl_add_u64 v[4:5], s[66:67], 0, v[2:3]
	v_lshlrev_b32_sdwa v2, v1, v6 dst_sel:DWORD dst_unused:UNUSED_PAD src0_sel:DWORD src1_sel:WORD_1
	v_lshl_add_u64 v[2:3], v[4:5], 0, v[2:3]
	global_load_ushort v2, v[2:3], off
	s_or_b64 exec, exec, s[4:5]
	s_and_saveexec_b64 s[4:5], s[20:21]
	s_cbranch_execnz .LBB848_336
.LBB848_407:
	s_or_b64 exec, exec, s[4:5]
	s_and_saveexec_b64 s[4:5], s[22:23]
	s_cbranch_execz .LBB848_337
.LBB848_408:
	v_mov_b32_e32 v1, 1
	s_waitcnt vmcnt(0)
	v_lshlrev_b32_sdwa v2, v1, v2 dst_sel:DWORD dst_unused:UNUSED_PAD src0_sel:DWORD src1_sel:WORD_0
	v_mov_b32_e32 v3, 0
	v_lshl_add_u64 v[4:5], s[66:67], 0, v[2:3]
	v_lshlrev_b32_sdwa v2, v1, v7 dst_sel:DWORD dst_unused:UNUSED_PAD src0_sel:DWORD src1_sel:WORD_1
	v_lshl_add_u64 v[2:3], v[4:5], 0, v[2:3]
	global_load_ushort v2, v[2:3], off
	s_or_b64 exec, exec, s[4:5]
	s_and_saveexec_b64 s[4:5], s[24:25]
	s_cbranch_execnz .LBB848_338
.LBB848_409:
	s_or_b64 exec, exec, s[4:5]
	s_and_saveexec_b64 s[4:5], s[26:27]
	s_cbranch_execz .LBB848_339
.LBB848_410:
	v_mov_b32_e32 v1, 1
	s_waitcnt vmcnt(0)
	v_lshlrev_b32_sdwa v2, v1, v2 dst_sel:DWORD dst_unused:UNUSED_PAD src0_sel:DWORD src1_sel:WORD_0
	v_mov_b32_e32 v3, 0
	v_lshl_add_u64 v[4:5], s[66:67], 0, v[2:3]
	v_lshlrev_b32_sdwa v2, v1, v8 dst_sel:DWORD dst_unused:UNUSED_PAD src0_sel:DWORD src1_sel:WORD_1
	v_lshl_add_u64 v[2:3], v[4:5], 0, v[2:3]
	global_load_ushort v2, v[2:3], off
	s_or_b64 exec, exec, s[4:5]
	s_and_saveexec_b64 s[4:5], s[28:29]
	s_cbranch_execnz .LBB848_340
.LBB848_411:
	s_or_b64 exec, exec, s[4:5]
	s_and_saveexec_b64 s[4:5], s[30:31]
	s_cbranch_execz .LBB848_341
.LBB848_412:
	v_mov_b32_e32 v1, 1
	s_waitcnt vmcnt(0)
	v_lshlrev_b32_sdwa v2, v1, v2 dst_sel:DWORD dst_unused:UNUSED_PAD src0_sel:DWORD src1_sel:WORD_0
	v_mov_b32_e32 v3, 0
	v_lshl_add_u64 v[4:5], s[66:67], 0, v[2:3]
	v_lshlrev_b32_sdwa v2, v1, v9 dst_sel:DWORD dst_unused:UNUSED_PAD src0_sel:DWORD src1_sel:WORD_1
	v_lshl_add_u64 v[2:3], v[4:5], 0, v[2:3]
	global_load_ushort v2, v[2:3], off
	s_or_b64 exec, exec, s[4:5]
	s_and_saveexec_b64 s[4:5], s[34:35]
	s_cbranch_execnz .LBB848_342
.LBB848_413:
	s_or_b64 exec, exec, s[4:5]
	s_and_saveexec_b64 s[4:5], s[36:37]
	s_cbranch_execz .LBB848_343
.LBB848_414:
	v_mov_b32_e32 v1, 1
	s_waitcnt vmcnt(0)
	v_lshlrev_b32_sdwa v2, v1, v2 dst_sel:DWORD dst_unused:UNUSED_PAD src0_sel:DWORD src1_sel:WORD_0
	v_mov_b32_e32 v3, 0
	v_lshl_add_u64 v[4:5], s[66:67], 0, v[2:3]
	v_lshlrev_b32_sdwa v2, v1, v10 dst_sel:DWORD dst_unused:UNUSED_PAD src0_sel:DWORD src1_sel:WORD_1
	v_lshl_add_u64 v[2:3], v[4:5], 0, v[2:3]
	global_load_ushort v2, v[2:3], off
	s_or_b64 exec, exec, s[4:5]
	s_and_saveexec_b64 s[4:5], s[38:39]
	s_cbranch_execnz .LBB848_344
.LBB848_415:
	s_or_b64 exec, exec, s[4:5]
	s_and_saveexec_b64 s[4:5], s[40:41]
	s_cbranch_execz .LBB848_345
.LBB848_416:
	v_mov_b32_e32 v1, 1
	s_waitcnt vmcnt(0)
	v_lshlrev_b32_sdwa v2, v1, v2 dst_sel:DWORD dst_unused:UNUSED_PAD src0_sel:DWORD src1_sel:WORD_0
	v_mov_b32_e32 v3, 0
	v_lshl_add_u64 v[4:5], s[66:67], 0, v[2:3]
	v_lshlrev_b32_sdwa v2, v1, v11 dst_sel:DWORD dst_unused:UNUSED_PAD src0_sel:DWORD src1_sel:WORD_1
	v_lshl_add_u64 v[2:3], v[4:5], 0, v[2:3]
	global_load_ushort v2, v[2:3], off
	s_or_b64 exec, exec, s[4:5]
	s_and_saveexec_b64 s[4:5], s[42:43]
	s_cbranch_execnz .LBB848_346
.LBB848_417:
	s_or_b64 exec, exec, s[4:5]
	s_and_saveexec_b64 s[4:5], s[44:45]
	s_cbranch_execz .LBB848_347
.LBB848_418:
	v_mov_b32_e32 v1, 1
	s_waitcnt vmcnt(0)
	v_lshlrev_b32_sdwa v2, v1, v2 dst_sel:DWORD dst_unused:UNUSED_PAD src0_sel:DWORD src1_sel:WORD_0
	v_mov_b32_e32 v3, 0
	v_lshl_add_u64 v[4:5], s[66:67], 0, v[2:3]
	v_lshlrev_b32_sdwa v2, v1, v12 dst_sel:DWORD dst_unused:UNUSED_PAD src0_sel:DWORD src1_sel:WORD_1
	v_lshl_add_u64 v[2:3], v[4:5], 0, v[2:3]
	global_load_ushort v2, v[2:3], off
	s_or_b64 exec, exec, s[4:5]
	s_and_saveexec_b64 s[4:5], s[46:47]
	s_cbranch_execnz .LBB848_348
.LBB848_419:
	s_or_b64 exec, exec, s[4:5]
	s_and_saveexec_b64 s[4:5], s[48:49]
	s_cbranch_execz .LBB848_349
.LBB848_420:
	v_mov_b32_e32 v1, 1
	s_waitcnt vmcnt(0)
	v_lshlrev_b32_sdwa v2, v1, v2 dst_sel:DWORD dst_unused:UNUSED_PAD src0_sel:DWORD src1_sel:WORD_0
	v_mov_b32_e32 v3, 0
	v_lshl_add_u64 v[4:5], s[66:67], 0, v[2:3]
	v_lshlrev_b32_sdwa v2, v1, v13 dst_sel:DWORD dst_unused:UNUSED_PAD src0_sel:DWORD src1_sel:WORD_1
	v_lshl_add_u64 v[2:3], v[4:5], 0, v[2:3]
	global_load_ushort v2, v[2:3], off
	s_or_b64 exec, exec, s[4:5]
	s_and_saveexec_b64 s[4:5], s[50:51]
	s_cbranch_execnz .LBB848_350
.LBB848_421:
	s_or_b64 exec, exec, s[4:5]
	s_and_saveexec_b64 s[4:5], s[52:53]
	s_cbranch_execz .LBB848_351
.LBB848_422:
	v_mov_b32_e32 v1, 1
	s_waitcnt vmcnt(0)
	v_lshlrev_b32_sdwa v2, v1, v2 dst_sel:DWORD dst_unused:UNUSED_PAD src0_sel:DWORD src1_sel:WORD_0
	v_mov_b32_e32 v3, 0
	v_lshl_add_u64 v[4:5], s[66:67], 0, v[2:3]
	v_lshlrev_b32_sdwa v2, v1, v14 dst_sel:DWORD dst_unused:UNUSED_PAD src0_sel:DWORD src1_sel:WORD_1
	v_lshl_add_u64 v[2:3], v[4:5], 0, v[2:3]
	global_load_ushort v2, v[2:3], off
	s_or_b64 exec, exec, s[4:5]
	s_and_saveexec_b64 s[4:5], s[54:55]
	s_cbranch_execnz .LBB848_352
.LBB848_423:
	s_or_b64 exec, exec, s[4:5]
	s_and_saveexec_b64 s[4:5], s[56:57]
	s_cbranch_execz .LBB848_353
.LBB848_424:
	v_mov_b32_e32 v1, 1
	s_waitcnt vmcnt(0)
	v_lshlrev_b32_sdwa v2, v1, v2 dst_sel:DWORD dst_unused:UNUSED_PAD src0_sel:DWORD src1_sel:WORD_0
	v_mov_b32_e32 v3, 0
	v_lshl_add_u64 v[4:5], s[66:67], 0, v[2:3]
	v_lshlrev_b32_sdwa v2, v1, v15 dst_sel:DWORD dst_unused:UNUSED_PAD src0_sel:DWORD src1_sel:WORD_1
	v_lshl_add_u64 v[2:3], v[4:5], 0, v[2:3]
	global_load_ushort v2, v[2:3], off
	s_or_b64 exec, exec, s[4:5]
	s_and_saveexec_b64 s[4:5], s[58:59]
	s_cbranch_execnz .LBB848_354
.LBB848_425:
	s_or_b64 exec, exec, s[4:5]
	s_and_saveexec_b64 s[4:5], s[60:61]
	s_cbranch_execz .LBB848_355
.LBB848_426:
	v_mov_b32_e32 v1, 1
	s_waitcnt vmcnt(0)
	v_lshlrev_b32_sdwa v2, v1, v2 dst_sel:DWORD dst_unused:UNUSED_PAD src0_sel:DWORD src1_sel:WORD_0
	v_mov_b32_e32 v3, 0
	v_lshl_add_u64 v[4:5], s[66:67], 0, v[2:3]
	v_lshlrev_b32_sdwa v2, v1, v16 dst_sel:DWORD dst_unused:UNUSED_PAD src0_sel:DWORD src1_sel:WORD_1
	v_lshl_add_u64 v[2:3], v[4:5], 0, v[2:3]
	global_load_ushort v2, v[2:3], off
	s_or_b64 exec, exec, s[4:5]
	s_and_saveexec_b64 s[4:5], s[62:63]
	s_cbranch_execnz .LBB848_356
.LBB848_427:
	s_or_b64 exec, exec, s[4:5]
	s_and_saveexec_b64 s[4:5], s[64:65]
	s_cbranch_execz .LBB848_429
.LBB848_428:
	v_mov_b32_e32 v1, 1
	s_waitcnt vmcnt(0)
	v_lshlrev_b32_sdwa v2, v1, v2 dst_sel:DWORD dst_unused:UNUSED_PAD src0_sel:DWORD src1_sel:WORD_0
	v_mov_b32_e32 v3, 0
	v_lshl_add_u64 v[4:5], s[66:67], 0, v[2:3]
	v_lshlrev_b32_sdwa v2, v1, v17 dst_sel:DWORD dst_unused:UNUSED_PAD src0_sel:DWORD src1_sel:WORD_1
	v_lshl_add_u64 v[2:3], v[4:5], 0, v[2:3]
	global_load_ushort v2, v[2:3], off
.LBB848_429:
	s_or_b64 exec, exec, s[4:5]
	v_mbcnt_lo_u32_b32 v1, -1, 0
	v_mbcnt_hi_u32_b32 v1, -1, v1
	v_and_b32_e32 v3, 63, v1
	v_cmp_ne_u32_e32 vcc, 63, v3
	s_waitcnt vmcnt(0)
	v_and_b32_e32 v5, 0xffff, v2
	s_min_u32 s6, s81, 0x80
	v_addc_co_u32_e32 v4, vcc, 0, v1, vcc
	v_lshlrev_b32_e32 v4, 2, v4
	ds_bpermute_b32 v6, v4, v5
	v_and_b32_e32 v4, 64, v0
	v_sub_u32_e64 v4, s6, v4 clamp
	v_add_u32_e32 v7, 1, v3
	v_cmp_lt_u32_e32 vcc, v7, v4
	s_and_saveexec_b64 s[4:5], vcc
	s_xor_b64 s[4:5], exec, s[4:5]
	s_cbranch_execz .LBB848_431
; %bb.430:
	v_mov_b32_e32 v5, 1
	v_lshlrev_b32_sdwa v8, v5, v2 dst_sel:DWORD dst_unused:UNUSED_PAD src0_sel:DWORD src1_sel:WORD_0
	v_mov_b32_e32 v9, 0
	v_lshl_add_u64 v[10:11], s[66:67], 0, v[8:9]
	s_waitcnt lgkmcnt(0)
	v_lshlrev_b32_sdwa v8, v5, v6 dst_sel:DWORD dst_unused:UNUSED_PAD src0_sel:DWORD src1_sel:WORD_0
	v_lshl_add_u64 v[6:7], v[10:11], 0, v[8:9]
	global_load_ushort v2, v[6:7], off
	s_waitcnt vmcnt(0)
	v_and_b32_e32 v5, 0xffff, v2
.LBB848_431:
	s_or_b64 exec, exec, s[4:5]
	v_cmp_gt_u32_e32 vcc, 62, v3
	v_add_u32_e32 v7, 2, v3
	s_waitcnt lgkmcnt(0)
	v_cndmask_b32_e64 v6, 0, 2, vcc
	v_add_lshl_u32 v6, v6, v1, 2
	ds_bpermute_b32 v6, v6, v5
	v_cmp_lt_u32_e32 vcc, v7, v4
	s_and_saveexec_b64 s[4:5], vcc
	s_cbranch_execz .LBB848_433
; %bb.432:
	v_mov_b32_e32 v5, 1
	v_lshlrev_b32_sdwa v8, v5, v2 dst_sel:DWORD dst_unused:UNUSED_PAD src0_sel:DWORD src1_sel:WORD_0
	v_mov_b32_e32 v9, 0
	v_lshl_add_u64 v[10:11], s[66:67], 0, v[8:9]
	s_waitcnt lgkmcnt(0)
	v_lshlrev_b32_sdwa v8, v5, v6 dst_sel:DWORD dst_unused:UNUSED_PAD src0_sel:DWORD src1_sel:WORD_0
	v_lshl_add_u64 v[6:7], v[10:11], 0, v[8:9]
	global_load_ushort v2, v[6:7], off
	s_waitcnt vmcnt(0)
	v_and_b32_e32 v5, 0xffff, v2
.LBB848_433:
	s_or_b64 exec, exec, s[4:5]
	v_cmp_gt_u32_e32 vcc, 60, v3
	v_add_u32_e32 v7, 4, v3
	s_waitcnt lgkmcnt(0)
	v_cndmask_b32_e64 v6, 0, 4, vcc
	v_add_lshl_u32 v6, v6, v1, 2
	ds_bpermute_b32 v6, v6, v5
	v_cmp_lt_u32_e32 vcc, v7, v4
	s_and_saveexec_b64 s[4:5], vcc
	;; [unrolled: 22-line block ×4, first 2 shown]
	s_cbranch_execz .LBB848_439
; %bb.438:
	v_mov_b32_e32 v5, 1
	v_lshlrev_b32_sdwa v8, v5, v2 dst_sel:DWORD dst_unused:UNUSED_PAD src0_sel:DWORD src1_sel:WORD_0
	v_mov_b32_e32 v9, 0
	v_lshl_add_u64 v[10:11], s[66:67], 0, v[8:9]
	s_waitcnt lgkmcnt(0)
	v_lshlrev_b32_sdwa v8, v5, v6 dst_sel:DWORD dst_unused:UNUSED_PAD src0_sel:DWORD src1_sel:WORD_0
	v_lshl_add_u64 v[6:7], v[10:11], 0, v[8:9]
	global_load_ushort v2, v[6:7], off
	s_waitcnt vmcnt(0)
	v_and_b32_e32 v5, 0xffff, v2
.LBB848_439:
	s_or_b64 exec, exec, s[4:5]
	s_waitcnt lgkmcnt(0)
	v_lshlrev_b32_e32 v6, 2, v1
	v_or_b32_e32 v7, 0x80, v6
	ds_bpermute_b32 v5, v7, v5
	v_add_u32_e32 v3, 32, v3
	v_cmp_lt_u32_e32 vcc, v3, v4
	s_and_saveexec_b64 s[4:5], vcc
	s_cbranch_execz .LBB848_441
; %bb.440:
	v_mov_b32_e32 v4, 1
	v_lshlrev_b32_sdwa v2, v4, v2 dst_sel:DWORD dst_unused:UNUSED_PAD src0_sel:DWORD src1_sel:WORD_0
	v_mov_b32_e32 v3, 0
	v_lshl_add_u64 v[8:9], s[66:67], 0, v[2:3]
	s_waitcnt lgkmcnt(0)
	v_lshlrev_b32_sdwa v2, v4, v5 dst_sel:DWORD dst_unused:UNUSED_PAD src0_sel:DWORD src1_sel:WORD_0
	v_lshl_add_u64 v[2:3], v[8:9], 0, v[2:3]
	global_load_ushort v2, v[2:3], off
.LBB848_441:
	s_or_b64 exec, exec, s[4:5]
	v_cmp_eq_u32_e32 vcc, 0, v1
	s_and_saveexec_b64 s[4:5], vcc
	s_cbranch_execz .LBB848_443
; %bb.442:
	v_lshrrev_b32_e32 v3, 5, v0
	v_and_b32_e32 v3, 2, v3
	s_waitcnt vmcnt(0)
	ds_write_b16 v3, v2
.LBB848_443:
	s_or_b64 exec, exec, s[4:5]
	v_cmp_gt_u32_e32 vcc, 2, v0
	s_waitcnt lgkmcnt(0)
	s_barrier
	s_and_saveexec_b64 s[4:5], vcc
	s_cbranch_execz .LBB848_447
; %bb.444:
	s_waitcnt vmcnt(0)
	v_lshlrev_b32_e32 v2, 1, v1
	ds_read_u16 v2, v2
	v_or_b32_e32 v3, 4, v6
	s_add_i32 s6, s6, 63
	v_and_b32_e32 v1, 1, v1
	s_lshr_b32 s6, s6, 6
	s_waitcnt lgkmcnt(0)
	v_and_b32_e32 v4, 0xffff, v2
	ds_bpermute_b32 v3, v3, v4
	v_add_u32_e32 v1, 1, v1
	v_cmp_gt_u32_e32 vcc, s6, v1
	s_and_saveexec_b64 s[6:7], vcc
	s_cbranch_execz .LBB848_446
; %bb.445:
	v_lshlrev_b32_e32 v4, 1, v4
	v_mov_b32_e32 v5, 0
	v_mov_b32_e32 v1, 1
	v_lshl_add_u64 v[6:7], s[66:67], 0, v[4:5]
	s_waitcnt lgkmcnt(0)
	v_lshlrev_b32_sdwa v4, v1, v3 dst_sel:DWORD dst_unused:UNUSED_PAD src0_sel:DWORD src1_sel:WORD_0
	v_lshl_add_u64 v[2:3], v[6:7], 0, v[4:5]
	global_load_ushort v2, v[2:3], off
.LBB848_446:
	s_or_b64 exec, exec, s[6:7]
.LBB848_447:
	s_or_b64 exec, exec, s[4:5]
.LBB848_448:
	v_cmp_eq_u32_e32 vcc, 0, v0
	s_and_saveexec_b64 s[4:5], vcc
	s_xor_b64 s[4:5], exec, s[4:5]
	s_cbranch_execz .LBB848_450
; %bb.449:
	s_cmp_eq_u64 s[70:71], 0
	s_cselect_b64 s[6:7], -1, 0
	s_cmp_lg_u64 s[70:71], 0
	s_cselect_b64 s[8:9], -1, 0
	s_andn2_b64 s[10:11], s[72:73], exec
	s_and_b64 s[6:7], s[6:7], exec
	s_or_b64 s[72:73], s[10:11], s[6:7]
	s_andn2_b64 s[6:7], s[74:75], exec
	s_and_b64 s[8:9], s[8:9], exec
	s_or_b64 s[74:75], s[6:7], s[8:9]
.LBB848_450:
	s_or_b64 exec, exec, s[4:5]
	s_branch .LBB848_555
.LBB848_451:
	s_cmp_gt_i32 s80, 15
	s_cbranch_scc0 .LBB848_459
; %bb.452:
	s_cmp_eq_u32 s80, 16
	s_cbranch_scc0 .LBB848_460
; %bb.453:
	s_mov_b32 s3, 0
	s_lshl_b32 s4, s2, 11
	s_mov_b32 s5, s3
	s_lshr_b64 s[6:7], s[70:71], 11
	s_lshl_b64 s[8:9], s[4:5], 1
	s_add_u32 s34, s68, s8
	s_addc_u32 s35, s69, s9
	s_cmp_lg_u64 s[6:7], s[2:3]
	s_cbranch_scc0 .LBB848_461
; %bb.454:
	v_lshlrev_b32_e32 v1, 1, v0
	global_load_ushort v2, v1, s[34:35]
	global_load_ushort v6, v1, s[34:35] offset:256
	s_waitcnt lgkmcnt(0)
	v_mov_b32_e32 v3, 0
	global_load_ushort v7, v1, s[34:35] offset:512
	global_load_ushort v8, v1, s[34:35] offset:768
	;; [unrolled: 1-line block ×6, first 2 shown]
	s_waitcnt vmcnt(7)
	v_lshlrev_b32_e32 v2, 1, v2
	v_lshl_add_u64 v[4:5], s[66:67], 0, v[2:3]
	s_waitcnt vmcnt(6)
	v_lshlrev_b32_e32 v2, 1, v6
	v_lshl_add_u64 v[4:5], v[4:5], 0, v[2:3]
	global_load_ushort v2, v[4:5], off
	s_waitcnt vmcnt(0)
	v_lshlrev_b32_e32 v2, 1, v2
	v_lshl_add_u64 v[4:5], s[66:67], 0, v[2:3]
	v_lshlrev_b32_e32 v2, 1, v7
	v_lshl_add_u64 v[4:5], v[4:5], 0, v[2:3]
	global_load_ushort v2, v[4:5], off
	s_waitcnt vmcnt(0)
	v_lshlrev_b32_e32 v2, 1, v2
	v_lshl_add_u64 v[4:5], s[66:67], 0, v[2:3]
	v_lshlrev_b32_e32 v2, 1, v8
	v_lshl_add_u64 v[4:5], v[4:5], 0, v[2:3]
	global_load_ushort v2, v[4:5], off
	s_waitcnt vmcnt(0)
	v_lshlrev_b32_e32 v2, 1, v2
	v_lshl_add_u64 v[4:5], s[66:67], 0, v[2:3]
	v_lshlrev_b32_e32 v2, 1, v9
	v_lshl_add_u64 v[4:5], v[4:5], 0, v[2:3]
	global_load_ushort v2, v[4:5], off
	s_waitcnt vmcnt(0)
	v_lshlrev_b32_e32 v2, 1, v2
	v_lshl_add_u64 v[4:5], s[66:67], 0, v[2:3]
	v_lshlrev_b32_e32 v2, 1, v10
	v_lshl_add_u64 v[4:5], v[4:5], 0, v[2:3]
	global_load_ushort v2, v[4:5], off
	s_waitcnt vmcnt(0)
	v_lshlrev_b32_e32 v2, 1, v2
	v_lshl_add_u64 v[4:5], s[66:67], 0, v[2:3]
	v_lshlrev_b32_e32 v2, 1, v11
	v_lshl_add_u64 v[4:5], v[4:5], 0, v[2:3]
	global_load_ushort v2, v[4:5], off
	s_waitcnt vmcnt(0)
	v_lshlrev_b32_e32 v2, 1, v2
	v_lshl_add_u64 v[4:5], s[66:67], 0, v[2:3]
	v_lshlrev_b32_e32 v2, 1, v12
	v_lshl_add_u64 v[4:5], v[4:5], 0, v[2:3]
	global_load_ushort v2, v[4:5], off
	global_load_ushort v6, v1, s[34:35] offset:2048
	global_load_ushort v7, v1, s[34:35] offset:2304
	;; [unrolled: 1-line block ×8, first 2 shown]
	s_waitcnt vmcnt(8)
	v_lshlrev_b32_e32 v2, 1, v2
	v_lshl_add_u64 v[4:5], s[66:67], 0, v[2:3]
	s_waitcnt vmcnt(7)
	v_lshlrev_b32_e32 v2, 1, v6
	v_lshl_add_u64 v[4:5], v[4:5], 0, v[2:3]
	global_load_ushort v1, v[4:5], off
	v_mov_b32_e32 v6, 1
	s_waitcnt vmcnt(0)
	v_lshlrev_b32_e32 v2, 1, v1
	v_lshl_add_u64 v[4:5], s[66:67], 0, v[2:3]
	v_lshlrev_b32_e32 v2, 1, v7
	v_lshl_add_u64 v[4:5], v[4:5], 0, v[2:3]
	global_load_ushort v1, v[4:5], off
	s_waitcnt vmcnt(0)
	v_lshlrev_b32_e32 v2, 1, v1
	v_lshl_add_u64 v[4:5], s[66:67], 0, v[2:3]
	v_lshlrev_b32_e32 v2, 1, v8
	v_lshl_add_u64 v[4:5], v[4:5], 0, v[2:3]
	global_load_ushort v1, v[4:5], off
	;; [unrolled: 6-line block ×7, first 2 shown]
	s_waitcnt vmcnt(0)
	s_nop 0
	v_mov_b32_dpp v2, v1 quad_perm:[1,0,3,2] row_mask:0xf bank_mask:0xf bound_ctrl:1
	v_lshlrev_b32_sdwa v2, v6, v2 dst_sel:DWORD dst_unused:UNUSED_PAD src0_sel:DWORD src1_sel:WORD_0
	v_lshl_add_u64 v[4:5], s[66:67], 0, v[2:3]
	v_lshlrev_b32_e32 v2, 1, v1
	v_lshl_add_u64 v[4:5], v[4:5], 0, v[2:3]
	global_load_ushort v1, v[4:5], off
	s_waitcnt vmcnt(0)
	s_nop 0
	v_mov_b32_dpp v2, v1 quad_perm:[2,3,0,1] row_mask:0xf bank_mask:0xf bound_ctrl:1
	v_lshlrev_b32_sdwa v2, v6, v2 dst_sel:DWORD dst_unused:UNUSED_PAD src0_sel:DWORD src1_sel:WORD_0
	v_lshl_add_u64 v[4:5], s[66:67], 0, v[2:3]
	v_lshlrev_b32_e32 v2, 1, v1
	v_lshl_add_u64 v[4:5], v[4:5], 0, v[2:3]
	global_load_ushort v1, v[4:5], off
	s_waitcnt vmcnt(0)
	s_nop 0
	v_mov_b32_dpp v2, v1 row_ror:4 row_mask:0xf bank_mask:0xf bound_ctrl:1
	v_lshlrev_b32_sdwa v2, v6, v2 dst_sel:DWORD dst_unused:UNUSED_PAD src0_sel:DWORD src1_sel:WORD_0
	v_lshl_add_u64 v[4:5], s[66:67], 0, v[2:3]
	v_lshlrev_b32_e32 v2, 1, v1
	v_lshl_add_u64 v[4:5], v[4:5], 0, v[2:3]
	global_load_ushort v1, v[4:5], off
	s_waitcnt vmcnt(0)
	s_nop 0
	v_mov_b32_dpp v2, v1 row_ror:8 row_mask:0xf bank_mask:0xf bound_ctrl:1
	v_lshlrev_b32_sdwa v2, v6, v2 dst_sel:DWORD dst_unused:UNUSED_PAD src0_sel:DWORD src1_sel:WORD_0
	v_lshl_add_u64 v[4:5], s[66:67], 0, v[2:3]
	v_lshlrev_b32_e32 v2, 1, v1
	v_lshl_add_u64 v[4:5], v[4:5], 0, v[2:3]
	global_load_ushort v1, v[4:5], off
	s_waitcnt vmcnt(0)
	s_nop 0
	v_mov_b32_dpp v2, v1 row_bcast:15 row_mask:0xf bank_mask:0xf bound_ctrl:1
	v_lshlrev_b32_sdwa v2, v6, v2 dst_sel:DWORD dst_unused:UNUSED_PAD src0_sel:DWORD src1_sel:WORD_0
	v_lshl_add_u64 v[4:5], s[66:67], 0, v[2:3]
	v_lshlrev_b32_e32 v2, 1, v1
	v_lshl_add_u64 v[4:5], v[4:5], 0, v[2:3]
	global_load_ushort v1, v[4:5], off
	s_waitcnt vmcnt(0)
	s_nop 0
	v_mov_b32_dpp v2, v1 row_bcast:31 row_mask:0xf bank_mask:0xf bound_ctrl:1
	v_lshlrev_b32_sdwa v2, v6, v2 dst_sel:DWORD dst_unused:UNUSED_PAD src0_sel:DWORD src1_sel:WORD_0
	v_lshl_add_u64 v[4:5], s[66:67], 0, v[2:3]
	v_lshlrev_b32_e32 v2, 1, v1
	v_lshl_add_u64 v[2:3], v[4:5], 0, v[2:3]
	global_load_ushort v2, v[2:3], off
	v_mbcnt_lo_u32_b32 v1, -1, 0
	v_mbcnt_hi_u32_b32 v3, -1, v1
	v_lshlrev_b32_e32 v1, 2, v3
	v_or_b32_e32 v4, 0xfc, v1
	v_cmp_eq_u32_e32 vcc, 0, v3
	s_waitcnt vmcnt(0)
	ds_bpermute_b32 v2, v4, v2
	s_and_saveexec_b64 s[6:7], vcc
	s_cbranch_execz .LBB848_456
; %bb.455:
	v_lshrrev_b32_e32 v4, 5, v0
	v_and_b32_e32 v4, 2, v4
	s_waitcnt lgkmcnt(0)
	ds_write_b16 v4, v2 offset:4
.LBB848_456:
	s_or_b64 exec, exec, s[6:7]
	v_cmp_gt_u32_e32 vcc, 64, v0
	s_waitcnt lgkmcnt(0)
	s_barrier
	s_and_saveexec_b64 s[6:7], vcc
	s_cbranch_execz .LBB848_458
; %bb.457:
	v_and_b32_e32 v2, 1, v3
	v_lshlrev_b32_e32 v2, 1, v2
	ds_read_u16 v2, v2 offset:4
	v_or_b32_e32 v1, 4, v1
	v_mov_b32_e32 v3, 0
	s_waitcnt lgkmcnt(0)
	ds_bpermute_b32 v1, v1, v2
	v_lshlrev_b32_e32 v2, 1, v2
	v_lshl_add_u64 v[4:5], s[66:67], 0, v[2:3]
	v_mov_b32_e32 v2, 1
	s_waitcnt lgkmcnt(0)
	v_lshlrev_b32_sdwa v2, v2, v1 dst_sel:DWORD dst_unused:UNUSED_PAD src0_sel:DWORD src1_sel:WORD_0
	v_lshl_add_u64 v[2:3], v[4:5], 0, v[2:3]
	global_load_ushort v2, v[2:3], off
.LBB848_458:
	s_or_b64 exec, exec, s[6:7]
	s_mov_b64 s[6:7], 0
	s_branch .LBB848_462
.LBB848_459:
                                        ; implicit-def: $vgpr2
	s_cbranch_execz .LBB848_555
	s_branch .LBB848_547
.LBB848_460:
                                        ; implicit-def: $vgpr2
	s_branch .LBB848_555
.LBB848_461:
	s_mov_b64 s[6:7], -1
                                        ; implicit-def: $vgpr2
.LBB848_462:
	s_and_b64 vcc, exec, s[6:7]
	s_cbranch_vccz .LBB848_544
; %bb.463:
	s_sub_i32 s38, s70, s4
	s_waitcnt vmcnt(0)
	v_mov_b32_e32 v2, 0
	v_cmp_gt_u32_e32 vcc, s38, v0
	s_waitcnt lgkmcnt(0)
	v_mov_b32_e32 v3, v2
	v_mov_b32_e32 v4, v2
	;; [unrolled: 1-line block ×7, first 2 shown]
	s_and_saveexec_b64 s[4:5], vcc
	s_cbranch_execz .LBB848_465
; %bb.464:
	v_lshlrev_b32_e32 v1, 1, v0
	global_load_ushort v1, v1, s[34:35]
	v_mov_b32_e32 v5, v2
	v_mov_b32_e32 v6, v2
	;; [unrolled: 1-line block ×7, first 2 shown]
	s_waitcnt vmcnt(0)
	v_and_b32_e32 v4, 0xffff, v1
	v_mov_b64_e32 v[2:3], v[4:5]
	v_mov_b64_e32 v[4:5], v[6:7]
	v_mov_b64_e32 v[6:7], v[8:9]
	v_mov_b64_e32 v[8:9], v[10:11]
.LBB848_465:
	s_or_b64 exec, exec, s[4:5]
	v_or_b32_e32 v1, 0x80, v0
	v_cmp_gt_u32_e32 vcc, s38, v1
	s_and_saveexec_b64 s[4:5], vcc
	s_cbranch_execz .LBB848_467
; %bb.466:
	v_lshlrev_b32_e32 v1, 1, v0
	global_load_ushort v1, v1, s[34:35] offset:256
	s_mov_b32 s6, 0x5040100
	s_waitcnt vmcnt(0)
	v_perm_b32 v2, v1, v2, s6
.LBB848_467:
	s_or_b64 exec, exec, s[4:5]
	v_or_b32_e32 v1, 0x100, v0
	v_cmp_gt_u32_e64 s[4:5], s38, v1
	s_and_saveexec_b64 s[6:7], s[4:5]
	s_cbranch_execz .LBB848_469
; %bb.468:
	v_lshlrev_b32_e32 v1, 1, v0
	global_load_ushort v1, v1, s[34:35] offset:512
	s_mov_b32 s8, 0xffff
	s_waitcnt vmcnt(0)
	v_bfi_b32 v3, s8, v1, v3
.LBB848_469:
	s_or_b64 exec, exec, s[6:7]
	v_or_b32_e32 v1, 0x180, v0
	v_cmp_gt_u32_e64 s[6:7], s38, v1
	s_and_saveexec_b64 s[8:9], s[6:7]
	s_cbranch_execz .LBB848_471
; %bb.470:
	v_lshlrev_b32_e32 v1, 1, v0
	global_load_ushort v1, v1, s[34:35] offset:768
	s_mov_b32 s10, 0x5040100
	s_waitcnt vmcnt(0)
	v_perm_b32 v3, v1, v3, s10
.LBB848_471:
	s_or_b64 exec, exec, s[8:9]
	v_or_b32_e32 v1, 0x200, v0
	v_cmp_gt_u32_e64 s[8:9], s38, v1
	s_and_saveexec_b64 s[10:11], s[8:9]
	s_cbranch_execz .LBB848_473
; %bb.472:
	v_lshlrev_b32_e32 v1, 1, v0
	global_load_ushort v1, v1, s[34:35] offset:1024
	s_mov_b32 s12, 0xffff
	s_waitcnt vmcnt(0)
	v_bfi_b32 v4, s12, v1, v4
.LBB848_473:
	s_or_b64 exec, exec, s[10:11]
	v_or_b32_e32 v1, 0x280, v0
	v_cmp_gt_u32_e64 s[10:11], s38, v1
	s_and_saveexec_b64 s[12:13], s[10:11]
	;; [unrolled: 24-line block ×7, first 2 shown]
	s_cbranch_execz .LBB848_509
; %bb.494:
	v_lshlrev_b32_e32 v1, 1, v0
	global_load_ushort v1, v1, s[34:35] offset:3840
	s_mov_b32 s34, 0x5040100
	s_waitcnt vmcnt(0)
	v_perm_b32 v9, v1, v9, s34
	s_or_b64 exec, exec, s[36:37]
	s_and_saveexec_b64 s[34:35], vcc
	s_cbranch_execnz .LBB848_510
.LBB848_495:
	s_or_b64 exec, exec, s[34:35]
	s_and_saveexec_b64 s[34:35], s[4:5]
	s_cbranch_execz .LBB848_511
.LBB848_496:
	v_mov_b32_e32 v1, 1
	s_waitcnt vmcnt(0)
	v_lshlrev_b32_sdwa v10, v1, v2 dst_sel:DWORD dst_unused:UNUSED_PAD src0_sel:DWORD src1_sel:WORD_0
	v_mov_b32_e32 v11, 0
	v_lshl_add_u64 v[12:13], s[66:67], 0, v[10:11]
	v_lshlrev_b32_sdwa v10, v1, v3 dst_sel:DWORD dst_unused:UNUSED_PAD src0_sel:DWORD src1_sel:WORD_0
	v_lshl_add_u64 v[10:11], v[12:13], 0, v[10:11]
	global_load_ushort v2, v[10:11], off
	s_or_b64 exec, exec, s[34:35]
	s_and_saveexec_b64 s[4:5], s[6:7]
	s_cbranch_execnz .LBB848_512
.LBB848_497:
	s_or_b64 exec, exec, s[4:5]
	s_and_saveexec_b64 s[4:5], s[8:9]
	s_cbranch_execz .LBB848_513
.LBB848_498:
	v_mov_b32_e32 v1, 1
	s_waitcnt vmcnt(0)
	v_lshlrev_b32_sdwa v2, v1, v2 dst_sel:DWORD dst_unused:UNUSED_PAD src0_sel:DWORD src1_sel:WORD_0
	v_mov_b32_e32 v3, 0
	v_lshl_add_u64 v[10:11], s[66:67], 0, v[2:3]
	v_lshlrev_b32_sdwa v2, v1, v4 dst_sel:DWORD dst_unused:UNUSED_PAD src0_sel:DWORD src1_sel:WORD_0
	v_lshl_add_u64 v[2:3], v[10:11], 0, v[2:3]
	global_load_ushort v2, v[2:3], off
	s_or_b64 exec, exec, s[4:5]
	s_and_saveexec_b64 s[4:5], s[10:11]
	s_cbranch_execnz .LBB848_514
.LBB848_499:
	s_or_b64 exec, exec, s[4:5]
	s_and_saveexec_b64 s[4:5], s[12:13]
	s_cbranch_execz .LBB848_515
.LBB848_500:
	v_mov_b32_e32 v1, 1
	s_waitcnt vmcnt(0)
	v_lshlrev_b32_sdwa v2, v1, v2 dst_sel:DWORD dst_unused:UNUSED_PAD src0_sel:DWORD src1_sel:WORD_0
	v_mov_b32_e32 v3, 0
	v_lshl_add_u64 v[10:11], s[66:67], 0, v[2:3]
	v_lshlrev_b32_sdwa v2, v1, v5 dst_sel:DWORD dst_unused:UNUSED_PAD src0_sel:DWORD src1_sel:WORD_0
	v_lshl_add_u64 v[2:3], v[10:11], 0, v[2:3]
	global_load_ushort v2, v[2:3], off
	s_or_b64 exec, exec, s[4:5]
	s_and_saveexec_b64 s[4:5], s[14:15]
	s_cbranch_execnz .LBB848_516
.LBB848_501:
	s_or_b64 exec, exec, s[4:5]
	s_and_saveexec_b64 s[4:5], s[16:17]
	s_cbranch_execz .LBB848_517
.LBB848_502:
	v_mov_b32_e32 v1, 1
	s_waitcnt vmcnt(0)
	v_lshlrev_b32_sdwa v2, v1, v2 dst_sel:DWORD dst_unused:UNUSED_PAD src0_sel:DWORD src1_sel:WORD_0
	v_mov_b32_e32 v3, 0
	v_lshl_add_u64 v[4:5], s[66:67], 0, v[2:3]
	v_lshlrev_b32_sdwa v2, v1, v6 dst_sel:DWORD dst_unused:UNUSED_PAD src0_sel:DWORD src1_sel:WORD_0
	v_lshl_add_u64 v[2:3], v[4:5], 0, v[2:3]
	global_load_ushort v2, v[2:3], off
	s_or_b64 exec, exec, s[4:5]
	s_and_saveexec_b64 s[4:5], s[18:19]
	s_cbranch_execnz .LBB848_518
.LBB848_503:
	s_or_b64 exec, exec, s[4:5]
	s_and_saveexec_b64 s[4:5], s[20:21]
	s_cbranch_execz .LBB848_519
.LBB848_504:
	v_mov_b32_e32 v1, 1
	s_waitcnt vmcnt(0)
	v_lshlrev_b32_sdwa v2, v1, v2 dst_sel:DWORD dst_unused:UNUSED_PAD src0_sel:DWORD src1_sel:WORD_0
	v_mov_b32_e32 v3, 0
	v_lshl_add_u64 v[4:5], s[66:67], 0, v[2:3]
	v_lshlrev_b32_sdwa v2, v1, v7 dst_sel:DWORD dst_unused:UNUSED_PAD src0_sel:DWORD src1_sel:WORD_0
	v_lshl_add_u64 v[2:3], v[4:5], 0, v[2:3]
	global_load_ushort v2, v[2:3], off
	s_or_b64 exec, exec, s[4:5]
	s_and_saveexec_b64 s[4:5], s[22:23]
	s_cbranch_execnz .LBB848_520
.LBB848_505:
	s_or_b64 exec, exec, s[4:5]
	s_and_saveexec_b64 s[4:5], s[24:25]
	s_cbranch_execz .LBB848_521
.LBB848_506:
	v_mov_b32_e32 v1, 1
	s_waitcnt vmcnt(0)
	v_lshlrev_b32_sdwa v2, v1, v2 dst_sel:DWORD dst_unused:UNUSED_PAD src0_sel:DWORD src1_sel:WORD_0
	v_mov_b32_e32 v3, 0
	v_lshl_add_u64 v[4:5], s[66:67], 0, v[2:3]
	v_lshlrev_b32_sdwa v2, v1, v8 dst_sel:DWORD dst_unused:UNUSED_PAD src0_sel:DWORD src1_sel:WORD_0
	v_lshl_add_u64 v[2:3], v[4:5], 0, v[2:3]
	global_load_ushort v2, v[2:3], off
	s_or_b64 exec, exec, s[4:5]
	s_and_saveexec_b64 s[4:5], s[26:27]
	s_cbranch_execnz .LBB848_522
.LBB848_507:
	s_or_b64 exec, exec, s[4:5]
	s_and_saveexec_b64 s[4:5], s[28:29]
	s_cbranch_execz .LBB848_523
.LBB848_508:
	v_mov_b32_e32 v1, 1
	s_waitcnt vmcnt(0)
	v_lshlrev_b32_sdwa v2, v1, v2 dst_sel:DWORD dst_unused:UNUSED_PAD src0_sel:DWORD src1_sel:WORD_0
	v_mov_b32_e32 v3, 0
	v_lshl_add_u64 v[4:5], s[66:67], 0, v[2:3]
	v_lshlrev_b32_sdwa v2, v1, v9 dst_sel:DWORD dst_unused:UNUSED_PAD src0_sel:DWORD src1_sel:WORD_0
	v_lshl_add_u64 v[2:3], v[4:5], 0, v[2:3]
	global_load_ushort v2, v[2:3], off
	s_or_b64 exec, exec, s[4:5]
	s_and_saveexec_b64 s[4:5], s[30:31]
	s_cbranch_execnz .LBB848_524
	s_branch .LBB848_525
.LBB848_509:
	s_or_b64 exec, exec, s[36:37]
	s_and_saveexec_b64 s[34:35], vcc
	s_cbranch_execz .LBB848_495
.LBB848_510:
	v_mov_b32_e32 v1, 1
	v_lshlrev_b32_sdwa v10, v1, v2 dst_sel:DWORD dst_unused:UNUSED_PAD src0_sel:DWORD src1_sel:WORD_0
	v_mov_b32_e32 v11, 0
	v_lshl_add_u64 v[12:13], s[66:67], 0, v[10:11]
	v_lshlrev_b32_sdwa v10, v1, v2 dst_sel:DWORD dst_unused:UNUSED_PAD src0_sel:DWORD src1_sel:WORD_1
	v_lshl_add_u64 v[10:11], v[12:13], 0, v[10:11]
	global_load_ushort v2, v[10:11], off
	s_or_b64 exec, exec, s[34:35]
	s_and_saveexec_b64 s[34:35], s[4:5]
	s_cbranch_execnz .LBB848_496
.LBB848_511:
	s_or_b64 exec, exec, s[34:35]
	s_and_saveexec_b64 s[4:5], s[6:7]
	s_cbranch_execz .LBB848_497
.LBB848_512:
	v_mov_b32_e32 v1, 1
	s_waitcnt vmcnt(0)
	v_lshlrev_b32_sdwa v10, v1, v2 dst_sel:DWORD dst_unused:UNUSED_PAD src0_sel:DWORD src1_sel:WORD_0
	v_mov_b32_e32 v11, 0
	v_lshl_add_u64 v[12:13], s[66:67], 0, v[10:11]
	v_lshlrev_b32_sdwa v10, v1, v3 dst_sel:DWORD dst_unused:UNUSED_PAD src0_sel:DWORD src1_sel:WORD_1
	v_lshl_add_u64 v[2:3], v[12:13], 0, v[10:11]
	global_load_ushort v2, v[2:3], off
	s_or_b64 exec, exec, s[4:5]
	s_and_saveexec_b64 s[4:5], s[8:9]
	s_cbranch_execnz .LBB848_498
.LBB848_513:
	s_or_b64 exec, exec, s[4:5]
	s_and_saveexec_b64 s[4:5], s[10:11]
	s_cbranch_execz .LBB848_499
.LBB848_514:
	v_mov_b32_e32 v1, 1
	s_waitcnt vmcnt(0)
	v_lshlrev_b32_sdwa v2, v1, v2 dst_sel:DWORD dst_unused:UNUSED_PAD src0_sel:DWORD src1_sel:WORD_0
	v_mov_b32_e32 v3, 0
	v_lshl_add_u64 v[10:11], s[66:67], 0, v[2:3]
	v_lshlrev_b32_sdwa v2, v1, v4 dst_sel:DWORD dst_unused:UNUSED_PAD src0_sel:DWORD src1_sel:WORD_1
	v_lshl_add_u64 v[2:3], v[10:11], 0, v[2:3]
	global_load_ushort v2, v[2:3], off
	s_or_b64 exec, exec, s[4:5]
	s_and_saveexec_b64 s[4:5], s[12:13]
	s_cbranch_execnz .LBB848_500
.LBB848_515:
	s_or_b64 exec, exec, s[4:5]
	s_and_saveexec_b64 s[4:5], s[14:15]
	s_cbranch_execz .LBB848_501
.LBB848_516:
	v_mov_b32_e32 v1, 1
	s_waitcnt vmcnt(0)
	v_lshlrev_b32_sdwa v2, v1, v2 dst_sel:DWORD dst_unused:UNUSED_PAD src0_sel:DWORD src1_sel:WORD_0
	v_mov_b32_e32 v3, 0
	v_lshl_add_u64 v[10:11], s[66:67], 0, v[2:3]
	v_lshlrev_b32_sdwa v2, v1, v5 dst_sel:DWORD dst_unused:UNUSED_PAD src0_sel:DWORD src1_sel:WORD_1
	v_lshl_add_u64 v[2:3], v[10:11], 0, v[2:3]
	global_load_ushort v2, v[2:3], off
	s_or_b64 exec, exec, s[4:5]
	s_and_saveexec_b64 s[4:5], s[16:17]
	s_cbranch_execnz .LBB848_502
.LBB848_517:
	s_or_b64 exec, exec, s[4:5]
	s_and_saveexec_b64 s[4:5], s[18:19]
	s_cbranch_execz .LBB848_503
.LBB848_518:
	v_mov_b32_e32 v1, 1
	s_waitcnt vmcnt(0)
	v_lshlrev_b32_sdwa v2, v1, v2 dst_sel:DWORD dst_unused:UNUSED_PAD src0_sel:DWORD src1_sel:WORD_0
	v_mov_b32_e32 v3, 0
	v_lshl_add_u64 v[4:5], s[66:67], 0, v[2:3]
	v_lshlrev_b32_sdwa v2, v1, v6 dst_sel:DWORD dst_unused:UNUSED_PAD src0_sel:DWORD src1_sel:WORD_1
	v_lshl_add_u64 v[2:3], v[4:5], 0, v[2:3]
	global_load_ushort v2, v[2:3], off
	s_or_b64 exec, exec, s[4:5]
	s_and_saveexec_b64 s[4:5], s[20:21]
	s_cbranch_execnz .LBB848_504
.LBB848_519:
	s_or_b64 exec, exec, s[4:5]
	s_and_saveexec_b64 s[4:5], s[22:23]
	s_cbranch_execz .LBB848_505
.LBB848_520:
	v_mov_b32_e32 v1, 1
	s_waitcnt vmcnt(0)
	v_lshlrev_b32_sdwa v2, v1, v2 dst_sel:DWORD dst_unused:UNUSED_PAD src0_sel:DWORD src1_sel:WORD_0
	v_mov_b32_e32 v3, 0
	v_lshl_add_u64 v[4:5], s[66:67], 0, v[2:3]
	v_lshlrev_b32_sdwa v2, v1, v7 dst_sel:DWORD dst_unused:UNUSED_PAD src0_sel:DWORD src1_sel:WORD_1
	v_lshl_add_u64 v[2:3], v[4:5], 0, v[2:3]
	global_load_ushort v2, v[2:3], off
	s_or_b64 exec, exec, s[4:5]
	s_and_saveexec_b64 s[4:5], s[24:25]
	s_cbranch_execnz .LBB848_506
.LBB848_521:
	s_or_b64 exec, exec, s[4:5]
	s_and_saveexec_b64 s[4:5], s[26:27]
	s_cbranch_execz .LBB848_507
.LBB848_522:
	v_mov_b32_e32 v1, 1
	s_waitcnt vmcnt(0)
	v_lshlrev_b32_sdwa v2, v1, v2 dst_sel:DWORD dst_unused:UNUSED_PAD src0_sel:DWORD src1_sel:WORD_0
	v_mov_b32_e32 v3, 0
	v_lshl_add_u64 v[4:5], s[66:67], 0, v[2:3]
	v_lshlrev_b32_sdwa v2, v1, v8 dst_sel:DWORD dst_unused:UNUSED_PAD src0_sel:DWORD src1_sel:WORD_1
	v_lshl_add_u64 v[2:3], v[4:5], 0, v[2:3]
	global_load_ushort v2, v[2:3], off
	s_or_b64 exec, exec, s[4:5]
	s_and_saveexec_b64 s[4:5], s[28:29]
	s_cbranch_execnz .LBB848_508
.LBB848_523:
	s_or_b64 exec, exec, s[4:5]
	s_and_saveexec_b64 s[4:5], s[30:31]
	s_cbranch_execz .LBB848_525
.LBB848_524:
	v_mov_b32_e32 v1, 1
	s_waitcnt vmcnt(0)
	v_lshlrev_b32_sdwa v2, v1, v2 dst_sel:DWORD dst_unused:UNUSED_PAD src0_sel:DWORD src1_sel:WORD_0
	v_mov_b32_e32 v3, 0
	v_lshl_add_u64 v[4:5], s[66:67], 0, v[2:3]
	v_lshlrev_b32_sdwa v2, v1, v9 dst_sel:DWORD dst_unused:UNUSED_PAD src0_sel:DWORD src1_sel:WORD_1
	v_lshl_add_u64 v[2:3], v[4:5], 0, v[2:3]
	global_load_ushort v2, v[2:3], off
.LBB848_525:
	s_or_b64 exec, exec, s[4:5]
	v_mbcnt_lo_u32_b32 v1, -1, 0
	v_mbcnt_hi_u32_b32 v1, -1, v1
	v_and_b32_e32 v3, 63, v1
	v_cmp_ne_u32_e32 vcc, 63, v3
	s_waitcnt vmcnt(0)
	v_and_b32_e32 v5, 0xffff, v2
	s_min_u32 s6, s38, 0x80
	v_addc_co_u32_e32 v4, vcc, 0, v1, vcc
	v_lshlrev_b32_e32 v4, 2, v4
	ds_bpermute_b32 v6, v4, v5
	v_and_b32_e32 v4, 64, v0
	v_sub_u32_e64 v4, s6, v4 clamp
	v_add_u32_e32 v7, 1, v3
	v_cmp_lt_u32_e32 vcc, v7, v4
	s_and_saveexec_b64 s[4:5], vcc
	s_xor_b64 s[4:5], exec, s[4:5]
	s_cbranch_execz .LBB848_527
; %bb.526:
	v_mov_b32_e32 v5, 1
	v_lshlrev_b32_sdwa v8, v5, v2 dst_sel:DWORD dst_unused:UNUSED_PAD src0_sel:DWORD src1_sel:WORD_0
	v_mov_b32_e32 v9, 0
	v_lshl_add_u64 v[10:11], s[66:67], 0, v[8:9]
	s_waitcnt lgkmcnt(0)
	v_lshlrev_b32_sdwa v8, v5, v6 dst_sel:DWORD dst_unused:UNUSED_PAD src0_sel:DWORD src1_sel:WORD_0
	v_lshl_add_u64 v[6:7], v[10:11], 0, v[8:9]
	global_load_ushort v2, v[6:7], off
	s_waitcnt vmcnt(0)
	v_and_b32_e32 v5, 0xffff, v2
.LBB848_527:
	s_or_b64 exec, exec, s[4:5]
	v_cmp_gt_u32_e32 vcc, 62, v3
	v_add_u32_e32 v7, 2, v3
	s_waitcnt lgkmcnt(0)
	v_cndmask_b32_e64 v6, 0, 2, vcc
	v_add_lshl_u32 v6, v6, v1, 2
	ds_bpermute_b32 v6, v6, v5
	v_cmp_lt_u32_e32 vcc, v7, v4
	s_and_saveexec_b64 s[4:5], vcc
	s_cbranch_execz .LBB848_529
; %bb.528:
	v_mov_b32_e32 v5, 1
	v_lshlrev_b32_sdwa v8, v5, v2 dst_sel:DWORD dst_unused:UNUSED_PAD src0_sel:DWORD src1_sel:WORD_0
	v_mov_b32_e32 v9, 0
	v_lshl_add_u64 v[10:11], s[66:67], 0, v[8:9]
	s_waitcnt lgkmcnt(0)
	v_lshlrev_b32_sdwa v8, v5, v6 dst_sel:DWORD dst_unused:UNUSED_PAD src0_sel:DWORD src1_sel:WORD_0
	v_lshl_add_u64 v[6:7], v[10:11], 0, v[8:9]
	global_load_ushort v2, v[6:7], off
	s_waitcnt vmcnt(0)
	v_and_b32_e32 v5, 0xffff, v2
.LBB848_529:
	s_or_b64 exec, exec, s[4:5]
	v_cmp_gt_u32_e32 vcc, 60, v3
	v_add_u32_e32 v7, 4, v3
	s_waitcnt lgkmcnt(0)
	v_cndmask_b32_e64 v6, 0, 4, vcc
	v_add_lshl_u32 v6, v6, v1, 2
	ds_bpermute_b32 v6, v6, v5
	v_cmp_lt_u32_e32 vcc, v7, v4
	s_and_saveexec_b64 s[4:5], vcc
	;; [unrolled: 22-line block ×4, first 2 shown]
	s_cbranch_execz .LBB848_535
; %bb.534:
	v_mov_b32_e32 v5, 1
	v_lshlrev_b32_sdwa v8, v5, v2 dst_sel:DWORD dst_unused:UNUSED_PAD src0_sel:DWORD src1_sel:WORD_0
	v_mov_b32_e32 v9, 0
	v_lshl_add_u64 v[10:11], s[66:67], 0, v[8:9]
	s_waitcnt lgkmcnt(0)
	v_lshlrev_b32_sdwa v8, v5, v6 dst_sel:DWORD dst_unused:UNUSED_PAD src0_sel:DWORD src1_sel:WORD_0
	v_lshl_add_u64 v[6:7], v[10:11], 0, v[8:9]
	global_load_ushort v2, v[6:7], off
	s_waitcnt vmcnt(0)
	v_and_b32_e32 v5, 0xffff, v2
.LBB848_535:
	s_or_b64 exec, exec, s[4:5]
	s_waitcnt lgkmcnt(0)
	v_lshlrev_b32_e32 v6, 2, v1
	v_or_b32_e32 v7, 0x80, v6
	ds_bpermute_b32 v5, v7, v5
	v_add_u32_e32 v3, 32, v3
	v_cmp_lt_u32_e32 vcc, v3, v4
	s_and_saveexec_b64 s[4:5], vcc
	s_cbranch_execz .LBB848_537
; %bb.536:
	v_mov_b32_e32 v4, 1
	v_lshlrev_b32_sdwa v2, v4, v2 dst_sel:DWORD dst_unused:UNUSED_PAD src0_sel:DWORD src1_sel:WORD_0
	v_mov_b32_e32 v3, 0
	v_lshl_add_u64 v[8:9], s[66:67], 0, v[2:3]
	s_waitcnt lgkmcnt(0)
	v_lshlrev_b32_sdwa v2, v4, v5 dst_sel:DWORD dst_unused:UNUSED_PAD src0_sel:DWORD src1_sel:WORD_0
	v_lshl_add_u64 v[2:3], v[8:9], 0, v[2:3]
	global_load_ushort v2, v[2:3], off
.LBB848_537:
	s_or_b64 exec, exec, s[4:5]
	v_cmp_eq_u32_e32 vcc, 0, v1
	s_and_saveexec_b64 s[4:5], vcc
	s_cbranch_execz .LBB848_539
; %bb.538:
	v_lshrrev_b32_e32 v3, 5, v0
	v_and_b32_e32 v3, 2, v3
	s_waitcnt vmcnt(0)
	ds_write_b16 v3, v2
.LBB848_539:
	s_or_b64 exec, exec, s[4:5]
	v_cmp_gt_u32_e32 vcc, 2, v0
	s_waitcnt lgkmcnt(0)
	s_barrier
	s_and_saveexec_b64 s[4:5], vcc
	s_cbranch_execz .LBB848_543
; %bb.540:
	s_waitcnt vmcnt(0)
	v_lshlrev_b32_e32 v2, 1, v1
	ds_read_u16 v2, v2
	v_or_b32_e32 v3, 4, v6
	s_add_i32 s6, s6, 63
	v_and_b32_e32 v1, 1, v1
	s_lshr_b32 s6, s6, 6
	s_waitcnt lgkmcnt(0)
	v_and_b32_e32 v4, 0xffff, v2
	ds_bpermute_b32 v3, v3, v4
	v_add_u32_e32 v1, 1, v1
	v_cmp_gt_u32_e32 vcc, s6, v1
	s_and_saveexec_b64 s[6:7], vcc
	s_cbranch_execz .LBB848_542
; %bb.541:
	v_lshlrev_b32_e32 v4, 1, v4
	v_mov_b32_e32 v5, 0
	v_mov_b32_e32 v1, 1
	v_lshl_add_u64 v[6:7], s[66:67], 0, v[4:5]
	s_waitcnt lgkmcnt(0)
	v_lshlrev_b32_sdwa v4, v1, v3 dst_sel:DWORD dst_unused:UNUSED_PAD src0_sel:DWORD src1_sel:WORD_0
	v_lshl_add_u64 v[2:3], v[6:7], 0, v[4:5]
	global_load_ushort v2, v[2:3], off
.LBB848_542:
	s_or_b64 exec, exec, s[6:7]
.LBB848_543:
	s_or_b64 exec, exec, s[4:5]
.LBB848_544:
	v_cmp_eq_u32_e32 vcc, 0, v0
	s_and_saveexec_b64 s[4:5], vcc
	s_xor_b64 s[4:5], exec, s[4:5]
	s_cbranch_execz .LBB848_546
; %bb.545:
	s_cmp_eq_u64 s[70:71], 0
	s_cselect_b64 s[6:7], -1, 0
	s_cmp_lg_u64 s[70:71], 0
	s_cselect_b64 s[8:9], -1, 0
	s_andn2_b64 s[10:11], s[72:73], exec
	s_and_b64 s[6:7], s[6:7], exec
	s_or_b64 s[72:73], s[10:11], s[6:7]
	s_andn2_b64 s[6:7], s[74:75], exec
	s_and_b64 s[8:9], s[8:9], exec
	s_or_b64 s[74:75], s[6:7], s[8:9]
.LBB848_546:
	s_or_b64 exec, exec, s[4:5]
	s_branch .LBB848_555
.LBB848_547:
	s_cmp_eq_u32 s80, 8
	s_cbranch_scc0 .LBB848_554
; %bb.548:
	s_mov_b32 s3, 0
	s_lshl_b32 s4, s2, 10
	s_mov_b32 s5, s3
	s_lshr_b64 s[6:7], s[70:71], 10
	s_lshl_b64 s[8:9], s[4:5], 1
	s_add_u32 s16, s68, s8
	s_addc_u32 s17, s69, s9
	s_cmp_lg_u64 s[6:7], s[2:3]
	s_cbranch_scc0 .LBB848_576
; %bb.549:
	v_lshlrev_b32_e32 v1, 1, v0
	global_load_ushort v2, v1, s[16:17]
	global_load_ushort v6, v1, s[16:17] offset:256
	s_waitcnt lgkmcnt(0)
	v_mov_b32_e32 v3, 0
	global_load_ushort v7, v1, s[16:17] offset:512
	global_load_ushort v8, v1, s[16:17] offset:768
	;; [unrolled: 1-line block ×6, first 2 shown]
	s_waitcnt vmcnt(7)
	v_lshlrev_b32_e32 v2, 1, v2
	v_lshl_add_u64 v[4:5], s[66:67], 0, v[2:3]
	s_waitcnt vmcnt(6)
	v_lshlrev_b32_e32 v2, 1, v6
	v_lshl_add_u64 v[4:5], v[4:5], 0, v[2:3]
	global_load_ushort v1, v[4:5], off
	v_mov_b32_e32 v6, 1
	s_waitcnt vmcnt(0)
	v_lshlrev_b32_e32 v2, 1, v1
	v_lshl_add_u64 v[4:5], s[66:67], 0, v[2:3]
	v_lshlrev_b32_e32 v2, 1, v7
	v_lshl_add_u64 v[4:5], v[4:5], 0, v[2:3]
	global_load_ushort v1, v[4:5], off
	s_waitcnt vmcnt(0)
	v_lshlrev_b32_e32 v2, 1, v1
	v_lshl_add_u64 v[4:5], s[66:67], 0, v[2:3]
	v_lshlrev_b32_e32 v2, 1, v8
	v_lshl_add_u64 v[4:5], v[4:5], 0, v[2:3]
	global_load_ushort v1, v[4:5], off
	;; [unrolled: 6-line block ×6, first 2 shown]
	s_waitcnt vmcnt(0)
	s_nop 0
	v_mov_b32_dpp v2, v1 quad_perm:[1,0,3,2] row_mask:0xf bank_mask:0xf bound_ctrl:1
	v_lshlrev_b32_sdwa v2, v6, v2 dst_sel:DWORD dst_unused:UNUSED_PAD src0_sel:DWORD src1_sel:WORD_0
	v_lshl_add_u64 v[4:5], s[66:67], 0, v[2:3]
	v_lshlrev_b32_e32 v2, 1, v1
	v_lshl_add_u64 v[4:5], v[4:5], 0, v[2:3]
	global_load_ushort v1, v[4:5], off
	s_waitcnt vmcnt(0)
	s_nop 0
	v_mov_b32_dpp v2, v1 quad_perm:[2,3,0,1] row_mask:0xf bank_mask:0xf bound_ctrl:1
	v_lshlrev_b32_sdwa v2, v6, v2 dst_sel:DWORD dst_unused:UNUSED_PAD src0_sel:DWORD src1_sel:WORD_0
	v_lshl_add_u64 v[4:5], s[66:67], 0, v[2:3]
	v_lshlrev_b32_e32 v2, 1, v1
	v_lshl_add_u64 v[4:5], v[4:5], 0, v[2:3]
	global_load_ushort v1, v[4:5], off
	s_waitcnt vmcnt(0)
	s_nop 0
	v_mov_b32_dpp v2, v1 row_ror:4 row_mask:0xf bank_mask:0xf bound_ctrl:1
	v_lshlrev_b32_sdwa v2, v6, v2 dst_sel:DWORD dst_unused:UNUSED_PAD src0_sel:DWORD src1_sel:WORD_0
	v_lshl_add_u64 v[4:5], s[66:67], 0, v[2:3]
	v_lshlrev_b32_e32 v2, 1, v1
	v_lshl_add_u64 v[4:5], v[4:5], 0, v[2:3]
	global_load_ushort v1, v[4:5], off
	s_waitcnt vmcnt(0)
	s_nop 0
	v_mov_b32_dpp v2, v1 row_ror:8 row_mask:0xf bank_mask:0xf bound_ctrl:1
	v_lshlrev_b32_sdwa v2, v6, v2 dst_sel:DWORD dst_unused:UNUSED_PAD src0_sel:DWORD src1_sel:WORD_0
	v_lshl_add_u64 v[4:5], s[66:67], 0, v[2:3]
	v_lshlrev_b32_e32 v2, 1, v1
	v_lshl_add_u64 v[4:5], v[4:5], 0, v[2:3]
	global_load_ushort v1, v[4:5], off
	s_waitcnt vmcnt(0)
	s_nop 0
	v_mov_b32_dpp v2, v1 row_bcast:15 row_mask:0xf bank_mask:0xf bound_ctrl:1
	v_lshlrev_b32_sdwa v2, v6, v2 dst_sel:DWORD dst_unused:UNUSED_PAD src0_sel:DWORD src1_sel:WORD_0
	v_lshl_add_u64 v[4:5], s[66:67], 0, v[2:3]
	v_lshlrev_b32_e32 v2, 1, v1
	v_lshl_add_u64 v[4:5], v[4:5], 0, v[2:3]
	global_load_ushort v1, v[4:5], off
	s_waitcnt vmcnt(0)
	s_nop 0
	v_mov_b32_dpp v2, v1 row_bcast:31 row_mask:0xf bank_mask:0xf bound_ctrl:1
	v_lshlrev_b32_sdwa v2, v6, v2 dst_sel:DWORD dst_unused:UNUSED_PAD src0_sel:DWORD src1_sel:WORD_0
	v_lshl_add_u64 v[4:5], s[66:67], 0, v[2:3]
	v_lshlrev_b32_e32 v2, 1, v1
	v_lshl_add_u64 v[2:3], v[4:5], 0, v[2:3]
	global_load_ushort v2, v[2:3], off
	v_mbcnt_lo_u32_b32 v1, -1, 0
	v_mbcnt_hi_u32_b32 v3, -1, v1
	v_lshlrev_b32_e32 v1, 2, v3
	v_or_b32_e32 v4, 0xfc, v1
	v_cmp_eq_u32_e32 vcc, 0, v3
	s_waitcnt vmcnt(0)
	ds_bpermute_b32 v2, v4, v2
	s_and_saveexec_b64 s[6:7], vcc
	s_cbranch_execz .LBB848_551
; %bb.550:
	v_lshrrev_b32_e32 v4, 5, v0
	v_and_b32_e32 v4, 2, v4
	s_waitcnt lgkmcnt(0)
	ds_write_b16 v4, v2 offset:28
.LBB848_551:
	s_or_b64 exec, exec, s[6:7]
	v_cmp_gt_u32_e32 vcc, 64, v0
	s_waitcnt lgkmcnt(0)
	s_barrier
	s_and_saveexec_b64 s[6:7], vcc
	s_cbranch_execz .LBB848_553
; %bb.552:
	v_and_b32_e32 v2, 1, v3
	v_lshlrev_b32_e32 v2, 1, v2
	ds_read_u16 v2, v2 offset:28
	v_or_b32_e32 v1, 4, v1
	v_mov_b32_e32 v3, 0
	s_waitcnt lgkmcnt(0)
	ds_bpermute_b32 v1, v1, v2
	v_lshlrev_b32_e32 v2, 1, v2
	v_lshl_add_u64 v[4:5], s[66:67], 0, v[2:3]
	v_mov_b32_e32 v2, 1
	s_waitcnt lgkmcnt(0)
	v_lshlrev_b32_sdwa v2, v2, v1 dst_sel:DWORD dst_unused:UNUSED_PAD src0_sel:DWORD src1_sel:WORD_0
	v_lshl_add_u64 v[2:3], v[4:5], 0, v[2:3]
	global_load_ushort v2, v[2:3], off
.LBB848_553:
	s_or_b64 exec, exec, s[6:7]
	s_mov_b64 s[6:7], 0
	s_branch .LBB848_577
.LBB848_554:
                                        ; implicit-def: $vgpr2
.LBB848_555:
	s_branch .LBB848_707
.LBB848_556:
	s_cmp_gt_i32 s80, 1
	s_cbranch_scc0 .LBB848_565
; %bb.557:
	s_cmp_gt_i32 s80, 3
	s_cbranch_scc0 .LBB848_566
; %bb.558:
	s_cmp_eq_u32 s80, 4
	s_cbranch_scc0 .LBB848_574
; %bb.559:
	s_mov_b32 s3, 0
	s_lshl_b32 s4, s2, 9
	s_mov_b32 s5, s3
	s_lshr_b64 s[6:7], s[70:71], 9
	s_lshl_b64 s[8:9], s[4:5], 1
	s_add_u32 s8, s68, s8
	s_addc_u32 s9, s69, s9
	s_cmp_lg_u64 s[6:7], s[2:3]
	s_cbranch_scc0 .LBB848_600
; %bb.560:
	v_lshlrev_b32_e32 v1, 1, v0
	global_load_ushort v2, v1, s[8:9]
	global_load_ushort v6, v1, s[8:9] offset:256
	s_waitcnt lgkmcnt(0)
	v_mov_b32_e32 v3, 0
	global_load_ushort v7, v1, s[8:9] offset:512
	global_load_ushort v8, v1, s[8:9] offset:768
	s_waitcnt vmcnt(3)
	v_lshlrev_b32_e32 v2, 1, v2
	v_lshl_add_u64 v[4:5], s[66:67], 0, v[2:3]
	s_waitcnt vmcnt(2)
	v_lshlrev_b32_e32 v2, 1, v6
	v_lshl_add_u64 v[4:5], v[4:5], 0, v[2:3]
	global_load_ushort v1, v[4:5], off
	v_mov_b32_e32 v6, 1
	s_waitcnt vmcnt(0)
	v_lshlrev_b32_e32 v2, 1, v1
	v_lshl_add_u64 v[4:5], s[66:67], 0, v[2:3]
	v_lshlrev_b32_e32 v2, 1, v7
	v_lshl_add_u64 v[4:5], v[4:5], 0, v[2:3]
	global_load_ushort v1, v[4:5], off
	s_waitcnt vmcnt(0)
	v_lshlrev_b32_e32 v2, 1, v1
	v_lshl_add_u64 v[4:5], s[66:67], 0, v[2:3]
	v_lshlrev_b32_e32 v2, 1, v8
	v_lshl_add_u64 v[4:5], v[4:5], 0, v[2:3]
	global_load_ushort v1, v[4:5], off
	s_waitcnt vmcnt(0)
	s_nop 0
	v_mov_b32_dpp v2, v1 quad_perm:[1,0,3,2] row_mask:0xf bank_mask:0xf bound_ctrl:1
	v_lshlrev_b32_sdwa v2, v6, v2 dst_sel:DWORD dst_unused:UNUSED_PAD src0_sel:DWORD src1_sel:WORD_0
	v_lshl_add_u64 v[4:5], s[66:67], 0, v[2:3]
	v_lshlrev_b32_e32 v2, 1, v1
	v_lshl_add_u64 v[4:5], v[4:5], 0, v[2:3]
	global_load_ushort v1, v[4:5], off
	s_waitcnt vmcnt(0)
	s_nop 0
	v_mov_b32_dpp v2, v1 quad_perm:[2,3,0,1] row_mask:0xf bank_mask:0xf bound_ctrl:1
	v_lshlrev_b32_sdwa v2, v6, v2 dst_sel:DWORD dst_unused:UNUSED_PAD src0_sel:DWORD src1_sel:WORD_0
	v_lshl_add_u64 v[4:5], s[66:67], 0, v[2:3]
	v_lshlrev_b32_e32 v2, 1, v1
	v_lshl_add_u64 v[4:5], v[4:5], 0, v[2:3]
	global_load_ushort v1, v[4:5], off
	s_waitcnt vmcnt(0)
	s_nop 0
	v_mov_b32_dpp v2, v1 row_ror:4 row_mask:0xf bank_mask:0xf bound_ctrl:1
	v_lshlrev_b32_sdwa v2, v6, v2 dst_sel:DWORD dst_unused:UNUSED_PAD src0_sel:DWORD src1_sel:WORD_0
	v_lshl_add_u64 v[4:5], s[66:67], 0, v[2:3]
	v_lshlrev_b32_e32 v2, 1, v1
	v_lshl_add_u64 v[4:5], v[4:5], 0, v[2:3]
	global_load_ushort v1, v[4:5], off
	s_waitcnt vmcnt(0)
	s_nop 0
	v_mov_b32_dpp v2, v1 row_ror:8 row_mask:0xf bank_mask:0xf bound_ctrl:1
	v_lshlrev_b32_sdwa v2, v6, v2 dst_sel:DWORD dst_unused:UNUSED_PAD src0_sel:DWORD src1_sel:WORD_0
	v_lshl_add_u64 v[4:5], s[66:67], 0, v[2:3]
	v_lshlrev_b32_e32 v2, 1, v1
	v_lshl_add_u64 v[4:5], v[4:5], 0, v[2:3]
	global_load_ushort v1, v[4:5], off
	s_waitcnt vmcnt(0)
	s_nop 0
	v_mov_b32_dpp v2, v1 row_bcast:15 row_mask:0xf bank_mask:0xf bound_ctrl:1
	v_lshlrev_b32_sdwa v2, v6, v2 dst_sel:DWORD dst_unused:UNUSED_PAD src0_sel:DWORD src1_sel:WORD_0
	v_lshl_add_u64 v[4:5], s[66:67], 0, v[2:3]
	v_lshlrev_b32_e32 v2, 1, v1
	v_lshl_add_u64 v[4:5], v[4:5], 0, v[2:3]
	global_load_ushort v1, v[4:5], off
	s_waitcnt vmcnt(0)
	s_nop 0
	v_mov_b32_dpp v2, v1 row_bcast:31 row_mask:0xf bank_mask:0xf bound_ctrl:1
	v_lshlrev_b32_sdwa v2, v6, v2 dst_sel:DWORD dst_unused:UNUSED_PAD src0_sel:DWORD src1_sel:WORD_0
	v_lshl_add_u64 v[4:5], s[66:67], 0, v[2:3]
	v_lshlrev_b32_e32 v2, 1, v1
	v_lshl_add_u64 v[2:3], v[4:5], 0, v[2:3]
	global_load_ushort v2, v[2:3], off
	v_mbcnt_lo_u32_b32 v1, -1, 0
	v_mbcnt_hi_u32_b32 v3, -1, v1
	v_lshlrev_b32_e32 v1, 2, v3
	v_or_b32_e32 v4, 0xfc, v1
	v_cmp_eq_u32_e32 vcc, 0, v3
	s_waitcnt vmcnt(0)
	ds_bpermute_b32 v2, v4, v2
	s_and_saveexec_b64 s[6:7], vcc
	s_cbranch_execz .LBB848_562
; %bb.561:
	v_lshrrev_b32_e32 v4, 5, v0
	v_and_b32_e32 v4, 2, v4
	s_waitcnt lgkmcnt(0)
	ds_write_b16 v4, v2 offset:20
.LBB848_562:
	s_or_b64 exec, exec, s[6:7]
	v_cmp_gt_u32_e32 vcc, 64, v0
	s_waitcnt lgkmcnt(0)
	s_barrier
	s_and_saveexec_b64 s[6:7], vcc
	s_cbranch_execz .LBB848_564
; %bb.563:
	v_and_b32_e32 v2, 1, v3
	v_lshlrev_b32_e32 v2, 1, v2
	ds_read_u16 v2, v2 offset:20
	v_or_b32_e32 v1, 4, v1
	v_mov_b32_e32 v3, 0
	s_waitcnt lgkmcnt(0)
	ds_bpermute_b32 v1, v1, v2
	v_lshlrev_b32_e32 v2, 1, v2
	v_lshl_add_u64 v[4:5], s[66:67], 0, v[2:3]
	v_mov_b32_e32 v2, 1
	s_waitcnt lgkmcnt(0)
	v_lshlrev_b32_sdwa v2, v2, v1 dst_sel:DWORD dst_unused:UNUSED_PAD src0_sel:DWORD src1_sel:WORD_0
	v_lshl_add_u64 v[2:3], v[4:5], 0, v[2:3]
	global_load_ushort v2, v[2:3], off
.LBB848_564:
	s_or_b64 exec, exec, s[6:7]
	s_mov_b64 s[6:7], 0
	s_branch .LBB848_601
.LBB848_565:
                                        ; implicit-def: $vgpr2
	s_cbranch_execnz .LBB848_699
	s_branch .LBB848_707
.LBB848_566:
                                        ; implicit-def: $vgpr2
	s_cbranch_execz .LBB848_698
; %bb.567:
	s_cmp_eq_u32 s80, 2
	s_cbranch_scc0 .LBB848_575
; %bb.568:
	s_mov_b32 s3, 0
	s_lshl_b32 s6, s2, 8
	s_mov_b32 s7, s3
	s_lshr_b64 s[8:9], s[70:71], 8
	s_lshl_b64 s[4:5], s[6:7], 1
	s_add_u32 s4, s68, s4
	s_addc_u32 s5, s69, s5
	s_cmp_lg_u64 s[8:9], s[2:3]
	s_cbranch_scc0 .LBB848_612
; %bb.569:
	v_lshlrev_b32_e32 v1, 1, v0
	global_load_ushort v2, v1, s[4:5] offset:256
	global_load_ushort v6, v1, s[4:5]
	s_waitcnt lgkmcnt(0)
	v_mov_b32_e32 v3, 0
	s_waitcnt vmcnt(1)
	v_lshlrev_b32_e32 v2, 1, v2
	v_lshl_add_u64 v[4:5], s[66:67], 0, v[2:3]
	s_waitcnt vmcnt(0)
	v_lshlrev_b32_e32 v2, 1, v6
	v_lshl_add_u64 v[4:5], v[4:5], 0, v[2:3]
	global_load_ushort v1, v[4:5], off
	v_mov_b32_e32 v6, 1
	s_waitcnt vmcnt(0)
	v_mov_b32_dpp v2, v1 quad_perm:[1,0,3,2] row_mask:0xf bank_mask:0xf bound_ctrl:1
	v_lshlrev_b32_sdwa v2, v6, v2 dst_sel:DWORD dst_unused:UNUSED_PAD src0_sel:DWORD src1_sel:WORD_0
	v_lshl_add_u64 v[4:5], s[66:67], 0, v[2:3]
	v_lshlrev_b32_e32 v2, 1, v1
	v_lshl_add_u64 v[4:5], v[4:5], 0, v[2:3]
	global_load_ushort v1, v[4:5], off
	s_waitcnt vmcnt(0)
	s_nop 0
	v_mov_b32_dpp v2, v1 quad_perm:[2,3,0,1] row_mask:0xf bank_mask:0xf bound_ctrl:1
	v_lshlrev_b32_sdwa v2, v6, v2 dst_sel:DWORD dst_unused:UNUSED_PAD src0_sel:DWORD src1_sel:WORD_0
	v_lshl_add_u64 v[4:5], s[66:67], 0, v[2:3]
	v_lshlrev_b32_e32 v2, 1, v1
	v_lshl_add_u64 v[4:5], v[4:5], 0, v[2:3]
	global_load_ushort v1, v[4:5], off
	s_waitcnt vmcnt(0)
	s_nop 0
	v_mov_b32_dpp v2, v1 row_ror:4 row_mask:0xf bank_mask:0xf bound_ctrl:1
	v_lshlrev_b32_sdwa v2, v6, v2 dst_sel:DWORD dst_unused:UNUSED_PAD src0_sel:DWORD src1_sel:WORD_0
	v_lshl_add_u64 v[4:5], s[66:67], 0, v[2:3]
	v_lshlrev_b32_e32 v2, 1, v1
	v_lshl_add_u64 v[4:5], v[4:5], 0, v[2:3]
	global_load_ushort v1, v[4:5], off
	s_waitcnt vmcnt(0)
	s_nop 0
	v_mov_b32_dpp v2, v1 row_ror:8 row_mask:0xf bank_mask:0xf bound_ctrl:1
	v_lshlrev_b32_sdwa v2, v6, v2 dst_sel:DWORD dst_unused:UNUSED_PAD src0_sel:DWORD src1_sel:WORD_0
	v_lshl_add_u64 v[4:5], s[66:67], 0, v[2:3]
	v_lshlrev_b32_e32 v2, 1, v1
	v_lshl_add_u64 v[4:5], v[4:5], 0, v[2:3]
	global_load_ushort v1, v[4:5], off
	s_waitcnt vmcnt(0)
	s_nop 0
	v_mov_b32_dpp v2, v1 row_bcast:15 row_mask:0xf bank_mask:0xf bound_ctrl:1
	v_lshlrev_b32_sdwa v2, v6, v2 dst_sel:DWORD dst_unused:UNUSED_PAD src0_sel:DWORD src1_sel:WORD_0
	v_lshl_add_u64 v[4:5], s[66:67], 0, v[2:3]
	v_lshlrev_b32_e32 v2, 1, v1
	v_lshl_add_u64 v[4:5], v[4:5], 0, v[2:3]
	global_load_ushort v1, v[4:5], off
	s_waitcnt vmcnt(0)
	s_nop 0
	v_mov_b32_dpp v2, v1 row_bcast:31 row_mask:0xf bank_mask:0xf bound_ctrl:1
	v_lshlrev_b32_sdwa v2, v6, v2 dst_sel:DWORD dst_unused:UNUSED_PAD src0_sel:DWORD src1_sel:WORD_0
	v_lshl_add_u64 v[4:5], s[66:67], 0, v[2:3]
	v_lshlrev_b32_e32 v2, 1, v1
	v_lshl_add_u64 v[2:3], v[4:5], 0, v[2:3]
	global_load_ushort v2, v[2:3], off
	v_mbcnt_lo_u32_b32 v1, -1, 0
	v_mbcnt_hi_u32_b32 v3, -1, v1
	v_lshlrev_b32_e32 v1, 2, v3
	v_or_b32_e32 v4, 0xfc, v1
	v_cmp_eq_u32_e32 vcc, 0, v3
	s_waitcnt vmcnt(0)
	ds_bpermute_b32 v2, v4, v2
	s_and_saveexec_b64 s[8:9], vcc
	s_cbranch_execz .LBB848_571
; %bb.570:
	v_lshrrev_b32_e32 v4, 5, v0
	v_and_b32_e32 v4, 2, v4
	s_waitcnt lgkmcnt(0)
	ds_write_b16 v4, v2 offset:12
.LBB848_571:
	s_or_b64 exec, exec, s[8:9]
	v_cmp_gt_u32_e32 vcc, 64, v0
	s_waitcnt lgkmcnt(0)
	s_barrier
	s_and_saveexec_b64 s[8:9], vcc
	s_cbranch_execz .LBB848_573
; %bb.572:
	v_and_b32_e32 v2, 1, v3
	v_lshlrev_b32_e32 v2, 1, v2
	ds_read_u16 v2, v2 offset:12
	v_or_b32_e32 v1, 4, v1
	v_mov_b32_e32 v3, 0
	s_waitcnt lgkmcnt(0)
	ds_bpermute_b32 v1, v1, v2
	v_lshlrev_b32_e32 v2, 1, v2
	v_lshl_add_u64 v[4:5], s[66:67], 0, v[2:3]
	v_mov_b32_e32 v2, 1
	s_waitcnt lgkmcnt(0)
	v_lshlrev_b32_sdwa v2, v2, v1 dst_sel:DWORD dst_unused:UNUSED_PAD src0_sel:DWORD src1_sel:WORD_0
	v_lshl_add_u64 v[2:3], v[4:5], 0, v[2:3]
	global_load_ushort v2, v[2:3], off
.LBB848_573:
	s_or_b64 exec, exec, s[8:9]
	s_mov_b64 s[8:9], 0
	s_branch .LBB848_613
.LBB848_574:
                                        ; implicit-def: $vgpr2
	s_branch .LBB848_698
.LBB848_575:
                                        ; implicit-def: $vgpr2
	s_branch .LBB848_707
.LBB848_576:
	s_mov_b64 s[6:7], -1
                                        ; implicit-def: $vgpr2
.LBB848_577:
	s_and_b64 vcc, exec, s[6:7]
	s_cbranch_vccz .LBB848_669
; %bb.578:
	s_sub_i32 s20, s70, s4
	s_waitcnt vmcnt(0)
	v_mov_b32_e32 v2, 0
	v_cmp_gt_u32_e32 vcc, s20, v0
	s_waitcnt lgkmcnt(0)
	v_mov_b32_e32 v3, v2
	v_mov_b32_e32 v4, v2
	;; [unrolled: 1-line block ×3, first 2 shown]
	s_and_saveexec_b64 s[4:5], vcc
	s_cbranch_execz .LBB848_580
; %bb.579:
	v_lshlrev_b32_e32 v1, 1, v0
	global_load_ushort v1, v1, s[16:17]
	v_mov_b32_e32 v5, v2
	v_mov_b32_e32 v6, v2
	;; [unrolled: 1-line block ×3, first 2 shown]
	s_waitcnt vmcnt(0)
	v_and_b32_e32 v4, 0xffff, v1
	v_mov_b64_e32 v[2:3], v[4:5]
	v_mov_b64_e32 v[4:5], v[6:7]
.LBB848_580:
	s_or_b64 exec, exec, s[4:5]
	v_or_b32_e32 v1, 0x80, v0
	v_cmp_gt_u32_e32 vcc, s20, v1
	s_and_saveexec_b64 s[4:5], vcc
	s_cbranch_execz .LBB848_582
; %bb.581:
	v_lshlrev_b32_e32 v1, 1, v0
	global_load_ushort v1, v1, s[16:17] offset:256
	s_mov_b32 s6, 0x5040100
	s_waitcnt vmcnt(0)
	v_perm_b32 v2, v1, v2, s6
.LBB848_582:
	s_or_b64 exec, exec, s[4:5]
	v_or_b32_e32 v1, 0x100, v0
	v_cmp_gt_u32_e64 s[4:5], s20, v1
	s_and_saveexec_b64 s[6:7], s[4:5]
	s_cbranch_execz .LBB848_584
; %bb.583:
	v_lshlrev_b32_e32 v1, 1, v0
	global_load_ushort v1, v1, s[16:17] offset:512
	s_mov_b32 s8, 0xffff
	s_waitcnt vmcnt(0)
	v_bfi_b32 v3, s8, v1, v3
.LBB848_584:
	s_or_b64 exec, exec, s[6:7]
	v_or_b32_e32 v1, 0x180, v0
	v_cmp_gt_u32_e64 s[6:7], s20, v1
	s_and_saveexec_b64 s[8:9], s[6:7]
	s_cbranch_execz .LBB848_586
; %bb.585:
	v_lshlrev_b32_e32 v1, 1, v0
	global_load_ushort v1, v1, s[16:17] offset:768
	s_mov_b32 s10, 0x5040100
	s_waitcnt vmcnt(0)
	v_perm_b32 v3, v1, v3, s10
.LBB848_586:
	s_or_b64 exec, exec, s[8:9]
	v_or_b32_e32 v1, 0x200, v0
	v_cmp_gt_u32_e64 s[8:9], s20, v1
	s_and_saveexec_b64 s[10:11], s[8:9]
	s_cbranch_execz .LBB848_588
; %bb.587:
	v_lshlrev_b32_e32 v1, 1, v0
	global_load_ushort v1, v1, s[16:17] offset:1024
	s_mov_b32 s12, 0xffff
	s_waitcnt vmcnt(0)
	v_bfi_b32 v4, s12, v1, v4
.LBB848_588:
	s_or_b64 exec, exec, s[10:11]
	v_or_b32_e32 v1, 0x280, v0
	v_cmp_gt_u32_e64 s[10:11], s20, v1
	s_and_saveexec_b64 s[12:13], s[10:11]
	;; [unrolled: 24-line block ×3, first 2 shown]
	s_cbranch_execz .LBB848_642
; %bb.593:
	v_lshlrev_b32_e32 v1, 1, v0
	global_load_ushort v1, v1, s[16:17] offset:1792
	s_mov_b32 s16, 0x5040100
	s_waitcnt vmcnt(0)
	v_perm_b32 v5, v1, v5, s16
	s_or_b64 exec, exec, s[18:19]
	s_and_saveexec_b64 s[16:17], vcc
	s_cbranch_execnz .LBB848_643
.LBB848_594:
	s_or_b64 exec, exec, s[16:17]
	s_and_saveexec_b64 s[16:17], s[4:5]
	s_cbranch_execz .LBB848_644
.LBB848_595:
	v_mov_b32_e32 v1, 1
	s_waitcnt vmcnt(0)
	v_lshlrev_b32_sdwa v6, v1, v2 dst_sel:DWORD dst_unused:UNUSED_PAD src0_sel:DWORD src1_sel:WORD_0
	v_mov_b32_e32 v7, 0
	v_lshl_add_u64 v[8:9], s[66:67], 0, v[6:7]
	v_lshlrev_b32_sdwa v6, v1, v3 dst_sel:DWORD dst_unused:UNUSED_PAD src0_sel:DWORD src1_sel:WORD_0
	v_lshl_add_u64 v[6:7], v[8:9], 0, v[6:7]
	global_load_ushort v2, v[6:7], off
	s_or_b64 exec, exec, s[16:17]
	s_and_saveexec_b64 s[4:5], s[6:7]
	s_cbranch_execnz .LBB848_645
.LBB848_596:
	s_or_b64 exec, exec, s[4:5]
	s_and_saveexec_b64 s[4:5], s[8:9]
	s_cbranch_execz .LBB848_646
.LBB848_597:
	v_mov_b32_e32 v1, 1
	s_waitcnt vmcnt(0)
	v_lshlrev_b32_sdwa v2, v1, v2 dst_sel:DWORD dst_unused:UNUSED_PAD src0_sel:DWORD src1_sel:WORD_0
	v_mov_b32_e32 v3, 0
	v_lshl_add_u64 v[6:7], s[66:67], 0, v[2:3]
	v_lshlrev_b32_sdwa v2, v1, v4 dst_sel:DWORD dst_unused:UNUSED_PAD src0_sel:DWORD src1_sel:WORD_0
	v_lshl_add_u64 v[2:3], v[6:7], 0, v[2:3]
	global_load_ushort v2, v[2:3], off
	s_or_b64 exec, exec, s[4:5]
	s_and_saveexec_b64 s[4:5], s[10:11]
	s_cbranch_execnz .LBB848_647
.LBB848_598:
	s_or_b64 exec, exec, s[4:5]
	s_and_saveexec_b64 s[4:5], s[12:13]
	s_cbranch_execz .LBB848_648
.LBB848_599:
	v_mov_b32_e32 v1, 1
	s_waitcnt vmcnt(0)
	v_lshlrev_b32_sdwa v2, v1, v2 dst_sel:DWORD dst_unused:UNUSED_PAD src0_sel:DWORD src1_sel:WORD_0
	v_mov_b32_e32 v3, 0
	v_lshl_add_u64 v[6:7], s[66:67], 0, v[2:3]
	v_lshlrev_b32_sdwa v2, v1, v5 dst_sel:DWORD dst_unused:UNUSED_PAD src0_sel:DWORD src1_sel:WORD_0
	v_lshl_add_u64 v[2:3], v[6:7], 0, v[2:3]
	global_load_ushort v2, v[2:3], off
	s_or_b64 exec, exec, s[4:5]
	s_and_saveexec_b64 s[4:5], s[14:15]
	s_cbranch_execnz .LBB848_649
	s_branch .LBB848_650
.LBB848_600:
	s_mov_b64 s[6:7], -1
                                        ; implicit-def: $vgpr2
.LBB848_601:
	s_and_b64 vcc, exec, s[6:7]
	s_cbranch_vccz .LBB848_695
; %bb.602:
	s_sub_i32 s12, s70, s4
	s_waitcnt vmcnt(0)
	v_mov_b32_e32 v2, 0
	v_cmp_gt_u32_e32 vcc, s12, v0
	s_waitcnt lgkmcnt(0)
	v_mov_b32_e32 v3, v2
	s_and_saveexec_b64 s[4:5], vcc
	s_cbranch_execz .LBB848_604
; %bb.603:
	v_lshlrev_b32_e32 v1, 1, v0
	global_load_ushort v1, v1, s[8:9]
	v_mov_b32_e32 v5, v2
	s_waitcnt vmcnt(0)
	v_and_b32_e32 v4, 0xffff, v1
	v_mov_b64_e32 v[2:3], v[4:5]
.LBB848_604:
	s_or_b64 exec, exec, s[4:5]
	v_or_b32_e32 v1, 0x80, v0
	v_cmp_gt_u32_e64 s[6:7], s12, v1
	s_and_saveexec_b64 s[4:5], s[6:7]
	s_cbranch_execz .LBB848_606
; %bb.605:
	v_lshlrev_b32_e32 v1, 1, v0
	global_load_ushort v1, v1, s[8:9] offset:256
	s_mov_b32 s10, 0x5040100
	s_waitcnt vmcnt(0)
	v_perm_b32 v2, v1, v2, s10
.LBB848_606:
	s_or_b64 exec, exec, s[4:5]
	v_or_b32_e32 v1, 0x100, v0
	v_cmp_gt_u32_e64 s[4:5], s12, v1
	s_and_saveexec_b64 s[10:11], s[4:5]
	s_cbranch_execz .LBB848_608
; %bb.607:
	v_lshlrev_b32_e32 v1, 1, v0
	global_load_ushort v1, v1, s[8:9] offset:512
	s_mov_b32 s13, 0xffff
	s_waitcnt vmcnt(0)
	v_bfi_b32 v3, s13, v1, v3
.LBB848_608:
	s_or_b64 exec, exec, s[10:11]
	v_or_b32_e32 v1, 0x180, v0
	v_cmp_gt_u32_e32 vcc, s12, v1
	s_and_saveexec_b64 s[10:11], vcc
	s_cbranch_execz .LBB848_672
; %bb.609:
	v_lshlrev_b32_e32 v1, 1, v0
	global_load_ushort v1, v1, s[8:9] offset:768
	s_mov_b32 s8, 0x5040100
	s_waitcnt vmcnt(0)
	v_perm_b32 v3, v1, v3, s8
	s_or_b64 exec, exec, s[10:11]
	s_and_saveexec_b64 s[8:9], s[6:7]
	s_cbranch_execnz .LBB848_673
.LBB848_610:
	s_or_b64 exec, exec, s[8:9]
	s_and_saveexec_b64 s[6:7], s[4:5]
	s_cbranch_execz .LBB848_674
.LBB848_611:
	v_mov_b32_e32 v1, 1
	s_waitcnt vmcnt(0)
	v_lshlrev_b32_sdwa v4, v1, v2 dst_sel:DWORD dst_unused:UNUSED_PAD src0_sel:DWORD src1_sel:WORD_0
	v_mov_b32_e32 v5, 0
	v_lshl_add_u64 v[6:7], s[66:67], 0, v[4:5]
	v_lshlrev_b32_sdwa v4, v1, v3 dst_sel:DWORD dst_unused:UNUSED_PAD src0_sel:DWORD src1_sel:WORD_0
	v_lshl_add_u64 v[4:5], v[6:7], 0, v[4:5]
	global_load_ushort v2, v[4:5], off
	s_or_b64 exec, exec, s[6:7]
	s_and_saveexec_b64 s[4:5], vcc
	s_cbranch_execnz .LBB848_675
	s_branch .LBB848_676
.LBB848_612:
	s_mov_b64 s[8:9], -1
                                        ; implicit-def: $vgpr2
.LBB848_613:
	s_and_b64 vcc, exec, s[8:9]
	s_cbranch_vccz .LBB848_639
; %bb.614:
	s_sub_i32 s8, s70, s6
	v_cmp_gt_u32_e32 vcc, s8, v0
	s_waitcnt vmcnt(0)
	v_mov_b32_e32 v2, 0
	s_and_saveexec_b64 s[6:7], vcc
	s_cbranch_execz .LBB848_616
; %bb.615:
	v_lshlrev_b32_e32 v1, 1, v0
	global_load_ushort v1, v1, s[4:5]
	s_waitcnt vmcnt(0)
	v_and_b32_e32 v2, 0xffff, v1
.LBB848_616:
	s_or_b64 exec, exec, s[6:7]
	v_or_b32_e32 v1, 0x80, v0
	v_cmp_gt_u32_e32 vcc, s8, v1
	s_and_saveexec_b64 s[6:7], vcc
	s_cbranch_execz .LBB848_618
; %bb.617:
	v_lshlrev_b32_e32 v1, 1, v0
	global_load_ushort v1, v1, s[4:5] offset:256
	s_mov_b32 s4, 0x5040100
	s_waitcnt vmcnt(0)
	v_perm_b32 v2, v1, v2, s4
.LBB848_618:
	s_or_b64 exec, exec, s[6:7]
	s_and_saveexec_b64 s[4:5], vcc
	s_cbranch_execz .LBB848_620
; %bb.619:
	v_mov_b32_e32 v1, 1
	v_lshlrev_b32_sdwa v4, v1, v2 dst_sel:DWORD dst_unused:UNUSED_PAD src0_sel:DWORD src1_sel:WORD_1
	v_mov_b32_e32 v5, 0
	v_lshl_add_u64 v[6:7], s[66:67], 0, v[4:5]
	v_lshlrev_b32_sdwa v4, v1, v2 dst_sel:DWORD dst_unused:UNUSED_PAD src0_sel:DWORD src1_sel:WORD_0
	s_waitcnt lgkmcnt(0)
	v_lshl_add_u64 v[2:3], v[6:7], 0, v[4:5]
	global_load_ushort v2, v[2:3], off
.LBB848_620:
	s_or_b64 exec, exec, s[4:5]
	v_mbcnt_lo_u32_b32 v1, -1, 0
	v_mbcnt_hi_u32_b32 v1, -1, v1
	s_waitcnt lgkmcnt(0)
	v_and_b32_e32 v3, 63, v1
	v_cmp_ne_u32_e32 vcc, 63, v3
	s_waitcnt vmcnt(0)
	v_and_b32_e32 v5, 0xffff, v2
	s_min_u32 s6, s8, 0x80
	v_addc_co_u32_e32 v4, vcc, 0, v1, vcc
	v_lshlrev_b32_e32 v4, 2, v4
	ds_bpermute_b32 v6, v4, v5
	v_and_b32_e32 v4, 64, v0
	v_sub_u32_e64 v4, s6, v4 clamp
	v_add_u32_e32 v7, 1, v3
	v_cmp_lt_u32_e32 vcc, v7, v4
	s_and_saveexec_b64 s[4:5], vcc
	s_xor_b64 s[4:5], exec, s[4:5]
	s_cbranch_execz .LBB848_622
; %bb.621:
	v_mov_b32_e32 v5, 1
	v_lshlrev_b32_sdwa v8, v5, v2 dst_sel:DWORD dst_unused:UNUSED_PAD src0_sel:DWORD src1_sel:WORD_0
	v_mov_b32_e32 v9, 0
	v_lshl_add_u64 v[10:11], s[66:67], 0, v[8:9]
	s_waitcnt lgkmcnt(0)
	v_lshlrev_b32_sdwa v8, v5, v6 dst_sel:DWORD dst_unused:UNUSED_PAD src0_sel:DWORD src1_sel:WORD_0
	v_lshl_add_u64 v[6:7], v[10:11], 0, v[8:9]
	global_load_ushort v2, v[6:7], off
	s_waitcnt vmcnt(0)
	v_and_b32_e32 v5, 0xffff, v2
.LBB848_622:
	s_or_b64 exec, exec, s[4:5]
	v_cmp_gt_u32_e32 vcc, 62, v3
	v_add_u32_e32 v7, 2, v3
	s_waitcnt lgkmcnt(0)
	v_cndmask_b32_e64 v6, 0, 2, vcc
	v_add_lshl_u32 v6, v6, v1, 2
	ds_bpermute_b32 v6, v6, v5
	v_cmp_lt_u32_e32 vcc, v7, v4
	s_and_saveexec_b64 s[4:5], vcc
	s_cbranch_execz .LBB848_624
; %bb.623:
	v_mov_b32_e32 v5, 1
	v_lshlrev_b32_sdwa v8, v5, v2 dst_sel:DWORD dst_unused:UNUSED_PAD src0_sel:DWORD src1_sel:WORD_0
	v_mov_b32_e32 v9, 0
	v_lshl_add_u64 v[10:11], s[66:67], 0, v[8:9]
	s_waitcnt lgkmcnt(0)
	v_lshlrev_b32_sdwa v8, v5, v6 dst_sel:DWORD dst_unused:UNUSED_PAD src0_sel:DWORD src1_sel:WORD_0
	v_lshl_add_u64 v[6:7], v[10:11], 0, v[8:9]
	global_load_ushort v2, v[6:7], off
	s_waitcnt vmcnt(0)
	v_and_b32_e32 v5, 0xffff, v2
.LBB848_624:
	s_or_b64 exec, exec, s[4:5]
	v_cmp_gt_u32_e32 vcc, 60, v3
	v_add_u32_e32 v7, 4, v3
	s_waitcnt lgkmcnt(0)
	v_cndmask_b32_e64 v6, 0, 4, vcc
	v_add_lshl_u32 v6, v6, v1, 2
	ds_bpermute_b32 v6, v6, v5
	v_cmp_lt_u32_e32 vcc, v7, v4
	s_and_saveexec_b64 s[4:5], vcc
	;; [unrolled: 22-line block ×4, first 2 shown]
	s_cbranch_execz .LBB848_630
; %bb.629:
	v_mov_b32_e32 v5, 1
	v_lshlrev_b32_sdwa v8, v5, v2 dst_sel:DWORD dst_unused:UNUSED_PAD src0_sel:DWORD src1_sel:WORD_0
	v_mov_b32_e32 v9, 0
	v_lshl_add_u64 v[10:11], s[66:67], 0, v[8:9]
	s_waitcnt lgkmcnt(0)
	v_lshlrev_b32_sdwa v8, v5, v6 dst_sel:DWORD dst_unused:UNUSED_PAD src0_sel:DWORD src1_sel:WORD_0
	v_lshl_add_u64 v[6:7], v[10:11], 0, v[8:9]
	global_load_ushort v2, v[6:7], off
	s_waitcnt vmcnt(0)
	v_and_b32_e32 v5, 0xffff, v2
.LBB848_630:
	s_or_b64 exec, exec, s[4:5]
	s_waitcnt lgkmcnt(0)
	v_lshlrev_b32_e32 v6, 2, v1
	v_or_b32_e32 v7, 0x80, v6
	ds_bpermute_b32 v5, v7, v5
	v_add_u32_e32 v3, 32, v3
	v_cmp_lt_u32_e32 vcc, v3, v4
	s_and_saveexec_b64 s[4:5], vcc
	s_cbranch_execz .LBB848_632
; %bb.631:
	v_mov_b32_e32 v4, 1
	v_lshlrev_b32_sdwa v2, v4, v2 dst_sel:DWORD dst_unused:UNUSED_PAD src0_sel:DWORD src1_sel:WORD_0
	v_mov_b32_e32 v3, 0
	v_lshl_add_u64 v[8:9], s[66:67], 0, v[2:3]
	s_waitcnt lgkmcnt(0)
	v_lshlrev_b32_sdwa v2, v4, v5 dst_sel:DWORD dst_unused:UNUSED_PAD src0_sel:DWORD src1_sel:WORD_0
	v_lshl_add_u64 v[2:3], v[8:9], 0, v[2:3]
	global_load_ushort v2, v[2:3], off
.LBB848_632:
	s_or_b64 exec, exec, s[4:5]
	v_cmp_eq_u32_e32 vcc, 0, v1
	s_and_saveexec_b64 s[4:5], vcc
	s_cbranch_execz .LBB848_634
; %bb.633:
	v_lshrrev_b32_e32 v3, 5, v0
	v_and_b32_e32 v3, 2, v3
	s_waitcnt vmcnt(0)
	ds_write_b16 v3, v2
.LBB848_634:
	s_or_b64 exec, exec, s[4:5]
	v_cmp_gt_u32_e32 vcc, 2, v0
	s_waitcnt lgkmcnt(0)
	s_barrier
	s_and_saveexec_b64 s[4:5], vcc
	s_cbranch_execz .LBB848_638
; %bb.635:
	s_waitcnt vmcnt(0)
	v_lshlrev_b32_e32 v2, 1, v1
	ds_read_u16 v2, v2
	v_or_b32_e32 v3, 4, v6
	s_add_i32 s6, s6, 63
	v_and_b32_e32 v1, 1, v1
	s_lshr_b32 s6, s6, 6
	s_waitcnt lgkmcnt(0)
	v_and_b32_e32 v4, 0xffff, v2
	ds_bpermute_b32 v3, v3, v4
	v_add_u32_e32 v1, 1, v1
	v_cmp_gt_u32_e32 vcc, s6, v1
	s_and_saveexec_b64 s[6:7], vcc
	s_cbranch_execz .LBB848_637
; %bb.636:
	v_lshlrev_b32_e32 v4, 1, v4
	v_mov_b32_e32 v5, 0
	v_mov_b32_e32 v1, 1
	v_lshl_add_u64 v[6:7], s[66:67], 0, v[4:5]
	s_waitcnt lgkmcnt(0)
	v_lshlrev_b32_sdwa v4, v1, v3 dst_sel:DWORD dst_unused:UNUSED_PAD src0_sel:DWORD src1_sel:WORD_0
	v_lshl_add_u64 v[2:3], v[6:7], 0, v[4:5]
	global_load_ushort v2, v[2:3], off
.LBB848_637:
	s_or_b64 exec, exec, s[6:7]
.LBB848_638:
	s_or_b64 exec, exec, s[4:5]
.LBB848_639:
	v_cmp_eq_u32_e32 vcc, 0, v0
	s_and_saveexec_b64 s[4:5], vcc
	s_xor_b64 s[4:5], exec, s[4:5]
	s_cbranch_execz .LBB848_641
; %bb.640:
	s_cmp_eq_u64 s[70:71], 0
	s_cselect_b64 s[6:7], -1, 0
	s_cmp_lg_u64 s[70:71], 0
	s_cselect_b64 s[8:9], -1, 0
	s_andn2_b64 s[10:11], s[72:73], exec
	s_and_b64 s[6:7], s[6:7], exec
	s_or_b64 s[72:73], s[10:11], s[6:7]
	s_andn2_b64 s[6:7], s[74:75], exec
	s_and_b64 s[8:9], s[8:9], exec
	s_or_b64 s[74:75], s[6:7], s[8:9]
.LBB848_641:
	s_or_b64 exec, exec, s[4:5]
	s_branch .LBB848_707
.LBB848_642:
	s_or_b64 exec, exec, s[18:19]
	s_and_saveexec_b64 s[16:17], vcc
	s_cbranch_execz .LBB848_594
.LBB848_643:
	v_mov_b32_e32 v1, 1
	v_lshlrev_b32_sdwa v6, v1, v2 dst_sel:DWORD dst_unused:UNUSED_PAD src0_sel:DWORD src1_sel:WORD_0
	v_mov_b32_e32 v7, 0
	v_lshl_add_u64 v[8:9], s[66:67], 0, v[6:7]
	v_lshlrev_b32_sdwa v6, v1, v2 dst_sel:DWORD dst_unused:UNUSED_PAD src0_sel:DWORD src1_sel:WORD_1
	v_lshl_add_u64 v[6:7], v[8:9], 0, v[6:7]
	global_load_ushort v2, v[6:7], off
	s_or_b64 exec, exec, s[16:17]
	s_and_saveexec_b64 s[16:17], s[4:5]
	s_cbranch_execnz .LBB848_595
.LBB848_644:
	s_or_b64 exec, exec, s[16:17]
	s_and_saveexec_b64 s[4:5], s[6:7]
	s_cbranch_execz .LBB848_596
.LBB848_645:
	v_mov_b32_e32 v1, 1
	s_waitcnt vmcnt(0)
	v_lshlrev_b32_sdwa v6, v1, v2 dst_sel:DWORD dst_unused:UNUSED_PAD src0_sel:DWORD src1_sel:WORD_0
	v_mov_b32_e32 v7, 0
	v_lshl_add_u64 v[8:9], s[66:67], 0, v[6:7]
	v_lshlrev_b32_sdwa v6, v1, v3 dst_sel:DWORD dst_unused:UNUSED_PAD src0_sel:DWORD src1_sel:WORD_1
	v_lshl_add_u64 v[2:3], v[8:9], 0, v[6:7]
	global_load_ushort v2, v[2:3], off
	s_or_b64 exec, exec, s[4:5]
	s_and_saveexec_b64 s[4:5], s[8:9]
	s_cbranch_execnz .LBB848_597
.LBB848_646:
	s_or_b64 exec, exec, s[4:5]
	s_and_saveexec_b64 s[4:5], s[10:11]
	s_cbranch_execz .LBB848_598
.LBB848_647:
	v_mov_b32_e32 v1, 1
	s_waitcnt vmcnt(0)
	v_lshlrev_b32_sdwa v2, v1, v2 dst_sel:DWORD dst_unused:UNUSED_PAD src0_sel:DWORD src1_sel:WORD_0
	v_mov_b32_e32 v3, 0
	v_lshl_add_u64 v[6:7], s[66:67], 0, v[2:3]
	v_lshlrev_b32_sdwa v2, v1, v4 dst_sel:DWORD dst_unused:UNUSED_PAD src0_sel:DWORD src1_sel:WORD_1
	v_lshl_add_u64 v[2:3], v[6:7], 0, v[2:3]
	global_load_ushort v2, v[2:3], off
	s_or_b64 exec, exec, s[4:5]
	s_and_saveexec_b64 s[4:5], s[12:13]
	s_cbranch_execnz .LBB848_599
.LBB848_648:
	s_or_b64 exec, exec, s[4:5]
	s_and_saveexec_b64 s[4:5], s[14:15]
	s_cbranch_execz .LBB848_650
.LBB848_649:
	v_mov_b32_e32 v1, 1
	s_waitcnt vmcnt(0)
	v_lshlrev_b32_sdwa v2, v1, v2 dst_sel:DWORD dst_unused:UNUSED_PAD src0_sel:DWORD src1_sel:WORD_0
	v_mov_b32_e32 v3, 0
	v_lshl_add_u64 v[6:7], s[66:67], 0, v[2:3]
	v_lshlrev_b32_sdwa v2, v1, v5 dst_sel:DWORD dst_unused:UNUSED_PAD src0_sel:DWORD src1_sel:WORD_1
	v_lshl_add_u64 v[2:3], v[6:7], 0, v[2:3]
	global_load_ushort v2, v[2:3], off
.LBB848_650:
	s_or_b64 exec, exec, s[4:5]
	v_mbcnt_lo_u32_b32 v1, -1, 0
	v_mbcnt_hi_u32_b32 v1, -1, v1
	v_and_b32_e32 v3, 63, v1
	v_cmp_ne_u32_e32 vcc, 63, v3
	s_waitcnt vmcnt(0)
	v_and_b32_e32 v5, 0xffff, v2
	s_min_u32 s6, s20, 0x80
	v_addc_co_u32_e32 v4, vcc, 0, v1, vcc
	v_lshlrev_b32_e32 v4, 2, v4
	ds_bpermute_b32 v6, v4, v5
	v_and_b32_e32 v4, 64, v0
	v_sub_u32_e64 v4, s6, v4 clamp
	v_add_u32_e32 v7, 1, v3
	v_cmp_lt_u32_e32 vcc, v7, v4
	s_and_saveexec_b64 s[4:5], vcc
	s_xor_b64 s[4:5], exec, s[4:5]
	s_cbranch_execz .LBB848_652
; %bb.651:
	v_mov_b32_e32 v5, 1
	v_lshlrev_b32_sdwa v8, v5, v2 dst_sel:DWORD dst_unused:UNUSED_PAD src0_sel:DWORD src1_sel:WORD_0
	v_mov_b32_e32 v9, 0
	v_lshl_add_u64 v[10:11], s[66:67], 0, v[8:9]
	s_waitcnt lgkmcnt(0)
	v_lshlrev_b32_sdwa v8, v5, v6 dst_sel:DWORD dst_unused:UNUSED_PAD src0_sel:DWORD src1_sel:WORD_0
	v_lshl_add_u64 v[6:7], v[10:11], 0, v[8:9]
	global_load_ushort v2, v[6:7], off
	s_waitcnt vmcnt(0)
	v_and_b32_e32 v5, 0xffff, v2
.LBB848_652:
	s_or_b64 exec, exec, s[4:5]
	v_cmp_gt_u32_e32 vcc, 62, v3
	v_add_u32_e32 v7, 2, v3
	s_waitcnt lgkmcnt(0)
	v_cndmask_b32_e64 v6, 0, 2, vcc
	v_add_lshl_u32 v6, v6, v1, 2
	ds_bpermute_b32 v6, v6, v5
	v_cmp_lt_u32_e32 vcc, v7, v4
	s_and_saveexec_b64 s[4:5], vcc
	s_cbranch_execz .LBB848_654
; %bb.653:
	v_mov_b32_e32 v5, 1
	v_lshlrev_b32_sdwa v8, v5, v2 dst_sel:DWORD dst_unused:UNUSED_PAD src0_sel:DWORD src1_sel:WORD_0
	v_mov_b32_e32 v9, 0
	v_lshl_add_u64 v[10:11], s[66:67], 0, v[8:9]
	s_waitcnt lgkmcnt(0)
	v_lshlrev_b32_sdwa v8, v5, v6 dst_sel:DWORD dst_unused:UNUSED_PAD src0_sel:DWORD src1_sel:WORD_0
	v_lshl_add_u64 v[6:7], v[10:11], 0, v[8:9]
	global_load_ushort v2, v[6:7], off
	s_waitcnt vmcnt(0)
	v_and_b32_e32 v5, 0xffff, v2
.LBB848_654:
	s_or_b64 exec, exec, s[4:5]
	v_cmp_gt_u32_e32 vcc, 60, v3
	v_add_u32_e32 v7, 4, v3
	s_waitcnt lgkmcnt(0)
	v_cndmask_b32_e64 v6, 0, 4, vcc
	v_add_lshl_u32 v6, v6, v1, 2
	ds_bpermute_b32 v6, v6, v5
	v_cmp_lt_u32_e32 vcc, v7, v4
	s_and_saveexec_b64 s[4:5], vcc
	;; [unrolled: 22-line block ×4, first 2 shown]
	s_cbranch_execz .LBB848_660
; %bb.659:
	v_mov_b32_e32 v5, 1
	v_lshlrev_b32_sdwa v8, v5, v2 dst_sel:DWORD dst_unused:UNUSED_PAD src0_sel:DWORD src1_sel:WORD_0
	v_mov_b32_e32 v9, 0
	v_lshl_add_u64 v[10:11], s[66:67], 0, v[8:9]
	s_waitcnt lgkmcnt(0)
	v_lshlrev_b32_sdwa v8, v5, v6 dst_sel:DWORD dst_unused:UNUSED_PAD src0_sel:DWORD src1_sel:WORD_0
	v_lshl_add_u64 v[6:7], v[10:11], 0, v[8:9]
	global_load_ushort v2, v[6:7], off
	s_waitcnt vmcnt(0)
	v_and_b32_e32 v5, 0xffff, v2
.LBB848_660:
	s_or_b64 exec, exec, s[4:5]
	s_waitcnt lgkmcnt(0)
	v_lshlrev_b32_e32 v6, 2, v1
	v_or_b32_e32 v7, 0x80, v6
	ds_bpermute_b32 v5, v7, v5
	v_add_u32_e32 v3, 32, v3
	v_cmp_lt_u32_e32 vcc, v3, v4
	s_and_saveexec_b64 s[4:5], vcc
	s_cbranch_execz .LBB848_662
; %bb.661:
	v_mov_b32_e32 v4, 1
	v_lshlrev_b32_sdwa v2, v4, v2 dst_sel:DWORD dst_unused:UNUSED_PAD src0_sel:DWORD src1_sel:WORD_0
	v_mov_b32_e32 v3, 0
	v_lshl_add_u64 v[8:9], s[66:67], 0, v[2:3]
	s_waitcnt lgkmcnt(0)
	v_lshlrev_b32_sdwa v2, v4, v5 dst_sel:DWORD dst_unused:UNUSED_PAD src0_sel:DWORD src1_sel:WORD_0
	v_lshl_add_u64 v[2:3], v[8:9], 0, v[2:3]
	global_load_ushort v2, v[2:3], off
.LBB848_662:
	s_or_b64 exec, exec, s[4:5]
	v_cmp_eq_u32_e32 vcc, 0, v1
	s_and_saveexec_b64 s[4:5], vcc
	s_cbranch_execz .LBB848_664
; %bb.663:
	v_lshrrev_b32_e32 v3, 5, v0
	v_and_b32_e32 v3, 2, v3
	s_waitcnt vmcnt(0)
	ds_write_b16 v3, v2
.LBB848_664:
	s_or_b64 exec, exec, s[4:5]
	v_cmp_gt_u32_e32 vcc, 2, v0
	s_waitcnt lgkmcnt(0)
	s_barrier
	s_and_saveexec_b64 s[4:5], vcc
	s_cbranch_execz .LBB848_668
; %bb.665:
	s_waitcnt vmcnt(0)
	v_lshlrev_b32_e32 v2, 1, v1
	ds_read_u16 v2, v2
	v_or_b32_e32 v3, 4, v6
	s_add_i32 s6, s6, 63
	v_and_b32_e32 v1, 1, v1
	s_lshr_b32 s6, s6, 6
	s_waitcnt lgkmcnt(0)
	v_and_b32_e32 v4, 0xffff, v2
	ds_bpermute_b32 v3, v3, v4
	v_add_u32_e32 v1, 1, v1
	v_cmp_gt_u32_e32 vcc, s6, v1
	s_and_saveexec_b64 s[6:7], vcc
	s_cbranch_execz .LBB848_667
; %bb.666:
	v_lshlrev_b32_e32 v4, 1, v4
	v_mov_b32_e32 v5, 0
	v_mov_b32_e32 v1, 1
	v_lshl_add_u64 v[6:7], s[66:67], 0, v[4:5]
	s_waitcnt lgkmcnt(0)
	v_lshlrev_b32_sdwa v4, v1, v3 dst_sel:DWORD dst_unused:UNUSED_PAD src0_sel:DWORD src1_sel:WORD_0
	v_lshl_add_u64 v[2:3], v[6:7], 0, v[4:5]
	global_load_ushort v2, v[2:3], off
.LBB848_667:
	s_or_b64 exec, exec, s[6:7]
.LBB848_668:
	s_or_b64 exec, exec, s[4:5]
.LBB848_669:
	v_cmp_eq_u32_e32 vcc, 0, v0
	s_and_saveexec_b64 s[4:5], vcc
	s_xor_b64 s[4:5], exec, s[4:5]
	s_cbranch_execz .LBB848_671
; %bb.670:
	s_cmp_eq_u64 s[70:71], 0
	s_cselect_b64 s[6:7], -1, 0
	s_cmp_lg_u64 s[70:71], 0
	s_cselect_b64 s[8:9], -1, 0
	s_andn2_b64 s[10:11], s[72:73], exec
	s_and_b64 s[6:7], s[6:7], exec
	s_or_b64 s[72:73], s[10:11], s[6:7]
	s_andn2_b64 s[6:7], s[74:75], exec
	s_and_b64 s[8:9], s[8:9], exec
	s_or_b64 s[74:75], s[6:7], s[8:9]
.LBB848_671:
	s_or_b64 exec, exec, s[4:5]
	s_branch .LBB848_707
.LBB848_672:
	s_or_b64 exec, exec, s[10:11]
	s_and_saveexec_b64 s[8:9], s[6:7]
	s_cbranch_execz .LBB848_610
.LBB848_673:
	v_mov_b32_e32 v1, 1
	v_lshlrev_b32_sdwa v4, v1, v2 dst_sel:DWORD dst_unused:UNUSED_PAD src0_sel:DWORD src1_sel:WORD_0
	v_mov_b32_e32 v5, 0
	v_lshl_add_u64 v[6:7], s[66:67], 0, v[4:5]
	v_lshlrev_b32_sdwa v4, v1, v2 dst_sel:DWORD dst_unused:UNUSED_PAD src0_sel:DWORD src1_sel:WORD_1
	v_lshl_add_u64 v[4:5], v[6:7], 0, v[4:5]
	global_load_ushort v2, v[4:5], off
	s_or_b64 exec, exec, s[8:9]
	s_and_saveexec_b64 s[6:7], s[4:5]
	s_cbranch_execnz .LBB848_611
.LBB848_674:
	s_or_b64 exec, exec, s[6:7]
	s_and_saveexec_b64 s[4:5], vcc
	s_cbranch_execz .LBB848_676
.LBB848_675:
	v_mov_b32_e32 v1, 1
	s_waitcnt vmcnt(0)
	v_lshlrev_b32_sdwa v4, v1, v2 dst_sel:DWORD dst_unused:UNUSED_PAD src0_sel:DWORD src1_sel:WORD_0
	v_mov_b32_e32 v5, 0
	v_lshl_add_u64 v[6:7], s[66:67], 0, v[4:5]
	v_lshlrev_b32_sdwa v4, v1, v3 dst_sel:DWORD dst_unused:UNUSED_PAD src0_sel:DWORD src1_sel:WORD_1
	v_lshl_add_u64 v[2:3], v[6:7], 0, v[4:5]
	global_load_ushort v2, v[2:3], off
.LBB848_676:
	s_or_b64 exec, exec, s[4:5]
	v_mbcnt_lo_u32_b32 v1, -1, 0
	v_mbcnt_hi_u32_b32 v1, -1, v1
	v_and_b32_e32 v3, 63, v1
	v_cmp_ne_u32_e32 vcc, 63, v3
	s_waitcnt vmcnt(0)
	v_and_b32_e32 v5, 0xffff, v2
	s_min_u32 s6, s12, 0x80
	v_addc_co_u32_e32 v4, vcc, 0, v1, vcc
	v_lshlrev_b32_e32 v4, 2, v4
	ds_bpermute_b32 v6, v4, v5
	v_and_b32_e32 v4, 64, v0
	v_sub_u32_e64 v4, s6, v4 clamp
	v_add_u32_e32 v7, 1, v3
	v_cmp_lt_u32_e32 vcc, v7, v4
	s_and_saveexec_b64 s[4:5], vcc
	s_xor_b64 s[4:5], exec, s[4:5]
	s_cbranch_execz .LBB848_678
; %bb.677:
	v_mov_b32_e32 v5, 1
	v_lshlrev_b32_sdwa v8, v5, v2 dst_sel:DWORD dst_unused:UNUSED_PAD src0_sel:DWORD src1_sel:WORD_0
	v_mov_b32_e32 v9, 0
	v_lshl_add_u64 v[10:11], s[66:67], 0, v[8:9]
	s_waitcnt lgkmcnt(0)
	v_lshlrev_b32_sdwa v8, v5, v6 dst_sel:DWORD dst_unused:UNUSED_PAD src0_sel:DWORD src1_sel:WORD_0
	v_lshl_add_u64 v[6:7], v[10:11], 0, v[8:9]
	global_load_ushort v2, v[6:7], off
	s_waitcnt vmcnt(0)
	v_and_b32_e32 v5, 0xffff, v2
.LBB848_678:
	s_or_b64 exec, exec, s[4:5]
	v_cmp_gt_u32_e32 vcc, 62, v3
	v_add_u32_e32 v7, 2, v3
	s_waitcnt lgkmcnt(0)
	v_cndmask_b32_e64 v6, 0, 2, vcc
	v_add_lshl_u32 v6, v6, v1, 2
	ds_bpermute_b32 v6, v6, v5
	v_cmp_lt_u32_e32 vcc, v7, v4
	s_and_saveexec_b64 s[4:5], vcc
	s_cbranch_execz .LBB848_680
; %bb.679:
	v_mov_b32_e32 v5, 1
	v_lshlrev_b32_sdwa v8, v5, v2 dst_sel:DWORD dst_unused:UNUSED_PAD src0_sel:DWORD src1_sel:WORD_0
	v_mov_b32_e32 v9, 0
	v_lshl_add_u64 v[10:11], s[66:67], 0, v[8:9]
	s_waitcnt lgkmcnt(0)
	v_lshlrev_b32_sdwa v8, v5, v6 dst_sel:DWORD dst_unused:UNUSED_PAD src0_sel:DWORD src1_sel:WORD_0
	v_lshl_add_u64 v[6:7], v[10:11], 0, v[8:9]
	global_load_ushort v2, v[6:7], off
	s_waitcnt vmcnt(0)
	v_and_b32_e32 v5, 0xffff, v2
.LBB848_680:
	s_or_b64 exec, exec, s[4:5]
	v_cmp_gt_u32_e32 vcc, 60, v3
	v_add_u32_e32 v7, 4, v3
	s_waitcnt lgkmcnt(0)
	v_cndmask_b32_e64 v6, 0, 4, vcc
	v_add_lshl_u32 v6, v6, v1, 2
	ds_bpermute_b32 v6, v6, v5
	v_cmp_lt_u32_e32 vcc, v7, v4
	s_and_saveexec_b64 s[4:5], vcc
	;; [unrolled: 22-line block ×4, first 2 shown]
	s_cbranch_execz .LBB848_686
; %bb.685:
	v_mov_b32_e32 v5, 1
	v_lshlrev_b32_sdwa v8, v5, v2 dst_sel:DWORD dst_unused:UNUSED_PAD src0_sel:DWORD src1_sel:WORD_0
	v_mov_b32_e32 v9, 0
	v_lshl_add_u64 v[10:11], s[66:67], 0, v[8:9]
	s_waitcnt lgkmcnt(0)
	v_lshlrev_b32_sdwa v8, v5, v6 dst_sel:DWORD dst_unused:UNUSED_PAD src0_sel:DWORD src1_sel:WORD_0
	v_lshl_add_u64 v[6:7], v[10:11], 0, v[8:9]
	global_load_ushort v2, v[6:7], off
	s_waitcnt vmcnt(0)
	v_and_b32_e32 v5, 0xffff, v2
.LBB848_686:
	s_or_b64 exec, exec, s[4:5]
	s_waitcnt lgkmcnt(0)
	v_lshlrev_b32_e32 v6, 2, v1
	v_or_b32_e32 v7, 0x80, v6
	ds_bpermute_b32 v5, v7, v5
	v_add_u32_e32 v3, 32, v3
	v_cmp_lt_u32_e32 vcc, v3, v4
	s_and_saveexec_b64 s[4:5], vcc
	s_cbranch_execz .LBB848_688
; %bb.687:
	v_mov_b32_e32 v4, 1
	v_lshlrev_b32_sdwa v2, v4, v2 dst_sel:DWORD dst_unused:UNUSED_PAD src0_sel:DWORD src1_sel:WORD_0
	v_mov_b32_e32 v3, 0
	v_lshl_add_u64 v[8:9], s[66:67], 0, v[2:3]
	s_waitcnt lgkmcnt(0)
	v_lshlrev_b32_sdwa v2, v4, v5 dst_sel:DWORD dst_unused:UNUSED_PAD src0_sel:DWORD src1_sel:WORD_0
	v_lshl_add_u64 v[2:3], v[8:9], 0, v[2:3]
	global_load_ushort v2, v[2:3], off
.LBB848_688:
	s_or_b64 exec, exec, s[4:5]
	v_cmp_eq_u32_e32 vcc, 0, v1
	s_and_saveexec_b64 s[4:5], vcc
	s_cbranch_execz .LBB848_690
; %bb.689:
	v_lshrrev_b32_e32 v3, 5, v0
	v_and_b32_e32 v3, 2, v3
	s_waitcnt vmcnt(0)
	ds_write_b16 v3, v2
.LBB848_690:
	s_or_b64 exec, exec, s[4:5]
	v_cmp_gt_u32_e32 vcc, 2, v0
	s_waitcnt lgkmcnt(0)
	s_barrier
	s_and_saveexec_b64 s[4:5], vcc
	s_cbranch_execz .LBB848_694
; %bb.691:
	s_waitcnt vmcnt(0)
	v_lshlrev_b32_e32 v2, 1, v1
	ds_read_u16 v2, v2
	v_or_b32_e32 v3, 4, v6
	s_add_i32 s6, s6, 63
	v_and_b32_e32 v1, 1, v1
	s_lshr_b32 s6, s6, 6
	s_waitcnt lgkmcnt(0)
	v_and_b32_e32 v4, 0xffff, v2
	ds_bpermute_b32 v3, v3, v4
	v_add_u32_e32 v1, 1, v1
	v_cmp_gt_u32_e32 vcc, s6, v1
	s_and_saveexec_b64 s[6:7], vcc
	s_cbranch_execz .LBB848_693
; %bb.692:
	v_lshlrev_b32_e32 v4, 1, v4
	v_mov_b32_e32 v5, 0
	v_mov_b32_e32 v1, 1
	v_lshl_add_u64 v[6:7], s[66:67], 0, v[4:5]
	s_waitcnt lgkmcnt(0)
	v_lshlrev_b32_sdwa v4, v1, v3 dst_sel:DWORD dst_unused:UNUSED_PAD src0_sel:DWORD src1_sel:WORD_0
	v_lshl_add_u64 v[2:3], v[6:7], 0, v[4:5]
	global_load_ushort v2, v[2:3], off
.LBB848_693:
	s_or_b64 exec, exec, s[6:7]
.LBB848_694:
	s_or_b64 exec, exec, s[4:5]
.LBB848_695:
	v_cmp_eq_u32_e32 vcc, 0, v0
	s_and_saveexec_b64 s[4:5], vcc
	s_xor_b64 s[4:5], exec, s[4:5]
	s_cbranch_execz .LBB848_697
; %bb.696:
	s_cmp_eq_u64 s[70:71], 0
	s_cselect_b64 s[6:7], -1, 0
	s_cmp_lg_u64 s[70:71], 0
	s_cselect_b64 s[8:9], -1, 0
	s_andn2_b64 s[10:11], s[72:73], exec
	s_and_b64 s[6:7], s[6:7], exec
	s_or_b64 s[72:73], s[10:11], s[6:7]
	s_andn2_b64 s[6:7], s[74:75], exec
	s_and_b64 s[8:9], s[8:9], exec
	s_or_b64 s[74:75], s[6:7], s[8:9]
.LBB848_697:
	s_or_b64 exec, exec, s[4:5]
.LBB848_698:
	s_branch .LBB848_707
.LBB848_699:
	s_cmp_eq_u32 s80, 1
	s_cbranch_scc0 .LBB848_706
; %bb.700:
	s_mov_b32 s5, 0
	s_lshl_b32 s4, s2, 7
	s_mov_b32 s3, s5
	s_lshr_b64 s[6:7], s[70:71], 7
	s_cmp_lg_u64 s[6:7], s[2:3]
	v_mbcnt_lo_u32_b32 v1, -1, 0
	s_cbranch_scc0 .LBB848_710
; %bb.701:
	s_lshl_b64 s[6:7], s[4:5], 1
	s_add_u32 s6, s68, s6
	s_addc_u32 s7, s69, s7
	s_waitcnt vmcnt(0)
	v_lshlrev_b32_e32 v2, 1, v0
	global_load_ushort v6, v2, s[6:7]
	v_mov_b32_e32 v7, 1
	s_waitcnt lgkmcnt(0)
	v_mov_b32_e32 v3, 0
	s_waitcnt vmcnt(0)
	v_mov_b32_dpp v2, v6 quad_perm:[1,0,3,2] row_mask:0xf bank_mask:0xf bound_ctrl:1
	v_lshlrev_b32_sdwa v2, v7, v2 dst_sel:DWORD dst_unused:UNUSED_PAD src0_sel:DWORD src1_sel:WORD_0
	v_lshl_add_u64 v[4:5], s[66:67], 0, v[2:3]
	v_lshlrev_b32_e32 v2, 1, v6
	v_lshl_add_u64 v[4:5], v[4:5], 0, v[2:3]
	global_load_ushort v6, v[4:5], off
	s_waitcnt vmcnt(0)
	s_nop 0
	v_mov_b32_dpp v2, v6 quad_perm:[2,3,0,1] row_mask:0xf bank_mask:0xf bound_ctrl:1
	v_lshlrev_b32_sdwa v2, v7, v2 dst_sel:DWORD dst_unused:UNUSED_PAD src0_sel:DWORD src1_sel:WORD_0
	v_lshl_add_u64 v[4:5], s[66:67], 0, v[2:3]
	v_lshlrev_b32_e32 v2, 1, v6
	v_lshl_add_u64 v[4:5], v[4:5], 0, v[2:3]
	global_load_ushort v6, v[4:5], off
	s_waitcnt vmcnt(0)
	s_nop 0
	v_mov_b32_dpp v2, v6 row_ror:4 row_mask:0xf bank_mask:0xf bound_ctrl:1
	v_lshlrev_b32_sdwa v2, v7, v2 dst_sel:DWORD dst_unused:UNUSED_PAD src0_sel:DWORD src1_sel:WORD_0
	v_lshl_add_u64 v[4:5], s[66:67], 0, v[2:3]
	v_lshlrev_b32_e32 v2, 1, v6
	v_lshl_add_u64 v[4:5], v[4:5], 0, v[2:3]
	global_load_ushort v6, v[4:5], off
	s_waitcnt vmcnt(0)
	s_nop 0
	v_mov_b32_dpp v2, v6 row_ror:8 row_mask:0xf bank_mask:0xf bound_ctrl:1
	v_lshlrev_b32_sdwa v2, v7, v2 dst_sel:DWORD dst_unused:UNUSED_PAD src0_sel:DWORD src1_sel:WORD_0
	v_lshl_add_u64 v[4:5], s[66:67], 0, v[2:3]
	v_lshlrev_b32_e32 v2, 1, v6
	v_lshl_add_u64 v[4:5], v[4:5], 0, v[2:3]
	global_load_ushort v6, v[4:5], off
	s_waitcnt vmcnt(0)
	s_nop 0
	v_mov_b32_dpp v2, v6 row_bcast:15 row_mask:0xf bank_mask:0xf bound_ctrl:1
	v_lshlrev_b32_sdwa v2, v7, v2 dst_sel:DWORD dst_unused:UNUSED_PAD src0_sel:DWORD src1_sel:WORD_0
	v_lshl_add_u64 v[4:5], s[66:67], 0, v[2:3]
	v_lshlrev_b32_e32 v2, 1, v6
	v_lshl_add_u64 v[4:5], v[4:5], 0, v[2:3]
	global_load_ushort v6, v[4:5], off
	s_waitcnt vmcnt(0)
	s_nop 0
	v_mov_b32_dpp v2, v6 row_bcast:31 row_mask:0xf bank_mask:0xf bound_ctrl:1
	v_lshlrev_b32_sdwa v2, v7, v2 dst_sel:DWORD dst_unused:UNUSED_PAD src0_sel:DWORD src1_sel:WORD_0
	v_lshl_add_u64 v[4:5], s[66:67], 0, v[2:3]
	v_lshlrev_b32_e32 v2, 1, v6
	v_lshl_add_u64 v[2:3], v[4:5], 0, v[2:3]
	global_load_ushort v2, v[2:3], off
	v_mbcnt_hi_u32_b32 v4, -1, v1
	v_lshlrev_b32_e32 v3, 2, v4
	v_or_b32_e32 v5, 0xfc, v3
	v_cmp_eq_u32_e32 vcc, 0, v4
	s_waitcnt vmcnt(0)
	ds_bpermute_b32 v2, v5, v2
	s_and_saveexec_b64 s[6:7], vcc
	s_cbranch_execz .LBB848_703
; %bb.702:
	v_lshrrev_b32_e32 v5, 5, v0
	v_and_b32_e32 v5, 2, v5
	s_waitcnt lgkmcnt(0)
	ds_write_b16 v5, v2 offset:8
.LBB848_703:
	s_or_b64 exec, exec, s[6:7]
	v_cmp_gt_u32_e32 vcc, 64, v0
	s_waitcnt lgkmcnt(0)
	s_barrier
	s_and_saveexec_b64 s[6:7], vcc
	s_cbranch_execz .LBB848_705
; %bb.704:
	v_and_b32_e32 v2, 1, v4
	v_lshlrev_b32_e32 v2, 1, v2
	ds_read_u16 v2, v2 offset:8
	v_or_b32_e32 v3, 4, v3
	s_waitcnt lgkmcnt(0)
	ds_bpermute_b32 v6, v3, v2
	v_lshlrev_b32_e32 v2, 1, v2
	v_mov_b32_e32 v3, 0
	v_lshl_add_u64 v[4:5], s[66:67], 0, v[2:3]
	v_mov_b32_e32 v2, 1
	s_waitcnt lgkmcnt(0)
	v_lshlrev_b32_sdwa v2, v2, v6 dst_sel:DWORD dst_unused:UNUSED_PAD src0_sel:DWORD src1_sel:WORD_0
	v_lshl_add_u64 v[2:3], v[4:5], 0, v[2:3]
	global_load_ushort v2, v[2:3], off
.LBB848_705:
	s_or_b64 exec, exec, s[6:7]
	s_branch .LBB848_732
.LBB848_706:
                                        ; implicit-def: $sgpr2_sgpr3
                                        ; implicit-def: $vgpr2
.LBB848_707:
	v_mov_b32_e32 v0, s33
	s_and_saveexec_b64 s[4:5], s[74:75]
	s_cbranch_execz .LBB848_735
.LBB848_708:
	s_and_b32 s6, 0xffff, s33
	s_lshl_b32 s6, s6, 1
	s_add_u32 s6, s66, s6
	v_mov_b32_e32 v0, 1
	s_addc_u32 s7, s67, 0
	s_waitcnt vmcnt(0)
	v_lshlrev_b32_sdwa v0, v0, v2 dst_sel:DWORD dst_unused:UNUSED_PAD src0_sel:DWORD src1_sel:WORD_0
	global_load_ushort v0, v0, s[6:7]
	s_or_b64 s[72:73], s[72:73], exec
	s_or_b64 exec, exec, s[4:5]
	s_and_saveexec_b64 s[4:5], s[72:73]
	s_cbranch_execnz .LBB848_736
.LBB848_709:
	s_endpgm
.LBB848_710:
                                        ; implicit-def: $vgpr2
	s_cbranch_execz .LBB848_732
; %bb.711:
	s_sub_i32 s8, s70, s4
	v_cmp_gt_u32_e32 vcc, s8, v0
                                        ; implicit-def: $vgpr2
	s_and_saveexec_b64 s[6:7], vcc
	s_cbranch_execz .LBB848_713
; %bb.712:
	s_lshl_b64 s[4:5], s[4:5], 1
	s_add_u32 s4, s68, s4
	s_addc_u32 s5, s69, s5
	s_waitcnt vmcnt(0)
	v_lshlrev_b32_e32 v2, 1, v0
	global_load_ushort v2, v2, s[4:5]
.LBB848_713:
	s_or_b64 exec, exec, s[6:7]
	v_mbcnt_hi_u32_b32 v1, -1, v1
	s_waitcnt lgkmcnt(0)
	v_and_b32_e32 v3, 63, v1
	v_cmp_ne_u32_e32 vcc, 63, v3
	s_waitcnt vmcnt(0)
	v_and_b32_e32 v5, 0xffff, v2
	s_min_u32 s6, s8, 0x80
	v_addc_co_u32_e32 v4, vcc, 0, v1, vcc
	v_lshlrev_b32_e32 v4, 2, v4
	ds_bpermute_b32 v6, v4, v5
	v_and_b32_e32 v4, 64, v0
	v_sub_u32_e64 v4, s6, v4 clamp
	v_add_u32_e32 v7, 1, v3
	v_cmp_lt_u32_e32 vcc, v7, v4
	s_and_saveexec_b64 s[4:5], vcc
	s_cbranch_execz .LBB848_715
; %bb.714:
	v_mov_b32_e32 v5, 1
	v_lshlrev_b32_sdwa v8, v5, v2 dst_sel:DWORD dst_unused:UNUSED_PAD src0_sel:DWORD src1_sel:WORD_0
	v_mov_b32_e32 v9, 0
	v_lshl_add_u64 v[10:11], s[66:67], 0, v[8:9]
	s_waitcnt lgkmcnt(0)
	v_lshlrev_b32_sdwa v8, v5, v6 dst_sel:DWORD dst_unused:UNUSED_PAD src0_sel:DWORD src1_sel:WORD_0
	v_lshl_add_u64 v[6:7], v[10:11], 0, v[8:9]
	global_load_ushort v2, v[6:7], off
	s_waitcnt vmcnt(0)
	v_and_b32_e32 v5, 0xffff, v2
.LBB848_715:
	s_or_b64 exec, exec, s[4:5]
	v_cmp_gt_u32_e32 vcc, 62, v3
	v_add_u32_e32 v7, 2, v3
	s_waitcnt lgkmcnt(0)
	v_cndmask_b32_e64 v6, 0, 2, vcc
	v_add_lshl_u32 v6, v6, v1, 2
	ds_bpermute_b32 v6, v6, v5
	v_cmp_lt_u32_e32 vcc, v7, v4
	s_and_saveexec_b64 s[4:5], vcc
	s_cbranch_execz .LBB848_717
; %bb.716:
	v_mov_b32_e32 v5, 1
	v_lshlrev_b32_sdwa v8, v5, v2 dst_sel:DWORD dst_unused:UNUSED_PAD src0_sel:DWORD src1_sel:WORD_0
	v_mov_b32_e32 v9, 0
	v_lshl_add_u64 v[10:11], s[66:67], 0, v[8:9]
	s_waitcnt lgkmcnt(0)
	v_lshlrev_b32_sdwa v8, v5, v6 dst_sel:DWORD dst_unused:UNUSED_PAD src0_sel:DWORD src1_sel:WORD_0
	v_lshl_add_u64 v[6:7], v[10:11], 0, v[8:9]
	global_load_ushort v2, v[6:7], off
	s_waitcnt vmcnt(0)
	v_and_b32_e32 v5, 0xffff, v2
.LBB848_717:
	s_or_b64 exec, exec, s[4:5]
	v_cmp_gt_u32_e32 vcc, 60, v3
	v_add_u32_e32 v7, 4, v3
	s_waitcnt lgkmcnt(0)
	v_cndmask_b32_e64 v6, 0, 4, vcc
	v_add_lshl_u32 v6, v6, v1, 2
	ds_bpermute_b32 v6, v6, v5
	;; [unrolled: 22-line block ×4, first 2 shown]
	v_cmp_lt_u32_e32 vcc, v7, v4
	s_and_saveexec_b64 s[4:5], vcc
	s_cbranch_execz .LBB848_723
; %bb.722:
	v_mov_b32_e32 v5, 1
	v_lshlrev_b32_sdwa v8, v5, v2 dst_sel:DWORD dst_unused:UNUSED_PAD src0_sel:DWORD src1_sel:WORD_0
	v_mov_b32_e32 v9, 0
	v_lshl_add_u64 v[10:11], s[66:67], 0, v[8:9]
	s_waitcnt lgkmcnt(0)
	v_lshlrev_b32_sdwa v8, v5, v6 dst_sel:DWORD dst_unused:UNUSED_PAD src0_sel:DWORD src1_sel:WORD_0
	v_lshl_add_u64 v[6:7], v[10:11], 0, v[8:9]
	global_load_ushort v2, v[6:7], off
	s_waitcnt vmcnt(0)
	v_and_b32_e32 v5, 0xffff, v2
.LBB848_723:
	s_or_b64 exec, exec, s[4:5]
	s_waitcnt lgkmcnt(0)
	v_lshlrev_b32_e32 v6, 2, v1
	v_or_b32_e32 v7, 0x80, v6
	ds_bpermute_b32 v5, v7, v5
	v_add_u32_e32 v3, 32, v3
	v_cmp_lt_u32_e32 vcc, v3, v4
	s_and_saveexec_b64 s[4:5], vcc
	s_cbranch_execz .LBB848_725
; %bb.724:
	v_mov_b32_e32 v4, 1
	v_lshlrev_b32_sdwa v2, v4, v2 dst_sel:DWORD dst_unused:UNUSED_PAD src0_sel:DWORD src1_sel:WORD_0
	v_mov_b32_e32 v3, 0
	v_lshl_add_u64 v[8:9], s[66:67], 0, v[2:3]
	s_waitcnt lgkmcnt(0)
	v_lshlrev_b32_sdwa v2, v4, v5 dst_sel:DWORD dst_unused:UNUSED_PAD src0_sel:DWORD src1_sel:WORD_0
	v_lshl_add_u64 v[2:3], v[8:9], 0, v[2:3]
	global_load_ushort v2, v[2:3], off
.LBB848_725:
	s_or_b64 exec, exec, s[4:5]
	v_cmp_eq_u32_e32 vcc, 0, v1
	s_and_saveexec_b64 s[4:5], vcc
	s_cbranch_execz .LBB848_727
; %bb.726:
	v_lshrrev_b32_e32 v3, 5, v0
	v_and_b32_e32 v3, 2, v3
	s_waitcnt vmcnt(0)
	ds_write_b16 v3, v2
.LBB848_727:
	s_or_b64 exec, exec, s[4:5]
	v_cmp_gt_u32_e32 vcc, 2, v0
	s_waitcnt lgkmcnt(0)
	s_barrier
	s_and_saveexec_b64 s[4:5], vcc
	s_cbranch_execz .LBB848_731
; %bb.728:
	s_waitcnt vmcnt(0)
	v_lshlrev_b32_e32 v2, 1, v1
	ds_read_u16 v2, v2
	v_or_b32_e32 v3, 4, v6
	s_add_i32 s6, s6, 63
	v_and_b32_e32 v1, 1, v1
	s_lshr_b32 s6, s6, 6
	s_waitcnt lgkmcnt(0)
	v_and_b32_e32 v4, 0xffff, v2
	ds_bpermute_b32 v3, v3, v4
	v_add_u32_e32 v1, 1, v1
	v_cmp_gt_u32_e32 vcc, s6, v1
	s_and_saveexec_b64 s[6:7], vcc
	s_cbranch_execz .LBB848_730
; %bb.729:
	v_lshlrev_b32_e32 v4, 1, v4
	v_mov_b32_e32 v5, 0
	v_mov_b32_e32 v1, 1
	v_lshl_add_u64 v[6:7], s[66:67], 0, v[4:5]
	s_waitcnt lgkmcnt(0)
	v_lshlrev_b32_sdwa v4, v1, v3 dst_sel:DWORD dst_unused:UNUSED_PAD src0_sel:DWORD src1_sel:WORD_0
	v_lshl_add_u64 v[2:3], v[6:7], 0, v[4:5]
	global_load_ushort v2, v[2:3], off
.LBB848_730:
	s_or_b64 exec, exec, s[6:7]
.LBB848_731:
	s_or_b64 exec, exec, s[4:5]
.LBB848_732:
	v_cmp_eq_u32_e32 vcc, 0, v0
	s_and_saveexec_b64 s[4:5], vcc
	s_cbranch_execz .LBB848_734
; %bb.733:
	s_cmp_eq_u64 s[70:71], 0
	s_cselect_b64 s[6:7], -1, 0
	s_cmp_lg_u64 s[70:71], 0
	s_cselect_b64 s[8:9], -1, 0
	s_andn2_b64 s[10:11], s[72:73], exec
	s_and_b64 s[6:7], s[6:7], exec
	s_or_b64 s[72:73], s[10:11], s[6:7]
	s_andn2_b64 s[6:7], s[74:75], exec
	s_and_b64 s[8:9], s[8:9], exec
	s_or_b64 s[74:75], s[6:7], s[8:9]
.LBB848_734:
	s_or_b64 exec, exec, s[4:5]
	v_mov_b32_e32 v0, s33
	s_and_saveexec_b64 s[4:5], s[74:75]
	s_cbranch_execnz .LBB848_708
.LBB848_735:
	s_or_b64 exec, exec, s[4:5]
	s_and_saveexec_b64 s[4:5], s[72:73]
	s_cbranch_execz .LBB848_709
.LBB848_736:
	s_load_dwordx2 s[0:1], s[0:1], 0x18
	s_lshl_b64 s[2:3], s[2:3], 1
	v_mov_b32_e32 v1, 0
	s_waitcnt lgkmcnt(0)
	s_add_u32 s0, s0, s2
	s_addc_u32 s1, s1, s3
	s_waitcnt vmcnt(0)
	global_store_short v1, v0, s[0:1]
	s_endpgm
	.section	.rodata,"a",@progbits
	.p2align	6, 0x0
	.amdhsa_kernel _ZN7rocprim17ROCPRIM_400000_NS6detail17trampoline_kernelINS0_14default_configENS1_22reduce_config_selectorItEEZNS1_11reduce_implILb1ES3_PtS7_t9plus_mod3ItEEE10hipError_tPvRmT1_T2_T3_mT4_P12ihipStream_tbEUlT_E1_NS1_11comp_targetILNS1_3genE0ELNS1_11target_archE4294967295ELNS1_3gpuE0ELNS1_3repE0EEENS1_30default_config_static_selectorELNS0_4arch9wavefront6targetE1EEEvSD_
		.amdhsa_group_segment_fixed_size 32
		.amdhsa_private_segment_fixed_size 0
		.amdhsa_kernarg_size 48
		.amdhsa_user_sgpr_count 2
		.amdhsa_user_sgpr_dispatch_ptr 0
		.amdhsa_user_sgpr_queue_ptr 0
		.amdhsa_user_sgpr_kernarg_segment_ptr 1
		.amdhsa_user_sgpr_dispatch_id 0
		.amdhsa_user_sgpr_kernarg_preload_length 0
		.amdhsa_user_sgpr_kernarg_preload_offset 0
		.amdhsa_user_sgpr_private_segment_size 0
		.amdhsa_uses_dynamic_stack 0
		.amdhsa_enable_private_segment 0
		.amdhsa_system_sgpr_workgroup_id_x 1
		.amdhsa_system_sgpr_workgroup_id_y 0
		.amdhsa_system_sgpr_workgroup_id_z 0
		.amdhsa_system_sgpr_workgroup_info 0
		.amdhsa_system_vgpr_workitem_id 0
		.amdhsa_next_free_vgpr 39
		.amdhsa_next_free_sgpr 100
		.amdhsa_accum_offset 40
		.amdhsa_reserve_vcc 1
		.amdhsa_float_round_mode_32 0
		.amdhsa_float_round_mode_16_64 0
		.amdhsa_float_denorm_mode_32 3
		.amdhsa_float_denorm_mode_16_64 3
		.amdhsa_dx10_clamp 1
		.amdhsa_ieee_mode 1
		.amdhsa_fp16_overflow 0
		.amdhsa_tg_split 0
		.amdhsa_exception_fp_ieee_invalid_op 0
		.amdhsa_exception_fp_denorm_src 0
		.amdhsa_exception_fp_ieee_div_zero 0
		.amdhsa_exception_fp_ieee_overflow 0
		.amdhsa_exception_fp_ieee_underflow 0
		.amdhsa_exception_fp_ieee_inexact 0
		.amdhsa_exception_int_div_zero 0
	.end_amdhsa_kernel
	.section	.text._ZN7rocprim17ROCPRIM_400000_NS6detail17trampoline_kernelINS0_14default_configENS1_22reduce_config_selectorItEEZNS1_11reduce_implILb1ES3_PtS7_t9plus_mod3ItEEE10hipError_tPvRmT1_T2_T3_mT4_P12ihipStream_tbEUlT_E1_NS1_11comp_targetILNS1_3genE0ELNS1_11target_archE4294967295ELNS1_3gpuE0ELNS1_3repE0EEENS1_30default_config_static_selectorELNS0_4arch9wavefront6targetE1EEEvSD_,"axG",@progbits,_ZN7rocprim17ROCPRIM_400000_NS6detail17trampoline_kernelINS0_14default_configENS1_22reduce_config_selectorItEEZNS1_11reduce_implILb1ES3_PtS7_t9plus_mod3ItEEE10hipError_tPvRmT1_T2_T3_mT4_P12ihipStream_tbEUlT_E1_NS1_11comp_targetILNS1_3genE0ELNS1_11target_archE4294967295ELNS1_3gpuE0ELNS1_3repE0EEENS1_30default_config_static_selectorELNS0_4arch9wavefront6targetE1EEEvSD_,comdat
.Lfunc_end848:
	.size	_ZN7rocprim17ROCPRIM_400000_NS6detail17trampoline_kernelINS0_14default_configENS1_22reduce_config_selectorItEEZNS1_11reduce_implILb1ES3_PtS7_t9plus_mod3ItEEE10hipError_tPvRmT1_T2_T3_mT4_P12ihipStream_tbEUlT_E1_NS1_11comp_targetILNS1_3genE0ELNS1_11target_archE4294967295ELNS1_3gpuE0ELNS1_3repE0EEENS1_30default_config_static_selectorELNS0_4arch9wavefront6targetE1EEEvSD_, .Lfunc_end848-_ZN7rocprim17ROCPRIM_400000_NS6detail17trampoline_kernelINS0_14default_configENS1_22reduce_config_selectorItEEZNS1_11reduce_implILb1ES3_PtS7_t9plus_mod3ItEEE10hipError_tPvRmT1_T2_T3_mT4_P12ihipStream_tbEUlT_E1_NS1_11comp_targetILNS1_3genE0ELNS1_11target_archE4294967295ELNS1_3gpuE0ELNS1_3repE0EEENS1_30default_config_static_selectorELNS0_4arch9wavefront6targetE1EEEvSD_
                                        ; -- End function
	.set _ZN7rocprim17ROCPRIM_400000_NS6detail17trampoline_kernelINS0_14default_configENS1_22reduce_config_selectorItEEZNS1_11reduce_implILb1ES3_PtS7_t9plus_mod3ItEEE10hipError_tPvRmT1_T2_T3_mT4_P12ihipStream_tbEUlT_E1_NS1_11comp_targetILNS1_3genE0ELNS1_11target_archE4294967295ELNS1_3gpuE0ELNS1_3repE0EEENS1_30default_config_static_selectorELNS0_4arch9wavefront6targetE1EEEvSD_.num_vgpr, 39
	.set _ZN7rocprim17ROCPRIM_400000_NS6detail17trampoline_kernelINS0_14default_configENS1_22reduce_config_selectorItEEZNS1_11reduce_implILb1ES3_PtS7_t9plus_mod3ItEEE10hipError_tPvRmT1_T2_T3_mT4_P12ihipStream_tbEUlT_E1_NS1_11comp_targetILNS1_3genE0ELNS1_11target_archE4294967295ELNS1_3gpuE0ELNS1_3repE0EEENS1_30default_config_static_selectorELNS0_4arch9wavefront6targetE1EEEvSD_.num_agpr, 0
	.set _ZN7rocprim17ROCPRIM_400000_NS6detail17trampoline_kernelINS0_14default_configENS1_22reduce_config_selectorItEEZNS1_11reduce_implILb1ES3_PtS7_t9plus_mod3ItEEE10hipError_tPvRmT1_T2_T3_mT4_P12ihipStream_tbEUlT_E1_NS1_11comp_targetILNS1_3genE0ELNS1_11target_archE4294967295ELNS1_3gpuE0ELNS1_3repE0EEENS1_30default_config_static_selectorELNS0_4arch9wavefront6targetE1EEEvSD_.numbered_sgpr, 100
	.set _ZN7rocprim17ROCPRIM_400000_NS6detail17trampoline_kernelINS0_14default_configENS1_22reduce_config_selectorItEEZNS1_11reduce_implILb1ES3_PtS7_t9plus_mod3ItEEE10hipError_tPvRmT1_T2_T3_mT4_P12ihipStream_tbEUlT_E1_NS1_11comp_targetILNS1_3genE0ELNS1_11target_archE4294967295ELNS1_3gpuE0ELNS1_3repE0EEENS1_30default_config_static_selectorELNS0_4arch9wavefront6targetE1EEEvSD_.num_named_barrier, 0
	.set _ZN7rocprim17ROCPRIM_400000_NS6detail17trampoline_kernelINS0_14default_configENS1_22reduce_config_selectorItEEZNS1_11reduce_implILb1ES3_PtS7_t9plus_mod3ItEEE10hipError_tPvRmT1_T2_T3_mT4_P12ihipStream_tbEUlT_E1_NS1_11comp_targetILNS1_3genE0ELNS1_11target_archE4294967295ELNS1_3gpuE0ELNS1_3repE0EEENS1_30default_config_static_selectorELNS0_4arch9wavefront6targetE1EEEvSD_.private_seg_size, 0
	.set _ZN7rocprim17ROCPRIM_400000_NS6detail17trampoline_kernelINS0_14default_configENS1_22reduce_config_selectorItEEZNS1_11reduce_implILb1ES3_PtS7_t9plus_mod3ItEEE10hipError_tPvRmT1_T2_T3_mT4_P12ihipStream_tbEUlT_E1_NS1_11comp_targetILNS1_3genE0ELNS1_11target_archE4294967295ELNS1_3gpuE0ELNS1_3repE0EEENS1_30default_config_static_selectorELNS0_4arch9wavefront6targetE1EEEvSD_.uses_vcc, 1
	.set _ZN7rocprim17ROCPRIM_400000_NS6detail17trampoline_kernelINS0_14default_configENS1_22reduce_config_selectorItEEZNS1_11reduce_implILb1ES3_PtS7_t9plus_mod3ItEEE10hipError_tPvRmT1_T2_T3_mT4_P12ihipStream_tbEUlT_E1_NS1_11comp_targetILNS1_3genE0ELNS1_11target_archE4294967295ELNS1_3gpuE0ELNS1_3repE0EEENS1_30default_config_static_selectorELNS0_4arch9wavefront6targetE1EEEvSD_.uses_flat_scratch, 0
	.set _ZN7rocprim17ROCPRIM_400000_NS6detail17trampoline_kernelINS0_14default_configENS1_22reduce_config_selectorItEEZNS1_11reduce_implILb1ES3_PtS7_t9plus_mod3ItEEE10hipError_tPvRmT1_T2_T3_mT4_P12ihipStream_tbEUlT_E1_NS1_11comp_targetILNS1_3genE0ELNS1_11target_archE4294967295ELNS1_3gpuE0ELNS1_3repE0EEENS1_30default_config_static_selectorELNS0_4arch9wavefront6targetE1EEEvSD_.has_dyn_sized_stack, 0
	.set _ZN7rocprim17ROCPRIM_400000_NS6detail17trampoline_kernelINS0_14default_configENS1_22reduce_config_selectorItEEZNS1_11reduce_implILb1ES3_PtS7_t9plus_mod3ItEEE10hipError_tPvRmT1_T2_T3_mT4_P12ihipStream_tbEUlT_E1_NS1_11comp_targetILNS1_3genE0ELNS1_11target_archE4294967295ELNS1_3gpuE0ELNS1_3repE0EEENS1_30default_config_static_selectorELNS0_4arch9wavefront6targetE1EEEvSD_.has_recursion, 0
	.set _ZN7rocprim17ROCPRIM_400000_NS6detail17trampoline_kernelINS0_14default_configENS1_22reduce_config_selectorItEEZNS1_11reduce_implILb1ES3_PtS7_t9plus_mod3ItEEE10hipError_tPvRmT1_T2_T3_mT4_P12ihipStream_tbEUlT_E1_NS1_11comp_targetILNS1_3genE0ELNS1_11target_archE4294967295ELNS1_3gpuE0ELNS1_3repE0EEENS1_30default_config_static_selectorELNS0_4arch9wavefront6targetE1EEEvSD_.has_indirect_call, 0
	.section	.AMDGPU.csdata,"",@progbits
; Kernel info:
; codeLenInByte = 34708
; TotalNumSgprs: 106
; NumVgprs: 39
; NumAgprs: 0
; TotalNumVgprs: 39
; ScratchSize: 0
; MemoryBound: 0
; FloatMode: 240
; IeeeMode: 1
; LDSByteSize: 32 bytes/workgroup (compile time only)
; SGPRBlocks: 13
; VGPRBlocks: 4
; NumSGPRsForWavesPerEU: 106
; NumVGPRsForWavesPerEU: 39
; AccumOffset: 40
; Occupancy: 7
; WaveLimiterHint : 1
; COMPUTE_PGM_RSRC2:SCRATCH_EN: 0
; COMPUTE_PGM_RSRC2:USER_SGPR: 2
; COMPUTE_PGM_RSRC2:TRAP_HANDLER: 0
; COMPUTE_PGM_RSRC2:TGID_X_EN: 1
; COMPUTE_PGM_RSRC2:TGID_Y_EN: 0
; COMPUTE_PGM_RSRC2:TGID_Z_EN: 0
; COMPUTE_PGM_RSRC2:TIDIG_COMP_CNT: 0
; COMPUTE_PGM_RSRC3_GFX90A:ACCUM_OFFSET: 9
; COMPUTE_PGM_RSRC3_GFX90A:TG_SPLIT: 0
	.section	.text._ZN7rocprim17ROCPRIM_400000_NS6detail17trampoline_kernelINS0_14default_configENS1_22reduce_config_selectorItEEZNS1_11reduce_implILb1ES3_PtS7_t9plus_mod3ItEEE10hipError_tPvRmT1_T2_T3_mT4_P12ihipStream_tbEUlT_E1_NS1_11comp_targetILNS1_3genE5ELNS1_11target_archE942ELNS1_3gpuE9ELNS1_3repE0EEENS1_30default_config_static_selectorELNS0_4arch9wavefront6targetE1EEEvSD_,"axG",@progbits,_ZN7rocprim17ROCPRIM_400000_NS6detail17trampoline_kernelINS0_14default_configENS1_22reduce_config_selectorItEEZNS1_11reduce_implILb1ES3_PtS7_t9plus_mod3ItEEE10hipError_tPvRmT1_T2_T3_mT4_P12ihipStream_tbEUlT_E1_NS1_11comp_targetILNS1_3genE5ELNS1_11target_archE942ELNS1_3gpuE9ELNS1_3repE0EEENS1_30default_config_static_selectorELNS0_4arch9wavefront6targetE1EEEvSD_,comdat
	.protected	_ZN7rocprim17ROCPRIM_400000_NS6detail17trampoline_kernelINS0_14default_configENS1_22reduce_config_selectorItEEZNS1_11reduce_implILb1ES3_PtS7_t9plus_mod3ItEEE10hipError_tPvRmT1_T2_T3_mT4_P12ihipStream_tbEUlT_E1_NS1_11comp_targetILNS1_3genE5ELNS1_11target_archE942ELNS1_3gpuE9ELNS1_3repE0EEENS1_30default_config_static_selectorELNS0_4arch9wavefront6targetE1EEEvSD_ ; -- Begin function _ZN7rocprim17ROCPRIM_400000_NS6detail17trampoline_kernelINS0_14default_configENS1_22reduce_config_selectorItEEZNS1_11reduce_implILb1ES3_PtS7_t9plus_mod3ItEEE10hipError_tPvRmT1_T2_T3_mT4_P12ihipStream_tbEUlT_E1_NS1_11comp_targetILNS1_3genE5ELNS1_11target_archE942ELNS1_3gpuE9ELNS1_3repE0EEENS1_30default_config_static_selectorELNS0_4arch9wavefront6targetE1EEEvSD_
	.globl	_ZN7rocprim17ROCPRIM_400000_NS6detail17trampoline_kernelINS0_14default_configENS1_22reduce_config_selectorItEEZNS1_11reduce_implILb1ES3_PtS7_t9plus_mod3ItEEE10hipError_tPvRmT1_T2_T3_mT4_P12ihipStream_tbEUlT_E1_NS1_11comp_targetILNS1_3genE5ELNS1_11target_archE942ELNS1_3gpuE9ELNS1_3repE0EEENS1_30default_config_static_selectorELNS0_4arch9wavefront6targetE1EEEvSD_
	.p2align	8
	.type	_ZN7rocprim17ROCPRIM_400000_NS6detail17trampoline_kernelINS0_14default_configENS1_22reduce_config_selectorItEEZNS1_11reduce_implILb1ES3_PtS7_t9plus_mod3ItEEE10hipError_tPvRmT1_T2_T3_mT4_P12ihipStream_tbEUlT_E1_NS1_11comp_targetILNS1_3genE5ELNS1_11target_archE942ELNS1_3gpuE9ELNS1_3repE0EEENS1_30default_config_static_selectorELNS0_4arch9wavefront6targetE1EEEvSD_,@function
_ZN7rocprim17ROCPRIM_400000_NS6detail17trampoline_kernelINS0_14default_configENS1_22reduce_config_selectorItEEZNS1_11reduce_implILb1ES3_PtS7_t9plus_mod3ItEEE10hipError_tPvRmT1_T2_T3_mT4_P12ihipStream_tbEUlT_E1_NS1_11comp_targetILNS1_3genE5ELNS1_11target_archE942ELNS1_3gpuE9ELNS1_3repE0EEENS1_30default_config_static_selectorELNS0_4arch9wavefront6targetE1EEEvSD_: ; @_ZN7rocprim17ROCPRIM_400000_NS6detail17trampoline_kernelINS0_14default_configENS1_22reduce_config_selectorItEEZNS1_11reduce_implILb1ES3_PtS7_t9plus_mod3ItEEE10hipError_tPvRmT1_T2_T3_mT4_P12ihipStream_tbEUlT_E1_NS1_11comp_targetILNS1_3genE5ELNS1_11target_archE942ELNS1_3gpuE9ELNS1_3repE0EEENS1_30default_config_static_selectorELNS0_4arch9wavefront6targetE1EEEvSD_
; %bb.0:
	.section	.rodata,"a",@progbits
	.p2align	6, 0x0
	.amdhsa_kernel _ZN7rocprim17ROCPRIM_400000_NS6detail17trampoline_kernelINS0_14default_configENS1_22reduce_config_selectorItEEZNS1_11reduce_implILb1ES3_PtS7_t9plus_mod3ItEEE10hipError_tPvRmT1_T2_T3_mT4_P12ihipStream_tbEUlT_E1_NS1_11comp_targetILNS1_3genE5ELNS1_11target_archE942ELNS1_3gpuE9ELNS1_3repE0EEENS1_30default_config_static_selectorELNS0_4arch9wavefront6targetE1EEEvSD_
		.amdhsa_group_segment_fixed_size 0
		.amdhsa_private_segment_fixed_size 0
		.amdhsa_kernarg_size 48
		.amdhsa_user_sgpr_count 2
		.amdhsa_user_sgpr_dispatch_ptr 0
		.amdhsa_user_sgpr_queue_ptr 0
		.amdhsa_user_sgpr_kernarg_segment_ptr 1
		.amdhsa_user_sgpr_dispatch_id 0
		.amdhsa_user_sgpr_kernarg_preload_length 0
		.amdhsa_user_sgpr_kernarg_preload_offset 0
		.amdhsa_user_sgpr_private_segment_size 0
		.amdhsa_uses_dynamic_stack 0
		.amdhsa_enable_private_segment 0
		.amdhsa_system_sgpr_workgroup_id_x 1
		.amdhsa_system_sgpr_workgroup_id_y 0
		.amdhsa_system_sgpr_workgroup_id_z 0
		.amdhsa_system_sgpr_workgroup_info 0
		.amdhsa_system_vgpr_workitem_id 0
		.amdhsa_next_free_vgpr 1
		.amdhsa_next_free_sgpr 0
		.amdhsa_accum_offset 4
		.amdhsa_reserve_vcc 0
		.amdhsa_float_round_mode_32 0
		.amdhsa_float_round_mode_16_64 0
		.amdhsa_float_denorm_mode_32 3
		.amdhsa_float_denorm_mode_16_64 3
		.amdhsa_dx10_clamp 1
		.amdhsa_ieee_mode 1
		.amdhsa_fp16_overflow 0
		.amdhsa_tg_split 0
		.amdhsa_exception_fp_ieee_invalid_op 0
		.amdhsa_exception_fp_denorm_src 0
		.amdhsa_exception_fp_ieee_div_zero 0
		.amdhsa_exception_fp_ieee_overflow 0
		.amdhsa_exception_fp_ieee_underflow 0
		.amdhsa_exception_fp_ieee_inexact 0
		.amdhsa_exception_int_div_zero 0
	.end_amdhsa_kernel
	.section	.text._ZN7rocprim17ROCPRIM_400000_NS6detail17trampoline_kernelINS0_14default_configENS1_22reduce_config_selectorItEEZNS1_11reduce_implILb1ES3_PtS7_t9plus_mod3ItEEE10hipError_tPvRmT1_T2_T3_mT4_P12ihipStream_tbEUlT_E1_NS1_11comp_targetILNS1_3genE5ELNS1_11target_archE942ELNS1_3gpuE9ELNS1_3repE0EEENS1_30default_config_static_selectorELNS0_4arch9wavefront6targetE1EEEvSD_,"axG",@progbits,_ZN7rocprim17ROCPRIM_400000_NS6detail17trampoline_kernelINS0_14default_configENS1_22reduce_config_selectorItEEZNS1_11reduce_implILb1ES3_PtS7_t9plus_mod3ItEEE10hipError_tPvRmT1_T2_T3_mT4_P12ihipStream_tbEUlT_E1_NS1_11comp_targetILNS1_3genE5ELNS1_11target_archE942ELNS1_3gpuE9ELNS1_3repE0EEENS1_30default_config_static_selectorELNS0_4arch9wavefront6targetE1EEEvSD_,comdat
.Lfunc_end849:
	.size	_ZN7rocprim17ROCPRIM_400000_NS6detail17trampoline_kernelINS0_14default_configENS1_22reduce_config_selectorItEEZNS1_11reduce_implILb1ES3_PtS7_t9plus_mod3ItEEE10hipError_tPvRmT1_T2_T3_mT4_P12ihipStream_tbEUlT_E1_NS1_11comp_targetILNS1_3genE5ELNS1_11target_archE942ELNS1_3gpuE9ELNS1_3repE0EEENS1_30default_config_static_selectorELNS0_4arch9wavefront6targetE1EEEvSD_, .Lfunc_end849-_ZN7rocprim17ROCPRIM_400000_NS6detail17trampoline_kernelINS0_14default_configENS1_22reduce_config_selectorItEEZNS1_11reduce_implILb1ES3_PtS7_t9plus_mod3ItEEE10hipError_tPvRmT1_T2_T3_mT4_P12ihipStream_tbEUlT_E1_NS1_11comp_targetILNS1_3genE5ELNS1_11target_archE942ELNS1_3gpuE9ELNS1_3repE0EEENS1_30default_config_static_selectorELNS0_4arch9wavefront6targetE1EEEvSD_
                                        ; -- End function
	.set _ZN7rocprim17ROCPRIM_400000_NS6detail17trampoline_kernelINS0_14default_configENS1_22reduce_config_selectorItEEZNS1_11reduce_implILb1ES3_PtS7_t9plus_mod3ItEEE10hipError_tPvRmT1_T2_T3_mT4_P12ihipStream_tbEUlT_E1_NS1_11comp_targetILNS1_3genE5ELNS1_11target_archE942ELNS1_3gpuE9ELNS1_3repE0EEENS1_30default_config_static_selectorELNS0_4arch9wavefront6targetE1EEEvSD_.num_vgpr, 0
	.set _ZN7rocprim17ROCPRIM_400000_NS6detail17trampoline_kernelINS0_14default_configENS1_22reduce_config_selectorItEEZNS1_11reduce_implILb1ES3_PtS7_t9plus_mod3ItEEE10hipError_tPvRmT1_T2_T3_mT4_P12ihipStream_tbEUlT_E1_NS1_11comp_targetILNS1_3genE5ELNS1_11target_archE942ELNS1_3gpuE9ELNS1_3repE0EEENS1_30default_config_static_selectorELNS0_4arch9wavefront6targetE1EEEvSD_.num_agpr, 0
	.set _ZN7rocprim17ROCPRIM_400000_NS6detail17trampoline_kernelINS0_14default_configENS1_22reduce_config_selectorItEEZNS1_11reduce_implILb1ES3_PtS7_t9plus_mod3ItEEE10hipError_tPvRmT1_T2_T3_mT4_P12ihipStream_tbEUlT_E1_NS1_11comp_targetILNS1_3genE5ELNS1_11target_archE942ELNS1_3gpuE9ELNS1_3repE0EEENS1_30default_config_static_selectorELNS0_4arch9wavefront6targetE1EEEvSD_.numbered_sgpr, 0
	.set _ZN7rocprim17ROCPRIM_400000_NS6detail17trampoline_kernelINS0_14default_configENS1_22reduce_config_selectorItEEZNS1_11reduce_implILb1ES3_PtS7_t9plus_mod3ItEEE10hipError_tPvRmT1_T2_T3_mT4_P12ihipStream_tbEUlT_E1_NS1_11comp_targetILNS1_3genE5ELNS1_11target_archE942ELNS1_3gpuE9ELNS1_3repE0EEENS1_30default_config_static_selectorELNS0_4arch9wavefront6targetE1EEEvSD_.num_named_barrier, 0
	.set _ZN7rocprim17ROCPRIM_400000_NS6detail17trampoline_kernelINS0_14default_configENS1_22reduce_config_selectorItEEZNS1_11reduce_implILb1ES3_PtS7_t9plus_mod3ItEEE10hipError_tPvRmT1_T2_T3_mT4_P12ihipStream_tbEUlT_E1_NS1_11comp_targetILNS1_3genE5ELNS1_11target_archE942ELNS1_3gpuE9ELNS1_3repE0EEENS1_30default_config_static_selectorELNS0_4arch9wavefront6targetE1EEEvSD_.private_seg_size, 0
	.set _ZN7rocprim17ROCPRIM_400000_NS6detail17trampoline_kernelINS0_14default_configENS1_22reduce_config_selectorItEEZNS1_11reduce_implILb1ES3_PtS7_t9plus_mod3ItEEE10hipError_tPvRmT1_T2_T3_mT4_P12ihipStream_tbEUlT_E1_NS1_11comp_targetILNS1_3genE5ELNS1_11target_archE942ELNS1_3gpuE9ELNS1_3repE0EEENS1_30default_config_static_selectorELNS0_4arch9wavefront6targetE1EEEvSD_.uses_vcc, 0
	.set _ZN7rocprim17ROCPRIM_400000_NS6detail17trampoline_kernelINS0_14default_configENS1_22reduce_config_selectorItEEZNS1_11reduce_implILb1ES3_PtS7_t9plus_mod3ItEEE10hipError_tPvRmT1_T2_T3_mT4_P12ihipStream_tbEUlT_E1_NS1_11comp_targetILNS1_3genE5ELNS1_11target_archE942ELNS1_3gpuE9ELNS1_3repE0EEENS1_30default_config_static_selectorELNS0_4arch9wavefront6targetE1EEEvSD_.uses_flat_scratch, 0
	.set _ZN7rocprim17ROCPRIM_400000_NS6detail17trampoline_kernelINS0_14default_configENS1_22reduce_config_selectorItEEZNS1_11reduce_implILb1ES3_PtS7_t9plus_mod3ItEEE10hipError_tPvRmT1_T2_T3_mT4_P12ihipStream_tbEUlT_E1_NS1_11comp_targetILNS1_3genE5ELNS1_11target_archE942ELNS1_3gpuE9ELNS1_3repE0EEENS1_30default_config_static_selectorELNS0_4arch9wavefront6targetE1EEEvSD_.has_dyn_sized_stack, 0
	.set _ZN7rocprim17ROCPRIM_400000_NS6detail17trampoline_kernelINS0_14default_configENS1_22reduce_config_selectorItEEZNS1_11reduce_implILb1ES3_PtS7_t9plus_mod3ItEEE10hipError_tPvRmT1_T2_T3_mT4_P12ihipStream_tbEUlT_E1_NS1_11comp_targetILNS1_3genE5ELNS1_11target_archE942ELNS1_3gpuE9ELNS1_3repE0EEENS1_30default_config_static_selectorELNS0_4arch9wavefront6targetE1EEEvSD_.has_recursion, 0
	.set _ZN7rocprim17ROCPRIM_400000_NS6detail17trampoline_kernelINS0_14default_configENS1_22reduce_config_selectorItEEZNS1_11reduce_implILb1ES3_PtS7_t9plus_mod3ItEEE10hipError_tPvRmT1_T2_T3_mT4_P12ihipStream_tbEUlT_E1_NS1_11comp_targetILNS1_3genE5ELNS1_11target_archE942ELNS1_3gpuE9ELNS1_3repE0EEENS1_30default_config_static_selectorELNS0_4arch9wavefront6targetE1EEEvSD_.has_indirect_call, 0
	.section	.AMDGPU.csdata,"",@progbits
; Kernel info:
; codeLenInByte = 0
; TotalNumSgprs: 6
; NumVgprs: 0
; NumAgprs: 0
; TotalNumVgprs: 0
; ScratchSize: 0
; MemoryBound: 0
; FloatMode: 240
; IeeeMode: 1
; LDSByteSize: 0 bytes/workgroup (compile time only)
; SGPRBlocks: 0
; VGPRBlocks: 0
; NumSGPRsForWavesPerEU: 6
; NumVGPRsForWavesPerEU: 1
; AccumOffset: 4
; Occupancy: 8
; WaveLimiterHint : 0
; COMPUTE_PGM_RSRC2:SCRATCH_EN: 0
; COMPUTE_PGM_RSRC2:USER_SGPR: 2
; COMPUTE_PGM_RSRC2:TRAP_HANDLER: 0
; COMPUTE_PGM_RSRC2:TGID_X_EN: 1
; COMPUTE_PGM_RSRC2:TGID_Y_EN: 0
; COMPUTE_PGM_RSRC2:TGID_Z_EN: 0
; COMPUTE_PGM_RSRC2:TIDIG_COMP_CNT: 0
; COMPUTE_PGM_RSRC3_GFX90A:ACCUM_OFFSET: 0
; COMPUTE_PGM_RSRC3_GFX90A:TG_SPLIT: 0
	.section	.text._ZN7rocprim17ROCPRIM_400000_NS6detail17trampoline_kernelINS0_14default_configENS1_22reduce_config_selectorItEEZNS1_11reduce_implILb1ES3_PtS7_t9plus_mod3ItEEE10hipError_tPvRmT1_T2_T3_mT4_P12ihipStream_tbEUlT_E1_NS1_11comp_targetILNS1_3genE4ELNS1_11target_archE910ELNS1_3gpuE8ELNS1_3repE0EEENS1_30default_config_static_selectorELNS0_4arch9wavefront6targetE1EEEvSD_,"axG",@progbits,_ZN7rocprim17ROCPRIM_400000_NS6detail17trampoline_kernelINS0_14default_configENS1_22reduce_config_selectorItEEZNS1_11reduce_implILb1ES3_PtS7_t9plus_mod3ItEEE10hipError_tPvRmT1_T2_T3_mT4_P12ihipStream_tbEUlT_E1_NS1_11comp_targetILNS1_3genE4ELNS1_11target_archE910ELNS1_3gpuE8ELNS1_3repE0EEENS1_30default_config_static_selectorELNS0_4arch9wavefront6targetE1EEEvSD_,comdat
	.protected	_ZN7rocprim17ROCPRIM_400000_NS6detail17trampoline_kernelINS0_14default_configENS1_22reduce_config_selectorItEEZNS1_11reduce_implILb1ES3_PtS7_t9plus_mod3ItEEE10hipError_tPvRmT1_T2_T3_mT4_P12ihipStream_tbEUlT_E1_NS1_11comp_targetILNS1_3genE4ELNS1_11target_archE910ELNS1_3gpuE8ELNS1_3repE0EEENS1_30default_config_static_selectorELNS0_4arch9wavefront6targetE1EEEvSD_ ; -- Begin function _ZN7rocprim17ROCPRIM_400000_NS6detail17trampoline_kernelINS0_14default_configENS1_22reduce_config_selectorItEEZNS1_11reduce_implILb1ES3_PtS7_t9plus_mod3ItEEE10hipError_tPvRmT1_T2_T3_mT4_P12ihipStream_tbEUlT_E1_NS1_11comp_targetILNS1_3genE4ELNS1_11target_archE910ELNS1_3gpuE8ELNS1_3repE0EEENS1_30default_config_static_selectorELNS0_4arch9wavefront6targetE1EEEvSD_
	.globl	_ZN7rocprim17ROCPRIM_400000_NS6detail17trampoline_kernelINS0_14default_configENS1_22reduce_config_selectorItEEZNS1_11reduce_implILb1ES3_PtS7_t9plus_mod3ItEEE10hipError_tPvRmT1_T2_T3_mT4_P12ihipStream_tbEUlT_E1_NS1_11comp_targetILNS1_3genE4ELNS1_11target_archE910ELNS1_3gpuE8ELNS1_3repE0EEENS1_30default_config_static_selectorELNS0_4arch9wavefront6targetE1EEEvSD_
	.p2align	8
	.type	_ZN7rocprim17ROCPRIM_400000_NS6detail17trampoline_kernelINS0_14default_configENS1_22reduce_config_selectorItEEZNS1_11reduce_implILb1ES3_PtS7_t9plus_mod3ItEEE10hipError_tPvRmT1_T2_T3_mT4_P12ihipStream_tbEUlT_E1_NS1_11comp_targetILNS1_3genE4ELNS1_11target_archE910ELNS1_3gpuE8ELNS1_3repE0EEENS1_30default_config_static_selectorELNS0_4arch9wavefront6targetE1EEEvSD_,@function
_ZN7rocprim17ROCPRIM_400000_NS6detail17trampoline_kernelINS0_14default_configENS1_22reduce_config_selectorItEEZNS1_11reduce_implILb1ES3_PtS7_t9plus_mod3ItEEE10hipError_tPvRmT1_T2_T3_mT4_P12ihipStream_tbEUlT_E1_NS1_11comp_targetILNS1_3genE4ELNS1_11target_archE910ELNS1_3gpuE8ELNS1_3repE0EEENS1_30default_config_static_selectorELNS0_4arch9wavefront6targetE1EEEvSD_: ; @_ZN7rocprim17ROCPRIM_400000_NS6detail17trampoline_kernelINS0_14default_configENS1_22reduce_config_selectorItEEZNS1_11reduce_implILb1ES3_PtS7_t9plus_mod3ItEEE10hipError_tPvRmT1_T2_T3_mT4_P12ihipStream_tbEUlT_E1_NS1_11comp_targetILNS1_3genE4ELNS1_11target_archE910ELNS1_3gpuE8ELNS1_3repE0EEENS1_30default_config_static_selectorELNS0_4arch9wavefront6targetE1EEEvSD_
; %bb.0:
	.section	.rodata,"a",@progbits
	.p2align	6, 0x0
	.amdhsa_kernel _ZN7rocprim17ROCPRIM_400000_NS6detail17trampoline_kernelINS0_14default_configENS1_22reduce_config_selectorItEEZNS1_11reduce_implILb1ES3_PtS7_t9plus_mod3ItEEE10hipError_tPvRmT1_T2_T3_mT4_P12ihipStream_tbEUlT_E1_NS1_11comp_targetILNS1_3genE4ELNS1_11target_archE910ELNS1_3gpuE8ELNS1_3repE0EEENS1_30default_config_static_selectorELNS0_4arch9wavefront6targetE1EEEvSD_
		.amdhsa_group_segment_fixed_size 0
		.amdhsa_private_segment_fixed_size 0
		.amdhsa_kernarg_size 48
		.amdhsa_user_sgpr_count 2
		.amdhsa_user_sgpr_dispatch_ptr 0
		.amdhsa_user_sgpr_queue_ptr 0
		.amdhsa_user_sgpr_kernarg_segment_ptr 1
		.amdhsa_user_sgpr_dispatch_id 0
		.amdhsa_user_sgpr_kernarg_preload_length 0
		.amdhsa_user_sgpr_kernarg_preload_offset 0
		.amdhsa_user_sgpr_private_segment_size 0
		.amdhsa_uses_dynamic_stack 0
		.amdhsa_enable_private_segment 0
		.amdhsa_system_sgpr_workgroup_id_x 1
		.amdhsa_system_sgpr_workgroup_id_y 0
		.amdhsa_system_sgpr_workgroup_id_z 0
		.amdhsa_system_sgpr_workgroup_info 0
		.amdhsa_system_vgpr_workitem_id 0
		.amdhsa_next_free_vgpr 1
		.amdhsa_next_free_sgpr 0
		.amdhsa_accum_offset 4
		.amdhsa_reserve_vcc 0
		.amdhsa_float_round_mode_32 0
		.amdhsa_float_round_mode_16_64 0
		.amdhsa_float_denorm_mode_32 3
		.amdhsa_float_denorm_mode_16_64 3
		.amdhsa_dx10_clamp 1
		.amdhsa_ieee_mode 1
		.amdhsa_fp16_overflow 0
		.amdhsa_tg_split 0
		.amdhsa_exception_fp_ieee_invalid_op 0
		.amdhsa_exception_fp_denorm_src 0
		.amdhsa_exception_fp_ieee_div_zero 0
		.amdhsa_exception_fp_ieee_overflow 0
		.amdhsa_exception_fp_ieee_underflow 0
		.amdhsa_exception_fp_ieee_inexact 0
		.amdhsa_exception_int_div_zero 0
	.end_amdhsa_kernel
	.section	.text._ZN7rocprim17ROCPRIM_400000_NS6detail17trampoline_kernelINS0_14default_configENS1_22reduce_config_selectorItEEZNS1_11reduce_implILb1ES3_PtS7_t9plus_mod3ItEEE10hipError_tPvRmT1_T2_T3_mT4_P12ihipStream_tbEUlT_E1_NS1_11comp_targetILNS1_3genE4ELNS1_11target_archE910ELNS1_3gpuE8ELNS1_3repE0EEENS1_30default_config_static_selectorELNS0_4arch9wavefront6targetE1EEEvSD_,"axG",@progbits,_ZN7rocprim17ROCPRIM_400000_NS6detail17trampoline_kernelINS0_14default_configENS1_22reduce_config_selectorItEEZNS1_11reduce_implILb1ES3_PtS7_t9plus_mod3ItEEE10hipError_tPvRmT1_T2_T3_mT4_P12ihipStream_tbEUlT_E1_NS1_11comp_targetILNS1_3genE4ELNS1_11target_archE910ELNS1_3gpuE8ELNS1_3repE0EEENS1_30default_config_static_selectorELNS0_4arch9wavefront6targetE1EEEvSD_,comdat
.Lfunc_end850:
	.size	_ZN7rocprim17ROCPRIM_400000_NS6detail17trampoline_kernelINS0_14default_configENS1_22reduce_config_selectorItEEZNS1_11reduce_implILb1ES3_PtS7_t9plus_mod3ItEEE10hipError_tPvRmT1_T2_T3_mT4_P12ihipStream_tbEUlT_E1_NS1_11comp_targetILNS1_3genE4ELNS1_11target_archE910ELNS1_3gpuE8ELNS1_3repE0EEENS1_30default_config_static_selectorELNS0_4arch9wavefront6targetE1EEEvSD_, .Lfunc_end850-_ZN7rocprim17ROCPRIM_400000_NS6detail17trampoline_kernelINS0_14default_configENS1_22reduce_config_selectorItEEZNS1_11reduce_implILb1ES3_PtS7_t9plus_mod3ItEEE10hipError_tPvRmT1_T2_T3_mT4_P12ihipStream_tbEUlT_E1_NS1_11comp_targetILNS1_3genE4ELNS1_11target_archE910ELNS1_3gpuE8ELNS1_3repE0EEENS1_30default_config_static_selectorELNS0_4arch9wavefront6targetE1EEEvSD_
                                        ; -- End function
	.set _ZN7rocprim17ROCPRIM_400000_NS6detail17trampoline_kernelINS0_14default_configENS1_22reduce_config_selectorItEEZNS1_11reduce_implILb1ES3_PtS7_t9plus_mod3ItEEE10hipError_tPvRmT1_T2_T3_mT4_P12ihipStream_tbEUlT_E1_NS1_11comp_targetILNS1_3genE4ELNS1_11target_archE910ELNS1_3gpuE8ELNS1_3repE0EEENS1_30default_config_static_selectorELNS0_4arch9wavefront6targetE1EEEvSD_.num_vgpr, 0
	.set _ZN7rocprim17ROCPRIM_400000_NS6detail17trampoline_kernelINS0_14default_configENS1_22reduce_config_selectorItEEZNS1_11reduce_implILb1ES3_PtS7_t9plus_mod3ItEEE10hipError_tPvRmT1_T2_T3_mT4_P12ihipStream_tbEUlT_E1_NS1_11comp_targetILNS1_3genE4ELNS1_11target_archE910ELNS1_3gpuE8ELNS1_3repE0EEENS1_30default_config_static_selectorELNS0_4arch9wavefront6targetE1EEEvSD_.num_agpr, 0
	.set _ZN7rocprim17ROCPRIM_400000_NS6detail17trampoline_kernelINS0_14default_configENS1_22reduce_config_selectorItEEZNS1_11reduce_implILb1ES3_PtS7_t9plus_mod3ItEEE10hipError_tPvRmT1_T2_T3_mT4_P12ihipStream_tbEUlT_E1_NS1_11comp_targetILNS1_3genE4ELNS1_11target_archE910ELNS1_3gpuE8ELNS1_3repE0EEENS1_30default_config_static_selectorELNS0_4arch9wavefront6targetE1EEEvSD_.numbered_sgpr, 0
	.set _ZN7rocprim17ROCPRIM_400000_NS6detail17trampoline_kernelINS0_14default_configENS1_22reduce_config_selectorItEEZNS1_11reduce_implILb1ES3_PtS7_t9plus_mod3ItEEE10hipError_tPvRmT1_T2_T3_mT4_P12ihipStream_tbEUlT_E1_NS1_11comp_targetILNS1_3genE4ELNS1_11target_archE910ELNS1_3gpuE8ELNS1_3repE0EEENS1_30default_config_static_selectorELNS0_4arch9wavefront6targetE1EEEvSD_.num_named_barrier, 0
	.set _ZN7rocprim17ROCPRIM_400000_NS6detail17trampoline_kernelINS0_14default_configENS1_22reduce_config_selectorItEEZNS1_11reduce_implILb1ES3_PtS7_t9plus_mod3ItEEE10hipError_tPvRmT1_T2_T3_mT4_P12ihipStream_tbEUlT_E1_NS1_11comp_targetILNS1_3genE4ELNS1_11target_archE910ELNS1_3gpuE8ELNS1_3repE0EEENS1_30default_config_static_selectorELNS0_4arch9wavefront6targetE1EEEvSD_.private_seg_size, 0
	.set _ZN7rocprim17ROCPRIM_400000_NS6detail17trampoline_kernelINS0_14default_configENS1_22reduce_config_selectorItEEZNS1_11reduce_implILb1ES3_PtS7_t9plus_mod3ItEEE10hipError_tPvRmT1_T2_T3_mT4_P12ihipStream_tbEUlT_E1_NS1_11comp_targetILNS1_3genE4ELNS1_11target_archE910ELNS1_3gpuE8ELNS1_3repE0EEENS1_30default_config_static_selectorELNS0_4arch9wavefront6targetE1EEEvSD_.uses_vcc, 0
	.set _ZN7rocprim17ROCPRIM_400000_NS6detail17trampoline_kernelINS0_14default_configENS1_22reduce_config_selectorItEEZNS1_11reduce_implILb1ES3_PtS7_t9plus_mod3ItEEE10hipError_tPvRmT1_T2_T3_mT4_P12ihipStream_tbEUlT_E1_NS1_11comp_targetILNS1_3genE4ELNS1_11target_archE910ELNS1_3gpuE8ELNS1_3repE0EEENS1_30default_config_static_selectorELNS0_4arch9wavefront6targetE1EEEvSD_.uses_flat_scratch, 0
	.set _ZN7rocprim17ROCPRIM_400000_NS6detail17trampoline_kernelINS0_14default_configENS1_22reduce_config_selectorItEEZNS1_11reduce_implILb1ES3_PtS7_t9plus_mod3ItEEE10hipError_tPvRmT1_T2_T3_mT4_P12ihipStream_tbEUlT_E1_NS1_11comp_targetILNS1_3genE4ELNS1_11target_archE910ELNS1_3gpuE8ELNS1_3repE0EEENS1_30default_config_static_selectorELNS0_4arch9wavefront6targetE1EEEvSD_.has_dyn_sized_stack, 0
	.set _ZN7rocprim17ROCPRIM_400000_NS6detail17trampoline_kernelINS0_14default_configENS1_22reduce_config_selectorItEEZNS1_11reduce_implILb1ES3_PtS7_t9plus_mod3ItEEE10hipError_tPvRmT1_T2_T3_mT4_P12ihipStream_tbEUlT_E1_NS1_11comp_targetILNS1_3genE4ELNS1_11target_archE910ELNS1_3gpuE8ELNS1_3repE0EEENS1_30default_config_static_selectorELNS0_4arch9wavefront6targetE1EEEvSD_.has_recursion, 0
	.set _ZN7rocprim17ROCPRIM_400000_NS6detail17trampoline_kernelINS0_14default_configENS1_22reduce_config_selectorItEEZNS1_11reduce_implILb1ES3_PtS7_t9plus_mod3ItEEE10hipError_tPvRmT1_T2_T3_mT4_P12ihipStream_tbEUlT_E1_NS1_11comp_targetILNS1_3genE4ELNS1_11target_archE910ELNS1_3gpuE8ELNS1_3repE0EEENS1_30default_config_static_selectorELNS0_4arch9wavefront6targetE1EEEvSD_.has_indirect_call, 0
	.section	.AMDGPU.csdata,"",@progbits
; Kernel info:
; codeLenInByte = 0
; TotalNumSgprs: 6
; NumVgprs: 0
; NumAgprs: 0
; TotalNumVgprs: 0
; ScratchSize: 0
; MemoryBound: 0
; FloatMode: 240
; IeeeMode: 1
; LDSByteSize: 0 bytes/workgroup (compile time only)
; SGPRBlocks: 0
; VGPRBlocks: 0
; NumSGPRsForWavesPerEU: 6
; NumVGPRsForWavesPerEU: 1
; AccumOffset: 4
; Occupancy: 8
; WaveLimiterHint : 0
; COMPUTE_PGM_RSRC2:SCRATCH_EN: 0
; COMPUTE_PGM_RSRC2:USER_SGPR: 2
; COMPUTE_PGM_RSRC2:TRAP_HANDLER: 0
; COMPUTE_PGM_RSRC2:TGID_X_EN: 1
; COMPUTE_PGM_RSRC2:TGID_Y_EN: 0
; COMPUTE_PGM_RSRC2:TGID_Z_EN: 0
; COMPUTE_PGM_RSRC2:TIDIG_COMP_CNT: 0
; COMPUTE_PGM_RSRC3_GFX90A:ACCUM_OFFSET: 0
; COMPUTE_PGM_RSRC3_GFX90A:TG_SPLIT: 0
	.section	.text._ZN7rocprim17ROCPRIM_400000_NS6detail17trampoline_kernelINS0_14default_configENS1_22reduce_config_selectorItEEZNS1_11reduce_implILb1ES3_PtS7_t9plus_mod3ItEEE10hipError_tPvRmT1_T2_T3_mT4_P12ihipStream_tbEUlT_E1_NS1_11comp_targetILNS1_3genE3ELNS1_11target_archE908ELNS1_3gpuE7ELNS1_3repE0EEENS1_30default_config_static_selectorELNS0_4arch9wavefront6targetE1EEEvSD_,"axG",@progbits,_ZN7rocprim17ROCPRIM_400000_NS6detail17trampoline_kernelINS0_14default_configENS1_22reduce_config_selectorItEEZNS1_11reduce_implILb1ES3_PtS7_t9plus_mod3ItEEE10hipError_tPvRmT1_T2_T3_mT4_P12ihipStream_tbEUlT_E1_NS1_11comp_targetILNS1_3genE3ELNS1_11target_archE908ELNS1_3gpuE7ELNS1_3repE0EEENS1_30default_config_static_selectorELNS0_4arch9wavefront6targetE1EEEvSD_,comdat
	.protected	_ZN7rocprim17ROCPRIM_400000_NS6detail17trampoline_kernelINS0_14default_configENS1_22reduce_config_selectorItEEZNS1_11reduce_implILb1ES3_PtS7_t9plus_mod3ItEEE10hipError_tPvRmT1_T2_T3_mT4_P12ihipStream_tbEUlT_E1_NS1_11comp_targetILNS1_3genE3ELNS1_11target_archE908ELNS1_3gpuE7ELNS1_3repE0EEENS1_30default_config_static_selectorELNS0_4arch9wavefront6targetE1EEEvSD_ ; -- Begin function _ZN7rocprim17ROCPRIM_400000_NS6detail17trampoline_kernelINS0_14default_configENS1_22reduce_config_selectorItEEZNS1_11reduce_implILb1ES3_PtS7_t9plus_mod3ItEEE10hipError_tPvRmT1_T2_T3_mT4_P12ihipStream_tbEUlT_E1_NS1_11comp_targetILNS1_3genE3ELNS1_11target_archE908ELNS1_3gpuE7ELNS1_3repE0EEENS1_30default_config_static_selectorELNS0_4arch9wavefront6targetE1EEEvSD_
	.globl	_ZN7rocprim17ROCPRIM_400000_NS6detail17trampoline_kernelINS0_14default_configENS1_22reduce_config_selectorItEEZNS1_11reduce_implILb1ES3_PtS7_t9plus_mod3ItEEE10hipError_tPvRmT1_T2_T3_mT4_P12ihipStream_tbEUlT_E1_NS1_11comp_targetILNS1_3genE3ELNS1_11target_archE908ELNS1_3gpuE7ELNS1_3repE0EEENS1_30default_config_static_selectorELNS0_4arch9wavefront6targetE1EEEvSD_
	.p2align	8
	.type	_ZN7rocprim17ROCPRIM_400000_NS6detail17trampoline_kernelINS0_14default_configENS1_22reduce_config_selectorItEEZNS1_11reduce_implILb1ES3_PtS7_t9plus_mod3ItEEE10hipError_tPvRmT1_T2_T3_mT4_P12ihipStream_tbEUlT_E1_NS1_11comp_targetILNS1_3genE3ELNS1_11target_archE908ELNS1_3gpuE7ELNS1_3repE0EEENS1_30default_config_static_selectorELNS0_4arch9wavefront6targetE1EEEvSD_,@function
_ZN7rocprim17ROCPRIM_400000_NS6detail17trampoline_kernelINS0_14default_configENS1_22reduce_config_selectorItEEZNS1_11reduce_implILb1ES3_PtS7_t9plus_mod3ItEEE10hipError_tPvRmT1_T2_T3_mT4_P12ihipStream_tbEUlT_E1_NS1_11comp_targetILNS1_3genE3ELNS1_11target_archE908ELNS1_3gpuE7ELNS1_3repE0EEENS1_30default_config_static_selectorELNS0_4arch9wavefront6targetE1EEEvSD_: ; @_ZN7rocprim17ROCPRIM_400000_NS6detail17trampoline_kernelINS0_14default_configENS1_22reduce_config_selectorItEEZNS1_11reduce_implILb1ES3_PtS7_t9plus_mod3ItEEE10hipError_tPvRmT1_T2_T3_mT4_P12ihipStream_tbEUlT_E1_NS1_11comp_targetILNS1_3genE3ELNS1_11target_archE908ELNS1_3gpuE7ELNS1_3repE0EEENS1_30default_config_static_selectorELNS0_4arch9wavefront6targetE1EEEvSD_
; %bb.0:
	.section	.rodata,"a",@progbits
	.p2align	6, 0x0
	.amdhsa_kernel _ZN7rocprim17ROCPRIM_400000_NS6detail17trampoline_kernelINS0_14default_configENS1_22reduce_config_selectorItEEZNS1_11reduce_implILb1ES3_PtS7_t9plus_mod3ItEEE10hipError_tPvRmT1_T2_T3_mT4_P12ihipStream_tbEUlT_E1_NS1_11comp_targetILNS1_3genE3ELNS1_11target_archE908ELNS1_3gpuE7ELNS1_3repE0EEENS1_30default_config_static_selectorELNS0_4arch9wavefront6targetE1EEEvSD_
		.amdhsa_group_segment_fixed_size 0
		.amdhsa_private_segment_fixed_size 0
		.amdhsa_kernarg_size 48
		.amdhsa_user_sgpr_count 2
		.amdhsa_user_sgpr_dispatch_ptr 0
		.amdhsa_user_sgpr_queue_ptr 0
		.amdhsa_user_sgpr_kernarg_segment_ptr 1
		.amdhsa_user_sgpr_dispatch_id 0
		.amdhsa_user_sgpr_kernarg_preload_length 0
		.amdhsa_user_sgpr_kernarg_preload_offset 0
		.amdhsa_user_sgpr_private_segment_size 0
		.amdhsa_uses_dynamic_stack 0
		.amdhsa_enable_private_segment 0
		.amdhsa_system_sgpr_workgroup_id_x 1
		.amdhsa_system_sgpr_workgroup_id_y 0
		.amdhsa_system_sgpr_workgroup_id_z 0
		.amdhsa_system_sgpr_workgroup_info 0
		.amdhsa_system_vgpr_workitem_id 0
		.amdhsa_next_free_vgpr 1
		.amdhsa_next_free_sgpr 0
		.amdhsa_accum_offset 4
		.amdhsa_reserve_vcc 0
		.amdhsa_float_round_mode_32 0
		.amdhsa_float_round_mode_16_64 0
		.amdhsa_float_denorm_mode_32 3
		.amdhsa_float_denorm_mode_16_64 3
		.amdhsa_dx10_clamp 1
		.amdhsa_ieee_mode 1
		.amdhsa_fp16_overflow 0
		.amdhsa_tg_split 0
		.amdhsa_exception_fp_ieee_invalid_op 0
		.amdhsa_exception_fp_denorm_src 0
		.amdhsa_exception_fp_ieee_div_zero 0
		.amdhsa_exception_fp_ieee_overflow 0
		.amdhsa_exception_fp_ieee_underflow 0
		.amdhsa_exception_fp_ieee_inexact 0
		.amdhsa_exception_int_div_zero 0
	.end_amdhsa_kernel
	.section	.text._ZN7rocprim17ROCPRIM_400000_NS6detail17trampoline_kernelINS0_14default_configENS1_22reduce_config_selectorItEEZNS1_11reduce_implILb1ES3_PtS7_t9plus_mod3ItEEE10hipError_tPvRmT1_T2_T3_mT4_P12ihipStream_tbEUlT_E1_NS1_11comp_targetILNS1_3genE3ELNS1_11target_archE908ELNS1_3gpuE7ELNS1_3repE0EEENS1_30default_config_static_selectorELNS0_4arch9wavefront6targetE1EEEvSD_,"axG",@progbits,_ZN7rocprim17ROCPRIM_400000_NS6detail17trampoline_kernelINS0_14default_configENS1_22reduce_config_selectorItEEZNS1_11reduce_implILb1ES3_PtS7_t9plus_mod3ItEEE10hipError_tPvRmT1_T2_T3_mT4_P12ihipStream_tbEUlT_E1_NS1_11comp_targetILNS1_3genE3ELNS1_11target_archE908ELNS1_3gpuE7ELNS1_3repE0EEENS1_30default_config_static_selectorELNS0_4arch9wavefront6targetE1EEEvSD_,comdat
.Lfunc_end851:
	.size	_ZN7rocprim17ROCPRIM_400000_NS6detail17trampoline_kernelINS0_14default_configENS1_22reduce_config_selectorItEEZNS1_11reduce_implILb1ES3_PtS7_t9plus_mod3ItEEE10hipError_tPvRmT1_T2_T3_mT4_P12ihipStream_tbEUlT_E1_NS1_11comp_targetILNS1_3genE3ELNS1_11target_archE908ELNS1_3gpuE7ELNS1_3repE0EEENS1_30default_config_static_selectorELNS0_4arch9wavefront6targetE1EEEvSD_, .Lfunc_end851-_ZN7rocprim17ROCPRIM_400000_NS6detail17trampoline_kernelINS0_14default_configENS1_22reduce_config_selectorItEEZNS1_11reduce_implILb1ES3_PtS7_t9plus_mod3ItEEE10hipError_tPvRmT1_T2_T3_mT4_P12ihipStream_tbEUlT_E1_NS1_11comp_targetILNS1_3genE3ELNS1_11target_archE908ELNS1_3gpuE7ELNS1_3repE0EEENS1_30default_config_static_selectorELNS0_4arch9wavefront6targetE1EEEvSD_
                                        ; -- End function
	.set _ZN7rocprim17ROCPRIM_400000_NS6detail17trampoline_kernelINS0_14default_configENS1_22reduce_config_selectorItEEZNS1_11reduce_implILb1ES3_PtS7_t9plus_mod3ItEEE10hipError_tPvRmT1_T2_T3_mT4_P12ihipStream_tbEUlT_E1_NS1_11comp_targetILNS1_3genE3ELNS1_11target_archE908ELNS1_3gpuE7ELNS1_3repE0EEENS1_30default_config_static_selectorELNS0_4arch9wavefront6targetE1EEEvSD_.num_vgpr, 0
	.set _ZN7rocprim17ROCPRIM_400000_NS6detail17trampoline_kernelINS0_14default_configENS1_22reduce_config_selectorItEEZNS1_11reduce_implILb1ES3_PtS7_t9plus_mod3ItEEE10hipError_tPvRmT1_T2_T3_mT4_P12ihipStream_tbEUlT_E1_NS1_11comp_targetILNS1_3genE3ELNS1_11target_archE908ELNS1_3gpuE7ELNS1_3repE0EEENS1_30default_config_static_selectorELNS0_4arch9wavefront6targetE1EEEvSD_.num_agpr, 0
	.set _ZN7rocprim17ROCPRIM_400000_NS6detail17trampoline_kernelINS0_14default_configENS1_22reduce_config_selectorItEEZNS1_11reduce_implILb1ES3_PtS7_t9plus_mod3ItEEE10hipError_tPvRmT1_T2_T3_mT4_P12ihipStream_tbEUlT_E1_NS1_11comp_targetILNS1_3genE3ELNS1_11target_archE908ELNS1_3gpuE7ELNS1_3repE0EEENS1_30default_config_static_selectorELNS0_4arch9wavefront6targetE1EEEvSD_.numbered_sgpr, 0
	.set _ZN7rocprim17ROCPRIM_400000_NS6detail17trampoline_kernelINS0_14default_configENS1_22reduce_config_selectorItEEZNS1_11reduce_implILb1ES3_PtS7_t9plus_mod3ItEEE10hipError_tPvRmT1_T2_T3_mT4_P12ihipStream_tbEUlT_E1_NS1_11comp_targetILNS1_3genE3ELNS1_11target_archE908ELNS1_3gpuE7ELNS1_3repE0EEENS1_30default_config_static_selectorELNS0_4arch9wavefront6targetE1EEEvSD_.num_named_barrier, 0
	.set _ZN7rocprim17ROCPRIM_400000_NS6detail17trampoline_kernelINS0_14default_configENS1_22reduce_config_selectorItEEZNS1_11reduce_implILb1ES3_PtS7_t9plus_mod3ItEEE10hipError_tPvRmT1_T2_T3_mT4_P12ihipStream_tbEUlT_E1_NS1_11comp_targetILNS1_3genE3ELNS1_11target_archE908ELNS1_3gpuE7ELNS1_3repE0EEENS1_30default_config_static_selectorELNS0_4arch9wavefront6targetE1EEEvSD_.private_seg_size, 0
	.set _ZN7rocprim17ROCPRIM_400000_NS6detail17trampoline_kernelINS0_14default_configENS1_22reduce_config_selectorItEEZNS1_11reduce_implILb1ES3_PtS7_t9plus_mod3ItEEE10hipError_tPvRmT1_T2_T3_mT4_P12ihipStream_tbEUlT_E1_NS1_11comp_targetILNS1_3genE3ELNS1_11target_archE908ELNS1_3gpuE7ELNS1_3repE0EEENS1_30default_config_static_selectorELNS0_4arch9wavefront6targetE1EEEvSD_.uses_vcc, 0
	.set _ZN7rocprim17ROCPRIM_400000_NS6detail17trampoline_kernelINS0_14default_configENS1_22reduce_config_selectorItEEZNS1_11reduce_implILb1ES3_PtS7_t9plus_mod3ItEEE10hipError_tPvRmT1_T2_T3_mT4_P12ihipStream_tbEUlT_E1_NS1_11comp_targetILNS1_3genE3ELNS1_11target_archE908ELNS1_3gpuE7ELNS1_3repE0EEENS1_30default_config_static_selectorELNS0_4arch9wavefront6targetE1EEEvSD_.uses_flat_scratch, 0
	.set _ZN7rocprim17ROCPRIM_400000_NS6detail17trampoline_kernelINS0_14default_configENS1_22reduce_config_selectorItEEZNS1_11reduce_implILb1ES3_PtS7_t9plus_mod3ItEEE10hipError_tPvRmT1_T2_T3_mT4_P12ihipStream_tbEUlT_E1_NS1_11comp_targetILNS1_3genE3ELNS1_11target_archE908ELNS1_3gpuE7ELNS1_3repE0EEENS1_30default_config_static_selectorELNS0_4arch9wavefront6targetE1EEEvSD_.has_dyn_sized_stack, 0
	.set _ZN7rocprim17ROCPRIM_400000_NS6detail17trampoline_kernelINS0_14default_configENS1_22reduce_config_selectorItEEZNS1_11reduce_implILb1ES3_PtS7_t9plus_mod3ItEEE10hipError_tPvRmT1_T2_T3_mT4_P12ihipStream_tbEUlT_E1_NS1_11comp_targetILNS1_3genE3ELNS1_11target_archE908ELNS1_3gpuE7ELNS1_3repE0EEENS1_30default_config_static_selectorELNS0_4arch9wavefront6targetE1EEEvSD_.has_recursion, 0
	.set _ZN7rocprim17ROCPRIM_400000_NS6detail17trampoline_kernelINS0_14default_configENS1_22reduce_config_selectorItEEZNS1_11reduce_implILb1ES3_PtS7_t9plus_mod3ItEEE10hipError_tPvRmT1_T2_T3_mT4_P12ihipStream_tbEUlT_E1_NS1_11comp_targetILNS1_3genE3ELNS1_11target_archE908ELNS1_3gpuE7ELNS1_3repE0EEENS1_30default_config_static_selectorELNS0_4arch9wavefront6targetE1EEEvSD_.has_indirect_call, 0
	.section	.AMDGPU.csdata,"",@progbits
; Kernel info:
; codeLenInByte = 0
; TotalNumSgprs: 6
; NumVgprs: 0
; NumAgprs: 0
; TotalNumVgprs: 0
; ScratchSize: 0
; MemoryBound: 0
; FloatMode: 240
; IeeeMode: 1
; LDSByteSize: 0 bytes/workgroup (compile time only)
; SGPRBlocks: 0
; VGPRBlocks: 0
; NumSGPRsForWavesPerEU: 6
; NumVGPRsForWavesPerEU: 1
; AccumOffset: 4
; Occupancy: 8
; WaveLimiterHint : 0
; COMPUTE_PGM_RSRC2:SCRATCH_EN: 0
; COMPUTE_PGM_RSRC2:USER_SGPR: 2
; COMPUTE_PGM_RSRC2:TRAP_HANDLER: 0
; COMPUTE_PGM_RSRC2:TGID_X_EN: 1
; COMPUTE_PGM_RSRC2:TGID_Y_EN: 0
; COMPUTE_PGM_RSRC2:TGID_Z_EN: 0
; COMPUTE_PGM_RSRC2:TIDIG_COMP_CNT: 0
; COMPUTE_PGM_RSRC3_GFX90A:ACCUM_OFFSET: 0
; COMPUTE_PGM_RSRC3_GFX90A:TG_SPLIT: 0
	.section	.text._ZN7rocprim17ROCPRIM_400000_NS6detail17trampoline_kernelINS0_14default_configENS1_22reduce_config_selectorItEEZNS1_11reduce_implILb1ES3_PtS7_t9plus_mod3ItEEE10hipError_tPvRmT1_T2_T3_mT4_P12ihipStream_tbEUlT_E1_NS1_11comp_targetILNS1_3genE2ELNS1_11target_archE906ELNS1_3gpuE6ELNS1_3repE0EEENS1_30default_config_static_selectorELNS0_4arch9wavefront6targetE1EEEvSD_,"axG",@progbits,_ZN7rocprim17ROCPRIM_400000_NS6detail17trampoline_kernelINS0_14default_configENS1_22reduce_config_selectorItEEZNS1_11reduce_implILb1ES3_PtS7_t9plus_mod3ItEEE10hipError_tPvRmT1_T2_T3_mT4_P12ihipStream_tbEUlT_E1_NS1_11comp_targetILNS1_3genE2ELNS1_11target_archE906ELNS1_3gpuE6ELNS1_3repE0EEENS1_30default_config_static_selectorELNS0_4arch9wavefront6targetE1EEEvSD_,comdat
	.protected	_ZN7rocprim17ROCPRIM_400000_NS6detail17trampoline_kernelINS0_14default_configENS1_22reduce_config_selectorItEEZNS1_11reduce_implILb1ES3_PtS7_t9plus_mod3ItEEE10hipError_tPvRmT1_T2_T3_mT4_P12ihipStream_tbEUlT_E1_NS1_11comp_targetILNS1_3genE2ELNS1_11target_archE906ELNS1_3gpuE6ELNS1_3repE0EEENS1_30default_config_static_selectorELNS0_4arch9wavefront6targetE1EEEvSD_ ; -- Begin function _ZN7rocprim17ROCPRIM_400000_NS6detail17trampoline_kernelINS0_14default_configENS1_22reduce_config_selectorItEEZNS1_11reduce_implILb1ES3_PtS7_t9plus_mod3ItEEE10hipError_tPvRmT1_T2_T3_mT4_P12ihipStream_tbEUlT_E1_NS1_11comp_targetILNS1_3genE2ELNS1_11target_archE906ELNS1_3gpuE6ELNS1_3repE0EEENS1_30default_config_static_selectorELNS0_4arch9wavefront6targetE1EEEvSD_
	.globl	_ZN7rocprim17ROCPRIM_400000_NS6detail17trampoline_kernelINS0_14default_configENS1_22reduce_config_selectorItEEZNS1_11reduce_implILb1ES3_PtS7_t9plus_mod3ItEEE10hipError_tPvRmT1_T2_T3_mT4_P12ihipStream_tbEUlT_E1_NS1_11comp_targetILNS1_3genE2ELNS1_11target_archE906ELNS1_3gpuE6ELNS1_3repE0EEENS1_30default_config_static_selectorELNS0_4arch9wavefront6targetE1EEEvSD_
	.p2align	8
	.type	_ZN7rocprim17ROCPRIM_400000_NS6detail17trampoline_kernelINS0_14default_configENS1_22reduce_config_selectorItEEZNS1_11reduce_implILb1ES3_PtS7_t9plus_mod3ItEEE10hipError_tPvRmT1_T2_T3_mT4_P12ihipStream_tbEUlT_E1_NS1_11comp_targetILNS1_3genE2ELNS1_11target_archE906ELNS1_3gpuE6ELNS1_3repE0EEENS1_30default_config_static_selectorELNS0_4arch9wavefront6targetE1EEEvSD_,@function
_ZN7rocprim17ROCPRIM_400000_NS6detail17trampoline_kernelINS0_14default_configENS1_22reduce_config_selectorItEEZNS1_11reduce_implILb1ES3_PtS7_t9plus_mod3ItEEE10hipError_tPvRmT1_T2_T3_mT4_P12ihipStream_tbEUlT_E1_NS1_11comp_targetILNS1_3genE2ELNS1_11target_archE906ELNS1_3gpuE6ELNS1_3repE0EEENS1_30default_config_static_selectorELNS0_4arch9wavefront6targetE1EEEvSD_: ; @_ZN7rocprim17ROCPRIM_400000_NS6detail17trampoline_kernelINS0_14default_configENS1_22reduce_config_selectorItEEZNS1_11reduce_implILb1ES3_PtS7_t9plus_mod3ItEEE10hipError_tPvRmT1_T2_T3_mT4_P12ihipStream_tbEUlT_E1_NS1_11comp_targetILNS1_3genE2ELNS1_11target_archE906ELNS1_3gpuE6ELNS1_3repE0EEENS1_30default_config_static_selectorELNS0_4arch9wavefront6targetE1EEEvSD_
; %bb.0:
	.section	.rodata,"a",@progbits
	.p2align	6, 0x0
	.amdhsa_kernel _ZN7rocprim17ROCPRIM_400000_NS6detail17trampoline_kernelINS0_14default_configENS1_22reduce_config_selectorItEEZNS1_11reduce_implILb1ES3_PtS7_t9plus_mod3ItEEE10hipError_tPvRmT1_T2_T3_mT4_P12ihipStream_tbEUlT_E1_NS1_11comp_targetILNS1_3genE2ELNS1_11target_archE906ELNS1_3gpuE6ELNS1_3repE0EEENS1_30default_config_static_selectorELNS0_4arch9wavefront6targetE1EEEvSD_
		.amdhsa_group_segment_fixed_size 0
		.amdhsa_private_segment_fixed_size 0
		.amdhsa_kernarg_size 48
		.amdhsa_user_sgpr_count 2
		.amdhsa_user_sgpr_dispatch_ptr 0
		.amdhsa_user_sgpr_queue_ptr 0
		.amdhsa_user_sgpr_kernarg_segment_ptr 1
		.amdhsa_user_sgpr_dispatch_id 0
		.amdhsa_user_sgpr_kernarg_preload_length 0
		.amdhsa_user_sgpr_kernarg_preload_offset 0
		.amdhsa_user_sgpr_private_segment_size 0
		.amdhsa_uses_dynamic_stack 0
		.amdhsa_enable_private_segment 0
		.amdhsa_system_sgpr_workgroup_id_x 1
		.amdhsa_system_sgpr_workgroup_id_y 0
		.amdhsa_system_sgpr_workgroup_id_z 0
		.amdhsa_system_sgpr_workgroup_info 0
		.amdhsa_system_vgpr_workitem_id 0
		.amdhsa_next_free_vgpr 1
		.amdhsa_next_free_sgpr 0
		.amdhsa_accum_offset 4
		.amdhsa_reserve_vcc 0
		.amdhsa_float_round_mode_32 0
		.amdhsa_float_round_mode_16_64 0
		.amdhsa_float_denorm_mode_32 3
		.amdhsa_float_denorm_mode_16_64 3
		.amdhsa_dx10_clamp 1
		.amdhsa_ieee_mode 1
		.amdhsa_fp16_overflow 0
		.amdhsa_tg_split 0
		.amdhsa_exception_fp_ieee_invalid_op 0
		.amdhsa_exception_fp_denorm_src 0
		.amdhsa_exception_fp_ieee_div_zero 0
		.amdhsa_exception_fp_ieee_overflow 0
		.amdhsa_exception_fp_ieee_underflow 0
		.amdhsa_exception_fp_ieee_inexact 0
		.amdhsa_exception_int_div_zero 0
	.end_amdhsa_kernel
	.section	.text._ZN7rocprim17ROCPRIM_400000_NS6detail17trampoline_kernelINS0_14default_configENS1_22reduce_config_selectorItEEZNS1_11reduce_implILb1ES3_PtS7_t9plus_mod3ItEEE10hipError_tPvRmT1_T2_T3_mT4_P12ihipStream_tbEUlT_E1_NS1_11comp_targetILNS1_3genE2ELNS1_11target_archE906ELNS1_3gpuE6ELNS1_3repE0EEENS1_30default_config_static_selectorELNS0_4arch9wavefront6targetE1EEEvSD_,"axG",@progbits,_ZN7rocprim17ROCPRIM_400000_NS6detail17trampoline_kernelINS0_14default_configENS1_22reduce_config_selectorItEEZNS1_11reduce_implILb1ES3_PtS7_t9plus_mod3ItEEE10hipError_tPvRmT1_T2_T3_mT4_P12ihipStream_tbEUlT_E1_NS1_11comp_targetILNS1_3genE2ELNS1_11target_archE906ELNS1_3gpuE6ELNS1_3repE0EEENS1_30default_config_static_selectorELNS0_4arch9wavefront6targetE1EEEvSD_,comdat
.Lfunc_end852:
	.size	_ZN7rocprim17ROCPRIM_400000_NS6detail17trampoline_kernelINS0_14default_configENS1_22reduce_config_selectorItEEZNS1_11reduce_implILb1ES3_PtS7_t9plus_mod3ItEEE10hipError_tPvRmT1_T2_T3_mT4_P12ihipStream_tbEUlT_E1_NS1_11comp_targetILNS1_3genE2ELNS1_11target_archE906ELNS1_3gpuE6ELNS1_3repE0EEENS1_30default_config_static_selectorELNS0_4arch9wavefront6targetE1EEEvSD_, .Lfunc_end852-_ZN7rocprim17ROCPRIM_400000_NS6detail17trampoline_kernelINS0_14default_configENS1_22reduce_config_selectorItEEZNS1_11reduce_implILb1ES3_PtS7_t9plus_mod3ItEEE10hipError_tPvRmT1_T2_T3_mT4_P12ihipStream_tbEUlT_E1_NS1_11comp_targetILNS1_3genE2ELNS1_11target_archE906ELNS1_3gpuE6ELNS1_3repE0EEENS1_30default_config_static_selectorELNS0_4arch9wavefront6targetE1EEEvSD_
                                        ; -- End function
	.set _ZN7rocprim17ROCPRIM_400000_NS6detail17trampoline_kernelINS0_14default_configENS1_22reduce_config_selectorItEEZNS1_11reduce_implILb1ES3_PtS7_t9plus_mod3ItEEE10hipError_tPvRmT1_T2_T3_mT4_P12ihipStream_tbEUlT_E1_NS1_11comp_targetILNS1_3genE2ELNS1_11target_archE906ELNS1_3gpuE6ELNS1_3repE0EEENS1_30default_config_static_selectorELNS0_4arch9wavefront6targetE1EEEvSD_.num_vgpr, 0
	.set _ZN7rocprim17ROCPRIM_400000_NS6detail17trampoline_kernelINS0_14default_configENS1_22reduce_config_selectorItEEZNS1_11reduce_implILb1ES3_PtS7_t9plus_mod3ItEEE10hipError_tPvRmT1_T2_T3_mT4_P12ihipStream_tbEUlT_E1_NS1_11comp_targetILNS1_3genE2ELNS1_11target_archE906ELNS1_3gpuE6ELNS1_3repE0EEENS1_30default_config_static_selectorELNS0_4arch9wavefront6targetE1EEEvSD_.num_agpr, 0
	.set _ZN7rocprim17ROCPRIM_400000_NS6detail17trampoline_kernelINS0_14default_configENS1_22reduce_config_selectorItEEZNS1_11reduce_implILb1ES3_PtS7_t9plus_mod3ItEEE10hipError_tPvRmT1_T2_T3_mT4_P12ihipStream_tbEUlT_E1_NS1_11comp_targetILNS1_3genE2ELNS1_11target_archE906ELNS1_3gpuE6ELNS1_3repE0EEENS1_30default_config_static_selectorELNS0_4arch9wavefront6targetE1EEEvSD_.numbered_sgpr, 0
	.set _ZN7rocprim17ROCPRIM_400000_NS6detail17trampoline_kernelINS0_14default_configENS1_22reduce_config_selectorItEEZNS1_11reduce_implILb1ES3_PtS7_t9plus_mod3ItEEE10hipError_tPvRmT1_T2_T3_mT4_P12ihipStream_tbEUlT_E1_NS1_11comp_targetILNS1_3genE2ELNS1_11target_archE906ELNS1_3gpuE6ELNS1_3repE0EEENS1_30default_config_static_selectorELNS0_4arch9wavefront6targetE1EEEvSD_.num_named_barrier, 0
	.set _ZN7rocprim17ROCPRIM_400000_NS6detail17trampoline_kernelINS0_14default_configENS1_22reduce_config_selectorItEEZNS1_11reduce_implILb1ES3_PtS7_t9plus_mod3ItEEE10hipError_tPvRmT1_T2_T3_mT4_P12ihipStream_tbEUlT_E1_NS1_11comp_targetILNS1_3genE2ELNS1_11target_archE906ELNS1_3gpuE6ELNS1_3repE0EEENS1_30default_config_static_selectorELNS0_4arch9wavefront6targetE1EEEvSD_.private_seg_size, 0
	.set _ZN7rocprim17ROCPRIM_400000_NS6detail17trampoline_kernelINS0_14default_configENS1_22reduce_config_selectorItEEZNS1_11reduce_implILb1ES3_PtS7_t9plus_mod3ItEEE10hipError_tPvRmT1_T2_T3_mT4_P12ihipStream_tbEUlT_E1_NS1_11comp_targetILNS1_3genE2ELNS1_11target_archE906ELNS1_3gpuE6ELNS1_3repE0EEENS1_30default_config_static_selectorELNS0_4arch9wavefront6targetE1EEEvSD_.uses_vcc, 0
	.set _ZN7rocprim17ROCPRIM_400000_NS6detail17trampoline_kernelINS0_14default_configENS1_22reduce_config_selectorItEEZNS1_11reduce_implILb1ES3_PtS7_t9plus_mod3ItEEE10hipError_tPvRmT1_T2_T3_mT4_P12ihipStream_tbEUlT_E1_NS1_11comp_targetILNS1_3genE2ELNS1_11target_archE906ELNS1_3gpuE6ELNS1_3repE0EEENS1_30default_config_static_selectorELNS0_4arch9wavefront6targetE1EEEvSD_.uses_flat_scratch, 0
	.set _ZN7rocprim17ROCPRIM_400000_NS6detail17trampoline_kernelINS0_14default_configENS1_22reduce_config_selectorItEEZNS1_11reduce_implILb1ES3_PtS7_t9plus_mod3ItEEE10hipError_tPvRmT1_T2_T3_mT4_P12ihipStream_tbEUlT_E1_NS1_11comp_targetILNS1_3genE2ELNS1_11target_archE906ELNS1_3gpuE6ELNS1_3repE0EEENS1_30default_config_static_selectorELNS0_4arch9wavefront6targetE1EEEvSD_.has_dyn_sized_stack, 0
	.set _ZN7rocprim17ROCPRIM_400000_NS6detail17trampoline_kernelINS0_14default_configENS1_22reduce_config_selectorItEEZNS1_11reduce_implILb1ES3_PtS7_t9plus_mod3ItEEE10hipError_tPvRmT1_T2_T3_mT4_P12ihipStream_tbEUlT_E1_NS1_11comp_targetILNS1_3genE2ELNS1_11target_archE906ELNS1_3gpuE6ELNS1_3repE0EEENS1_30default_config_static_selectorELNS0_4arch9wavefront6targetE1EEEvSD_.has_recursion, 0
	.set _ZN7rocprim17ROCPRIM_400000_NS6detail17trampoline_kernelINS0_14default_configENS1_22reduce_config_selectorItEEZNS1_11reduce_implILb1ES3_PtS7_t9plus_mod3ItEEE10hipError_tPvRmT1_T2_T3_mT4_P12ihipStream_tbEUlT_E1_NS1_11comp_targetILNS1_3genE2ELNS1_11target_archE906ELNS1_3gpuE6ELNS1_3repE0EEENS1_30default_config_static_selectorELNS0_4arch9wavefront6targetE1EEEvSD_.has_indirect_call, 0
	.section	.AMDGPU.csdata,"",@progbits
; Kernel info:
; codeLenInByte = 0
; TotalNumSgprs: 6
; NumVgprs: 0
; NumAgprs: 0
; TotalNumVgprs: 0
; ScratchSize: 0
; MemoryBound: 0
; FloatMode: 240
; IeeeMode: 1
; LDSByteSize: 0 bytes/workgroup (compile time only)
; SGPRBlocks: 0
; VGPRBlocks: 0
; NumSGPRsForWavesPerEU: 6
; NumVGPRsForWavesPerEU: 1
; AccumOffset: 4
; Occupancy: 8
; WaveLimiterHint : 0
; COMPUTE_PGM_RSRC2:SCRATCH_EN: 0
; COMPUTE_PGM_RSRC2:USER_SGPR: 2
; COMPUTE_PGM_RSRC2:TRAP_HANDLER: 0
; COMPUTE_PGM_RSRC2:TGID_X_EN: 1
; COMPUTE_PGM_RSRC2:TGID_Y_EN: 0
; COMPUTE_PGM_RSRC2:TGID_Z_EN: 0
; COMPUTE_PGM_RSRC2:TIDIG_COMP_CNT: 0
; COMPUTE_PGM_RSRC3_GFX90A:ACCUM_OFFSET: 0
; COMPUTE_PGM_RSRC3_GFX90A:TG_SPLIT: 0
	.section	.text._ZN7rocprim17ROCPRIM_400000_NS6detail17trampoline_kernelINS0_14default_configENS1_22reduce_config_selectorItEEZNS1_11reduce_implILb1ES3_PtS7_t9plus_mod3ItEEE10hipError_tPvRmT1_T2_T3_mT4_P12ihipStream_tbEUlT_E1_NS1_11comp_targetILNS1_3genE10ELNS1_11target_archE1201ELNS1_3gpuE5ELNS1_3repE0EEENS1_30default_config_static_selectorELNS0_4arch9wavefront6targetE1EEEvSD_,"axG",@progbits,_ZN7rocprim17ROCPRIM_400000_NS6detail17trampoline_kernelINS0_14default_configENS1_22reduce_config_selectorItEEZNS1_11reduce_implILb1ES3_PtS7_t9plus_mod3ItEEE10hipError_tPvRmT1_T2_T3_mT4_P12ihipStream_tbEUlT_E1_NS1_11comp_targetILNS1_3genE10ELNS1_11target_archE1201ELNS1_3gpuE5ELNS1_3repE0EEENS1_30default_config_static_selectorELNS0_4arch9wavefront6targetE1EEEvSD_,comdat
	.protected	_ZN7rocprim17ROCPRIM_400000_NS6detail17trampoline_kernelINS0_14default_configENS1_22reduce_config_selectorItEEZNS1_11reduce_implILb1ES3_PtS7_t9plus_mod3ItEEE10hipError_tPvRmT1_T2_T3_mT4_P12ihipStream_tbEUlT_E1_NS1_11comp_targetILNS1_3genE10ELNS1_11target_archE1201ELNS1_3gpuE5ELNS1_3repE0EEENS1_30default_config_static_selectorELNS0_4arch9wavefront6targetE1EEEvSD_ ; -- Begin function _ZN7rocprim17ROCPRIM_400000_NS6detail17trampoline_kernelINS0_14default_configENS1_22reduce_config_selectorItEEZNS1_11reduce_implILb1ES3_PtS7_t9plus_mod3ItEEE10hipError_tPvRmT1_T2_T3_mT4_P12ihipStream_tbEUlT_E1_NS1_11comp_targetILNS1_3genE10ELNS1_11target_archE1201ELNS1_3gpuE5ELNS1_3repE0EEENS1_30default_config_static_selectorELNS0_4arch9wavefront6targetE1EEEvSD_
	.globl	_ZN7rocprim17ROCPRIM_400000_NS6detail17trampoline_kernelINS0_14default_configENS1_22reduce_config_selectorItEEZNS1_11reduce_implILb1ES3_PtS7_t9plus_mod3ItEEE10hipError_tPvRmT1_T2_T3_mT4_P12ihipStream_tbEUlT_E1_NS1_11comp_targetILNS1_3genE10ELNS1_11target_archE1201ELNS1_3gpuE5ELNS1_3repE0EEENS1_30default_config_static_selectorELNS0_4arch9wavefront6targetE1EEEvSD_
	.p2align	8
	.type	_ZN7rocprim17ROCPRIM_400000_NS6detail17trampoline_kernelINS0_14default_configENS1_22reduce_config_selectorItEEZNS1_11reduce_implILb1ES3_PtS7_t9plus_mod3ItEEE10hipError_tPvRmT1_T2_T3_mT4_P12ihipStream_tbEUlT_E1_NS1_11comp_targetILNS1_3genE10ELNS1_11target_archE1201ELNS1_3gpuE5ELNS1_3repE0EEENS1_30default_config_static_selectorELNS0_4arch9wavefront6targetE1EEEvSD_,@function
_ZN7rocprim17ROCPRIM_400000_NS6detail17trampoline_kernelINS0_14default_configENS1_22reduce_config_selectorItEEZNS1_11reduce_implILb1ES3_PtS7_t9plus_mod3ItEEE10hipError_tPvRmT1_T2_T3_mT4_P12ihipStream_tbEUlT_E1_NS1_11comp_targetILNS1_3genE10ELNS1_11target_archE1201ELNS1_3gpuE5ELNS1_3repE0EEENS1_30default_config_static_selectorELNS0_4arch9wavefront6targetE1EEEvSD_: ; @_ZN7rocprim17ROCPRIM_400000_NS6detail17trampoline_kernelINS0_14default_configENS1_22reduce_config_selectorItEEZNS1_11reduce_implILb1ES3_PtS7_t9plus_mod3ItEEE10hipError_tPvRmT1_T2_T3_mT4_P12ihipStream_tbEUlT_E1_NS1_11comp_targetILNS1_3genE10ELNS1_11target_archE1201ELNS1_3gpuE5ELNS1_3repE0EEENS1_30default_config_static_selectorELNS0_4arch9wavefront6targetE1EEEvSD_
; %bb.0:
	.section	.rodata,"a",@progbits
	.p2align	6, 0x0
	.amdhsa_kernel _ZN7rocprim17ROCPRIM_400000_NS6detail17trampoline_kernelINS0_14default_configENS1_22reduce_config_selectorItEEZNS1_11reduce_implILb1ES3_PtS7_t9plus_mod3ItEEE10hipError_tPvRmT1_T2_T3_mT4_P12ihipStream_tbEUlT_E1_NS1_11comp_targetILNS1_3genE10ELNS1_11target_archE1201ELNS1_3gpuE5ELNS1_3repE0EEENS1_30default_config_static_selectorELNS0_4arch9wavefront6targetE1EEEvSD_
		.amdhsa_group_segment_fixed_size 0
		.amdhsa_private_segment_fixed_size 0
		.amdhsa_kernarg_size 48
		.amdhsa_user_sgpr_count 2
		.amdhsa_user_sgpr_dispatch_ptr 0
		.amdhsa_user_sgpr_queue_ptr 0
		.amdhsa_user_sgpr_kernarg_segment_ptr 1
		.amdhsa_user_sgpr_dispatch_id 0
		.amdhsa_user_sgpr_kernarg_preload_length 0
		.amdhsa_user_sgpr_kernarg_preload_offset 0
		.amdhsa_user_sgpr_private_segment_size 0
		.amdhsa_uses_dynamic_stack 0
		.amdhsa_enable_private_segment 0
		.amdhsa_system_sgpr_workgroup_id_x 1
		.amdhsa_system_sgpr_workgroup_id_y 0
		.amdhsa_system_sgpr_workgroup_id_z 0
		.amdhsa_system_sgpr_workgroup_info 0
		.amdhsa_system_vgpr_workitem_id 0
		.amdhsa_next_free_vgpr 1
		.amdhsa_next_free_sgpr 0
		.amdhsa_accum_offset 4
		.amdhsa_reserve_vcc 0
		.amdhsa_float_round_mode_32 0
		.amdhsa_float_round_mode_16_64 0
		.amdhsa_float_denorm_mode_32 3
		.amdhsa_float_denorm_mode_16_64 3
		.amdhsa_dx10_clamp 1
		.amdhsa_ieee_mode 1
		.amdhsa_fp16_overflow 0
		.amdhsa_tg_split 0
		.amdhsa_exception_fp_ieee_invalid_op 0
		.amdhsa_exception_fp_denorm_src 0
		.amdhsa_exception_fp_ieee_div_zero 0
		.amdhsa_exception_fp_ieee_overflow 0
		.amdhsa_exception_fp_ieee_underflow 0
		.amdhsa_exception_fp_ieee_inexact 0
		.amdhsa_exception_int_div_zero 0
	.end_amdhsa_kernel
	.section	.text._ZN7rocprim17ROCPRIM_400000_NS6detail17trampoline_kernelINS0_14default_configENS1_22reduce_config_selectorItEEZNS1_11reduce_implILb1ES3_PtS7_t9plus_mod3ItEEE10hipError_tPvRmT1_T2_T3_mT4_P12ihipStream_tbEUlT_E1_NS1_11comp_targetILNS1_3genE10ELNS1_11target_archE1201ELNS1_3gpuE5ELNS1_3repE0EEENS1_30default_config_static_selectorELNS0_4arch9wavefront6targetE1EEEvSD_,"axG",@progbits,_ZN7rocprim17ROCPRIM_400000_NS6detail17trampoline_kernelINS0_14default_configENS1_22reduce_config_selectorItEEZNS1_11reduce_implILb1ES3_PtS7_t9plus_mod3ItEEE10hipError_tPvRmT1_T2_T3_mT4_P12ihipStream_tbEUlT_E1_NS1_11comp_targetILNS1_3genE10ELNS1_11target_archE1201ELNS1_3gpuE5ELNS1_3repE0EEENS1_30default_config_static_selectorELNS0_4arch9wavefront6targetE1EEEvSD_,comdat
.Lfunc_end853:
	.size	_ZN7rocprim17ROCPRIM_400000_NS6detail17trampoline_kernelINS0_14default_configENS1_22reduce_config_selectorItEEZNS1_11reduce_implILb1ES3_PtS7_t9plus_mod3ItEEE10hipError_tPvRmT1_T2_T3_mT4_P12ihipStream_tbEUlT_E1_NS1_11comp_targetILNS1_3genE10ELNS1_11target_archE1201ELNS1_3gpuE5ELNS1_3repE0EEENS1_30default_config_static_selectorELNS0_4arch9wavefront6targetE1EEEvSD_, .Lfunc_end853-_ZN7rocprim17ROCPRIM_400000_NS6detail17trampoline_kernelINS0_14default_configENS1_22reduce_config_selectorItEEZNS1_11reduce_implILb1ES3_PtS7_t9plus_mod3ItEEE10hipError_tPvRmT1_T2_T3_mT4_P12ihipStream_tbEUlT_E1_NS1_11comp_targetILNS1_3genE10ELNS1_11target_archE1201ELNS1_3gpuE5ELNS1_3repE0EEENS1_30default_config_static_selectorELNS0_4arch9wavefront6targetE1EEEvSD_
                                        ; -- End function
	.set _ZN7rocprim17ROCPRIM_400000_NS6detail17trampoline_kernelINS0_14default_configENS1_22reduce_config_selectorItEEZNS1_11reduce_implILb1ES3_PtS7_t9plus_mod3ItEEE10hipError_tPvRmT1_T2_T3_mT4_P12ihipStream_tbEUlT_E1_NS1_11comp_targetILNS1_3genE10ELNS1_11target_archE1201ELNS1_3gpuE5ELNS1_3repE0EEENS1_30default_config_static_selectorELNS0_4arch9wavefront6targetE1EEEvSD_.num_vgpr, 0
	.set _ZN7rocprim17ROCPRIM_400000_NS6detail17trampoline_kernelINS0_14default_configENS1_22reduce_config_selectorItEEZNS1_11reduce_implILb1ES3_PtS7_t9plus_mod3ItEEE10hipError_tPvRmT1_T2_T3_mT4_P12ihipStream_tbEUlT_E1_NS1_11comp_targetILNS1_3genE10ELNS1_11target_archE1201ELNS1_3gpuE5ELNS1_3repE0EEENS1_30default_config_static_selectorELNS0_4arch9wavefront6targetE1EEEvSD_.num_agpr, 0
	.set _ZN7rocprim17ROCPRIM_400000_NS6detail17trampoline_kernelINS0_14default_configENS1_22reduce_config_selectorItEEZNS1_11reduce_implILb1ES3_PtS7_t9plus_mod3ItEEE10hipError_tPvRmT1_T2_T3_mT4_P12ihipStream_tbEUlT_E1_NS1_11comp_targetILNS1_3genE10ELNS1_11target_archE1201ELNS1_3gpuE5ELNS1_3repE0EEENS1_30default_config_static_selectorELNS0_4arch9wavefront6targetE1EEEvSD_.numbered_sgpr, 0
	.set _ZN7rocprim17ROCPRIM_400000_NS6detail17trampoline_kernelINS0_14default_configENS1_22reduce_config_selectorItEEZNS1_11reduce_implILb1ES3_PtS7_t9plus_mod3ItEEE10hipError_tPvRmT1_T2_T3_mT4_P12ihipStream_tbEUlT_E1_NS1_11comp_targetILNS1_3genE10ELNS1_11target_archE1201ELNS1_3gpuE5ELNS1_3repE0EEENS1_30default_config_static_selectorELNS0_4arch9wavefront6targetE1EEEvSD_.num_named_barrier, 0
	.set _ZN7rocprim17ROCPRIM_400000_NS6detail17trampoline_kernelINS0_14default_configENS1_22reduce_config_selectorItEEZNS1_11reduce_implILb1ES3_PtS7_t9plus_mod3ItEEE10hipError_tPvRmT1_T2_T3_mT4_P12ihipStream_tbEUlT_E1_NS1_11comp_targetILNS1_3genE10ELNS1_11target_archE1201ELNS1_3gpuE5ELNS1_3repE0EEENS1_30default_config_static_selectorELNS0_4arch9wavefront6targetE1EEEvSD_.private_seg_size, 0
	.set _ZN7rocprim17ROCPRIM_400000_NS6detail17trampoline_kernelINS0_14default_configENS1_22reduce_config_selectorItEEZNS1_11reduce_implILb1ES3_PtS7_t9plus_mod3ItEEE10hipError_tPvRmT1_T2_T3_mT4_P12ihipStream_tbEUlT_E1_NS1_11comp_targetILNS1_3genE10ELNS1_11target_archE1201ELNS1_3gpuE5ELNS1_3repE0EEENS1_30default_config_static_selectorELNS0_4arch9wavefront6targetE1EEEvSD_.uses_vcc, 0
	.set _ZN7rocprim17ROCPRIM_400000_NS6detail17trampoline_kernelINS0_14default_configENS1_22reduce_config_selectorItEEZNS1_11reduce_implILb1ES3_PtS7_t9plus_mod3ItEEE10hipError_tPvRmT1_T2_T3_mT4_P12ihipStream_tbEUlT_E1_NS1_11comp_targetILNS1_3genE10ELNS1_11target_archE1201ELNS1_3gpuE5ELNS1_3repE0EEENS1_30default_config_static_selectorELNS0_4arch9wavefront6targetE1EEEvSD_.uses_flat_scratch, 0
	.set _ZN7rocprim17ROCPRIM_400000_NS6detail17trampoline_kernelINS0_14default_configENS1_22reduce_config_selectorItEEZNS1_11reduce_implILb1ES3_PtS7_t9plus_mod3ItEEE10hipError_tPvRmT1_T2_T3_mT4_P12ihipStream_tbEUlT_E1_NS1_11comp_targetILNS1_3genE10ELNS1_11target_archE1201ELNS1_3gpuE5ELNS1_3repE0EEENS1_30default_config_static_selectorELNS0_4arch9wavefront6targetE1EEEvSD_.has_dyn_sized_stack, 0
	.set _ZN7rocprim17ROCPRIM_400000_NS6detail17trampoline_kernelINS0_14default_configENS1_22reduce_config_selectorItEEZNS1_11reduce_implILb1ES3_PtS7_t9plus_mod3ItEEE10hipError_tPvRmT1_T2_T3_mT4_P12ihipStream_tbEUlT_E1_NS1_11comp_targetILNS1_3genE10ELNS1_11target_archE1201ELNS1_3gpuE5ELNS1_3repE0EEENS1_30default_config_static_selectorELNS0_4arch9wavefront6targetE1EEEvSD_.has_recursion, 0
	.set _ZN7rocprim17ROCPRIM_400000_NS6detail17trampoline_kernelINS0_14default_configENS1_22reduce_config_selectorItEEZNS1_11reduce_implILb1ES3_PtS7_t9plus_mod3ItEEE10hipError_tPvRmT1_T2_T3_mT4_P12ihipStream_tbEUlT_E1_NS1_11comp_targetILNS1_3genE10ELNS1_11target_archE1201ELNS1_3gpuE5ELNS1_3repE0EEENS1_30default_config_static_selectorELNS0_4arch9wavefront6targetE1EEEvSD_.has_indirect_call, 0
	.section	.AMDGPU.csdata,"",@progbits
; Kernel info:
; codeLenInByte = 0
; TotalNumSgprs: 6
; NumVgprs: 0
; NumAgprs: 0
; TotalNumVgprs: 0
; ScratchSize: 0
; MemoryBound: 0
; FloatMode: 240
; IeeeMode: 1
; LDSByteSize: 0 bytes/workgroup (compile time only)
; SGPRBlocks: 0
; VGPRBlocks: 0
; NumSGPRsForWavesPerEU: 6
; NumVGPRsForWavesPerEU: 1
; AccumOffset: 4
; Occupancy: 8
; WaveLimiterHint : 0
; COMPUTE_PGM_RSRC2:SCRATCH_EN: 0
; COMPUTE_PGM_RSRC2:USER_SGPR: 2
; COMPUTE_PGM_RSRC2:TRAP_HANDLER: 0
; COMPUTE_PGM_RSRC2:TGID_X_EN: 1
; COMPUTE_PGM_RSRC2:TGID_Y_EN: 0
; COMPUTE_PGM_RSRC2:TGID_Z_EN: 0
; COMPUTE_PGM_RSRC2:TIDIG_COMP_CNT: 0
; COMPUTE_PGM_RSRC3_GFX90A:ACCUM_OFFSET: 0
; COMPUTE_PGM_RSRC3_GFX90A:TG_SPLIT: 0
	.section	.text._ZN7rocprim17ROCPRIM_400000_NS6detail17trampoline_kernelINS0_14default_configENS1_22reduce_config_selectorItEEZNS1_11reduce_implILb1ES3_PtS7_t9plus_mod3ItEEE10hipError_tPvRmT1_T2_T3_mT4_P12ihipStream_tbEUlT_E1_NS1_11comp_targetILNS1_3genE10ELNS1_11target_archE1200ELNS1_3gpuE4ELNS1_3repE0EEENS1_30default_config_static_selectorELNS0_4arch9wavefront6targetE1EEEvSD_,"axG",@progbits,_ZN7rocprim17ROCPRIM_400000_NS6detail17trampoline_kernelINS0_14default_configENS1_22reduce_config_selectorItEEZNS1_11reduce_implILb1ES3_PtS7_t9plus_mod3ItEEE10hipError_tPvRmT1_T2_T3_mT4_P12ihipStream_tbEUlT_E1_NS1_11comp_targetILNS1_3genE10ELNS1_11target_archE1200ELNS1_3gpuE4ELNS1_3repE0EEENS1_30default_config_static_selectorELNS0_4arch9wavefront6targetE1EEEvSD_,comdat
	.protected	_ZN7rocprim17ROCPRIM_400000_NS6detail17trampoline_kernelINS0_14default_configENS1_22reduce_config_selectorItEEZNS1_11reduce_implILb1ES3_PtS7_t9plus_mod3ItEEE10hipError_tPvRmT1_T2_T3_mT4_P12ihipStream_tbEUlT_E1_NS1_11comp_targetILNS1_3genE10ELNS1_11target_archE1200ELNS1_3gpuE4ELNS1_3repE0EEENS1_30default_config_static_selectorELNS0_4arch9wavefront6targetE1EEEvSD_ ; -- Begin function _ZN7rocprim17ROCPRIM_400000_NS6detail17trampoline_kernelINS0_14default_configENS1_22reduce_config_selectorItEEZNS1_11reduce_implILb1ES3_PtS7_t9plus_mod3ItEEE10hipError_tPvRmT1_T2_T3_mT4_P12ihipStream_tbEUlT_E1_NS1_11comp_targetILNS1_3genE10ELNS1_11target_archE1200ELNS1_3gpuE4ELNS1_3repE0EEENS1_30default_config_static_selectorELNS0_4arch9wavefront6targetE1EEEvSD_
	.globl	_ZN7rocprim17ROCPRIM_400000_NS6detail17trampoline_kernelINS0_14default_configENS1_22reduce_config_selectorItEEZNS1_11reduce_implILb1ES3_PtS7_t9plus_mod3ItEEE10hipError_tPvRmT1_T2_T3_mT4_P12ihipStream_tbEUlT_E1_NS1_11comp_targetILNS1_3genE10ELNS1_11target_archE1200ELNS1_3gpuE4ELNS1_3repE0EEENS1_30default_config_static_selectorELNS0_4arch9wavefront6targetE1EEEvSD_
	.p2align	8
	.type	_ZN7rocprim17ROCPRIM_400000_NS6detail17trampoline_kernelINS0_14default_configENS1_22reduce_config_selectorItEEZNS1_11reduce_implILb1ES3_PtS7_t9plus_mod3ItEEE10hipError_tPvRmT1_T2_T3_mT4_P12ihipStream_tbEUlT_E1_NS1_11comp_targetILNS1_3genE10ELNS1_11target_archE1200ELNS1_3gpuE4ELNS1_3repE0EEENS1_30default_config_static_selectorELNS0_4arch9wavefront6targetE1EEEvSD_,@function
_ZN7rocprim17ROCPRIM_400000_NS6detail17trampoline_kernelINS0_14default_configENS1_22reduce_config_selectorItEEZNS1_11reduce_implILb1ES3_PtS7_t9plus_mod3ItEEE10hipError_tPvRmT1_T2_T3_mT4_P12ihipStream_tbEUlT_E1_NS1_11comp_targetILNS1_3genE10ELNS1_11target_archE1200ELNS1_3gpuE4ELNS1_3repE0EEENS1_30default_config_static_selectorELNS0_4arch9wavefront6targetE1EEEvSD_: ; @_ZN7rocprim17ROCPRIM_400000_NS6detail17trampoline_kernelINS0_14default_configENS1_22reduce_config_selectorItEEZNS1_11reduce_implILb1ES3_PtS7_t9plus_mod3ItEEE10hipError_tPvRmT1_T2_T3_mT4_P12ihipStream_tbEUlT_E1_NS1_11comp_targetILNS1_3genE10ELNS1_11target_archE1200ELNS1_3gpuE4ELNS1_3repE0EEENS1_30default_config_static_selectorELNS0_4arch9wavefront6targetE1EEEvSD_
; %bb.0:
	.section	.rodata,"a",@progbits
	.p2align	6, 0x0
	.amdhsa_kernel _ZN7rocprim17ROCPRIM_400000_NS6detail17trampoline_kernelINS0_14default_configENS1_22reduce_config_selectorItEEZNS1_11reduce_implILb1ES3_PtS7_t9plus_mod3ItEEE10hipError_tPvRmT1_T2_T3_mT4_P12ihipStream_tbEUlT_E1_NS1_11comp_targetILNS1_3genE10ELNS1_11target_archE1200ELNS1_3gpuE4ELNS1_3repE0EEENS1_30default_config_static_selectorELNS0_4arch9wavefront6targetE1EEEvSD_
		.amdhsa_group_segment_fixed_size 0
		.amdhsa_private_segment_fixed_size 0
		.amdhsa_kernarg_size 48
		.amdhsa_user_sgpr_count 2
		.amdhsa_user_sgpr_dispatch_ptr 0
		.amdhsa_user_sgpr_queue_ptr 0
		.amdhsa_user_sgpr_kernarg_segment_ptr 1
		.amdhsa_user_sgpr_dispatch_id 0
		.amdhsa_user_sgpr_kernarg_preload_length 0
		.amdhsa_user_sgpr_kernarg_preload_offset 0
		.amdhsa_user_sgpr_private_segment_size 0
		.amdhsa_uses_dynamic_stack 0
		.amdhsa_enable_private_segment 0
		.amdhsa_system_sgpr_workgroup_id_x 1
		.amdhsa_system_sgpr_workgroup_id_y 0
		.amdhsa_system_sgpr_workgroup_id_z 0
		.amdhsa_system_sgpr_workgroup_info 0
		.amdhsa_system_vgpr_workitem_id 0
		.amdhsa_next_free_vgpr 1
		.amdhsa_next_free_sgpr 0
		.amdhsa_accum_offset 4
		.amdhsa_reserve_vcc 0
		.amdhsa_float_round_mode_32 0
		.amdhsa_float_round_mode_16_64 0
		.amdhsa_float_denorm_mode_32 3
		.amdhsa_float_denorm_mode_16_64 3
		.amdhsa_dx10_clamp 1
		.amdhsa_ieee_mode 1
		.amdhsa_fp16_overflow 0
		.amdhsa_tg_split 0
		.amdhsa_exception_fp_ieee_invalid_op 0
		.amdhsa_exception_fp_denorm_src 0
		.amdhsa_exception_fp_ieee_div_zero 0
		.amdhsa_exception_fp_ieee_overflow 0
		.amdhsa_exception_fp_ieee_underflow 0
		.amdhsa_exception_fp_ieee_inexact 0
		.amdhsa_exception_int_div_zero 0
	.end_amdhsa_kernel
	.section	.text._ZN7rocprim17ROCPRIM_400000_NS6detail17trampoline_kernelINS0_14default_configENS1_22reduce_config_selectorItEEZNS1_11reduce_implILb1ES3_PtS7_t9plus_mod3ItEEE10hipError_tPvRmT1_T2_T3_mT4_P12ihipStream_tbEUlT_E1_NS1_11comp_targetILNS1_3genE10ELNS1_11target_archE1200ELNS1_3gpuE4ELNS1_3repE0EEENS1_30default_config_static_selectorELNS0_4arch9wavefront6targetE1EEEvSD_,"axG",@progbits,_ZN7rocprim17ROCPRIM_400000_NS6detail17trampoline_kernelINS0_14default_configENS1_22reduce_config_selectorItEEZNS1_11reduce_implILb1ES3_PtS7_t9plus_mod3ItEEE10hipError_tPvRmT1_T2_T3_mT4_P12ihipStream_tbEUlT_E1_NS1_11comp_targetILNS1_3genE10ELNS1_11target_archE1200ELNS1_3gpuE4ELNS1_3repE0EEENS1_30default_config_static_selectorELNS0_4arch9wavefront6targetE1EEEvSD_,comdat
.Lfunc_end854:
	.size	_ZN7rocprim17ROCPRIM_400000_NS6detail17trampoline_kernelINS0_14default_configENS1_22reduce_config_selectorItEEZNS1_11reduce_implILb1ES3_PtS7_t9plus_mod3ItEEE10hipError_tPvRmT1_T2_T3_mT4_P12ihipStream_tbEUlT_E1_NS1_11comp_targetILNS1_3genE10ELNS1_11target_archE1200ELNS1_3gpuE4ELNS1_3repE0EEENS1_30default_config_static_selectorELNS0_4arch9wavefront6targetE1EEEvSD_, .Lfunc_end854-_ZN7rocprim17ROCPRIM_400000_NS6detail17trampoline_kernelINS0_14default_configENS1_22reduce_config_selectorItEEZNS1_11reduce_implILb1ES3_PtS7_t9plus_mod3ItEEE10hipError_tPvRmT1_T2_T3_mT4_P12ihipStream_tbEUlT_E1_NS1_11comp_targetILNS1_3genE10ELNS1_11target_archE1200ELNS1_3gpuE4ELNS1_3repE0EEENS1_30default_config_static_selectorELNS0_4arch9wavefront6targetE1EEEvSD_
                                        ; -- End function
	.set _ZN7rocprim17ROCPRIM_400000_NS6detail17trampoline_kernelINS0_14default_configENS1_22reduce_config_selectorItEEZNS1_11reduce_implILb1ES3_PtS7_t9plus_mod3ItEEE10hipError_tPvRmT1_T2_T3_mT4_P12ihipStream_tbEUlT_E1_NS1_11comp_targetILNS1_3genE10ELNS1_11target_archE1200ELNS1_3gpuE4ELNS1_3repE0EEENS1_30default_config_static_selectorELNS0_4arch9wavefront6targetE1EEEvSD_.num_vgpr, 0
	.set _ZN7rocprim17ROCPRIM_400000_NS6detail17trampoline_kernelINS0_14default_configENS1_22reduce_config_selectorItEEZNS1_11reduce_implILb1ES3_PtS7_t9plus_mod3ItEEE10hipError_tPvRmT1_T2_T3_mT4_P12ihipStream_tbEUlT_E1_NS1_11comp_targetILNS1_3genE10ELNS1_11target_archE1200ELNS1_3gpuE4ELNS1_3repE0EEENS1_30default_config_static_selectorELNS0_4arch9wavefront6targetE1EEEvSD_.num_agpr, 0
	.set _ZN7rocprim17ROCPRIM_400000_NS6detail17trampoline_kernelINS0_14default_configENS1_22reduce_config_selectorItEEZNS1_11reduce_implILb1ES3_PtS7_t9plus_mod3ItEEE10hipError_tPvRmT1_T2_T3_mT4_P12ihipStream_tbEUlT_E1_NS1_11comp_targetILNS1_3genE10ELNS1_11target_archE1200ELNS1_3gpuE4ELNS1_3repE0EEENS1_30default_config_static_selectorELNS0_4arch9wavefront6targetE1EEEvSD_.numbered_sgpr, 0
	.set _ZN7rocprim17ROCPRIM_400000_NS6detail17trampoline_kernelINS0_14default_configENS1_22reduce_config_selectorItEEZNS1_11reduce_implILb1ES3_PtS7_t9plus_mod3ItEEE10hipError_tPvRmT1_T2_T3_mT4_P12ihipStream_tbEUlT_E1_NS1_11comp_targetILNS1_3genE10ELNS1_11target_archE1200ELNS1_3gpuE4ELNS1_3repE0EEENS1_30default_config_static_selectorELNS0_4arch9wavefront6targetE1EEEvSD_.num_named_barrier, 0
	.set _ZN7rocprim17ROCPRIM_400000_NS6detail17trampoline_kernelINS0_14default_configENS1_22reduce_config_selectorItEEZNS1_11reduce_implILb1ES3_PtS7_t9plus_mod3ItEEE10hipError_tPvRmT1_T2_T3_mT4_P12ihipStream_tbEUlT_E1_NS1_11comp_targetILNS1_3genE10ELNS1_11target_archE1200ELNS1_3gpuE4ELNS1_3repE0EEENS1_30default_config_static_selectorELNS0_4arch9wavefront6targetE1EEEvSD_.private_seg_size, 0
	.set _ZN7rocprim17ROCPRIM_400000_NS6detail17trampoline_kernelINS0_14default_configENS1_22reduce_config_selectorItEEZNS1_11reduce_implILb1ES3_PtS7_t9plus_mod3ItEEE10hipError_tPvRmT1_T2_T3_mT4_P12ihipStream_tbEUlT_E1_NS1_11comp_targetILNS1_3genE10ELNS1_11target_archE1200ELNS1_3gpuE4ELNS1_3repE0EEENS1_30default_config_static_selectorELNS0_4arch9wavefront6targetE1EEEvSD_.uses_vcc, 0
	.set _ZN7rocprim17ROCPRIM_400000_NS6detail17trampoline_kernelINS0_14default_configENS1_22reduce_config_selectorItEEZNS1_11reduce_implILb1ES3_PtS7_t9plus_mod3ItEEE10hipError_tPvRmT1_T2_T3_mT4_P12ihipStream_tbEUlT_E1_NS1_11comp_targetILNS1_3genE10ELNS1_11target_archE1200ELNS1_3gpuE4ELNS1_3repE0EEENS1_30default_config_static_selectorELNS0_4arch9wavefront6targetE1EEEvSD_.uses_flat_scratch, 0
	.set _ZN7rocprim17ROCPRIM_400000_NS6detail17trampoline_kernelINS0_14default_configENS1_22reduce_config_selectorItEEZNS1_11reduce_implILb1ES3_PtS7_t9plus_mod3ItEEE10hipError_tPvRmT1_T2_T3_mT4_P12ihipStream_tbEUlT_E1_NS1_11comp_targetILNS1_3genE10ELNS1_11target_archE1200ELNS1_3gpuE4ELNS1_3repE0EEENS1_30default_config_static_selectorELNS0_4arch9wavefront6targetE1EEEvSD_.has_dyn_sized_stack, 0
	.set _ZN7rocprim17ROCPRIM_400000_NS6detail17trampoline_kernelINS0_14default_configENS1_22reduce_config_selectorItEEZNS1_11reduce_implILb1ES3_PtS7_t9plus_mod3ItEEE10hipError_tPvRmT1_T2_T3_mT4_P12ihipStream_tbEUlT_E1_NS1_11comp_targetILNS1_3genE10ELNS1_11target_archE1200ELNS1_3gpuE4ELNS1_3repE0EEENS1_30default_config_static_selectorELNS0_4arch9wavefront6targetE1EEEvSD_.has_recursion, 0
	.set _ZN7rocprim17ROCPRIM_400000_NS6detail17trampoline_kernelINS0_14default_configENS1_22reduce_config_selectorItEEZNS1_11reduce_implILb1ES3_PtS7_t9plus_mod3ItEEE10hipError_tPvRmT1_T2_T3_mT4_P12ihipStream_tbEUlT_E1_NS1_11comp_targetILNS1_3genE10ELNS1_11target_archE1200ELNS1_3gpuE4ELNS1_3repE0EEENS1_30default_config_static_selectorELNS0_4arch9wavefront6targetE1EEEvSD_.has_indirect_call, 0
	.section	.AMDGPU.csdata,"",@progbits
; Kernel info:
; codeLenInByte = 0
; TotalNumSgprs: 6
; NumVgprs: 0
; NumAgprs: 0
; TotalNumVgprs: 0
; ScratchSize: 0
; MemoryBound: 0
; FloatMode: 240
; IeeeMode: 1
; LDSByteSize: 0 bytes/workgroup (compile time only)
; SGPRBlocks: 0
; VGPRBlocks: 0
; NumSGPRsForWavesPerEU: 6
; NumVGPRsForWavesPerEU: 1
; AccumOffset: 4
; Occupancy: 8
; WaveLimiterHint : 0
; COMPUTE_PGM_RSRC2:SCRATCH_EN: 0
; COMPUTE_PGM_RSRC2:USER_SGPR: 2
; COMPUTE_PGM_RSRC2:TRAP_HANDLER: 0
; COMPUTE_PGM_RSRC2:TGID_X_EN: 1
; COMPUTE_PGM_RSRC2:TGID_Y_EN: 0
; COMPUTE_PGM_RSRC2:TGID_Z_EN: 0
; COMPUTE_PGM_RSRC2:TIDIG_COMP_CNT: 0
; COMPUTE_PGM_RSRC3_GFX90A:ACCUM_OFFSET: 0
; COMPUTE_PGM_RSRC3_GFX90A:TG_SPLIT: 0
	.section	.text._ZN7rocprim17ROCPRIM_400000_NS6detail17trampoline_kernelINS0_14default_configENS1_22reduce_config_selectorItEEZNS1_11reduce_implILb1ES3_PtS7_t9plus_mod3ItEEE10hipError_tPvRmT1_T2_T3_mT4_P12ihipStream_tbEUlT_E1_NS1_11comp_targetILNS1_3genE9ELNS1_11target_archE1100ELNS1_3gpuE3ELNS1_3repE0EEENS1_30default_config_static_selectorELNS0_4arch9wavefront6targetE1EEEvSD_,"axG",@progbits,_ZN7rocprim17ROCPRIM_400000_NS6detail17trampoline_kernelINS0_14default_configENS1_22reduce_config_selectorItEEZNS1_11reduce_implILb1ES3_PtS7_t9plus_mod3ItEEE10hipError_tPvRmT1_T2_T3_mT4_P12ihipStream_tbEUlT_E1_NS1_11comp_targetILNS1_3genE9ELNS1_11target_archE1100ELNS1_3gpuE3ELNS1_3repE0EEENS1_30default_config_static_selectorELNS0_4arch9wavefront6targetE1EEEvSD_,comdat
	.protected	_ZN7rocprim17ROCPRIM_400000_NS6detail17trampoline_kernelINS0_14default_configENS1_22reduce_config_selectorItEEZNS1_11reduce_implILb1ES3_PtS7_t9plus_mod3ItEEE10hipError_tPvRmT1_T2_T3_mT4_P12ihipStream_tbEUlT_E1_NS1_11comp_targetILNS1_3genE9ELNS1_11target_archE1100ELNS1_3gpuE3ELNS1_3repE0EEENS1_30default_config_static_selectorELNS0_4arch9wavefront6targetE1EEEvSD_ ; -- Begin function _ZN7rocprim17ROCPRIM_400000_NS6detail17trampoline_kernelINS0_14default_configENS1_22reduce_config_selectorItEEZNS1_11reduce_implILb1ES3_PtS7_t9plus_mod3ItEEE10hipError_tPvRmT1_T2_T3_mT4_P12ihipStream_tbEUlT_E1_NS1_11comp_targetILNS1_3genE9ELNS1_11target_archE1100ELNS1_3gpuE3ELNS1_3repE0EEENS1_30default_config_static_selectorELNS0_4arch9wavefront6targetE1EEEvSD_
	.globl	_ZN7rocprim17ROCPRIM_400000_NS6detail17trampoline_kernelINS0_14default_configENS1_22reduce_config_selectorItEEZNS1_11reduce_implILb1ES3_PtS7_t9plus_mod3ItEEE10hipError_tPvRmT1_T2_T3_mT4_P12ihipStream_tbEUlT_E1_NS1_11comp_targetILNS1_3genE9ELNS1_11target_archE1100ELNS1_3gpuE3ELNS1_3repE0EEENS1_30default_config_static_selectorELNS0_4arch9wavefront6targetE1EEEvSD_
	.p2align	8
	.type	_ZN7rocprim17ROCPRIM_400000_NS6detail17trampoline_kernelINS0_14default_configENS1_22reduce_config_selectorItEEZNS1_11reduce_implILb1ES3_PtS7_t9plus_mod3ItEEE10hipError_tPvRmT1_T2_T3_mT4_P12ihipStream_tbEUlT_E1_NS1_11comp_targetILNS1_3genE9ELNS1_11target_archE1100ELNS1_3gpuE3ELNS1_3repE0EEENS1_30default_config_static_selectorELNS0_4arch9wavefront6targetE1EEEvSD_,@function
_ZN7rocprim17ROCPRIM_400000_NS6detail17trampoline_kernelINS0_14default_configENS1_22reduce_config_selectorItEEZNS1_11reduce_implILb1ES3_PtS7_t9plus_mod3ItEEE10hipError_tPvRmT1_T2_T3_mT4_P12ihipStream_tbEUlT_E1_NS1_11comp_targetILNS1_3genE9ELNS1_11target_archE1100ELNS1_3gpuE3ELNS1_3repE0EEENS1_30default_config_static_selectorELNS0_4arch9wavefront6targetE1EEEvSD_: ; @_ZN7rocprim17ROCPRIM_400000_NS6detail17trampoline_kernelINS0_14default_configENS1_22reduce_config_selectorItEEZNS1_11reduce_implILb1ES3_PtS7_t9plus_mod3ItEEE10hipError_tPvRmT1_T2_T3_mT4_P12ihipStream_tbEUlT_E1_NS1_11comp_targetILNS1_3genE9ELNS1_11target_archE1100ELNS1_3gpuE3ELNS1_3repE0EEENS1_30default_config_static_selectorELNS0_4arch9wavefront6targetE1EEEvSD_
; %bb.0:
	.section	.rodata,"a",@progbits
	.p2align	6, 0x0
	.amdhsa_kernel _ZN7rocprim17ROCPRIM_400000_NS6detail17trampoline_kernelINS0_14default_configENS1_22reduce_config_selectorItEEZNS1_11reduce_implILb1ES3_PtS7_t9plus_mod3ItEEE10hipError_tPvRmT1_T2_T3_mT4_P12ihipStream_tbEUlT_E1_NS1_11comp_targetILNS1_3genE9ELNS1_11target_archE1100ELNS1_3gpuE3ELNS1_3repE0EEENS1_30default_config_static_selectorELNS0_4arch9wavefront6targetE1EEEvSD_
		.amdhsa_group_segment_fixed_size 0
		.amdhsa_private_segment_fixed_size 0
		.amdhsa_kernarg_size 48
		.amdhsa_user_sgpr_count 2
		.amdhsa_user_sgpr_dispatch_ptr 0
		.amdhsa_user_sgpr_queue_ptr 0
		.amdhsa_user_sgpr_kernarg_segment_ptr 1
		.amdhsa_user_sgpr_dispatch_id 0
		.amdhsa_user_sgpr_kernarg_preload_length 0
		.amdhsa_user_sgpr_kernarg_preload_offset 0
		.amdhsa_user_sgpr_private_segment_size 0
		.amdhsa_uses_dynamic_stack 0
		.amdhsa_enable_private_segment 0
		.amdhsa_system_sgpr_workgroup_id_x 1
		.amdhsa_system_sgpr_workgroup_id_y 0
		.amdhsa_system_sgpr_workgroup_id_z 0
		.amdhsa_system_sgpr_workgroup_info 0
		.amdhsa_system_vgpr_workitem_id 0
		.amdhsa_next_free_vgpr 1
		.amdhsa_next_free_sgpr 0
		.amdhsa_accum_offset 4
		.amdhsa_reserve_vcc 0
		.amdhsa_float_round_mode_32 0
		.amdhsa_float_round_mode_16_64 0
		.amdhsa_float_denorm_mode_32 3
		.amdhsa_float_denorm_mode_16_64 3
		.amdhsa_dx10_clamp 1
		.amdhsa_ieee_mode 1
		.amdhsa_fp16_overflow 0
		.amdhsa_tg_split 0
		.amdhsa_exception_fp_ieee_invalid_op 0
		.amdhsa_exception_fp_denorm_src 0
		.amdhsa_exception_fp_ieee_div_zero 0
		.amdhsa_exception_fp_ieee_overflow 0
		.amdhsa_exception_fp_ieee_underflow 0
		.amdhsa_exception_fp_ieee_inexact 0
		.amdhsa_exception_int_div_zero 0
	.end_amdhsa_kernel
	.section	.text._ZN7rocprim17ROCPRIM_400000_NS6detail17trampoline_kernelINS0_14default_configENS1_22reduce_config_selectorItEEZNS1_11reduce_implILb1ES3_PtS7_t9plus_mod3ItEEE10hipError_tPvRmT1_T2_T3_mT4_P12ihipStream_tbEUlT_E1_NS1_11comp_targetILNS1_3genE9ELNS1_11target_archE1100ELNS1_3gpuE3ELNS1_3repE0EEENS1_30default_config_static_selectorELNS0_4arch9wavefront6targetE1EEEvSD_,"axG",@progbits,_ZN7rocprim17ROCPRIM_400000_NS6detail17trampoline_kernelINS0_14default_configENS1_22reduce_config_selectorItEEZNS1_11reduce_implILb1ES3_PtS7_t9plus_mod3ItEEE10hipError_tPvRmT1_T2_T3_mT4_P12ihipStream_tbEUlT_E1_NS1_11comp_targetILNS1_3genE9ELNS1_11target_archE1100ELNS1_3gpuE3ELNS1_3repE0EEENS1_30default_config_static_selectorELNS0_4arch9wavefront6targetE1EEEvSD_,comdat
.Lfunc_end855:
	.size	_ZN7rocprim17ROCPRIM_400000_NS6detail17trampoline_kernelINS0_14default_configENS1_22reduce_config_selectorItEEZNS1_11reduce_implILb1ES3_PtS7_t9plus_mod3ItEEE10hipError_tPvRmT1_T2_T3_mT4_P12ihipStream_tbEUlT_E1_NS1_11comp_targetILNS1_3genE9ELNS1_11target_archE1100ELNS1_3gpuE3ELNS1_3repE0EEENS1_30default_config_static_selectorELNS0_4arch9wavefront6targetE1EEEvSD_, .Lfunc_end855-_ZN7rocprim17ROCPRIM_400000_NS6detail17trampoline_kernelINS0_14default_configENS1_22reduce_config_selectorItEEZNS1_11reduce_implILb1ES3_PtS7_t9plus_mod3ItEEE10hipError_tPvRmT1_T2_T3_mT4_P12ihipStream_tbEUlT_E1_NS1_11comp_targetILNS1_3genE9ELNS1_11target_archE1100ELNS1_3gpuE3ELNS1_3repE0EEENS1_30default_config_static_selectorELNS0_4arch9wavefront6targetE1EEEvSD_
                                        ; -- End function
	.set _ZN7rocprim17ROCPRIM_400000_NS6detail17trampoline_kernelINS0_14default_configENS1_22reduce_config_selectorItEEZNS1_11reduce_implILb1ES3_PtS7_t9plus_mod3ItEEE10hipError_tPvRmT1_T2_T3_mT4_P12ihipStream_tbEUlT_E1_NS1_11comp_targetILNS1_3genE9ELNS1_11target_archE1100ELNS1_3gpuE3ELNS1_3repE0EEENS1_30default_config_static_selectorELNS0_4arch9wavefront6targetE1EEEvSD_.num_vgpr, 0
	.set _ZN7rocprim17ROCPRIM_400000_NS6detail17trampoline_kernelINS0_14default_configENS1_22reduce_config_selectorItEEZNS1_11reduce_implILb1ES3_PtS7_t9plus_mod3ItEEE10hipError_tPvRmT1_T2_T3_mT4_P12ihipStream_tbEUlT_E1_NS1_11comp_targetILNS1_3genE9ELNS1_11target_archE1100ELNS1_3gpuE3ELNS1_3repE0EEENS1_30default_config_static_selectorELNS0_4arch9wavefront6targetE1EEEvSD_.num_agpr, 0
	.set _ZN7rocprim17ROCPRIM_400000_NS6detail17trampoline_kernelINS0_14default_configENS1_22reduce_config_selectorItEEZNS1_11reduce_implILb1ES3_PtS7_t9plus_mod3ItEEE10hipError_tPvRmT1_T2_T3_mT4_P12ihipStream_tbEUlT_E1_NS1_11comp_targetILNS1_3genE9ELNS1_11target_archE1100ELNS1_3gpuE3ELNS1_3repE0EEENS1_30default_config_static_selectorELNS0_4arch9wavefront6targetE1EEEvSD_.numbered_sgpr, 0
	.set _ZN7rocprim17ROCPRIM_400000_NS6detail17trampoline_kernelINS0_14default_configENS1_22reduce_config_selectorItEEZNS1_11reduce_implILb1ES3_PtS7_t9plus_mod3ItEEE10hipError_tPvRmT1_T2_T3_mT4_P12ihipStream_tbEUlT_E1_NS1_11comp_targetILNS1_3genE9ELNS1_11target_archE1100ELNS1_3gpuE3ELNS1_3repE0EEENS1_30default_config_static_selectorELNS0_4arch9wavefront6targetE1EEEvSD_.num_named_barrier, 0
	.set _ZN7rocprim17ROCPRIM_400000_NS6detail17trampoline_kernelINS0_14default_configENS1_22reduce_config_selectorItEEZNS1_11reduce_implILb1ES3_PtS7_t9plus_mod3ItEEE10hipError_tPvRmT1_T2_T3_mT4_P12ihipStream_tbEUlT_E1_NS1_11comp_targetILNS1_3genE9ELNS1_11target_archE1100ELNS1_3gpuE3ELNS1_3repE0EEENS1_30default_config_static_selectorELNS0_4arch9wavefront6targetE1EEEvSD_.private_seg_size, 0
	.set _ZN7rocprim17ROCPRIM_400000_NS6detail17trampoline_kernelINS0_14default_configENS1_22reduce_config_selectorItEEZNS1_11reduce_implILb1ES3_PtS7_t9plus_mod3ItEEE10hipError_tPvRmT1_T2_T3_mT4_P12ihipStream_tbEUlT_E1_NS1_11comp_targetILNS1_3genE9ELNS1_11target_archE1100ELNS1_3gpuE3ELNS1_3repE0EEENS1_30default_config_static_selectorELNS0_4arch9wavefront6targetE1EEEvSD_.uses_vcc, 0
	.set _ZN7rocprim17ROCPRIM_400000_NS6detail17trampoline_kernelINS0_14default_configENS1_22reduce_config_selectorItEEZNS1_11reduce_implILb1ES3_PtS7_t9plus_mod3ItEEE10hipError_tPvRmT1_T2_T3_mT4_P12ihipStream_tbEUlT_E1_NS1_11comp_targetILNS1_3genE9ELNS1_11target_archE1100ELNS1_3gpuE3ELNS1_3repE0EEENS1_30default_config_static_selectorELNS0_4arch9wavefront6targetE1EEEvSD_.uses_flat_scratch, 0
	.set _ZN7rocprim17ROCPRIM_400000_NS6detail17trampoline_kernelINS0_14default_configENS1_22reduce_config_selectorItEEZNS1_11reduce_implILb1ES3_PtS7_t9plus_mod3ItEEE10hipError_tPvRmT1_T2_T3_mT4_P12ihipStream_tbEUlT_E1_NS1_11comp_targetILNS1_3genE9ELNS1_11target_archE1100ELNS1_3gpuE3ELNS1_3repE0EEENS1_30default_config_static_selectorELNS0_4arch9wavefront6targetE1EEEvSD_.has_dyn_sized_stack, 0
	.set _ZN7rocprim17ROCPRIM_400000_NS6detail17trampoline_kernelINS0_14default_configENS1_22reduce_config_selectorItEEZNS1_11reduce_implILb1ES3_PtS7_t9plus_mod3ItEEE10hipError_tPvRmT1_T2_T3_mT4_P12ihipStream_tbEUlT_E1_NS1_11comp_targetILNS1_3genE9ELNS1_11target_archE1100ELNS1_3gpuE3ELNS1_3repE0EEENS1_30default_config_static_selectorELNS0_4arch9wavefront6targetE1EEEvSD_.has_recursion, 0
	.set _ZN7rocprim17ROCPRIM_400000_NS6detail17trampoline_kernelINS0_14default_configENS1_22reduce_config_selectorItEEZNS1_11reduce_implILb1ES3_PtS7_t9plus_mod3ItEEE10hipError_tPvRmT1_T2_T3_mT4_P12ihipStream_tbEUlT_E1_NS1_11comp_targetILNS1_3genE9ELNS1_11target_archE1100ELNS1_3gpuE3ELNS1_3repE0EEENS1_30default_config_static_selectorELNS0_4arch9wavefront6targetE1EEEvSD_.has_indirect_call, 0
	.section	.AMDGPU.csdata,"",@progbits
; Kernel info:
; codeLenInByte = 0
; TotalNumSgprs: 6
; NumVgprs: 0
; NumAgprs: 0
; TotalNumVgprs: 0
; ScratchSize: 0
; MemoryBound: 0
; FloatMode: 240
; IeeeMode: 1
; LDSByteSize: 0 bytes/workgroup (compile time only)
; SGPRBlocks: 0
; VGPRBlocks: 0
; NumSGPRsForWavesPerEU: 6
; NumVGPRsForWavesPerEU: 1
; AccumOffset: 4
; Occupancy: 8
; WaveLimiterHint : 0
; COMPUTE_PGM_RSRC2:SCRATCH_EN: 0
; COMPUTE_PGM_RSRC2:USER_SGPR: 2
; COMPUTE_PGM_RSRC2:TRAP_HANDLER: 0
; COMPUTE_PGM_RSRC2:TGID_X_EN: 1
; COMPUTE_PGM_RSRC2:TGID_Y_EN: 0
; COMPUTE_PGM_RSRC2:TGID_Z_EN: 0
; COMPUTE_PGM_RSRC2:TIDIG_COMP_CNT: 0
; COMPUTE_PGM_RSRC3_GFX90A:ACCUM_OFFSET: 0
; COMPUTE_PGM_RSRC3_GFX90A:TG_SPLIT: 0
	.section	.text._ZN7rocprim17ROCPRIM_400000_NS6detail17trampoline_kernelINS0_14default_configENS1_22reduce_config_selectorItEEZNS1_11reduce_implILb1ES3_PtS7_t9plus_mod3ItEEE10hipError_tPvRmT1_T2_T3_mT4_P12ihipStream_tbEUlT_E1_NS1_11comp_targetILNS1_3genE8ELNS1_11target_archE1030ELNS1_3gpuE2ELNS1_3repE0EEENS1_30default_config_static_selectorELNS0_4arch9wavefront6targetE1EEEvSD_,"axG",@progbits,_ZN7rocprim17ROCPRIM_400000_NS6detail17trampoline_kernelINS0_14default_configENS1_22reduce_config_selectorItEEZNS1_11reduce_implILb1ES3_PtS7_t9plus_mod3ItEEE10hipError_tPvRmT1_T2_T3_mT4_P12ihipStream_tbEUlT_E1_NS1_11comp_targetILNS1_3genE8ELNS1_11target_archE1030ELNS1_3gpuE2ELNS1_3repE0EEENS1_30default_config_static_selectorELNS0_4arch9wavefront6targetE1EEEvSD_,comdat
	.protected	_ZN7rocprim17ROCPRIM_400000_NS6detail17trampoline_kernelINS0_14default_configENS1_22reduce_config_selectorItEEZNS1_11reduce_implILb1ES3_PtS7_t9plus_mod3ItEEE10hipError_tPvRmT1_T2_T3_mT4_P12ihipStream_tbEUlT_E1_NS1_11comp_targetILNS1_3genE8ELNS1_11target_archE1030ELNS1_3gpuE2ELNS1_3repE0EEENS1_30default_config_static_selectorELNS0_4arch9wavefront6targetE1EEEvSD_ ; -- Begin function _ZN7rocprim17ROCPRIM_400000_NS6detail17trampoline_kernelINS0_14default_configENS1_22reduce_config_selectorItEEZNS1_11reduce_implILb1ES3_PtS7_t9plus_mod3ItEEE10hipError_tPvRmT1_T2_T3_mT4_P12ihipStream_tbEUlT_E1_NS1_11comp_targetILNS1_3genE8ELNS1_11target_archE1030ELNS1_3gpuE2ELNS1_3repE0EEENS1_30default_config_static_selectorELNS0_4arch9wavefront6targetE1EEEvSD_
	.globl	_ZN7rocprim17ROCPRIM_400000_NS6detail17trampoline_kernelINS0_14default_configENS1_22reduce_config_selectorItEEZNS1_11reduce_implILb1ES3_PtS7_t9plus_mod3ItEEE10hipError_tPvRmT1_T2_T3_mT4_P12ihipStream_tbEUlT_E1_NS1_11comp_targetILNS1_3genE8ELNS1_11target_archE1030ELNS1_3gpuE2ELNS1_3repE0EEENS1_30default_config_static_selectorELNS0_4arch9wavefront6targetE1EEEvSD_
	.p2align	8
	.type	_ZN7rocprim17ROCPRIM_400000_NS6detail17trampoline_kernelINS0_14default_configENS1_22reduce_config_selectorItEEZNS1_11reduce_implILb1ES3_PtS7_t9plus_mod3ItEEE10hipError_tPvRmT1_T2_T3_mT4_P12ihipStream_tbEUlT_E1_NS1_11comp_targetILNS1_3genE8ELNS1_11target_archE1030ELNS1_3gpuE2ELNS1_3repE0EEENS1_30default_config_static_selectorELNS0_4arch9wavefront6targetE1EEEvSD_,@function
_ZN7rocprim17ROCPRIM_400000_NS6detail17trampoline_kernelINS0_14default_configENS1_22reduce_config_selectorItEEZNS1_11reduce_implILb1ES3_PtS7_t9plus_mod3ItEEE10hipError_tPvRmT1_T2_T3_mT4_P12ihipStream_tbEUlT_E1_NS1_11comp_targetILNS1_3genE8ELNS1_11target_archE1030ELNS1_3gpuE2ELNS1_3repE0EEENS1_30default_config_static_selectorELNS0_4arch9wavefront6targetE1EEEvSD_: ; @_ZN7rocprim17ROCPRIM_400000_NS6detail17trampoline_kernelINS0_14default_configENS1_22reduce_config_selectorItEEZNS1_11reduce_implILb1ES3_PtS7_t9plus_mod3ItEEE10hipError_tPvRmT1_T2_T3_mT4_P12ihipStream_tbEUlT_E1_NS1_11comp_targetILNS1_3genE8ELNS1_11target_archE1030ELNS1_3gpuE2ELNS1_3repE0EEENS1_30default_config_static_selectorELNS0_4arch9wavefront6targetE1EEEvSD_
; %bb.0:
	.section	.rodata,"a",@progbits
	.p2align	6, 0x0
	.amdhsa_kernel _ZN7rocprim17ROCPRIM_400000_NS6detail17trampoline_kernelINS0_14default_configENS1_22reduce_config_selectorItEEZNS1_11reduce_implILb1ES3_PtS7_t9plus_mod3ItEEE10hipError_tPvRmT1_T2_T3_mT4_P12ihipStream_tbEUlT_E1_NS1_11comp_targetILNS1_3genE8ELNS1_11target_archE1030ELNS1_3gpuE2ELNS1_3repE0EEENS1_30default_config_static_selectorELNS0_4arch9wavefront6targetE1EEEvSD_
		.amdhsa_group_segment_fixed_size 0
		.amdhsa_private_segment_fixed_size 0
		.amdhsa_kernarg_size 48
		.amdhsa_user_sgpr_count 2
		.amdhsa_user_sgpr_dispatch_ptr 0
		.amdhsa_user_sgpr_queue_ptr 0
		.amdhsa_user_sgpr_kernarg_segment_ptr 1
		.amdhsa_user_sgpr_dispatch_id 0
		.amdhsa_user_sgpr_kernarg_preload_length 0
		.amdhsa_user_sgpr_kernarg_preload_offset 0
		.amdhsa_user_sgpr_private_segment_size 0
		.amdhsa_uses_dynamic_stack 0
		.amdhsa_enable_private_segment 0
		.amdhsa_system_sgpr_workgroup_id_x 1
		.amdhsa_system_sgpr_workgroup_id_y 0
		.amdhsa_system_sgpr_workgroup_id_z 0
		.amdhsa_system_sgpr_workgroup_info 0
		.amdhsa_system_vgpr_workitem_id 0
		.amdhsa_next_free_vgpr 1
		.amdhsa_next_free_sgpr 0
		.amdhsa_accum_offset 4
		.amdhsa_reserve_vcc 0
		.amdhsa_float_round_mode_32 0
		.amdhsa_float_round_mode_16_64 0
		.amdhsa_float_denorm_mode_32 3
		.amdhsa_float_denorm_mode_16_64 3
		.amdhsa_dx10_clamp 1
		.amdhsa_ieee_mode 1
		.amdhsa_fp16_overflow 0
		.amdhsa_tg_split 0
		.amdhsa_exception_fp_ieee_invalid_op 0
		.amdhsa_exception_fp_denorm_src 0
		.amdhsa_exception_fp_ieee_div_zero 0
		.amdhsa_exception_fp_ieee_overflow 0
		.amdhsa_exception_fp_ieee_underflow 0
		.amdhsa_exception_fp_ieee_inexact 0
		.amdhsa_exception_int_div_zero 0
	.end_amdhsa_kernel
	.section	.text._ZN7rocprim17ROCPRIM_400000_NS6detail17trampoline_kernelINS0_14default_configENS1_22reduce_config_selectorItEEZNS1_11reduce_implILb1ES3_PtS7_t9plus_mod3ItEEE10hipError_tPvRmT1_T2_T3_mT4_P12ihipStream_tbEUlT_E1_NS1_11comp_targetILNS1_3genE8ELNS1_11target_archE1030ELNS1_3gpuE2ELNS1_3repE0EEENS1_30default_config_static_selectorELNS0_4arch9wavefront6targetE1EEEvSD_,"axG",@progbits,_ZN7rocprim17ROCPRIM_400000_NS6detail17trampoline_kernelINS0_14default_configENS1_22reduce_config_selectorItEEZNS1_11reduce_implILb1ES3_PtS7_t9plus_mod3ItEEE10hipError_tPvRmT1_T2_T3_mT4_P12ihipStream_tbEUlT_E1_NS1_11comp_targetILNS1_3genE8ELNS1_11target_archE1030ELNS1_3gpuE2ELNS1_3repE0EEENS1_30default_config_static_selectorELNS0_4arch9wavefront6targetE1EEEvSD_,comdat
.Lfunc_end856:
	.size	_ZN7rocprim17ROCPRIM_400000_NS6detail17trampoline_kernelINS0_14default_configENS1_22reduce_config_selectorItEEZNS1_11reduce_implILb1ES3_PtS7_t9plus_mod3ItEEE10hipError_tPvRmT1_T2_T3_mT4_P12ihipStream_tbEUlT_E1_NS1_11comp_targetILNS1_3genE8ELNS1_11target_archE1030ELNS1_3gpuE2ELNS1_3repE0EEENS1_30default_config_static_selectorELNS0_4arch9wavefront6targetE1EEEvSD_, .Lfunc_end856-_ZN7rocprim17ROCPRIM_400000_NS6detail17trampoline_kernelINS0_14default_configENS1_22reduce_config_selectorItEEZNS1_11reduce_implILb1ES3_PtS7_t9plus_mod3ItEEE10hipError_tPvRmT1_T2_T3_mT4_P12ihipStream_tbEUlT_E1_NS1_11comp_targetILNS1_3genE8ELNS1_11target_archE1030ELNS1_3gpuE2ELNS1_3repE0EEENS1_30default_config_static_selectorELNS0_4arch9wavefront6targetE1EEEvSD_
                                        ; -- End function
	.set _ZN7rocprim17ROCPRIM_400000_NS6detail17trampoline_kernelINS0_14default_configENS1_22reduce_config_selectorItEEZNS1_11reduce_implILb1ES3_PtS7_t9plus_mod3ItEEE10hipError_tPvRmT1_T2_T3_mT4_P12ihipStream_tbEUlT_E1_NS1_11comp_targetILNS1_3genE8ELNS1_11target_archE1030ELNS1_3gpuE2ELNS1_3repE0EEENS1_30default_config_static_selectorELNS0_4arch9wavefront6targetE1EEEvSD_.num_vgpr, 0
	.set _ZN7rocprim17ROCPRIM_400000_NS6detail17trampoline_kernelINS0_14default_configENS1_22reduce_config_selectorItEEZNS1_11reduce_implILb1ES3_PtS7_t9plus_mod3ItEEE10hipError_tPvRmT1_T2_T3_mT4_P12ihipStream_tbEUlT_E1_NS1_11comp_targetILNS1_3genE8ELNS1_11target_archE1030ELNS1_3gpuE2ELNS1_3repE0EEENS1_30default_config_static_selectorELNS0_4arch9wavefront6targetE1EEEvSD_.num_agpr, 0
	.set _ZN7rocprim17ROCPRIM_400000_NS6detail17trampoline_kernelINS0_14default_configENS1_22reduce_config_selectorItEEZNS1_11reduce_implILb1ES3_PtS7_t9plus_mod3ItEEE10hipError_tPvRmT1_T2_T3_mT4_P12ihipStream_tbEUlT_E1_NS1_11comp_targetILNS1_3genE8ELNS1_11target_archE1030ELNS1_3gpuE2ELNS1_3repE0EEENS1_30default_config_static_selectorELNS0_4arch9wavefront6targetE1EEEvSD_.numbered_sgpr, 0
	.set _ZN7rocprim17ROCPRIM_400000_NS6detail17trampoline_kernelINS0_14default_configENS1_22reduce_config_selectorItEEZNS1_11reduce_implILb1ES3_PtS7_t9plus_mod3ItEEE10hipError_tPvRmT1_T2_T3_mT4_P12ihipStream_tbEUlT_E1_NS1_11comp_targetILNS1_3genE8ELNS1_11target_archE1030ELNS1_3gpuE2ELNS1_3repE0EEENS1_30default_config_static_selectorELNS0_4arch9wavefront6targetE1EEEvSD_.num_named_barrier, 0
	.set _ZN7rocprim17ROCPRIM_400000_NS6detail17trampoline_kernelINS0_14default_configENS1_22reduce_config_selectorItEEZNS1_11reduce_implILb1ES3_PtS7_t9plus_mod3ItEEE10hipError_tPvRmT1_T2_T3_mT4_P12ihipStream_tbEUlT_E1_NS1_11comp_targetILNS1_3genE8ELNS1_11target_archE1030ELNS1_3gpuE2ELNS1_3repE0EEENS1_30default_config_static_selectorELNS0_4arch9wavefront6targetE1EEEvSD_.private_seg_size, 0
	.set _ZN7rocprim17ROCPRIM_400000_NS6detail17trampoline_kernelINS0_14default_configENS1_22reduce_config_selectorItEEZNS1_11reduce_implILb1ES3_PtS7_t9plus_mod3ItEEE10hipError_tPvRmT1_T2_T3_mT4_P12ihipStream_tbEUlT_E1_NS1_11comp_targetILNS1_3genE8ELNS1_11target_archE1030ELNS1_3gpuE2ELNS1_3repE0EEENS1_30default_config_static_selectorELNS0_4arch9wavefront6targetE1EEEvSD_.uses_vcc, 0
	.set _ZN7rocprim17ROCPRIM_400000_NS6detail17trampoline_kernelINS0_14default_configENS1_22reduce_config_selectorItEEZNS1_11reduce_implILb1ES3_PtS7_t9plus_mod3ItEEE10hipError_tPvRmT1_T2_T3_mT4_P12ihipStream_tbEUlT_E1_NS1_11comp_targetILNS1_3genE8ELNS1_11target_archE1030ELNS1_3gpuE2ELNS1_3repE0EEENS1_30default_config_static_selectorELNS0_4arch9wavefront6targetE1EEEvSD_.uses_flat_scratch, 0
	.set _ZN7rocprim17ROCPRIM_400000_NS6detail17trampoline_kernelINS0_14default_configENS1_22reduce_config_selectorItEEZNS1_11reduce_implILb1ES3_PtS7_t9plus_mod3ItEEE10hipError_tPvRmT1_T2_T3_mT4_P12ihipStream_tbEUlT_E1_NS1_11comp_targetILNS1_3genE8ELNS1_11target_archE1030ELNS1_3gpuE2ELNS1_3repE0EEENS1_30default_config_static_selectorELNS0_4arch9wavefront6targetE1EEEvSD_.has_dyn_sized_stack, 0
	.set _ZN7rocprim17ROCPRIM_400000_NS6detail17trampoline_kernelINS0_14default_configENS1_22reduce_config_selectorItEEZNS1_11reduce_implILb1ES3_PtS7_t9plus_mod3ItEEE10hipError_tPvRmT1_T2_T3_mT4_P12ihipStream_tbEUlT_E1_NS1_11comp_targetILNS1_3genE8ELNS1_11target_archE1030ELNS1_3gpuE2ELNS1_3repE0EEENS1_30default_config_static_selectorELNS0_4arch9wavefront6targetE1EEEvSD_.has_recursion, 0
	.set _ZN7rocprim17ROCPRIM_400000_NS6detail17trampoline_kernelINS0_14default_configENS1_22reduce_config_selectorItEEZNS1_11reduce_implILb1ES3_PtS7_t9plus_mod3ItEEE10hipError_tPvRmT1_T2_T3_mT4_P12ihipStream_tbEUlT_E1_NS1_11comp_targetILNS1_3genE8ELNS1_11target_archE1030ELNS1_3gpuE2ELNS1_3repE0EEENS1_30default_config_static_selectorELNS0_4arch9wavefront6targetE1EEEvSD_.has_indirect_call, 0
	.section	.AMDGPU.csdata,"",@progbits
; Kernel info:
; codeLenInByte = 0
; TotalNumSgprs: 6
; NumVgprs: 0
; NumAgprs: 0
; TotalNumVgprs: 0
; ScratchSize: 0
; MemoryBound: 0
; FloatMode: 240
; IeeeMode: 1
; LDSByteSize: 0 bytes/workgroup (compile time only)
; SGPRBlocks: 0
; VGPRBlocks: 0
; NumSGPRsForWavesPerEU: 6
; NumVGPRsForWavesPerEU: 1
; AccumOffset: 4
; Occupancy: 8
; WaveLimiterHint : 0
; COMPUTE_PGM_RSRC2:SCRATCH_EN: 0
; COMPUTE_PGM_RSRC2:USER_SGPR: 2
; COMPUTE_PGM_RSRC2:TRAP_HANDLER: 0
; COMPUTE_PGM_RSRC2:TGID_X_EN: 1
; COMPUTE_PGM_RSRC2:TGID_Y_EN: 0
; COMPUTE_PGM_RSRC2:TGID_Z_EN: 0
; COMPUTE_PGM_RSRC2:TIDIG_COMP_CNT: 0
; COMPUTE_PGM_RSRC3_GFX90A:ACCUM_OFFSET: 0
; COMPUTE_PGM_RSRC3_GFX90A:TG_SPLIT: 0
	.section	.text._ZN7rocprim17ROCPRIM_400000_NS6detail17trampoline_kernelINS0_14default_configENS1_22reduce_config_selectorItEEZNS1_11reduce_implILb1ES3_N6thrust23THRUST_200600_302600_NS6detail15normal_iteratorINS8_10device_ptrItEEEEPtt9plus_mod3ItEEE10hipError_tPvRmT1_T2_T3_mT4_P12ihipStream_tbEUlT_E0_NS1_11comp_targetILNS1_3genE0ELNS1_11target_archE4294967295ELNS1_3gpuE0ELNS1_3repE0EEENS1_30default_config_static_selectorELNS0_4arch9wavefront6targetE1EEEvSK_,"axG",@progbits,_ZN7rocprim17ROCPRIM_400000_NS6detail17trampoline_kernelINS0_14default_configENS1_22reduce_config_selectorItEEZNS1_11reduce_implILb1ES3_N6thrust23THRUST_200600_302600_NS6detail15normal_iteratorINS8_10device_ptrItEEEEPtt9plus_mod3ItEEE10hipError_tPvRmT1_T2_T3_mT4_P12ihipStream_tbEUlT_E0_NS1_11comp_targetILNS1_3genE0ELNS1_11target_archE4294967295ELNS1_3gpuE0ELNS1_3repE0EEENS1_30default_config_static_selectorELNS0_4arch9wavefront6targetE1EEEvSK_,comdat
	.protected	_ZN7rocprim17ROCPRIM_400000_NS6detail17trampoline_kernelINS0_14default_configENS1_22reduce_config_selectorItEEZNS1_11reduce_implILb1ES3_N6thrust23THRUST_200600_302600_NS6detail15normal_iteratorINS8_10device_ptrItEEEEPtt9plus_mod3ItEEE10hipError_tPvRmT1_T2_T3_mT4_P12ihipStream_tbEUlT_E0_NS1_11comp_targetILNS1_3genE0ELNS1_11target_archE4294967295ELNS1_3gpuE0ELNS1_3repE0EEENS1_30default_config_static_selectorELNS0_4arch9wavefront6targetE1EEEvSK_ ; -- Begin function _ZN7rocprim17ROCPRIM_400000_NS6detail17trampoline_kernelINS0_14default_configENS1_22reduce_config_selectorItEEZNS1_11reduce_implILb1ES3_N6thrust23THRUST_200600_302600_NS6detail15normal_iteratorINS8_10device_ptrItEEEEPtt9plus_mod3ItEEE10hipError_tPvRmT1_T2_T3_mT4_P12ihipStream_tbEUlT_E0_NS1_11comp_targetILNS1_3genE0ELNS1_11target_archE4294967295ELNS1_3gpuE0ELNS1_3repE0EEENS1_30default_config_static_selectorELNS0_4arch9wavefront6targetE1EEEvSK_
	.globl	_ZN7rocprim17ROCPRIM_400000_NS6detail17trampoline_kernelINS0_14default_configENS1_22reduce_config_selectorItEEZNS1_11reduce_implILb1ES3_N6thrust23THRUST_200600_302600_NS6detail15normal_iteratorINS8_10device_ptrItEEEEPtt9plus_mod3ItEEE10hipError_tPvRmT1_T2_T3_mT4_P12ihipStream_tbEUlT_E0_NS1_11comp_targetILNS1_3genE0ELNS1_11target_archE4294967295ELNS1_3gpuE0ELNS1_3repE0EEENS1_30default_config_static_selectorELNS0_4arch9wavefront6targetE1EEEvSK_
	.p2align	8
	.type	_ZN7rocprim17ROCPRIM_400000_NS6detail17trampoline_kernelINS0_14default_configENS1_22reduce_config_selectorItEEZNS1_11reduce_implILb1ES3_N6thrust23THRUST_200600_302600_NS6detail15normal_iteratorINS8_10device_ptrItEEEEPtt9plus_mod3ItEEE10hipError_tPvRmT1_T2_T3_mT4_P12ihipStream_tbEUlT_E0_NS1_11comp_targetILNS1_3genE0ELNS1_11target_archE4294967295ELNS1_3gpuE0ELNS1_3repE0EEENS1_30default_config_static_selectorELNS0_4arch9wavefront6targetE1EEEvSK_,@function
_ZN7rocprim17ROCPRIM_400000_NS6detail17trampoline_kernelINS0_14default_configENS1_22reduce_config_selectorItEEZNS1_11reduce_implILb1ES3_N6thrust23THRUST_200600_302600_NS6detail15normal_iteratorINS8_10device_ptrItEEEEPtt9plus_mod3ItEEE10hipError_tPvRmT1_T2_T3_mT4_P12ihipStream_tbEUlT_E0_NS1_11comp_targetILNS1_3genE0ELNS1_11target_archE4294967295ELNS1_3gpuE0ELNS1_3repE0EEENS1_30default_config_static_selectorELNS0_4arch9wavefront6targetE1EEEvSK_: ; @_ZN7rocprim17ROCPRIM_400000_NS6detail17trampoline_kernelINS0_14default_configENS1_22reduce_config_selectorItEEZNS1_11reduce_implILb1ES3_N6thrust23THRUST_200600_302600_NS6detail15normal_iteratorINS8_10device_ptrItEEEEPtt9plus_mod3ItEEE10hipError_tPvRmT1_T2_T3_mT4_P12ihipStream_tbEUlT_E0_NS1_11comp_targetILNS1_3genE0ELNS1_11target_archE4294967295ELNS1_3gpuE0ELNS1_3repE0EEENS1_30default_config_static_selectorELNS0_4arch9wavefront6targetE1EEEvSK_
; %bb.0:
	s_load_dwordx8 s[12:19], s[0:1], 0x0
	s_load_dwordx4 s[20:23], s[0:1], 0x20
	s_load_dwordx2 s[24:25], s[0:1], 0x38
	v_lshlrev_b32_e32 v6, 1, v0
	v_mbcnt_lo_u32_b32 v1, -1, 0
	s_waitcnt lgkmcnt(0)
	s_lshl_b64 s[4:5], s[14:15], 1
	s_add_u32 s10, s12, s4
	s_addc_u32 s11, s13, s5
	s_lshl_b32 s4, s2, 10
	s_mov_b32 s5, 0
	s_lshr_b64 s[6:7], s[16:17], 10
	s_lshl_b64 s[8:9], s[4:5], 1
	s_add_u32 s14, s10, s8
	s_mov_b32 s3, s5
	s_addc_u32 s15, s11, s9
	s_cmp_lg_u64 s[6:7], s[2:3]
	s_cbranch_scc0 .LBB857_6
; %bb.1:
	v_mov_b32_e32 v7, 0
	v_lshl_add_u64 v[2:3], s[14:15], 0, v[6:7]
	flat_load_ushort v4, v[2:3]
	flat_load_ushort v8, v[2:3] offset:256
	v_mov_b32_e32 v5, v7
	v_mov_b32_e32 v9, v7
	flat_load_ushort v10, v[2:3] offset:512
	flat_load_ushort v11, v[2:3] offset:768
	flat_load_ushort v12, v[2:3] offset:1024
	flat_load_ushort v13, v[2:3] offset:1280
	flat_load_ushort v14, v[2:3] offset:1536
	flat_load_ushort v15, v[2:3] offset:1792
	s_waitcnt vmcnt(0) lgkmcnt(0)
	v_lshlrev_b32_e32 v4, 1, v4
	v_lshlrev_b32_e32 v8, 1, v8
	v_lshl_add_u64 v[2:3], s[24:25], 0, v[4:5]
	v_lshl_add_u64 v[2:3], v[2:3], 0, v[8:9]
	global_load_ushort v2, v[2:3], off
	v_mov_b32_e32 v3, v7
	v_lshlrev_b32_e32 v4, 1, v10
	v_mov_b32_e32 v8, 1
	s_waitcnt vmcnt(0)
	v_lshlrev_b32_e32 v2, 1, v2
	v_lshl_add_u64 v[2:3], s[24:25], 0, v[2:3]
	v_lshl_add_u64 v[2:3], v[2:3], 0, v[4:5]
	global_load_ushort v2, v[2:3], off
	v_mov_b32_e32 v3, v7
	v_lshlrev_b32_e32 v4, 1, v11
	s_waitcnt vmcnt(0)
	v_lshlrev_b32_e32 v2, 1, v2
	v_lshl_add_u64 v[2:3], s[24:25], 0, v[2:3]
	v_lshl_add_u64 v[2:3], v[2:3], 0, v[4:5]
	global_load_ushort v2, v[2:3], off
	v_mov_b32_e32 v3, v7
	v_lshlrev_b32_e32 v4, 1, v12
	;; [unrolled: 7-line block ×5, first 2 shown]
	s_waitcnt vmcnt(0)
	v_lshlrev_b32_e32 v2, 1, v2
	v_lshl_add_u64 v[2:3], s[24:25], 0, v[2:3]
	v_lshl_add_u64 v[2:3], v[2:3], 0, v[4:5]
	global_load_ushort v2, v[2:3], off
	v_mov_b32_e32 v3, v7
	s_waitcnt vmcnt(0)
	v_lshlrev_b32_e32 v4, 1, v2
	v_mov_b32_dpp v9, v2 quad_perm:[1,0,3,2] row_mask:0xf bank_mask:0xf bound_ctrl:1
	v_lshlrev_b32_sdwa v2, v8, v9 dst_sel:DWORD dst_unused:UNUSED_PAD src0_sel:DWORD src1_sel:WORD_0
	v_lshl_add_u64 v[2:3], s[24:25], 0, v[2:3]
	v_lshl_add_u64 v[2:3], v[2:3], 0, v[4:5]
	global_load_ushort v2, v[2:3], off
	v_mov_b32_e32 v3, v7
	s_waitcnt vmcnt(0)
	v_lshlrev_b32_e32 v4, 1, v2
	v_mov_b32_dpp v9, v2 quad_perm:[2,3,0,1] row_mask:0xf bank_mask:0xf bound_ctrl:1
	v_lshlrev_b32_sdwa v2, v8, v9 dst_sel:DWORD dst_unused:UNUSED_PAD src0_sel:DWORD src1_sel:WORD_0
	v_lshl_add_u64 v[2:3], s[24:25], 0, v[2:3]
	v_lshl_add_u64 v[2:3], v[2:3], 0, v[4:5]
	global_load_ushort v2, v[2:3], off
	v_mov_b32_e32 v3, v7
	s_waitcnt vmcnt(0)
	v_lshlrev_b32_e32 v4, 1, v2
	v_mov_b32_dpp v9, v2 row_ror:4 row_mask:0xf bank_mask:0xf bound_ctrl:1
	v_lshlrev_b32_sdwa v2, v8, v9 dst_sel:DWORD dst_unused:UNUSED_PAD src0_sel:DWORD src1_sel:WORD_0
	v_lshl_add_u64 v[2:3], s[24:25], 0, v[2:3]
	v_lshl_add_u64 v[2:3], v[2:3], 0, v[4:5]
	global_load_ushort v2, v[2:3], off
	v_mov_b32_e32 v3, v7
	s_waitcnt vmcnt(0)
	v_lshlrev_b32_e32 v4, 1, v2
	v_mov_b32_dpp v9, v2 row_ror:8 row_mask:0xf bank_mask:0xf bound_ctrl:1
	v_lshlrev_b32_sdwa v2, v8, v9 dst_sel:DWORD dst_unused:UNUSED_PAD src0_sel:DWORD src1_sel:WORD_0
	v_lshl_add_u64 v[2:3], s[24:25], 0, v[2:3]
	v_lshl_add_u64 v[2:3], v[2:3], 0, v[4:5]
	global_load_ushort v2, v[2:3], off
	v_mov_b32_e32 v3, v7
	s_waitcnt vmcnt(0)
	v_lshlrev_b32_e32 v4, 1, v2
	v_mov_b32_dpp v9, v2 row_bcast:15 row_mask:0xf bank_mask:0xf bound_ctrl:1
	v_lshlrev_b32_sdwa v2, v8, v9 dst_sel:DWORD dst_unused:UNUSED_PAD src0_sel:DWORD src1_sel:WORD_0
	v_lshl_add_u64 v[2:3], s[24:25], 0, v[2:3]
	v_lshl_add_u64 v[2:3], v[2:3], 0, v[4:5]
	global_load_ushort v2, v[2:3], off
	v_mov_b32_e32 v3, v7
	s_waitcnt vmcnt(0)
	v_lshlrev_b32_e32 v4, 1, v2
	v_mov_b32_dpp v5, v2 row_bcast:31 row_mask:0xf bank_mask:0xf bound_ctrl:1
	v_lshlrev_b32_sdwa v2, v8, v5 dst_sel:DWORD dst_unused:UNUSED_PAD src0_sel:DWORD src1_sel:WORD_0
	v_lshl_add_u64 v[2:3], s[24:25], 0, v[2:3]
	v_mov_b32_e32 v5, v7
	v_lshl_add_u64 v[2:3], v[2:3], 0, v[4:5]
	global_load_ushort v2, v[2:3], off
	v_mbcnt_hi_u32_b32 v4, -1, v1
	v_lshlrev_b32_e32 v3, 2, v4
	v_or_b32_e32 v5, 0xfc, v3
	v_cmp_eq_u32_e32 vcc, 0, v4
	s_waitcnt vmcnt(0)
	ds_bpermute_b32 v2, v5, v2
	s_and_saveexec_b64 s[6:7], vcc
	s_cbranch_execz .LBB857_3
; %bb.2:
	v_lshrrev_b32_e32 v5, 5, v0
	v_and_b32_e32 v5, 2, v5
	s_waitcnt lgkmcnt(0)
	ds_write_b16 v5, v2 offset:4
.LBB857_3:
	s_or_b64 exec, exec, s[6:7]
	v_cmp_gt_u32_e32 vcc, 64, v0
	s_waitcnt lgkmcnt(0)
	s_barrier
	s_and_saveexec_b64 s[6:7], vcc
	s_cbranch_execz .LBB857_5
; %bb.4:
	v_and_b32_e32 v2, 1, v4
	v_lshlrev_b32_e32 v2, 1, v2
	ds_read_u16 v2, v2 offset:4
	v_or_b32_e32 v3, 4, v3
	s_waitcnt lgkmcnt(0)
	ds_bpermute_b32 v7, v3, v2
	v_lshlrev_b32_e32 v2, 1, v2
	v_mov_b32_e32 v3, 0
	v_lshl_add_u64 v[4:5], s[24:25], 0, v[2:3]
	v_mov_b32_e32 v2, 1
	s_waitcnt lgkmcnt(0)
	v_lshlrev_b32_sdwa v2, v2, v7 dst_sel:DWORD dst_unused:UNUSED_PAD src0_sel:DWORD src1_sel:WORD_0
	v_lshl_add_u64 v[2:3], v[4:5], 0, v[2:3]
	global_load_ushort v2, v[2:3], off
.LBB857_5:
	s_or_b64 exec, exec, s[6:7]
	s_load_dword s28, s[0:1], 0x30
	s_branch .LBB857_49
.LBB857_6:
                                        ; implicit-def: $vgpr2
	s_load_dword s28, s[0:1], 0x30
	s_cbranch_execz .LBB857_49
; %bb.7:
	s_sub_i32 s29, s16, s4
	s_waitcnt vmcnt(0)
	v_mov_b32_e32 v2, 0
	v_cmp_gt_u32_e32 vcc, s29, v0
	v_mov_b32_e32 v3, v2
	v_mov_b32_e32 v4, v2
	;; [unrolled: 1-line block ×3, first 2 shown]
	s_and_saveexec_b64 s[0:1], vcc
	s_cbranch_execz .LBB857_9
; %bb.8:
	v_mov_b32_e32 v7, v2
	v_lshl_add_u64 v[4:5], s[14:15], 0, v[6:7]
	flat_load_ushort v3, v[4:5]
	v_mov_b32_e32 v9, v2
	v_mov_b32_e32 v10, v2
	;; [unrolled: 1-line block ×3, first 2 shown]
	s_waitcnt vmcnt(0) lgkmcnt(0)
	v_and_b32_e32 v8, 0xffff, v3
	v_mov_b64_e32 v[2:3], v[8:9]
	v_mov_b64_e32 v[4:5], v[10:11]
.LBB857_9:
	s_or_b64 exec, exec, s[0:1]
	v_or_b32_e32 v7, 0x80, v0
	v_cmp_gt_u32_e32 vcc, s29, v7
	s_and_saveexec_b64 s[0:1], vcc
	s_cbranch_execz .LBB857_11
; %bb.10:
	v_mov_b32_e32 v7, 0
	v_lshl_add_u64 v[8:9], s[14:15], 0, v[6:7]
	flat_load_ushort v7, v[8:9] offset:256
	s_mov_b32 s4, 0x5040100
	s_waitcnt vmcnt(0) lgkmcnt(0)
	v_perm_b32 v2, v7, v2, s4
.LBB857_11:
	s_or_b64 exec, exec, s[0:1]
	v_or_b32_e32 v7, 0x100, v0
	v_cmp_gt_u32_e64 s[0:1], s29, v7
	s_and_saveexec_b64 s[4:5], s[0:1]
	s_cbranch_execz .LBB857_13
; %bb.12:
	v_mov_b32_e32 v7, 0
	v_lshl_add_u64 v[8:9], s[14:15], 0, v[6:7]
	flat_load_ushort v7, v[8:9] offset:512
	s_mov_b32 s6, 0xffff
	s_waitcnt vmcnt(0) lgkmcnt(0)
	v_bfi_b32 v3, s6, v7, v3
.LBB857_13:
	s_or_b64 exec, exec, s[4:5]
	v_or_b32_e32 v7, 0x180, v0
	v_cmp_gt_u32_e64 s[4:5], s29, v7
	s_and_saveexec_b64 s[6:7], s[4:5]
	s_cbranch_execz .LBB857_15
; %bb.14:
	v_mov_b32_e32 v7, 0
	v_lshl_add_u64 v[8:9], s[14:15], 0, v[6:7]
	flat_load_ushort v7, v[8:9] offset:768
	s_mov_b32 s8, 0x5040100
	s_waitcnt vmcnt(0) lgkmcnt(0)
	v_perm_b32 v3, v7, v3, s8
.LBB857_15:
	s_or_b64 exec, exec, s[6:7]
	v_or_b32_e32 v7, 0x200, v0
	v_cmp_gt_u32_e64 s[6:7], s29, v7
	s_and_saveexec_b64 s[8:9], s[6:7]
	s_cbranch_execz .LBB857_17
; %bb.16:
	v_mov_b32_e32 v7, 0
	v_lshl_add_u64 v[8:9], s[14:15], 0, v[6:7]
	flat_load_ushort v7, v[8:9] offset:1024
	s_mov_b32 s10, 0xffff
	s_waitcnt vmcnt(0) lgkmcnt(0)
	v_bfi_b32 v4, s10, v7, v4
.LBB857_17:
	s_or_b64 exec, exec, s[8:9]
	v_or_b32_e32 v7, 0x280, v0
	v_cmp_gt_u32_e64 s[8:9], s29, v7
	s_and_saveexec_b64 s[10:11], s[8:9]
	;; [unrolled: 26-line block ×3, first 2 shown]
	s_cbranch_execnz .LBB857_52
; %bb.22:
	s_or_b64 exec, exec, s[26:27]
	s_and_saveexec_b64 s[14:15], vcc
	s_cbranch_execnz .LBB857_53
.LBB857_23:
	s_or_b64 exec, exec, s[14:15]
	s_and_saveexec_b64 s[14:15], s[0:1]
	s_cbranch_execnz .LBB857_54
.LBB857_24:
	s_or_b64 exec, exec, s[14:15]
	s_and_saveexec_b64 s[0:1], s[4:5]
	s_cbranch_execnz .LBB857_55
.LBB857_25:
	s_or_b64 exec, exec, s[0:1]
	s_and_saveexec_b64 s[0:1], s[6:7]
	s_cbranch_execnz .LBB857_56
.LBB857_26:
	s_or_b64 exec, exec, s[0:1]
	s_and_saveexec_b64 s[0:1], s[8:9]
	s_cbranch_execnz .LBB857_57
.LBB857_27:
	s_or_b64 exec, exec, s[0:1]
	s_and_saveexec_b64 s[0:1], s[10:11]
	s_cbranch_execnz .LBB857_58
.LBB857_28:
	s_or_b64 exec, exec, s[0:1]
	s_and_saveexec_b64 s[0:1], s[12:13]
	s_cbranch_execz .LBB857_30
.LBB857_29:
	v_mov_b32_e32 v4, 1
	s_waitcnt vmcnt(0)
	v_lshlrev_b32_sdwa v2, v4, v2 dst_sel:DWORD dst_unused:UNUSED_PAD src0_sel:DWORD src1_sel:WORD_0
	v_mov_b32_e32 v3, 0
	v_lshl_add_u64 v[6:7], s[24:25], 0, v[2:3]
	v_lshlrev_b32_sdwa v2, v4, v5 dst_sel:DWORD dst_unused:UNUSED_PAD src0_sel:DWORD src1_sel:WORD_1
	v_lshl_add_u64 v[2:3], v[6:7], 0, v[2:3]
	global_load_ushort v2, v[2:3], off
.LBB857_30:
	s_or_b64 exec, exec, s[0:1]
	v_mbcnt_hi_u32_b32 v1, -1, v1
	v_and_b32_e32 v3, 63, v1
	v_cmp_ne_u32_e32 vcc, 63, v3
	s_waitcnt vmcnt(0)
	v_and_b32_e32 v5, 0xffff, v2
	s_min_u32 s4, s29, 0x80
	v_addc_co_u32_e32 v4, vcc, 0, v1, vcc
	v_lshlrev_b32_e32 v4, 2, v4
	ds_bpermute_b32 v6, v4, v5
	v_and_b32_e32 v4, 64, v0
	v_sub_u32_e64 v4, s4, v4 clamp
	v_add_u32_e32 v7, 1, v3
	v_cmp_lt_u32_e32 vcc, v7, v4
	s_and_saveexec_b64 s[0:1], vcc
	s_xor_b64 s[0:1], exec, s[0:1]
	s_cbranch_execz .LBB857_32
; %bb.31:
	v_mov_b32_e32 v5, 1
	v_lshlrev_b32_sdwa v8, v5, v2 dst_sel:DWORD dst_unused:UNUSED_PAD src0_sel:DWORD src1_sel:WORD_0
	v_mov_b32_e32 v9, 0
	v_lshl_add_u64 v[10:11], s[24:25], 0, v[8:9]
	s_waitcnt lgkmcnt(0)
	v_lshlrev_b32_sdwa v8, v5, v6 dst_sel:DWORD dst_unused:UNUSED_PAD src0_sel:DWORD src1_sel:WORD_0
	v_lshl_add_u64 v[6:7], v[10:11], 0, v[8:9]
	global_load_ushort v2, v[6:7], off
	s_waitcnt vmcnt(0)
	v_and_b32_e32 v5, 0xffff, v2
.LBB857_32:
	s_or_b64 exec, exec, s[0:1]
	v_cmp_gt_u32_e32 vcc, 62, v3
	v_add_u32_e32 v7, 2, v3
	s_waitcnt lgkmcnt(0)
	v_cndmask_b32_e64 v6, 0, 2, vcc
	v_add_lshl_u32 v6, v6, v1, 2
	ds_bpermute_b32 v6, v6, v5
	v_cmp_lt_u32_e32 vcc, v7, v4
	s_and_saveexec_b64 s[0:1], vcc
	s_cbranch_execz .LBB857_34
; %bb.33:
	v_mov_b32_e32 v5, 1
	v_lshlrev_b32_sdwa v8, v5, v2 dst_sel:DWORD dst_unused:UNUSED_PAD src0_sel:DWORD src1_sel:WORD_0
	v_mov_b32_e32 v9, 0
	v_lshl_add_u64 v[10:11], s[24:25], 0, v[8:9]
	s_waitcnt lgkmcnt(0)
	v_lshlrev_b32_sdwa v8, v5, v6 dst_sel:DWORD dst_unused:UNUSED_PAD src0_sel:DWORD src1_sel:WORD_0
	v_lshl_add_u64 v[6:7], v[10:11], 0, v[8:9]
	global_load_ushort v2, v[6:7], off
	s_waitcnt vmcnt(0)
	v_and_b32_e32 v5, 0xffff, v2
.LBB857_34:
	s_or_b64 exec, exec, s[0:1]
	v_cmp_gt_u32_e32 vcc, 60, v3
	v_add_u32_e32 v7, 4, v3
	s_waitcnt lgkmcnt(0)
	v_cndmask_b32_e64 v6, 0, 4, vcc
	v_add_lshl_u32 v6, v6, v1, 2
	ds_bpermute_b32 v6, v6, v5
	v_cmp_lt_u32_e32 vcc, v7, v4
	s_and_saveexec_b64 s[0:1], vcc
	;; [unrolled: 22-line block ×4, first 2 shown]
	s_cbranch_execz .LBB857_40
; %bb.39:
	v_mov_b32_e32 v5, 1
	v_lshlrev_b32_sdwa v8, v5, v2 dst_sel:DWORD dst_unused:UNUSED_PAD src0_sel:DWORD src1_sel:WORD_0
	v_mov_b32_e32 v9, 0
	v_lshl_add_u64 v[10:11], s[24:25], 0, v[8:9]
	s_waitcnt lgkmcnt(0)
	v_lshlrev_b32_sdwa v8, v5, v6 dst_sel:DWORD dst_unused:UNUSED_PAD src0_sel:DWORD src1_sel:WORD_0
	v_lshl_add_u64 v[6:7], v[10:11], 0, v[8:9]
	global_load_ushort v2, v[6:7], off
	s_waitcnt vmcnt(0)
	v_and_b32_e32 v5, 0xffff, v2
.LBB857_40:
	s_or_b64 exec, exec, s[0:1]
	s_waitcnt lgkmcnt(0)
	v_lshlrev_b32_e32 v6, 2, v1
	v_or_b32_e32 v7, 0x80, v6
	ds_bpermute_b32 v5, v7, v5
	v_add_u32_e32 v3, 32, v3
	v_cmp_lt_u32_e32 vcc, v3, v4
	s_and_saveexec_b64 s[0:1], vcc
	s_cbranch_execz .LBB857_42
; %bb.41:
	v_mov_b32_e32 v4, 1
	v_lshlrev_b32_sdwa v2, v4, v2 dst_sel:DWORD dst_unused:UNUSED_PAD src0_sel:DWORD src1_sel:WORD_0
	v_mov_b32_e32 v3, 0
	v_lshl_add_u64 v[8:9], s[24:25], 0, v[2:3]
	s_waitcnt lgkmcnt(0)
	v_lshlrev_b32_sdwa v2, v4, v5 dst_sel:DWORD dst_unused:UNUSED_PAD src0_sel:DWORD src1_sel:WORD_0
	v_lshl_add_u64 v[2:3], v[8:9], 0, v[2:3]
	global_load_ushort v2, v[2:3], off
.LBB857_42:
	s_or_b64 exec, exec, s[0:1]
	v_cmp_eq_u32_e32 vcc, 0, v1
	s_and_saveexec_b64 s[0:1], vcc
	s_cbranch_execz .LBB857_44
; %bb.43:
	v_lshrrev_b32_e32 v3, 5, v0
	v_and_b32_e32 v3, 2, v3
	s_waitcnt vmcnt(0)
	ds_write_b16 v3, v2
.LBB857_44:
	s_or_b64 exec, exec, s[0:1]
	v_cmp_gt_u32_e32 vcc, 2, v0
	s_waitcnt lgkmcnt(0)
	s_barrier
	s_and_saveexec_b64 s[0:1], vcc
	s_cbranch_execz .LBB857_48
; %bb.45:
	s_waitcnt vmcnt(0)
	v_lshlrev_b32_e32 v2, 1, v1
	ds_read_u16 v2, v2
	v_or_b32_e32 v3, 4, v6
	s_add_i32 s4, s4, 63
	v_and_b32_e32 v1, 1, v1
	s_lshr_b32 s4, s4, 6
	s_waitcnt lgkmcnt(0)
	v_and_b32_e32 v4, 0xffff, v2
	ds_bpermute_b32 v3, v3, v4
	v_add_u32_e32 v1, 1, v1
	v_cmp_gt_u32_e32 vcc, s4, v1
	s_and_saveexec_b64 s[4:5], vcc
	s_cbranch_execz .LBB857_47
; %bb.46:
	v_lshlrev_b32_e32 v4, 1, v4
	v_mov_b32_e32 v5, 0
	v_mov_b32_e32 v1, 1
	v_lshl_add_u64 v[6:7], s[24:25], 0, v[4:5]
	s_waitcnt lgkmcnt(0)
	v_lshlrev_b32_sdwa v4, v1, v3 dst_sel:DWORD dst_unused:UNUSED_PAD src0_sel:DWORD src1_sel:WORD_0
	v_lshl_add_u64 v[2:3], v[6:7], 0, v[4:5]
	global_load_ushort v2, v[2:3], off
.LBB857_47:
	s_or_b64 exec, exec, s[4:5]
.LBB857_48:
	s_or_b64 exec, exec, s[0:1]
.LBB857_49:
	v_cmp_eq_u32_e32 vcc, 0, v0
	s_and_saveexec_b64 s[0:1], vcc
	s_cbranch_execnz .LBB857_51
; %bb.50:
	s_endpgm
.LBB857_51:
	s_mul_i32 s0, s22, s21
	s_mul_hi_u32 s1, s22, s20
	s_add_i32 s0, s1, s0
	s_mul_i32 s1, s23, s20
	s_add_i32 s1, s0, s1
	s_mul_i32 s0, s22, s20
	s_lshl_b64 s[0:1], s[0:1], 1
	s_add_u32 s4, s18, s0
	s_addc_u32 s5, s19, s1
	s_cmp_eq_u64 s[16:17], 0
	s_cselect_b64 vcc, -1, 0
	s_lshl_b64 s[0:1], s[2:3], 1
	s_waitcnt lgkmcnt(0)
	v_mov_b32_e32 v0, s28
	s_add_u32 s0, s4, s0
	s_waitcnt vmcnt(0)
	v_cndmask_b32_e32 v0, v2, v0, vcc
	s_addc_u32 s1, s5, s1
	v_mov_b32_e32 v1, 0
	global_store_short v1, v0, s[0:1]
	s_endpgm
.LBB857_52:
	v_mov_b32_e32 v7, 0
	v_lshl_add_u64 v[6:7], s[14:15], 0, v[6:7]
	flat_load_ushort v6, v[6:7] offset:1792
	s_mov_b32 s14, 0x5040100
	s_waitcnt vmcnt(0) lgkmcnt(0)
	v_perm_b32 v5, v6, v5, s14
	s_or_b64 exec, exec, s[26:27]
	s_and_saveexec_b64 s[14:15], vcc
	s_cbranch_execz .LBB857_23
.LBB857_53:
	v_mov_b32_e32 v10, 1
	v_lshlrev_b32_sdwa v6, v10, v2 dst_sel:DWORD dst_unused:UNUSED_PAD src0_sel:DWORD src1_sel:WORD_0
	v_mov_b32_e32 v7, 0
	v_lshl_add_u64 v[8:9], s[24:25], 0, v[6:7]
	v_lshlrev_b32_sdwa v6, v10, v2 dst_sel:DWORD dst_unused:UNUSED_PAD src0_sel:DWORD src1_sel:WORD_1
	v_lshl_add_u64 v[6:7], v[8:9], 0, v[6:7]
	global_load_ushort v2, v[6:7], off
	s_or_b64 exec, exec, s[14:15]
	s_and_saveexec_b64 s[14:15], s[0:1]
	s_cbranch_execz .LBB857_24
.LBB857_54:
	v_mov_b32_e32 v10, 1
	s_waitcnt vmcnt(0)
	v_lshlrev_b32_sdwa v6, v10, v2 dst_sel:DWORD dst_unused:UNUSED_PAD src0_sel:DWORD src1_sel:WORD_0
	v_mov_b32_e32 v7, 0
	v_lshl_add_u64 v[8:9], s[24:25], 0, v[6:7]
	v_lshlrev_b32_sdwa v6, v10, v3 dst_sel:DWORD dst_unused:UNUSED_PAD src0_sel:DWORD src1_sel:WORD_0
	v_lshl_add_u64 v[6:7], v[8:9], 0, v[6:7]
	global_load_ushort v2, v[6:7], off
	s_or_b64 exec, exec, s[14:15]
	s_and_saveexec_b64 s[0:1], s[4:5]
	s_cbranch_execz .LBB857_25
.LBB857_55:
	v_mov_b32_e32 v10, 1
	s_waitcnt vmcnt(0)
	v_lshlrev_b32_sdwa v6, v10, v2 dst_sel:DWORD dst_unused:UNUSED_PAD src0_sel:DWORD src1_sel:WORD_0
	v_mov_b32_e32 v7, 0
	v_lshl_add_u64 v[8:9], s[24:25], 0, v[6:7]
	v_lshlrev_b32_sdwa v6, v10, v3 dst_sel:DWORD dst_unused:UNUSED_PAD src0_sel:DWORD src1_sel:WORD_1
	v_lshl_add_u64 v[2:3], v[8:9], 0, v[6:7]
	global_load_ushort v2, v[2:3], off
	s_or_b64 exec, exec, s[0:1]
	s_and_saveexec_b64 s[0:1], s[6:7]
	s_cbranch_execz .LBB857_26
.LBB857_56:
	v_mov_b32_e32 v8, 1
	s_waitcnt vmcnt(0)
	v_lshlrev_b32_sdwa v2, v8, v2 dst_sel:DWORD dst_unused:UNUSED_PAD src0_sel:DWORD src1_sel:WORD_0
	v_mov_b32_e32 v3, 0
	v_lshl_add_u64 v[6:7], s[24:25], 0, v[2:3]
	v_lshlrev_b32_sdwa v2, v8, v4 dst_sel:DWORD dst_unused:UNUSED_PAD src0_sel:DWORD src1_sel:WORD_0
	v_lshl_add_u64 v[2:3], v[6:7], 0, v[2:3]
	global_load_ushort v2, v[2:3], off
	s_or_b64 exec, exec, s[0:1]
	s_and_saveexec_b64 s[0:1], s[8:9]
	s_cbranch_execz .LBB857_27
.LBB857_57:
	v_mov_b32_e32 v8, 1
	s_waitcnt vmcnt(0)
	v_lshlrev_b32_sdwa v2, v8, v2 dst_sel:DWORD dst_unused:UNUSED_PAD src0_sel:DWORD src1_sel:WORD_0
	v_mov_b32_e32 v3, 0
	v_lshl_add_u64 v[6:7], s[24:25], 0, v[2:3]
	v_lshlrev_b32_sdwa v2, v8, v4 dst_sel:DWORD dst_unused:UNUSED_PAD src0_sel:DWORD src1_sel:WORD_1
	v_lshl_add_u64 v[2:3], v[6:7], 0, v[2:3]
	global_load_ushort v2, v[2:3], off
	s_or_b64 exec, exec, s[0:1]
	s_and_saveexec_b64 s[0:1], s[10:11]
	s_cbranch_execz .LBB857_28
.LBB857_58:
	v_mov_b32_e32 v4, 1
	s_waitcnt vmcnt(0)
	v_lshlrev_b32_sdwa v2, v4, v2 dst_sel:DWORD dst_unused:UNUSED_PAD src0_sel:DWORD src1_sel:WORD_0
	v_mov_b32_e32 v3, 0
	v_lshl_add_u64 v[6:7], s[24:25], 0, v[2:3]
	v_lshlrev_b32_sdwa v2, v4, v5 dst_sel:DWORD dst_unused:UNUSED_PAD src0_sel:DWORD src1_sel:WORD_0
	v_lshl_add_u64 v[2:3], v[6:7], 0, v[2:3]
	global_load_ushort v2, v[2:3], off
	s_or_b64 exec, exec, s[0:1]
	s_and_saveexec_b64 s[0:1], s[12:13]
	s_cbranch_execnz .LBB857_29
	s_branch .LBB857_30
	.section	.rodata,"a",@progbits
	.p2align	6, 0x0
	.amdhsa_kernel _ZN7rocprim17ROCPRIM_400000_NS6detail17trampoline_kernelINS0_14default_configENS1_22reduce_config_selectorItEEZNS1_11reduce_implILb1ES3_N6thrust23THRUST_200600_302600_NS6detail15normal_iteratorINS8_10device_ptrItEEEEPtt9plus_mod3ItEEE10hipError_tPvRmT1_T2_T3_mT4_P12ihipStream_tbEUlT_E0_NS1_11comp_targetILNS1_3genE0ELNS1_11target_archE4294967295ELNS1_3gpuE0ELNS1_3repE0EEENS1_30default_config_static_selectorELNS0_4arch9wavefront6targetE1EEEvSK_
		.amdhsa_group_segment_fixed_size 8
		.amdhsa_private_segment_fixed_size 0
		.amdhsa_kernarg_size 64
		.amdhsa_user_sgpr_count 2
		.amdhsa_user_sgpr_dispatch_ptr 0
		.amdhsa_user_sgpr_queue_ptr 0
		.amdhsa_user_sgpr_kernarg_segment_ptr 1
		.amdhsa_user_sgpr_dispatch_id 0
		.amdhsa_user_sgpr_kernarg_preload_length 0
		.amdhsa_user_sgpr_kernarg_preload_offset 0
		.amdhsa_user_sgpr_private_segment_size 0
		.amdhsa_uses_dynamic_stack 0
		.amdhsa_enable_private_segment 0
		.amdhsa_system_sgpr_workgroup_id_x 1
		.amdhsa_system_sgpr_workgroup_id_y 0
		.amdhsa_system_sgpr_workgroup_id_z 0
		.amdhsa_system_sgpr_workgroup_info 0
		.amdhsa_system_vgpr_workitem_id 0
		.amdhsa_next_free_vgpr 16
		.amdhsa_next_free_sgpr 30
		.amdhsa_accum_offset 16
		.amdhsa_reserve_vcc 1
		.amdhsa_float_round_mode_32 0
		.amdhsa_float_round_mode_16_64 0
		.amdhsa_float_denorm_mode_32 3
		.amdhsa_float_denorm_mode_16_64 3
		.amdhsa_dx10_clamp 1
		.amdhsa_ieee_mode 1
		.amdhsa_fp16_overflow 0
		.amdhsa_tg_split 0
		.amdhsa_exception_fp_ieee_invalid_op 0
		.amdhsa_exception_fp_denorm_src 0
		.amdhsa_exception_fp_ieee_div_zero 0
		.amdhsa_exception_fp_ieee_overflow 0
		.amdhsa_exception_fp_ieee_underflow 0
		.amdhsa_exception_fp_ieee_inexact 0
		.amdhsa_exception_int_div_zero 0
	.end_amdhsa_kernel
	.section	.text._ZN7rocprim17ROCPRIM_400000_NS6detail17trampoline_kernelINS0_14default_configENS1_22reduce_config_selectorItEEZNS1_11reduce_implILb1ES3_N6thrust23THRUST_200600_302600_NS6detail15normal_iteratorINS8_10device_ptrItEEEEPtt9plus_mod3ItEEE10hipError_tPvRmT1_T2_T3_mT4_P12ihipStream_tbEUlT_E0_NS1_11comp_targetILNS1_3genE0ELNS1_11target_archE4294967295ELNS1_3gpuE0ELNS1_3repE0EEENS1_30default_config_static_selectorELNS0_4arch9wavefront6targetE1EEEvSK_,"axG",@progbits,_ZN7rocprim17ROCPRIM_400000_NS6detail17trampoline_kernelINS0_14default_configENS1_22reduce_config_selectorItEEZNS1_11reduce_implILb1ES3_N6thrust23THRUST_200600_302600_NS6detail15normal_iteratorINS8_10device_ptrItEEEEPtt9plus_mod3ItEEE10hipError_tPvRmT1_T2_T3_mT4_P12ihipStream_tbEUlT_E0_NS1_11comp_targetILNS1_3genE0ELNS1_11target_archE4294967295ELNS1_3gpuE0ELNS1_3repE0EEENS1_30default_config_static_selectorELNS0_4arch9wavefront6targetE1EEEvSK_,comdat
.Lfunc_end857:
	.size	_ZN7rocprim17ROCPRIM_400000_NS6detail17trampoline_kernelINS0_14default_configENS1_22reduce_config_selectorItEEZNS1_11reduce_implILb1ES3_N6thrust23THRUST_200600_302600_NS6detail15normal_iteratorINS8_10device_ptrItEEEEPtt9plus_mod3ItEEE10hipError_tPvRmT1_T2_T3_mT4_P12ihipStream_tbEUlT_E0_NS1_11comp_targetILNS1_3genE0ELNS1_11target_archE4294967295ELNS1_3gpuE0ELNS1_3repE0EEENS1_30default_config_static_selectorELNS0_4arch9wavefront6targetE1EEEvSK_, .Lfunc_end857-_ZN7rocprim17ROCPRIM_400000_NS6detail17trampoline_kernelINS0_14default_configENS1_22reduce_config_selectorItEEZNS1_11reduce_implILb1ES3_N6thrust23THRUST_200600_302600_NS6detail15normal_iteratorINS8_10device_ptrItEEEEPtt9plus_mod3ItEEE10hipError_tPvRmT1_T2_T3_mT4_P12ihipStream_tbEUlT_E0_NS1_11comp_targetILNS1_3genE0ELNS1_11target_archE4294967295ELNS1_3gpuE0ELNS1_3repE0EEENS1_30default_config_static_selectorELNS0_4arch9wavefront6targetE1EEEvSK_
                                        ; -- End function
	.set _ZN7rocprim17ROCPRIM_400000_NS6detail17trampoline_kernelINS0_14default_configENS1_22reduce_config_selectorItEEZNS1_11reduce_implILb1ES3_N6thrust23THRUST_200600_302600_NS6detail15normal_iteratorINS8_10device_ptrItEEEEPtt9plus_mod3ItEEE10hipError_tPvRmT1_T2_T3_mT4_P12ihipStream_tbEUlT_E0_NS1_11comp_targetILNS1_3genE0ELNS1_11target_archE4294967295ELNS1_3gpuE0ELNS1_3repE0EEENS1_30default_config_static_selectorELNS0_4arch9wavefront6targetE1EEEvSK_.num_vgpr, 16
	.set _ZN7rocprim17ROCPRIM_400000_NS6detail17trampoline_kernelINS0_14default_configENS1_22reduce_config_selectorItEEZNS1_11reduce_implILb1ES3_N6thrust23THRUST_200600_302600_NS6detail15normal_iteratorINS8_10device_ptrItEEEEPtt9plus_mod3ItEEE10hipError_tPvRmT1_T2_T3_mT4_P12ihipStream_tbEUlT_E0_NS1_11comp_targetILNS1_3genE0ELNS1_11target_archE4294967295ELNS1_3gpuE0ELNS1_3repE0EEENS1_30default_config_static_selectorELNS0_4arch9wavefront6targetE1EEEvSK_.num_agpr, 0
	.set _ZN7rocprim17ROCPRIM_400000_NS6detail17trampoline_kernelINS0_14default_configENS1_22reduce_config_selectorItEEZNS1_11reduce_implILb1ES3_N6thrust23THRUST_200600_302600_NS6detail15normal_iteratorINS8_10device_ptrItEEEEPtt9plus_mod3ItEEE10hipError_tPvRmT1_T2_T3_mT4_P12ihipStream_tbEUlT_E0_NS1_11comp_targetILNS1_3genE0ELNS1_11target_archE4294967295ELNS1_3gpuE0ELNS1_3repE0EEENS1_30default_config_static_selectorELNS0_4arch9wavefront6targetE1EEEvSK_.numbered_sgpr, 30
	.set _ZN7rocprim17ROCPRIM_400000_NS6detail17trampoline_kernelINS0_14default_configENS1_22reduce_config_selectorItEEZNS1_11reduce_implILb1ES3_N6thrust23THRUST_200600_302600_NS6detail15normal_iteratorINS8_10device_ptrItEEEEPtt9plus_mod3ItEEE10hipError_tPvRmT1_T2_T3_mT4_P12ihipStream_tbEUlT_E0_NS1_11comp_targetILNS1_3genE0ELNS1_11target_archE4294967295ELNS1_3gpuE0ELNS1_3repE0EEENS1_30default_config_static_selectorELNS0_4arch9wavefront6targetE1EEEvSK_.num_named_barrier, 0
	.set _ZN7rocprim17ROCPRIM_400000_NS6detail17trampoline_kernelINS0_14default_configENS1_22reduce_config_selectorItEEZNS1_11reduce_implILb1ES3_N6thrust23THRUST_200600_302600_NS6detail15normal_iteratorINS8_10device_ptrItEEEEPtt9plus_mod3ItEEE10hipError_tPvRmT1_T2_T3_mT4_P12ihipStream_tbEUlT_E0_NS1_11comp_targetILNS1_3genE0ELNS1_11target_archE4294967295ELNS1_3gpuE0ELNS1_3repE0EEENS1_30default_config_static_selectorELNS0_4arch9wavefront6targetE1EEEvSK_.private_seg_size, 0
	.set _ZN7rocprim17ROCPRIM_400000_NS6detail17trampoline_kernelINS0_14default_configENS1_22reduce_config_selectorItEEZNS1_11reduce_implILb1ES3_N6thrust23THRUST_200600_302600_NS6detail15normal_iteratorINS8_10device_ptrItEEEEPtt9plus_mod3ItEEE10hipError_tPvRmT1_T2_T3_mT4_P12ihipStream_tbEUlT_E0_NS1_11comp_targetILNS1_3genE0ELNS1_11target_archE4294967295ELNS1_3gpuE0ELNS1_3repE0EEENS1_30default_config_static_selectorELNS0_4arch9wavefront6targetE1EEEvSK_.uses_vcc, 1
	.set _ZN7rocprim17ROCPRIM_400000_NS6detail17trampoline_kernelINS0_14default_configENS1_22reduce_config_selectorItEEZNS1_11reduce_implILb1ES3_N6thrust23THRUST_200600_302600_NS6detail15normal_iteratorINS8_10device_ptrItEEEEPtt9plus_mod3ItEEE10hipError_tPvRmT1_T2_T3_mT4_P12ihipStream_tbEUlT_E0_NS1_11comp_targetILNS1_3genE0ELNS1_11target_archE4294967295ELNS1_3gpuE0ELNS1_3repE0EEENS1_30default_config_static_selectorELNS0_4arch9wavefront6targetE1EEEvSK_.uses_flat_scratch, 0
	.set _ZN7rocprim17ROCPRIM_400000_NS6detail17trampoline_kernelINS0_14default_configENS1_22reduce_config_selectorItEEZNS1_11reduce_implILb1ES3_N6thrust23THRUST_200600_302600_NS6detail15normal_iteratorINS8_10device_ptrItEEEEPtt9plus_mod3ItEEE10hipError_tPvRmT1_T2_T3_mT4_P12ihipStream_tbEUlT_E0_NS1_11comp_targetILNS1_3genE0ELNS1_11target_archE4294967295ELNS1_3gpuE0ELNS1_3repE0EEENS1_30default_config_static_selectorELNS0_4arch9wavefront6targetE1EEEvSK_.has_dyn_sized_stack, 0
	.set _ZN7rocprim17ROCPRIM_400000_NS6detail17trampoline_kernelINS0_14default_configENS1_22reduce_config_selectorItEEZNS1_11reduce_implILb1ES3_N6thrust23THRUST_200600_302600_NS6detail15normal_iteratorINS8_10device_ptrItEEEEPtt9plus_mod3ItEEE10hipError_tPvRmT1_T2_T3_mT4_P12ihipStream_tbEUlT_E0_NS1_11comp_targetILNS1_3genE0ELNS1_11target_archE4294967295ELNS1_3gpuE0ELNS1_3repE0EEENS1_30default_config_static_selectorELNS0_4arch9wavefront6targetE1EEEvSK_.has_recursion, 0
	.set _ZN7rocprim17ROCPRIM_400000_NS6detail17trampoline_kernelINS0_14default_configENS1_22reduce_config_selectorItEEZNS1_11reduce_implILb1ES3_N6thrust23THRUST_200600_302600_NS6detail15normal_iteratorINS8_10device_ptrItEEEEPtt9plus_mod3ItEEE10hipError_tPvRmT1_T2_T3_mT4_P12ihipStream_tbEUlT_E0_NS1_11comp_targetILNS1_3genE0ELNS1_11target_archE4294967295ELNS1_3gpuE0ELNS1_3repE0EEENS1_30default_config_static_selectorELNS0_4arch9wavefront6targetE1EEEvSK_.has_indirect_call, 0
	.section	.AMDGPU.csdata,"",@progbits
; Kernel info:
; codeLenInByte = 3056
; TotalNumSgprs: 36
; NumVgprs: 16
; NumAgprs: 0
; TotalNumVgprs: 16
; ScratchSize: 0
; MemoryBound: 0
; FloatMode: 240
; IeeeMode: 1
; LDSByteSize: 8 bytes/workgroup (compile time only)
; SGPRBlocks: 4
; VGPRBlocks: 1
; NumSGPRsForWavesPerEU: 36
; NumVGPRsForWavesPerEU: 16
; AccumOffset: 16
; Occupancy: 8
; WaveLimiterHint : 1
; COMPUTE_PGM_RSRC2:SCRATCH_EN: 0
; COMPUTE_PGM_RSRC2:USER_SGPR: 2
; COMPUTE_PGM_RSRC2:TRAP_HANDLER: 0
; COMPUTE_PGM_RSRC2:TGID_X_EN: 1
; COMPUTE_PGM_RSRC2:TGID_Y_EN: 0
; COMPUTE_PGM_RSRC2:TGID_Z_EN: 0
; COMPUTE_PGM_RSRC2:TIDIG_COMP_CNT: 0
; COMPUTE_PGM_RSRC3_GFX90A:ACCUM_OFFSET: 3
; COMPUTE_PGM_RSRC3_GFX90A:TG_SPLIT: 0
	.section	.text._ZN7rocprim17ROCPRIM_400000_NS6detail17trampoline_kernelINS0_14default_configENS1_22reduce_config_selectorItEEZNS1_11reduce_implILb1ES3_N6thrust23THRUST_200600_302600_NS6detail15normal_iteratorINS8_10device_ptrItEEEEPtt9plus_mod3ItEEE10hipError_tPvRmT1_T2_T3_mT4_P12ihipStream_tbEUlT_E0_NS1_11comp_targetILNS1_3genE5ELNS1_11target_archE942ELNS1_3gpuE9ELNS1_3repE0EEENS1_30default_config_static_selectorELNS0_4arch9wavefront6targetE1EEEvSK_,"axG",@progbits,_ZN7rocprim17ROCPRIM_400000_NS6detail17trampoline_kernelINS0_14default_configENS1_22reduce_config_selectorItEEZNS1_11reduce_implILb1ES3_N6thrust23THRUST_200600_302600_NS6detail15normal_iteratorINS8_10device_ptrItEEEEPtt9plus_mod3ItEEE10hipError_tPvRmT1_T2_T3_mT4_P12ihipStream_tbEUlT_E0_NS1_11comp_targetILNS1_3genE5ELNS1_11target_archE942ELNS1_3gpuE9ELNS1_3repE0EEENS1_30default_config_static_selectorELNS0_4arch9wavefront6targetE1EEEvSK_,comdat
	.protected	_ZN7rocprim17ROCPRIM_400000_NS6detail17trampoline_kernelINS0_14default_configENS1_22reduce_config_selectorItEEZNS1_11reduce_implILb1ES3_N6thrust23THRUST_200600_302600_NS6detail15normal_iteratorINS8_10device_ptrItEEEEPtt9plus_mod3ItEEE10hipError_tPvRmT1_T2_T3_mT4_P12ihipStream_tbEUlT_E0_NS1_11comp_targetILNS1_3genE5ELNS1_11target_archE942ELNS1_3gpuE9ELNS1_3repE0EEENS1_30default_config_static_selectorELNS0_4arch9wavefront6targetE1EEEvSK_ ; -- Begin function _ZN7rocprim17ROCPRIM_400000_NS6detail17trampoline_kernelINS0_14default_configENS1_22reduce_config_selectorItEEZNS1_11reduce_implILb1ES3_N6thrust23THRUST_200600_302600_NS6detail15normal_iteratorINS8_10device_ptrItEEEEPtt9plus_mod3ItEEE10hipError_tPvRmT1_T2_T3_mT4_P12ihipStream_tbEUlT_E0_NS1_11comp_targetILNS1_3genE5ELNS1_11target_archE942ELNS1_3gpuE9ELNS1_3repE0EEENS1_30default_config_static_selectorELNS0_4arch9wavefront6targetE1EEEvSK_
	.globl	_ZN7rocprim17ROCPRIM_400000_NS6detail17trampoline_kernelINS0_14default_configENS1_22reduce_config_selectorItEEZNS1_11reduce_implILb1ES3_N6thrust23THRUST_200600_302600_NS6detail15normal_iteratorINS8_10device_ptrItEEEEPtt9plus_mod3ItEEE10hipError_tPvRmT1_T2_T3_mT4_P12ihipStream_tbEUlT_E0_NS1_11comp_targetILNS1_3genE5ELNS1_11target_archE942ELNS1_3gpuE9ELNS1_3repE0EEENS1_30default_config_static_selectorELNS0_4arch9wavefront6targetE1EEEvSK_
	.p2align	8
	.type	_ZN7rocprim17ROCPRIM_400000_NS6detail17trampoline_kernelINS0_14default_configENS1_22reduce_config_selectorItEEZNS1_11reduce_implILb1ES3_N6thrust23THRUST_200600_302600_NS6detail15normal_iteratorINS8_10device_ptrItEEEEPtt9plus_mod3ItEEE10hipError_tPvRmT1_T2_T3_mT4_P12ihipStream_tbEUlT_E0_NS1_11comp_targetILNS1_3genE5ELNS1_11target_archE942ELNS1_3gpuE9ELNS1_3repE0EEENS1_30default_config_static_selectorELNS0_4arch9wavefront6targetE1EEEvSK_,@function
_ZN7rocprim17ROCPRIM_400000_NS6detail17trampoline_kernelINS0_14default_configENS1_22reduce_config_selectorItEEZNS1_11reduce_implILb1ES3_N6thrust23THRUST_200600_302600_NS6detail15normal_iteratorINS8_10device_ptrItEEEEPtt9plus_mod3ItEEE10hipError_tPvRmT1_T2_T3_mT4_P12ihipStream_tbEUlT_E0_NS1_11comp_targetILNS1_3genE5ELNS1_11target_archE942ELNS1_3gpuE9ELNS1_3repE0EEENS1_30default_config_static_selectorELNS0_4arch9wavefront6targetE1EEEvSK_: ; @_ZN7rocprim17ROCPRIM_400000_NS6detail17trampoline_kernelINS0_14default_configENS1_22reduce_config_selectorItEEZNS1_11reduce_implILb1ES3_N6thrust23THRUST_200600_302600_NS6detail15normal_iteratorINS8_10device_ptrItEEEEPtt9plus_mod3ItEEE10hipError_tPvRmT1_T2_T3_mT4_P12ihipStream_tbEUlT_E0_NS1_11comp_targetILNS1_3genE5ELNS1_11target_archE942ELNS1_3gpuE9ELNS1_3repE0EEENS1_30default_config_static_selectorELNS0_4arch9wavefront6targetE1EEEvSK_
; %bb.0:
	.section	.rodata,"a",@progbits
	.p2align	6, 0x0
	.amdhsa_kernel _ZN7rocprim17ROCPRIM_400000_NS6detail17trampoline_kernelINS0_14default_configENS1_22reduce_config_selectorItEEZNS1_11reduce_implILb1ES3_N6thrust23THRUST_200600_302600_NS6detail15normal_iteratorINS8_10device_ptrItEEEEPtt9plus_mod3ItEEE10hipError_tPvRmT1_T2_T3_mT4_P12ihipStream_tbEUlT_E0_NS1_11comp_targetILNS1_3genE5ELNS1_11target_archE942ELNS1_3gpuE9ELNS1_3repE0EEENS1_30default_config_static_selectorELNS0_4arch9wavefront6targetE1EEEvSK_
		.amdhsa_group_segment_fixed_size 0
		.amdhsa_private_segment_fixed_size 0
		.amdhsa_kernarg_size 64
		.amdhsa_user_sgpr_count 2
		.amdhsa_user_sgpr_dispatch_ptr 0
		.amdhsa_user_sgpr_queue_ptr 0
		.amdhsa_user_sgpr_kernarg_segment_ptr 1
		.amdhsa_user_sgpr_dispatch_id 0
		.amdhsa_user_sgpr_kernarg_preload_length 0
		.amdhsa_user_sgpr_kernarg_preload_offset 0
		.amdhsa_user_sgpr_private_segment_size 0
		.amdhsa_uses_dynamic_stack 0
		.amdhsa_enable_private_segment 0
		.amdhsa_system_sgpr_workgroup_id_x 1
		.amdhsa_system_sgpr_workgroup_id_y 0
		.amdhsa_system_sgpr_workgroup_id_z 0
		.amdhsa_system_sgpr_workgroup_info 0
		.amdhsa_system_vgpr_workitem_id 0
		.amdhsa_next_free_vgpr 1
		.amdhsa_next_free_sgpr 0
		.amdhsa_accum_offset 4
		.amdhsa_reserve_vcc 0
		.amdhsa_float_round_mode_32 0
		.amdhsa_float_round_mode_16_64 0
		.amdhsa_float_denorm_mode_32 3
		.amdhsa_float_denorm_mode_16_64 3
		.amdhsa_dx10_clamp 1
		.amdhsa_ieee_mode 1
		.amdhsa_fp16_overflow 0
		.amdhsa_tg_split 0
		.amdhsa_exception_fp_ieee_invalid_op 0
		.amdhsa_exception_fp_denorm_src 0
		.amdhsa_exception_fp_ieee_div_zero 0
		.amdhsa_exception_fp_ieee_overflow 0
		.amdhsa_exception_fp_ieee_underflow 0
		.amdhsa_exception_fp_ieee_inexact 0
		.amdhsa_exception_int_div_zero 0
	.end_amdhsa_kernel
	.section	.text._ZN7rocprim17ROCPRIM_400000_NS6detail17trampoline_kernelINS0_14default_configENS1_22reduce_config_selectorItEEZNS1_11reduce_implILb1ES3_N6thrust23THRUST_200600_302600_NS6detail15normal_iteratorINS8_10device_ptrItEEEEPtt9plus_mod3ItEEE10hipError_tPvRmT1_T2_T3_mT4_P12ihipStream_tbEUlT_E0_NS1_11comp_targetILNS1_3genE5ELNS1_11target_archE942ELNS1_3gpuE9ELNS1_3repE0EEENS1_30default_config_static_selectorELNS0_4arch9wavefront6targetE1EEEvSK_,"axG",@progbits,_ZN7rocprim17ROCPRIM_400000_NS6detail17trampoline_kernelINS0_14default_configENS1_22reduce_config_selectorItEEZNS1_11reduce_implILb1ES3_N6thrust23THRUST_200600_302600_NS6detail15normal_iteratorINS8_10device_ptrItEEEEPtt9plus_mod3ItEEE10hipError_tPvRmT1_T2_T3_mT4_P12ihipStream_tbEUlT_E0_NS1_11comp_targetILNS1_3genE5ELNS1_11target_archE942ELNS1_3gpuE9ELNS1_3repE0EEENS1_30default_config_static_selectorELNS0_4arch9wavefront6targetE1EEEvSK_,comdat
.Lfunc_end858:
	.size	_ZN7rocprim17ROCPRIM_400000_NS6detail17trampoline_kernelINS0_14default_configENS1_22reduce_config_selectorItEEZNS1_11reduce_implILb1ES3_N6thrust23THRUST_200600_302600_NS6detail15normal_iteratorINS8_10device_ptrItEEEEPtt9plus_mod3ItEEE10hipError_tPvRmT1_T2_T3_mT4_P12ihipStream_tbEUlT_E0_NS1_11comp_targetILNS1_3genE5ELNS1_11target_archE942ELNS1_3gpuE9ELNS1_3repE0EEENS1_30default_config_static_selectorELNS0_4arch9wavefront6targetE1EEEvSK_, .Lfunc_end858-_ZN7rocprim17ROCPRIM_400000_NS6detail17trampoline_kernelINS0_14default_configENS1_22reduce_config_selectorItEEZNS1_11reduce_implILb1ES3_N6thrust23THRUST_200600_302600_NS6detail15normal_iteratorINS8_10device_ptrItEEEEPtt9plus_mod3ItEEE10hipError_tPvRmT1_T2_T3_mT4_P12ihipStream_tbEUlT_E0_NS1_11comp_targetILNS1_3genE5ELNS1_11target_archE942ELNS1_3gpuE9ELNS1_3repE0EEENS1_30default_config_static_selectorELNS0_4arch9wavefront6targetE1EEEvSK_
                                        ; -- End function
	.set _ZN7rocprim17ROCPRIM_400000_NS6detail17trampoline_kernelINS0_14default_configENS1_22reduce_config_selectorItEEZNS1_11reduce_implILb1ES3_N6thrust23THRUST_200600_302600_NS6detail15normal_iteratorINS8_10device_ptrItEEEEPtt9plus_mod3ItEEE10hipError_tPvRmT1_T2_T3_mT4_P12ihipStream_tbEUlT_E0_NS1_11comp_targetILNS1_3genE5ELNS1_11target_archE942ELNS1_3gpuE9ELNS1_3repE0EEENS1_30default_config_static_selectorELNS0_4arch9wavefront6targetE1EEEvSK_.num_vgpr, 0
	.set _ZN7rocprim17ROCPRIM_400000_NS6detail17trampoline_kernelINS0_14default_configENS1_22reduce_config_selectorItEEZNS1_11reduce_implILb1ES3_N6thrust23THRUST_200600_302600_NS6detail15normal_iteratorINS8_10device_ptrItEEEEPtt9plus_mod3ItEEE10hipError_tPvRmT1_T2_T3_mT4_P12ihipStream_tbEUlT_E0_NS1_11comp_targetILNS1_3genE5ELNS1_11target_archE942ELNS1_3gpuE9ELNS1_3repE0EEENS1_30default_config_static_selectorELNS0_4arch9wavefront6targetE1EEEvSK_.num_agpr, 0
	.set _ZN7rocprim17ROCPRIM_400000_NS6detail17trampoline_kernelINS0_14default_configENS1_22reduce_config_selectorItEEZNS1_11reduce_implILb1ES3_N6thrust23THRUST_200600_302600_NS6detail15normal_iteratorINS8_10device_ptrItEEEEPtt9plus_mod3ItEEE10hipError_tPvRmT1_T2_T3_mT4_P12ihipStream_tbEUlT_E0_NS1_11comp_targetILNS1_3genE5ELNS1_11target_archE942ELNS1_3gpuE9ELNS1_3repE0EEENS1_30default_config_static_selectorELNS0_4arch9wavefront6targetE1EEEvSK_.numbered_sgpr, 0
	.set _ZN7rocprim17ROCPRIM_400000_NS6detail17trampoline_kernelINS0_14default_configENS1_22reduce_config_selectorItEEZNS1_11reduce_implILb1ES3_N6thrust23THRUST_200600_302600_NS6detail15normal_iteratorINS8_10device_ptrItEEEEPtt9plus_mod3ItEEE10hipError_tPvRmT1_T2_T3_mT4_P12ihipStream_tbEUlT_E0_NS1_11comp_targetILNS1_3genE5ELNS1_11target_archE942ELNS1_3gpuE9ELNS1_3repE0EEENS1_30default_config_static_selectorELNS0_4arch9wavefront6targetE1EEEvSK_.num_named_barrier, 0
	.set _ZN7rocprim17ROCPRIM_400000_NS6detail17trampoline_kernelINS0_14default_configENS1_22reduce_config_selectorItEEZNS1_11reduce_implILb1ES3_N6thrust23THRUST_200600_302600_NS6detail15normal_iteratorINS8_10device_ptrItEEEEPtt9plus_mod3ItEEE10hipError_tPvRmT1_T2_T3_mT4_P12ihipStream_tbEUlT_E0_NS1_11comp_targetILNS1_3genE5ELNS1_11target_archE942ELNS1_3gpuE9ELNS1_3repE0EEENS1_30default_config_static_selectorELNS0_4arch9wavefront6targetE1EEEvSK_.private_seg_size, 0
	.set _ZN7rocprim17ROCPRIM_400000_NS6detail17trampoline_kernelINS0_14default_configENS1_22reduce_config_selectorItEEZNS1_11reduce_implILb1ES3_N6thrust23THRUST_200600_302600_NS6detail15normal_iteratorINS8_10device_ptrItEEEEPtt9plus_mod3ItEEE10hipError_tPvRmT1_T2_T3_mT4_P12ihipStream_tbEUlT_E0_NS1_11comp_targetILNS1_3genE5ELNS1_11target_archE942ELNS1_3gpuE9ELNS1_3repE0EEENS1_30default_config_static_selectorELNS0_4arch9wavefront6targetE1EEEvSK_.uses_vcc, 0
	.set _ZN7rocprim17ROCPRIM_400000_NS6detail17trampoline_kernelINS0_14default_configENS1_22reduce_config_selectorItEEZNS1_11reduce_implILb1ES3_N6thrust23THRUST_200600_302600_NS6detail15normal_iteratorINS8_10device_ptrItEEEEPtt9plus_mod3ItEEE10hipError_tPvRmT1_T2_T3_mT4_P12ihipStream_tbEUlT_E0_NS1_11comp_targetILNS1_3genE5ELNS1_11target_archE942ELNS1_3gpuE9ELNS1_3repE0EEENS1_30default_config_static_selectorELNS0_4arch9wavefront6targetE1EEEvSK_.uses_flat_scratch, 0
	.set _ZN7rocprim17ROCPRIM_400000_NS6detail17trampoline_kernelINS0_14default_configENS1_22reduce_config_selectorItEEZNS1_11reduce_implILb1ES3_N6thrust23THRUST_200600_302600_NS6detail15normal_iteratorINS8_10device_ptrItEEEEPtt9plus_mod3ItEEE10hipError_tPvRmT1_T2_T3_mT4_P12ihipStream_tbEUlT_E0_NS1_11comp_targetILNS1_3genE5ELNS1_11target_archE942ELNS1_3gpuE9ELNS1_3repE0EEENS1_30default_config_static_selectorELNS0_4arch9wavefront6targetE1EEEvSK_.has_dyn_sized_stack, 0
	.set _ZN7rocprim17ROCPRIM_400000_NS6detail17trampoline_kernelINS0_14default_configENS1_22reduce_config_selectorItEEZNS1_11reduce_implILb1ES3_N6thrust23THRUST_200600_302600_NS6detail15normal_iteratorINS8_10device_ptrItEEEEPtt9plus_mod3ItEEE10hipError_tPvRmT1_T2_T3_mT4_P12ihipStream_tbEUlT_E0_NS1_11comp_targetILNS1_3genE5ELNS1_11target_archE942ELNS1_3gpuE9ELNS1_3repE0EEENS1_30default_config_static_selectorELNS0_4arch9wavefront6targetE1EEEvSK_.has_recursion, 0
	.set _ZN7rocprim17ROCPRIM_400000_NS6detail17trampoline_kernelINS0_14default_configENS1_22reduce_config_selectorItEEZNS1_11reduce_implILb1ES3_N6thrust23THRUST_200600_302600_NS6detail15normal_iteratorINS8_10device_ptrItEEEEPtt9plus_mod3ItEEE10hipError_tPvRmT1_T2_T3_mT4_P12ihipStream_tbEUlT_E0_NS1_11comp_targetILNS1_3genE5ELNS1_11target_archE942ELNS1_3gpuE9ELNS1_3repE0EEENS1_30default_config_static_selectorELNS0_4arch9wavefront6targetE1EEEvSK_.has_indirect_call, 0
	.section	.AMDGPU.csdata,"",@progbits
; Kernel info:
; codeLenInByte = 0
; TotalNumSgprs: 6
; NumVgprs: 0
; NumAgprs: 0
; TotalNumVgprs: 0
; ScratchSize: 0
; MemoryBound: 0
; FloatMode: 240
; IeeeMode: 1
; LDSByteSize: 0 bytes/workgroup (compile time only)
; SGPRBlocks: 0
; VGPRBlocks: 0
; NumSGPRsForWavesPerEU: 6
; NumVGPRsForWavesPerEU: 1
; AccumOffset: 4
; Occupancy: 8
; WaveLimiterHint : 0
; COMPUTE_PGM_RSRC2:SCRATCH_EN: 0
; COMPUTE_PGM_RSRC2:USER_SGPR: 2
; COMPUTE_PGM_RSRC2:TRAP_HANDLER: 0
; COMPUTE_PGM_RSRC2:TGID_X_EN: 1
; COMPUTE_PGM_RSRC2:TGID_Y_EN: 0
; COMPUTE_PGM_RSRC2:TGID_Z_EN: 0
; COMPUTE_PGM_RSRC2:TIDIG_COMP_CNT: 0
; COMPUTE_PGM_RSRC3_GFX90A:ACCUM_OFFSET: 0
; COMPUTE_PGM_RSRC3_GFX90A:TG_SPLIT: 0
	.section	.text._ZN7rocprim17ROCPRIM_400000_NS6detail17trampoline_kernelINS0_14default_configENS1_22reduce_config_selectorItEEZNS1_11reduce_implILb1ES3_N6thrust23THRUST_200600_302600_NS6detail15normal_iteratorINS8_10device_ptrItEEEEPtt9plus_mod3ItEEE10hipError_tPvRmT1_T2_T3_mT4_P12ihipStream_tbEUlT_E0_NS1_11comp_targetILNS1_3genE4ELNS1_11target_archE910ELNS1_3gpuE8ELNS1_3repE0EEENS1_30default_config_static_selectorELNS0_4arch9wavefront6targetE1EEEvSK_,"axG",@progbits,_ZN7rocprim17ROCPRIM_400000_NS6detail17trampoline_kernelINS0_14default_configENS1_22reduce_config_selectorItEEZNS1_11reduce_implILb1ES3_N6thrust23THRUST_200600_302600_NS6detail15normal_iteratorINS8_10device_ptrItEEEEPtt9plus_mod3ItEEE10hipError_tPvRmT1_T2_T3_mT4_P12ihipStream_tbEUlT_E0_NS1_11comp_targetILNS1_3genE4ELNS1_11target_archE910ELNS1_3gpuE8ELNS1_3repE0EEENS1_30default_config_static_selectorELNS0_4arch9wavefront6targetE1EEEvSK_,comdat
	.protected	_ZN7rocprim17ROCPRIM_400000_NS6detail17trampoline_kernelINS0_14default_configENS1_22reduce_config_selectorItEEZNS1_11reduce_implILb1ES3_N6thrust23THRUST_200600_302600_NS6detail15normal_iteratorINS8_10device_ptrItEEEEPtt9plus_mod3ItEEE10hipError_tPvRmT1_T2_T3_mT4_P12ihipStream_tbEUlT_E0_NS1_11comp_targetILNS1_3genE4ELNS1_11target_archE910ELNS1_3gpuE8ELNS1_3repE0EEENS1_30default_config_static_selectorELNS0_4arch9wavefront6targetE1EEEvSK_ ; -- Begin function _ZN7rocprim17ROCPRIM_400000_NS6detail17trampoline_kernelINS0_14default_configENS1_22reduce_config_selectorItEEZNS1_11reduce_implILb1ES3_N6thrust23THRUST_200600_302600_NS6detail15normal_iteratorINS8_10device_ptrItEEEEPtt9plus_mod3ItEEE10hipError_tPvRmT1_T2_T3_mT4_P12ihipStream_tbEUlT_E0_NS1_11comp_targetILNS1_3genE4ELNS1_11target_archE910ELNS1_3gpuE8ELNS1_3repE0EEENS1_30default_config_static_selectorELNS0_4arch9wavefront6targetE1EEEvSK_
	.globl	_ZN7rocprim17ROCPRIM_400000_NS6detail17trampoline_kernelINS0_14default_configENS1_22reduce_config_selectorItEEZNS1_11reduce_implILb1ES3_N6thrust23THRUST_200600_302600_NS6detail15normal_iteratorINS8_10device_ptrItEEEEPtt9plus_mod3ItEEE10hipError_tPvRmT1_T2_T3_mT4_P12ihipStream_tbEUlT_E0_NS1_11comp_targetILNS1_3genE4ELNS1_11target_archE910ELNS1_3gpuE8ELNS1_3repE0EEENS1_30default_config_static_selectorELNS0_4arch9wavefront6targetE1EEEvSK_
	.p2align	8
	.type	_ZN7rocprim17ROCPRIM_400000_NS6detail17trampoline_kernelINS0_14default_configENS1_22reduce_config_selectorItEEZNS1_11reduce_implILb1ES3_N6thrust23THRUST_200600_302600_NS6detail15normal_iteratorINS8_10device_ptrItEEEEPtt9plus_mod3ItEEE10hipError_tPvRmT1_T2_T3_mT4_P12ihipStream_tbEUlT_E0_NS1_11comp_targetILNS1_3genE4ELNS1_11target_archE910ELNS1_3gpuE8ELNS1_3repE0EEENS1_30default_config_static_selectorELNS0_4arch9wavefront6targetE1EEEvSK_,@function
_ZN7rocprim17ROCPRIM_400000_NS6detail17trampoline_kernelINS0_14default_configENS1_22reduce_config_selectorItEEZNS1_11reduce_implILb1ES3_N6thrust23THRUST_200600_302600_NS6detail15normal_iteratorINS8_10device_ptrItEEEEPtt9plus_mod3ItEEE10hipError_tPvRmT1_T2_T3_mT4_P12ihipStream_tbEUlT_E0_NS1_11comp_targetILNS1_3genE4ELNS1_11target_archE910ELNS1_3gpuE8ELNS1_3repE0EEENS1_30default_config_static_selectorELNS0_4arch9wavefront6targetE1EEEvSK_: ; @_ZN7rocprim17ROCPRIM_400000_NS6detail17trampoline_kernelINS0_14default_configENS1_22reduce_config_selectorItEEZNS1_11reduce_implILb1ES3_N6thrust23THRUST_200600_302600_NS6detail15normal_iteratorINS8_10device_ptrItEEEEPtt9plus_mod3ItEEE10hipError_tPvRmT1_T2_T3_mT4_P12ihipStream_tbEUlT_E0_NS1_11comp_targetILNS1_3genE4ELNS1_11target_archE910ELNS1_3gpuE8ELNS1_3repE0EEENS1_30default_config_static_selectorELNS0_4arch9wavefront6targetE1EEEvSK_
; %bb.0:
	.section	.rodata,"a",@progbits
	.p2align	6, 0x0
	.amdhsa_kernel _ZN7rocprim17ROCPRIM_400000_NS6detail17trampoline_kernelINS0_14default_configENS1_22reduce_config_selectorItEEZNS1_11reduce_implILb1ES3_N6thrust23THRUST_200600_302600_NS6detail15normal_iteratorINS8_10device_ptrItEEEEPtt9plus_mod3ItEEE10hipError_tPvRmT1_T2_T3_mT4_P12ihipStream_tbEUlT_E0_NS1_11comp_targetILNS1_3genE4ELNS1_11target_archE910ELNS1_3gpuE8ELNS1_3repE0EEENS1_30default_config_static_selectorELNS0_4arch9wavefront6targetE1EEEvSK_
		.amdhsa_group_segment_fixed_size 0
		.amdhsa_private_segment_fixed_size 0
		.amdhsa_kernarg_size 64
		.amdhsa_user_sgpr_count 2
		.amdhsa_user_sgpr_dispatch_ptr 0
		.amdhsa_user_sgpr_queue_ptr 0
		.amdhsa_user_sgpr_kernarg_segment_ptr 1
		.amdhsa_user_sgpr_dispatch_id 0
		.amdhsa_user_sgpr_kernarg_preload_length 0
		.amdhsa_user_sgpr_kernarg_preload_offset 0
		.amdhsa_user_sgpr_private_segment_size 0
		.amdhsa_uses_dynamic_stack 0
		.amdhsa_enable_private_segment 0
		.amdhsa_system_sgpr_workgroup_id_x 1
		.amdhsa_system_sgpr_workgroup_id_y 0
		.amdhsa_system_sgpr_workgroup_id_z 0
		.amdhsa_system_sgpr_workgroup_info 0
		.amdhsa_system_vgpr_workitem_id 0
		.amdhsa_next_free_vgpr 1
		.amdhsa_next_free_sgpr 0
		.amdhsa_accum_offset 4
		.amdhsa_reserve_vcc 0
		.amdhsa_float_round_mode_32 0
		.amdhsa_float_round_mode_16_64 0
		.amdhsa_float_denorm_mode_32 3
		.amdhsa_float_denorm_mode_16_64 3
		.amdhsa_dx10_clamp 1
		.amdhsa_ieee_mode 1
		.amdhsa_fp16_overflow 0
		.amdhsa_tg_split 0
		.amdhsa_exception_fp_ieee_invalid_op 0
		.amdhsa_exception_fp_denorm_src 0
		.amdhsa_exception_fp_ieee_div_zero 0
		.amdhsa_exception_fp_ieee_overflow 0
		.amdhsa_exception_fp_ieee_underflow 0
		.amdhsa_exception_fp_ieee_inexact 0
		.amdhsa_exception_int_div_zero 0
	.end_amdhsa_kernel
	.section	.text._ZN7rocprim17ROCPRIM_400000_NS6detail17trampoline_kernelINS0_14default_configENS1_22reduce_config_selectorItEEZNS1_11reduce_implILb1ES3_N6thrust23THRUST_200600_302600_NS6detail15normal_iteratorINS8_10device_ptrItEEEEPtt9plus_mod3ItEEE10hipError_tPvRmT1_T2_T3_mT4_P12ihipStream_tbEUlT_E0_NS1_11comp_targetILNS1_3genE4ELNS1_11target_archE910ELNS1_3gpuE8ELNS1_3repE0EEENS1_30default_config_static_selectorELNS0_4arch9wavefront6targetE1EEEvSK_,"axG",@progbits,_ZN7rocprim17ROCPRIM_400000_NS6detail17trampoline_kernelINS0_14default_configENS1_22reduce_config_selectorItEEZNS1_11reduce_implILb1ES3_N6thrust23THRUST_200600_302600_NS6detail15normal_iteratorINS8_10device_ptrItEEEEPtt9plus_mod3ItEEE10hipError_tPvRmT1_T2_T3_mT4_P12ihipStream_tbEUlT_E0_NS1_11comp_targetILNS1_3genE4ELNS1_11target_archE910ELNS1_3gpuE8ELNS1_3repE0EEENS1_30default_config_static_selectorELNS0_4arch9wavefront6targetE1EEEvSK_,comdat
.Lfunc_end859:
	.size	_ZN7rocprim17ROCPRIM_400000_NS6detail17trampoline_kernelINS0_14default_configENS1_22reduce_config_selectorItEEZNS1_11reduce_implILb1ES3_N6thrust23THRUST_200600_302600_NS6detail15normal_iteratorINS8_10device_ptrItEEEEPtt9plus_mod3ItEEE10hipError_tPvRmT1_T2_T3_mT4_P12ihipStream_tbEUlT_E0_NS1_11comp_targetILNS1_3genE4ELNS1_11target_archE910ELNS1_3gpuE8ELNS1_3repE0EEENS1_30default_config_static_selectorELNS0_4arch9wavefront6targetE1EEEvSK_, .Lfunc_end859-_ZN7rocprim17ROCPRIM_400000_NS6detail17trampoline_kernelINS0_14default_configENS1_22reduce_config_selectorItEEZNS1_11reduce_implILb1ES3_N6thrust23THRUST_200600_302600_NS6detail15normal_iteratorINS8_10device_ptrItEEEEPtt9plus_mod3ItEEE10hipError_tPvRmT1_T2_T3_mT4_P12ihipStream_tbEUlT_E0_NS1_11comp_targetILNS1_3genE4ELNS1_11target_archE910ELNS1_3gpuE8ELNS1_3repE0EEENS1_30default_config_static_selectorELNS0_4arch9wavefront6targetE1EEEvSK_
                                        ; -- End function
	.set _ZN7rocprim17ROCPRIM_400000_NS6detail17trampoline_kernelINS0_14default_configENS1_22reduce_config_selectorItEEZNS1_11reduce_implILb1ES3_N6thrust23THRUST_200600_302600_NS6detail15normal_iteratorINS8_10device_ptrItEEEEPtt9plus_mod3ItEEE10hipError_tPvRmT1_T2_T3_mT4_P12ihipStream_tbEUlT_E0_NS1_11comp_targetILNS1_3genE4ELNS1_11target_archE910ELNS1_3gpuE8ELNS1_3repE0EEENS1_30default_config_static_selectorELNS0_4arch9wavefront6targetE1EEEvSK_.num_vgpr, 0
	.set _ZN7rocprim17ROCPRIM_400000_NS6detail17trampoline_kernelINS0_14default_configENS1_22reduce_config_selectorItEEZNS1_11reduce_implILb1ES3_N6thrust23THRUST_200600_302600_NS6detail15normal_iteratorINS8_10device_ptrItEEEEPtt9plus_mod3ItEEE10hipError_tPvRmT1_T2_T3_mT4_P12ihipStream_tbEUlT_E0_NS1_11comp_targetILNS1_3genE4ELNS1_11target_archE910ELNS1_3gpuE8ELNS1_3repE0EEENS1_30default_config_static_selectorELNS0_4arch9wavefront6targetE1EEEvSK_.num_agpr, 0
	.set _ZN7rocprim17ROCPRIM_400000_NS6detail17trampoline_kernelINS0_14default_configENS1_22reduce_config_selectorItEEZNS1_11reduce_implILb1ES3_N6thrust23THRUST_200600_302600_NS6detail15normal_iteratorINS8_10device_ptrItEEEEPtt9plus_mod3ItEEE10hipError_tPvRmT1_T2_T3_mT4_P12ihipStream_tbEUlT_E0_NS1_11comp_targetILNS1_3genE4ELNS1_11target_archE910ELNS1_3gpuE8ELNS1_3repE0EEENS1_30default_config_static_selectorELNS0_4arch9wavefront6targetE1EEEvSK_.numbered_sgpr, 0
	.set _ZN7rocprim17ROCPRIM_400000_NS6detail17trampoline_kernelINS0_14default_configENS1_22reduce_config_selectorItEEZNS1_11reduce_implILb1ES3_N6thrust23THRUST_200600_302600_NS6detail15normal_iteratorINS8_10device_ptrItEEEEPtt9plus_mod3ItEEE10hipError_tPvRmT1_T2_T3_mT4_P12ihipStream_tbEUlT_E0_NS1_11comp_targetILNS1_3genE4ELNS1_11target_archE910ELNS1_3gpuE8ELNS1_3repE0EEENS1_30default_config_static_selectorELNS0_4arch9wavefront6targetE1EEEvSK_.num_named_barrier, 0
	.set _ZN7rocprim17ROCPRIM_400000_NS6detail17trampoline_kernelINS0_14default_configENS1_22reduce_config_selectorItEEZNS1_11reduce_implILb1ES3_N6thrust23THRUST_200600_302600_NS6detail15normal_iteratorINS8_10device_ptrItEEEEPtt9plus_mod3ItEEE10hipError_tPvRmT1_T2_T3_mT4_P12ihipStream_tbEUlT_E0_NS1_11comp_targetILNS1_3genE4ELNS1_11target_archE910ELNS1_3gpuE8ELNS1_3repE0EEENS1_30default_config_static_selectorELNS0_4arch9wavefront6targetE1EEEvSK_.private_seg_size, 0
	.set _ZN7rocprim17ROCPRIM_400000_NS6detail17trampoline_kernelINS0_14default_configENS1_22reduce_config_selectorItEEZNS1_11reduce_implILb1ES3_N6thrust23THRUST_200600_302600_NS6detail15normal_iteratorINS8_10device_ptrItEEEEPtt9plus_mod3ItEEE10hipError_tPvRmT1_T2_T3_mT4_P12ihipStream_tbEUlT_E0_NS1_11comp_targetILNS1_3genE4ELNS1_11target_archE910ELNS1_3gpuE8ELNS1_3repE0EEENS1_30default_config_static_selectorELNS0_4arch9wavefront6targetE1EEEvSK_.uses_vcc, 0
	.set _ZN7rocprim17ROCPRIM_400000_NS6detail17trampoline_kernelINS0_14default_configENS1_22reduce_config_selectorItEEZNS1_11reduce_implILb1ES3_N6thrust23THRUST_200600_302600_NS6detail15normal_iteratorINS8_10device_ptrItEEEEPtt9plus_mod3ItEEE10hipError_tPvRmT1_T2_T3_mT4_P12ihipStream_tbEUlT_E0_NS1_11comp_targetILNS1_3genE4ELNS1_11target_archE910ELNS1_3gpuE8ELNS1_3repE0EEENS1_30default_config_static_selectorELNS0_4arch9wavefront6targetE1EEEvSK_.uses_flat_scratch, 0
	.set _ZN7rocprim17ROCPRIM_400000_NS6detail17trampoline_kernelINS0_14default_configENS1_22reduce_config_selectorItEEZNS1_11reduce_implILb1ES3_N6thrust23THRUST_200600_302600_NS6detail15normal_iteratorINS8_10device_ptrItEEEEPtt9plus_mod3ItEEE10hipError_tPvRmT1_T2_T3_mT4_P12ihipStream_tbEUlT_E0_NS1_11comp_targetILNS1_3genE4ELNS1_11target_archE910ELNS1_3gpuE8ELNS1_3repE0EEENS1_30default_config_static_selectorELNS0_4arch9wavefront6targetE1EEEvSK_.has_dyn_sized_stack, 0
	.set _ZN7rocprim17ROCPRIM_400000_NS6detail17trampoline_kernelINS0_14default_configENS1_22reduce_config_selectorItEEZNS1_11reduce_implILb1ES3_N6thrust23THRUST_200600_302600_NS6detail15normal_iteratorINS8_10device_ptrItEEEEPtt9plus_mod3ItEEE10hipError_tPvRmT1_T2_T3_mT4_P12ihipStream_tbEUlT_E0_NS1_11comp_targetILNS1_3genE4ELNS1_11target_archE910ELNS1_3gpuE8ELNS1_3repE0EEENS1_30default_config_static_selectorELNS0_4arch9wavefront6targetE1EEEvSK_.has_recursion, 0
	.set _ZN7rocprim17ROCPRIM_400000_NS6detail17trampoline_kernelINS0_14default_configENS1_22reduce_config_selectorItEEZNS1_11reduce_implILb1ES3_N6thrust23THRUST_200600_302600_NS6detail15normal_iteratorINS8_10device_ptrItEEEEPtt9plus_mod3ItEEE10hipError_tPvRmT1_T2_T3_mT4_P12ihipStream_tbEUlT_E0_NS1_11comp_targetILNS1_3genE4ELNS1_11target_archE910ELNS1_3gpuE8ELNS1_3repE0EEENS1_30default_config_static_selectorELNS0_4arch9wavefront6targetE1EEEvSK_.has_indirect_call, 0
	.section	.AMDGPU.csdata,"",@progbits
; Kernel info:
; codeLenInByte = 0
; TotalNumSgprs: 6
; NumVgprs: 0
; NumAgprs: 0
; TotalNumVgprs: 0
; ScratchSize: 0
; MemoryBound: 0
; FloatMode: 240
; IeeeMode: 1
; LDSByteSize: 0 bytes/workgroup (compile time only)
; SGPRBlocks: 0
; VGPRBlocks: 0
; NumSGPRsForWavesPerEU: 6
; NumVGPRsForWavesPerEU: 1
; AccumOffset: 4
; Occupancy: 8
; WaveLimiterHint : 0
; COMPUTE_PGM_RSRC2:SCRATCH_EN: 0
; COMPUTE_PGM_RSRC2:USER_SGPR: 2
; COMPUTE_PGM_RSRC2:TRAP_HANDLER: 0
; COMPUTE_PGM_RSRC2:TGID_X_EN: 1
; COMPUTE_PGM_RSRC2:TGID_Y_EN: 0
; COMPUTE_PGM_RSRC2:TGID_Z_EN: 0
; COMPUTE_PGM_RSRC2:TIDIG_COMP_CNT: 0
; COMPUTE_PGM_RSRC3_GFX90A:ACCUM_OFFSET: 0
; COMPUTE_PGM_RSRC3_GFX90A:TG_SPLIT: 0
	.section	.text._ZN7rocprim17ROCPRIM_400000_NS6detail17trampoline_kernelINS0_14default_configENS1_22reduce_config_selectorItEEZNS1_11reduce_implILb1ES3_N6thrust23THRUST_200600_302600_NS6detail15normal_iteratorINS8_10device_ptrItEEEEPtt9plus_mod3ItEEE10hipError_tPvRmT1_T2_T3_mT4_P12ihipStream_tbEUlT_E0_NS1_11comp_targetILNS1_3genE3ELNS1_11target_archE908ELNS1_3gpuE7ELNS1_3repE0EEENS1_30default_config_static_selectorELNS0_4arch9wavefront6targetE1EEEvSK_,"axG",@progbits,_ZN7rocprim17ROCPRIM_400000_NS6detail17trampoline_kernelINS0_14default_configENS1_22reduce_config_selectorItEEZNS1_11reduce_implILb1ES3_N6thrust23THRUST_200600_302600_NS6detail15normal_iteratorINS8_10device_ptrItEEEEPtt9plus_mod3ItEEE10hipError_tPvRmT1_T2_T3_mT4_P12ihipStream_tbEUlT_E0_NS1_11comp_targetILNS1_3genE3ELNS1_11target_archE908ELNS1_3gpuE7ELNS1_3repE0EEENS1_30default_config_static_selectorELNS0_4arch9wavefront6targetE1EEEvSK_,comdat
	.protected	_ZN7rocprim17ROCPRIM_400000_NS6detail17trampoline_kernelINS0_14default_configENS1_22reduce_config_selectorItEEZNS1_11reduce_implILb1ES3_N6thrust23THRUST_200600_302600_NS6detail15normal_iteratorINS8_10device_ptrItEEEEPtt9plus_mod3ItEEE10hipError_tPvRmT1_T2_T3_mT4_P12ihipStream_tbEUlT_E0_NS1_11comp_targetILNS1_3genE3ELNS1_11target_archE908ELNS1_3gpuE7ELNS1_3repE0EEENS1_30default_config_static_selectorELNS0_4arch9wavefront6targetE1EEEvSK_ ; -- Begin function _ZN7rocprim17ROCPRIM_400000_NS6detail17trampoline_kernelINS0_14default_configENS1_22reduce_config_selectorItEEZNS1_11reduce_implILb1ES3_N6thrust23THRUST_200600_302600_NS6detail15normal_iteratorINS8_10device_ptrItEEEEPtt9plus_mod3ItEEE10hipError_tPvRmT1_T2_T3_mT4_P12ihipStream_tbEUlT_E0_NS1_11comp_targetILNS1_3genE3ELNS1_11target_archE908ELNS1_3gpuE7ELNS1_3repE0EEENS1_30default_config_static_selectorELNS0_4arch9wavefront6targetE1EEEvSK_
	.globl	_ZN7rocprim17ROCPRIM_400000_NS6detail17trampoline_kernelINS0_14default_configENS1_22reduce_config_selectorItEEZNS1_11reduce_implILb1ES3_N6thrust23THRUST_200600_302600_NS6detail15normal_iteratorINS8_10device_ptrItEEEEPtt9plus_mod3ItEEE10hipError_tPvRmT1_T2_T3_mT4_P12ihipStream_tbEUlT_E0_NS1_11comp_targetILNS1_3genE3ELNS1_11target_archE908ELNS1_3gpuE7ELNS1_3repE0EEENS1_30default_config_static_selectorELNS0_4arch9wavefront6targetE1EEEvSK_
	.p2align	8
	.type	_ZN7rocprim17ROCPRIM_400000_NS6detail17trampoline_kernelINS0_14default_configENS1_22reduce_config_selectorItEEZNS1_11reduce_implILb1ES3_N6thrust23THRUST_200600_302600_NS6detail15normal_iteratorINS8_10device_ptrItEEEEPtt9plus_mod3ItEEE10hipError_tPvRmT1_T2_T3_mT4_P12ihipStream_tbEUlT_E0_NS1_11comp_targetILNS1_3genE3ELNS1_11target_archE908ELNS1_3gpuE7ELNS1_3repE0EEENS1_30default_config_static_selectorELNS0_4arch9wavefront6targetE1EEEvSK_,@function
_ZN7rocprim17ROCPRIM_400000_NS6detail17trampoline_kernelINS0_14default_configENS1_22reduce_config_selectorItEEZNS1_11reduce_implILb1ES3_N6thrust23THRUST_200600_302600_NS6detail15normal_iteratorINS8_10device_ptrItEEEEPtt9plus_mod3ItEEE10hipError_tPvRmT1_T2_T3_mT4_P12ihipStream_tbEUlT_E0_NS1_11comp_targetILNS1_3genE3ELNS1_11target_archE908ELNS1_3gpuE7ELNS1_3repE0EEENS1_30default_config_static_selectorELNS0_4arch9wavefront6targetE1EEEvSK_: ; @_ZN7rocprim17ROCPRIM_400000_NS6detail17trampoline_kernelINS0_14default_configENS1_22reduce_config_selectorItEEZNS1_11reduce_implILb1ES3_N6thrust23THRUST_200600_302600_NS6detail15normal_iteratorINS8_10device_ptrItEEEEPtt9plus_mod3ItEEE10hipError_tPvRmT1_T2_T3_mT4_P12ihipStream_tbEUlT_E0_NS1_11comp_targetILNS1_3genE3ELNS1_11target_archE908ELNS1_3gpuE7ELNS1_3repE0EEENS1_30default_config_static_selectorELNS0_4arch9wavefront6targetE1EEEvSK_
; %bb.0:
	.section	.rodata,"a",@progbits
	.p2align	6, 0x0
	.amdhsa_kernel _ZN7rocprim17ROCPRIM_400000_NS6detail17trampoline_kernelINS0_14default_configENS1_22reduce_config_selectorItEEZNS1_11reduce_implILb1ES3_N6thrust23THRUST_200600_302600_NS6detail15normal_iteratorINS8_10device_ptrItEEEEPtt9plus_mod3ItEEE10hipError_tPvRmT1_T2_T3_mT4_P12ihipStream_tbEUlT_E0_NS1_11comp_targetILNS1_3genE3ELNS1_11target_archE908ELNS1_3gpuE7ELNS1_3repE0EEENS1_30default_config_static_selectorELNS0_4arch9wavefront6targetE1EEEvSK_
		.amdhsa_group_segment_fixed_size 0
		.amdhsa_private_segment_fixed_size 0
		.amdhsa_kernarg_size 64
		.amdhsa_user_sgpr_count 2
		.amdhsa_user_sgpr_dispatch_ptr 0
		.amdhsa_user_sgpr_queue_ptr 0
		.amdhsa_user_sgpr_kernarg_segment_ptr 1
		.amdhsa_user_sgpr_dispatch_id 0
		.amdhsa_user_sgpr_kernarg_preload_length 0
		.amdhsa_user_sgpr_kernarg_preload_offset 0
		.amdhsa_user_sgpr_private_segment_size 0
		.amdhsa_uses_dynamic_stack 0
		.amdhsa_enable_private_segment 0
		.amdhsa_system_sgpr_workgroup_id_x 1
		.amdhsa_system_sgpr_workgroup_id_y 0
		.amdhsa_system_sgpr_workgroup_id_z 0
		.amdhsa_system_sgpr_workgroup_info 0
		.amdhsa_system_vgpr_workitem_id 0
		.amdhsa_next_free_vgpr 1
		.amdhsa_next_free_sgpr 0
		.amdhsa_accum_offset 4
		.amdhsa_reserve_vcc 0
		.amdhsa_float_round_mode_32 0
		.amdhsa_float_round_mode_16_64 0
		.amdhsa_float_denorm_mode_32 3
		.amdhsa_float_denorm_mode_16_64 3
		.amdhsa_dx10_clamp 1
		.amdhsa_ieee_mode 1
		.amdhsa_fp16_overflow 0
		.amdhsa_tg_split 0
		.amdhsa_exception_fp_ieee_invalid_op 0
		.amdhsa_exception_fp_denorm_src 0
		.amdhsa_exception_fp_ieee_div_zero 0
		.amdhsa_exception_fp_ieee_overflow 0
		.amdhsa_exception_fp_ieee_underflow 0
		.amdhsa_exception_fp_ieee_inexact 0
		.amdhsa_exception_int_div_zero 0
	.end_amdhsa_kernel
	.section	.text._ZN7rocprim17ROCPRIM_400000_NS6detail17trampoline_kernelINS0_14default_configENS1_22reduce_config_selectorItEEZNS1_11reduce_implILb1ES3_N6thrust23THRUST_200600_302600_NS6detail15normal_iteratorINS8_10device_ptrItEEEEPtt9plus_mod3ItEEE10hipError_tPvRmT1_T2_T3_mT4_P12ihipStream_tbEUlT_E0_NS1_11comp_targetILNS1_3genE3ELNS1_11target_archE908ELNS1_3gpuE7ELNS1_3repE0EEENS1_30default_config_static_selectorELNS0_4arch9wavefront6targetE1EEEvSK_,"axG",@progbits,_ZN7rocprim17ROCPRIM_400000_NS6detail17trampoline_kernelINS0_14default_configENS1_22reduce_config_selectorItEEZNS1_11reduce_implILb1ES3_N6thrust23THRUST_200600_302600_NS6detail15normal_iteratorINS8_10device_ptrItEEEEPtt9plus_mod3ItEEE10hipError_tPvRmT1_T2_T3_mT4_P12ihipStream_tbEUlT_E0_NS1_11comp_targetILNS1_3genE3ELNS1_11target_archE908ELNS1_3gpuE7ELNS1_3repE0EEENS1_30default_config_static_selectorELNS0_4arch9wavefront6targetE1EEEvSK_,comdat
.Lfunc_end860:
	.size	_ZN7rocprim17ROCPRIM_400000_NS6detail17trampoline_kernelINS0_14default_configENS1_22reduce_config_selectorItEEZNS1_11reduce_implILb1ES3_N6thrust23THRUST_200600_302600_NS6detail15normal_iteratorINS8_10device_ptrItEEEEPtt9plus_mod3ItEEE10hipError_tPvRmT1_T2_T3_mT4_P12ihipStream_tbEUlT_E0_NS1_11comp_targetILNS1_3genE3ELNS1_11target_archE908ELNS1_3gpuE7ELNS1_3repE0EEENS1_30default_config_static_selectorELNS0_4arch9wavefront6targetE1EEEvSK_, .Lfunc_end860-_ZN7rocprim17ROCPRIM_400000_NS6detail17trampoline_kernelINS0_14default_configENS1_22reduce_config_selectorItEEZNS1_11reduce_implILb1ES3_N6thrust23THRUST_200600_302600_NS6detail15normal_iteratorINS8_10device_ptrItEEEEPtt9plus_mod3ItEEE10hipError_tPvRmT1_T2_T3_mT4_P12ihipStream_tbEUlT_E0_NS1_11comp_targetILNS1_3genE3ELNS1_11target_archE908ELNS1_3gpuE7ELNS1_3repE0EEENS1_30default_config_static_selectorELNS0_4arch9wavefront6targetE1EEEvSK_
                                        ; -- End function
	.set _ZN7rocprim17ROCPRIM_400000_NS6detail17trampoline_kernelINS0_14default_configENS1_22reduce_config_selectorItEEZNS1_11reduce_implILb1ES3_N6thrust23THRUST_200600_302600_NS6detail15normal_iteratorINS8_10device_ptrItEEEEPtt9plus_mod3ItEEE10hipError_tPvRmT1_T2_T3_mT4_P12ihipStream_tbEUlT_E0_NS1_11comp_targetILNS1_3genE3ELNS1_11target_archE908ELNS1_3gpuE7ELNS1_3repE0EEENS1_30default_config_static_selectorELNS0_4arch9wavefront6targetE1EEEvSK_.num_vgpr, 0
	.set _ZN7rocprim17ROCPRIM_400000_NS6detail17trampoline_kernelINS0_14default_configENS1_22reduce_config_selectorItEEZNS1_11reduce_implILb1ES3_N6thrust23THRUST_200600_302600_NS6detail15normal_iteratorINS8_10device_ptrItEEEEPtt9plus_mod3ItEEE10hipError_tPvRmT1_T2_T3_mT4_P12ihipStream_tbEUlT_E0_NS1_11comp_targetILNS1_3genE3ELNS1_11target_archE908ELNS1_3gpuE7ELNS1_3repE0EEENS1_30default_config_static_selectorELNS0_4arch9wavefront6targetE1EEEvSK_.num_agpr, 0
	.set _ZN7rocprim17ROCPRIM_400000_NS6detail17trampoline_kernelINS0_14default_configENS1_22reduce_config_selectorItEEZNS1_11reduce_implILb1ES3_N6thrust23THRUST_200600_302600_NS6detail15normal_iteratorINS8_10device_ptrItEEEEPtt9plus_mod3ItEEE10hipError_tPvRmT1_T2_T3_mT4_P12ihipStream_tbEUlT_E0_NS1_11comp_targetILNS1_3genE3ELNS1_11target_archE908ELNS1_3gpuE7ELNS1_3repE0EEENS1_30default_config_static_selectorELNS0_4arch9wavefront6targetE1EEEvSK_.numbered_sgpr, 0
	.set _ZN7rocprim17ROCPRIM_400000_NS6detail17trampoline_kernelINS0_14default_configENS1_22reduce_config_selectorItEEZNS1_11reduce_implILb1ES3_N6thrust23THRUST_200600_302600_NS6detail15normal_iteratorINS8_10device_ptrItEEEEPtt9plus_mod3ItEEE10hipError_tPvRmT1_T2_T3_mT4_P12ihipStream_tbEUlT_E0_NS1_11comp_targetILNS1_3genE3ELNS1_11target_archE908ELNS1_3gpuE7ELNS1_3repE0EEENS1_30default_config_static_selectorELNS0_4arch9wavefront6targetE1EEEvSK_.num_named_barrier, 0
	.set _ZN7rocprim17ROCPRIM_400000_NS6detail17trampoline_kernelINS0_14default_configENS1_22reduce_config_selectorItEEZNS1_11reduce_implILb1ES3_N6thrust23THRUST_200600_302600_NS6detail15normal_iteratorINS8_10device_ptrItEEEEPtt9plus_mod3ItEEE10hipError_tPvRmT1_T2_T3_mT4_P12ihipStream_tbEUlT_E0_NS1_11comp_targetILNS1_3genE3ELNS1_11target_archE908ELNS1_3gpuE7ELNS1_3repE0EEENS1_30default_config_static_selectorELNS0_4arch9wavefront6targetE1EEEvSK_.private_seg_size, 0
	.set _ZN7rocprim17ROCPRIM_400000_NS6detail17trampoline_kernelINS0_14default_configENS1_22reduce_config_selectorItEEZNS1_11reduce_implILb1ES3_N6thrust23THRUST_200600_302600_NS6detail15normal_iteratorINS8_10device_ptrItEEEEPtt9plus_mod3ItEEE10hipError_tPvRmT1_T2_T3_mT4_P12ihipStream_tbEUlT_E0_NS1_11comp_targetILNS1_3genE3ELNS1_11target_archE908ELNS1_3gpuE7ELNS1_3repE0EEENS1_30default_config_static_selectorELNS0_4arch9wavefront6targetE1EEEvSK_.uses_vcc, 0
	.set _ZN7rocprim17ROCPRIM_400000_NS6detail17trampoline_kernelINS0_14default_configENS1_22reduce_config_selectorItEEZNS1_11reduce_implILb1ES3_N6thrust23THRUST_200600_302600_NS6detail15normal_iteratorINS8_10device_ptrItEEEEPtt9plus_mod3ItEEE10hipError_tPvRmT1_T2_T3_mT4_P12ihipStream_tbEUlT_E0_NS1_11comp_targetILNS1_3genE3ELNS1_11target_archE908ELNS1_3gpuE7ELNS1_3repE0EEENS1_30default_config_static_selectorELNS0_4arch9wavefront6targetE1EEEvSK_.uses_flat_scratch, 0
	.set _ZN7rocprim17ROCPRIM_400000_NS6detail17trampoline_kernelINS0_14default_configENS1_22reduce_config_selectorItEEZNS1_11reduce_implILb1ES3_N6thrust23THRUST_200600_302600_NS6detail15normal_iteratorINS8_10device_ptrItEEEEPtt9plus_mod3ItEEE10hipError_tPvRmT1_T2_T3_mT4_P12ihipStream_tbEUlT_E0_NS1_11comp_targetILNS1_3genE3ELNS1_11target_archE908ELNS1_3gpuE7ELNS1_3repE0EEENS1_30default_config_static_selectorELNS0_4arch9wavefront6targetE1EEEvSK_.has_dyn_sized_stack, 0
	.set _ZN7rocprim17ROCPRIM_400000_NS6detail17trampoline_kernelINS0_14default_configENS1_22reduce_config_selectorItEEZNS1_11reduce_implILb1ES3_N6thrust23THRUST_200600_302600_NS6detail15normal_iteratorINS8_10device_ptrItEEEEPtt9plus_mod3ItEEE10hipError_tPvRmT1_T2_T3_mT4_P12ihipStream_tbEUlT_E0_NS1_11comp_targetILNS1_3genE3ELNS1_11target_archE908ELNS1_3gpuE7ELNS1_3repE0EEENS1_30default_config_static_selectorELNS0_4arch9wavefront6targetE1EEEvSK_.has_recursion, 0
	.set _ZN7rocprim17ROCPRIM_400000_NS6detail17trampoline_kernelINS0_14default_configENS1_22reduce_config_selectorItEEZNS1_11reduce_implILb1ES3_N6thrust23THRUST_200600_302600_NS6detail15normal_iteratorINS8_10device_ptrItEEEEPtt9plus_mod3ItEEE10hipError_tPvRmT1_T2_T3_mT4_P12ihipStream_tbEUlT_E0_NS1_11comp_targetILNS1_3genE3ELNS1_11target_archE908ELNS1_3gpuE7ELNS1_3repE0EEENS1_30default_config_static_selectorELNS0_4arch9wavefront6targetE1EEEvSK_.has_indirect_call, 0
	.section	.AMDGPU.csdata,"",@progbits
; Kernel info:
; codeLenInByte = 0
; TotalNumSgprs: 6
; NumVgprs: 0
; NumAgprs: 0
; TotalNumVgprs: 0
; ScratchSize: 0
; MemoryBound: 0
; FloatMode: 240
; IeeeMode: 1
; LDSByteSize: 0 bytes/workgroup (compile time only)
; SGPRBlocks: 0
; VGPRBlocks: 0
; NumSGPRsForWavesPerEU: 6
; NumVGPRsForWavesPerEU: 1
; AccumOffset: 4
; Occupancy: 8
; WaveLimiterHint : 0
; COMPUTE_PGM_RSRC2:SCRATCH_EN: 0
; COMPUTE_PGM_RSRC2:USER_SGPR: 2
; COMPUTE_PGM_RSRC2:TRAP_HANDLER: 0
; COMPUTE_PGM_RSRC2:TGID_X_EN: 1
; COMPUTE_PGM_RSRC2:TGID_Y_EN: 0
; COMPUTE_PGM_RSRC2:TGID_Z_EN: 0
; COMPUTE_PGM_RSRC2:TIDIG_COMP_CNT: 0
; COMPUTE_PGM_RSRC3_GFX90A:ACCUM_OFFSET: 0
; COMPUTE_PGM_RSRC3_GFX90A:TG_SPLIT: 0
	.section	.text._ZN7rocprim17ROCPRIM_400000_NS6detail17trampoline_kernelINS0_14default_configENS1_22reduce_config_selectorItEEZNS1_11reduce_implILb1ES3_N6thrust23THRUST_200600_302600_NS6detail15normal_iteratorINS8_10device_ptrItEEEEPtt9plus_mod3ItEEE10hipError_tPvRmT1_T2_T3_mT4_P12ihipStream_tbEUlT_E0_NS1_11comp_targetILNS1_3genE2ELNS1_11target_archE906ELNS1_3gpuE6ELNS1_3repE0EEENS1_30default_config_static_selectorELNS0_4arch9wavefront6targetE1EEEvSK_,"axG",@progbits,_ZN7rocprim17ROCPRIM_400000_NS6detail17trampoline_kernelINS0_14default_configENS1_22reduce_config_selectorItEEZNS1_11reduce_implILb1ES3_N6thrust23THRUST_200600_302600_NS6detail15normal_iteratorINS8_10device_ptrItEEEEPtt9plus_mod3ItEEE10hipError_tPvRmT1_T2_T3_mT4_P12ihipStream_tbEUlT_E0_NS1_11comp_targetILNS1_3genE2ELNS1_11target_archE906ELNS1_3gpuE6ELNS1_3repE0EEENS1_30default_config_static_selectorELNS0_4arch9wavefront6targetE1EEEvSK_,comdat
	.protected	_ZN7rocprim17ROCPRIM_400000_NS6detail17trampoline_kernelINS0_14default_configENS1_22reduce_config_selectorItEEZNS1_11reduce_implILb1ES3_N6thrust23THRUST_200600_302600_NS6detail15normal_iteratorINS8_10device_ptrItEEEEPtt9plus_mod3ItEEE10hipError_tPvRmT1_T2_T3_mT4_P12ihipStream_tbEUlT_E0_NS1_11comp_targetILNS1_3genE2ELNS1_11target_archE906ELNS1_3gpuE6ELNS1_3repE0EEENS1_30default_config_static_selectorELNS0_4arch9wavefront6targetE1EEEvSK_ ; -- Begin function _ZN7rocprim17ROCPRIM_400000_NS6detail17trampoline_kernelINS0_14default_configENS1_22reduce_config_selectorItEEZNS1_11reduce_implILb1ES3_N6thrust23THRUST_200600_302600_NS6detail15normal_iteratorINS8_10device_ptrItEEEEPtt9plus_mod3ItEEE10hipError_tPvRmT1_T2_T3_mT4_P12ihipStream_tbEUlT_E0_NS1_11comp_targetILNS1_3genE2ELNS1_11target_archE906ELNS1_3gpuE6ELNS1_3repE0EEENS1_30default_config_static_selectorELNS0_4arch9wavefront6targetE1EEEvSK_
	.globl	_ZN7rocprim17ROCPRIM_400000_NS6detail17trampoline_kernelINS0_14default_configENS1_22reduce_config_selectorItEEZNS1_11reduce_implILb1ES3_N6thrust23THRUST_200600_302600_NS6detail15normal_iteratorINS8_10device_ptrItEEEEPtt9plus_mod3ItEEE10hipError_tPvRmT1_T2_T3_mT4_P12ihipStream_tbEUlT_E0_NS1_11comp_targetILNS1_3genE2ELNS1_11target_archE906ELNS1_3gpuE6ELNS1_3repE0EEENS1_30default_config_static_selectorELNS0_4arch9wavefront6targetE1EEEvSK_
	.p2align	8
	.type	_ZN7rocprim17ROCPRIM_400000_NS6detail17trampoline_kernelINS0_14default_configENS1_22reduce_config_selectorItEEZNS1_11reduce_implILb1ES3_N6thrust23THRUST_200600_302600_NS6detail15normal_iteratorINS8_10device_ptrItEEEEPtt9plus_mod3ItEEE10hipError_tPvRmT1_T2_T3_mT4_P12ihipStream_tbEUlT_E0_NS1_11comp_targetILNS1_3genE2ELNS1_11target_archE906ELNS1_3gpuE6ELNS1_3repE0EEENS1_30default_config_static_selectorELNS0_4arch9wavefront6targetE1EEEvSK_,@function
_ZN7rocprim17ROCPRIM_400000_NS6detail17trampoline_kernelINS0_14default_configENS1_22reduce_config_selectorItEEZNS1_11reduce_implILb1ES3_N6thrust23THRUST_200600_302600_NS6detail15normal_iteratorINS8_10device_ptrItEEEEPtt9plus_mod3ItEEE10hipError_tPvRmT1_T2_T3_mT4_P12ihipStream_tbEUlT_E0_NS1_11comp_targetILNS1_3genE2ELNS1_11target_archE906ELNS1_3gpuE6ELNS1_3repE0EEENS1_30default_config_static_selectorELNS0_4arch9wavefront6targetE1EEEvSK_: ; @_ZN7rocprim17ROCPRIM_400000_NS6detail17trampoline_kernelINS0_14default_configENS1_22reduce_config_selectorItEEZNS1_11reduce_implILb1ES3_N6thrust23THRUST_200600_302600_NS6detail15normal_iteratorINS8_10device_ptrItEEEEPtt9plus_mod3ItEEE10hipError_tPvRmT1_T2_T3_mT4_P12ihipStream_tbEUlT_E0_NS1_11comp_targetILNS1_3genE2ELNS1_11target_archE906ELNS1_3gpuE6ELNS1_3repE0EEENS1_30default_config_static_selectorELNS0_4arch9wavefront6targetE1EEEvSK_
; %bb.0:
	.section	.rodata,"a",@progbits
	.p2align	6, 0x0
	.amdhsa_kernel _ZN7rocprim17ROCPRIM_400000_NS6detail17trampoline_kernelINS0_14default_configENS1_22reduce_config_selectorItEEZNS1_11reduce_implILb1ES3_N6thrust23THRUST_200600_302600_NS6detail15normal_iteratorINS8_10device_ptrItEEEEPtt9plus_mod3ItEEE10hipError_tPvRmT1_T2_T3_mT4_P12ihipStream_tbEUlT_E0_NS1_11comp_targetILNS1_3genE2ELNS1_11target_archE906ELNS1_3gpuE6ELNS1_3repE0EEENS1_30default_config_static_selectorELNS0_4arch9wavefront6targetE1EEEvSK_
		.amdhsa_group_segment_fixed_size 0
		.amdhsa_private_segment_fixed_size 0
		.amdhsa_kernarg_size 64
		.amdhsa_user_sgpr_count 2
		.amdhsa_user_sgpr_dispatch_ptr 0
		.amdhsa_user_sgpr_queue_ptr 0
		.amdhsa_user_sgpr_kernarg_segment_ptr 1
		.amdhsa_user_sgpr_dispatch_id 0
		.amdhsa_user_sgpr_kernarg_preload_length 0
		.amdhsa_user_sgpr_kernarg_preload_offset 0
		.amdhsa_user_sgpr_private_segment_size 0
		.amdhsa_uses_dynamic_stack 0
		.amdhsa_enable_private_segment 0
		.amdhsa_system_sgpr_workgroup_id_x 1
		.amdhsa_system_sgpr_workgroup_id_y 0
		.amdhsa_system_sgpr_workgroup_id_z 0
		.amdhsa_system_sgpr_workgroup_info 0
		.amdhsa_system_vgpr_workitem_id 0
		.amdhsa_next_free_vgpr 1
		.amdhsa_next_free_sgpr 0
		.amdhsa_accum_offset 4
		.amdhsa_reserve_vcc 0
		.amdhsa_float_round_mode_32 0
		.amdhsa_float_round_mode_16_64 0
		.amdhsa_float_denorm_mode_32 3
		.amdhsa_float_denorm_mode_16_64 3
		.amdhsa_dx10_clamp 1
		.amdhsa_ieee_mode 1
		.amdhsa_fp16_overflow 0
		.amdhsa_tg_split 0
		.amdhsa_exception_fp_ieee_invalid_op 0
		.amdhsa_exception_fp_denorm_src 0
		.amdhsa_exception_fp_ieee_div_zero 0
		.amdhsa_exception_fp_ieee_overflow 0
		.amdhsa_exception_fp_ieee_underflow 0
		.amdhsa_exception_fp_ieee_inexact 0
		.amdhsa_exception_int_div_zero 0
	.end_amdhsa_kernel
	.section	.text._ZN7rocprim17ROCPRIM_400000_NS6detail17trampoline_kernelINS0_14default_configENS1_22reduce_config_selectorItEEZNS1_11reduce_implILb1ES3_N6thrust23THRUST_200600_302600_NS6detail15normal_iteratorINS8_10device_ptrItEEEEPtt9plus_mod3ItEEE10hipError_tPvRmT1_T2_T3_mT4_P12ihipStream_tbEUlT_E0_NS1_11comp_targetILNS1_3genE2ELNS1_11target_archE906ELNS1_3gpuE6ELNS1_3repE0EEENS1_30default_config_static_selectorELNS0_4arch9wavefront6targetE1EEEvSK_,"axG",@progbits,_ZN7rocprim17ROCPRIM_400000_NS6detail17trampoline_kernelINS0_14default_configENS1_22reduce_config_selectorItEEZNS1_11reduce_implILb1ES3_N6thrust23THRUST_200600_302600_NS6detail15normal_iteratorINS8_10device_ptrItEEEEPtt9plus_mod3ItEEE10hipError_tPvRmT1_T2_T3_mT4_P12ihipStream_tbEUlT_E0_NS1_11comp_targetILNS1_3genE2ELNS1_11target_archE906ELNS1_3gpuE6ELNS1_3repE0EEENS1_30default_config_static_selectorELNS0_4arch9wavefront6targetE1EEEvSK_,comdat
.Lfunc_end861:
	.size	_ZN7rocprim17ROCPRIM_400000_NS6detail17trampoline_kernelINS0_14default_configENS1_22reduce_config_selectorItEEZNS1_11reduce_implILb1ES3_N6thrust23THRUST_200600_302600_NS6detail15normal_iteratorINS8_10device_ptrItEEEEPtt9plus_mod3ItEEE10hipError_tPvRmT1_T2_T3_mT4_P12ihipStream_tbEUlT_E0_NS1_11comp_targetILNS1_3genE2ELNS1_11target_archE906ELNS1_3gpuE6ELNS1_3repE0EEENS1_30default_config_static_selectorELNS0_4arch9wavefront6targetE1EEEvSK_, .Lfunc_end861-_ZN7rocprim17ROCPRIM_400000_NS6detail17trampoline_kernelINS0_14default_configENS1_22reduce_config_selectorItEEZNS1_11reduce_implILb1ES3_N6thrust23THRUST_200600_302600_NS6detail15normal_iteratorINS8_10device_ptrItEEEEPtt9plus_mod3ItEEE10hipError_tPvRmT1_T2_T3_mT4_P12ihipStream_tbEUlT_E0_NS1_11comp_targetILNS1_3genE2ELNS1_11target_archE906ELNS1_3gpuE6ELNS1_3repE0EEENS1_30default_config_static_selectorELNS0_4arch9wavefront6targetE1EEEvSK_
                                        ; -- End function
	.set _ZN7rocprim17ROCPRIM_400000_NS6detail17trampoline_kernelINS0_14default_configENS1_22reduce_config_selectorItEEZNS1_11reduce_implILb1ES3_N6thrust23THRUST_200600_302600_NS6detail15normal_iteratorINS8_10device_ptrItEEEEPtt9plus_mod3ItEEE10hipError_tPvRmT1_T2_T3_mT4_P12ihipStream_tbEUlT_E0_NS1_11comp_targetILNS1_3genE2ELNS1_11target_archE906ELNS1_3gpuE6ELNS1_3repE0EEENS1_30default_config_static_selectorELNS0_4arch9wavefront6targetE1EEEvSK_.num_vgpr, 0
	.set _ZN7rocprim17ROCPRIM_400000_NS6detail17trampoline_kernelINS0_14default_configENS1_22reduce_config_selectorItEEZNS1_11reduce_implILb1ES3_N6thrust23THRUST_200600_302600_NS6detail15normal_iteratorINS8_10device_ptrItEEEEPtt9plus_mod3ItEEE10hipError_tPvRmT1_T2_T3_mT4_P12ihipStream_tbEUlT_E0_NS1_11comp_targetILNS1_3genE2ELNS1_11target_archE906ELNS1_3gpuE6ELNS1_3repE0EEENS1_30default_config_static_selectorELNS0_4arch9wavefront6targetE1EEEvSK_.num_agpr, 0
	.set _ZN7rocprim17ROCPRIM_400000_NS6detail17trampoline_kernelINS0_14default_configENS1_22reduce_config_selectorItEEZNS1_11reduce_implILb1ES3_N6thrust23THRUST_200600_302600_NS6detail15normal_iteratorINS8_10device_ptrItEEEEPtt9plus_mod3ItEEE10hipError_tPvRmT1_T2_T3_mT4_P12ihipStream_tbEUlT_E0_NS1_11comp_targetILNS1_3genE2ELNS1_11target_archE906ELNS1_3gpuE6ELNS1_3repE0EEENS1_30default_config_static_selectorELNS0_4arch9wavefront6targetE1EEEvSK_.numbered_sgpr, 0
	.set _ZN7rocprim17ROCPRIM_400000_NS6detail17trampoline_kernelINS0_14default_configENS1_22reduce_config_selectorItEEZNS1_11reduce_implILb1ES3_N6thrust23THRUST_200600_302600_NS6detail15normal_iteratorINS8_10device_ptrItEEEEPtt9plus_mod3ItEEE10hipError_tPvRmT1_T2_T3_mT4_P12ihipStream_tbEUlT_E0_NS1_11comp_targetILNS1_3genE2ELNS1_11target_archE906ELNS1_3gpuE6ELNS1_3repE0EEENS1_30default_config_static_selectorELNS0_4arch9wavefront6targetE1EEEvSK_.num_named_barrier, 0
	.set _ZN7rocprim17ROCPRIM_400000_NS6detail17trampoline_kernelINS0_14default_configENS1_22reduce_config_selectorItEEZNS1_11reduce_implILb1ES3_N6thrust23THRUST_200600_302600_NS6detail15normal_iteratorINS8_10device_ptrItEEEEPtt9plus_mod3ItEEE10hipError_tPvRmT1_T2_T3_mT4_P12ihipStream_tbEUlT_E0_NS1_11comp_targetILNS1_3genE2ELNS1_11target_archE906ELNS1_3gpuE6ELNS1_3repE0EEENS1_30default_config_static_selectorELNS0_4arch9wavefront6targetE1EEEvSK_.private_seg_size, 0
	.set _ZN7rocprim17ROCPRIM_400000_NS6detail17trampoline_kernelINS0_14default_configENS1_22reduce_config_selectorItEEZNS1_11reduce_implILb1ES3_N6thrust23THRUST_200600_302600_NS6detail15normal_iteratorINS8_10device_ptrItEEEEPtt9plus_mod3ItEEE10hipError_tPvRmT1_T2_T3_mT4_P12ihipStream_tbEUlT_E0_NS1_11comp_targetILNS1_3genE2ELNS1_11target_archE906ELNS1_3gpuE6ELNS1_3repE0EEENS1_30default_config_static_selectorELNS0_4arch9wavefront6targetE1EEEvSK_.uses_vcc, 0
	.set _ZN7rocprim17ROCPRIM_400000_NS6detail17trampoline_kernelINS0_14default_configENS1_22reduce_config_selectorItEEZNS1_11reduce_implILb1ES3_N6thrust23THRUST_200600_302600_NS6detail15normal_iteratorINS8_10device_ptrItEEEEPtt9plus_mod3ItEEE10hipError_tPvRmT1_T2_T3_mT4_P12ihipStream_tbEUlT_E0_NS1_11comp_targetILNS1_3genE2ELNS1_11target_archE906ELNS1_3gpuE6ELNS1_3repE0EEENS1_30default_config_static_selectorELNS0_4arch9wavefront6targetE1EEEvSK_.uses_flat_scratch, 0
	.set _ZN7rocprim17ROCPRIM_400000_NS6detail17trampoline_kernelINS0_14default_configENS1_22reduce_config_selectorItEEZNS1_11reduce_implILb1ES3_N6thrust23THRUST_200600_302600_NS6detail15normal_iteratorINS8_10device_ptrItEEEEPtt9plus_mod3ItEEE10hipError_tPvRmT1_T2_T3_mT4_P12ihipStream_tbEUlT_E0_NS1_11comp_targetILNS1_3genE2ELNS1_11target_archE906ELNS1_3gpuE6ELNS1_3repE0EEENS1_30default_config_static_selectorELNS0_4arch9wavefront6targetE1EEEvSK_.has_dyn_sized_stack, 0
	.set _ZN7rocprim17ROCPRIM_400000_NS6detail17trampoline_kernelINS0_14default_configENS1_22reduce_config_selectorItEEZNS1_11reduce_implILb1ES3_N6thrust23THRUST_200600_302600_NS6detail15normal_iteratorINS8_10device_ptrItEEEEPtt9plus_mod3ItEEE10hipError_tPvRmT1_T2_T3_mT4_P12ihipStream_tbEUlT_E0_NS1_11comp_targetILNS1_3genE2ELNS1_11target_archE906ELNS1_3gpuE6ELNS1_3repE0EEENS1_30default_config_static_selectorELNS0_4arch9wavefront6targetE1EEEvSK_.has_recursion, 0
	.set _ZN7rocprim17ROCPRIM_400000_NS6detail17trampoline_kernelINS0_14default_configENS1_22reduce_config_selectorItEEZNS1_11reduce_implILb1ES3_N6thrust23THRUST_200600_302600_NS6detail15normal_iteratorINS8_10device_ptrItEEEEPtt9plus_mod3ItEEE10hipError_tPvRmT1_T2_T3_mT4_P12ihipStream_tbEUlT_E0_NS1_11comp_targetILNS1_3genE2ELNS1_11target_archE906ELNS1_3gpuE6ELNS1_3repE0EEENS1_30default_config_static_selectorELNS0_4arch9wavefront6targetE1EEEvSK_.has_indirect_call, 0
	.section	.AMDGPU.csdata,"",@progbits
; Kernel info:
; codeLenInByte = 0
; TotalNumSgprs: 6
; NumVgprs: 0
; NumAgprs: 0
; TotalNumVgprs: 0
; ScratchSize: 0
; MemoryBound: 0
; FloatMode: 240
; IeeeMode: 1
; LDSByteSize: 0 bytes/workgroup (compile time only)
; SGPRBlocks: 0
; VGPRBlocks: 0
; NumSGPRsForWavesPerEU: 6
; NumVGPRsForWavesPerEU: 1
; AccumOffset: 4
; Occupancy: 8
; WaveLimiterHint : 0
; COMPUTE_PGM_RSRC2:SCRATCH_EN: 0
; COMPUTE_PGM_RSRC2:USER_SGPR: 2
; COMPUTE_PGM_RSRC2:TRAP_HANDLER: 0
; COMPUTE_PGM_RSRC2:TGID_X_EN: 1
; COMPUTE_PGM_RSRC2:TGID_Y_EN: 0
; COMPUTE_PGM_RSRC2:TGID_Z_EN: 0
; COMPUTE_PGM_RSRC2:TIDIG_COMP_CNT: 0
; COMPUTE_PGM_RSRC3_GFX90A:ACCUM_OFFSET: 0
; COMPUTE_PGM_RSRC3_GFX90A:TG_SPLIT: 0
	.section	.text._ZN7rocprim17ROCPRIM_400000_NS6detail17trampoline_kernelINS0_14default_configENS1_22reduce_config_selectorItEEZNS1_11reduce_implILb1ES3_N6thrust23THRUST_200600_302600_NS6detail15normal_iteratorINS8_10device_ptrItEEEEPtt9plus_mod3ItEEE10hipError_tPvRmT1_T2_T3_mT4_P12ihipStream_tbEUlT_E0_NS1_11comp_targetILNS1_3genE10ELNS1_11target_archE1201ELNS1_3gpuE5ELNS1_3repE0EEENS1_30default_config_static_selectorELNS0_4arch9wavefront6targetE1EEEvSK_,"axG",@progbits,_ZN7rocprim17ROCPRIM_400000_NS6detail17trampoline_kernelINS0_14default_configENS1_22reduce_config_selectorItEEZNS1_11reduce_implILb1ES3_N6thrust23THRUST_200600_302600_NS6detail15normal_iteratorINS8_10device_ptrItEEEEPtt9plus_mod3ItEEE10hipError_tPvRmT1_T2_T3_mT4_P12ihipStream_tbEUlT_E0_NS1_11comp_targetILNS1_3genE10ELNS1_11target_archE1201ELNS1_3gpuE5ELNS1_3repE0EEENS1_30default_config_static_selectorELNS0_4arch9wavefront6targetE1EEEvSK_,comdat
	.protected	_ZN7rocprim17ROCPRIM_400000_NS6detail17trampoline_kernelINS0_14default_configENS1_22reduce_config_selectorItEEZNS1_11reduce_implILb1ES3_N6thrust23THRUST_200600_302600_NS6detail15normal_iteratorINS8_10device_ptrItEEEEPtt9plus_mod3ItEEE10hipError_tPvRmT1_T2_T3_mT4_P12ihipStream_tbEUlT_E0_NS1_11comp_targetILNS1_3genE10ELNS1_11target_archE1201ELNS1_3gpuE5ELNS1_3repE0EEENS1_30default_config_static_selectorELNS0_4arch9wavefront6targetE1EEEvSK_ ; -- Begin function _ZN7rocprim17ROCPRIM_400000_NS6detail17trampoline_kernelINS0_14default_configENS1_22reduce_config_selectorItEEZNS1_11reduce_implILb1ES3_N6thrust23THRUST_200600_302600_NS6detail15normal_iteratorINS8_10device_ptrItEEEEPtt9plus_mod3ItEEE10hipError_tPvRmT1_T2_T3_mT4_P12ihipStream_tbEUlT_E0_NS1_11comp_targetILNS1_3genE10ELNS1_11target_archE1201ELNS1_3gpuE5ELNS1_3repE0EEENS1_30default_config_static_selectorELNS0_4arch9wavefront6targetE1EEEvSK_
	.globl	_ZN7rocprim17ROCPRIM_400000_NS6detail17trampoline_kernelINS0_14default_configENS1_22reduce_config_selectorItEEZNS1_11reduce_implILb1ES3_N6thrust23THRUST_200600_302600_NS6detail15normal_iteratorINS8_10device_ptrItEEEEPtt9plus_mod3ItEEE10hipError_tPvRmT1_T2_T3_mT4_P12ihipStream_tbEUlT_E0_NS1_11comp_targetILNS1_3genE10ELNS1_11target_archE1201ELNS1_3gpuE5ELNS1_3repE0EEENS1_30default_config_static_selectorELNS0_4arch9wavefront6targetE1EEEvSK_
	.p2align	8
	.type	_ZN7rocprim17ROCPRIM_400000_NS6detail17trampoline_kernelINS0_14default_configENS1_22reduce_config_selectorItEEZNS1_11reduce_implILb1ES3_N6thrust23THRUST_200600_302600_NS6detail15normal_iteratorINS8_10device_ptrItEEEEPtt9plus_mod3ItEEE10hipError_tPvRmT1_T2_T3_mT4_P12ihipStream_tbEUlT_E0_NS1_11comp_targetILNS1_3genE10ELNS1_11target_archE1201ELNS1_3gpuE5ELNS1_3repE0EEENS1_30default_config_static_selectorELNS0_4arch9wavefront6targetE1EEEvSK_,@function
_ZN7rocprim17ROCPRIM_400000_NS6detail17trampoline_kernelINS0_14default_configENS1_22reduce_config_selectorItEEZNS1_11reduce_implILb1ES3_N6thrust23THRUST_200600_302600_NS6detail15normal_iteratorINS8_10device_ptrItEEEEPtt9plus_mod3ItEEE10hipError_tPvRmT1_T2_T3_mT4_P12ihipStream_tbEUlT_E0_NS1_11comp_targetILNS1_3genE10ELNS1_11target_archE1201ELNS1_3gpuE5ELNS1_3repE0EEENS1_30default_config_static_selectorELNS0_4arch9wavefront6targetE1EEEvSK_: ; @_ZN7rocprim17ROCPRIM_400000_NS6detail17trampoline_kernelINS0_14default_configENS1_22reduce_config_selectorItEEZNS1_11reduce_implILb1ES3_N6thrust23THRUST_200600_302600_NS6detail15normal_iteratorINS8_10device_ptrItEEEEPtt9plus_mod3ItEEE10hipError_tPvRmT1_T2_T3_mT4_P12ihipStream_tbEUlT_E0_NS1_11comp_targetILNS1_3genE10ELNS1_11target_archE1201ELNS1_3gpuE5ELNS1_3repE0EEENS1_30default_config_static_selectorELNS0_4arch9wavefront6targetE1EEEvSK_
; %bb.0:
	.section	.rodata,"a",@progbits
	.p2align	6, 0x0
	.amdhsa_kernel _ZN7rocprim17ROCPRIM_400000_NS6detail17trampoline_kernelINS0_14default_configENS1_22reduce_config_selectorItEEZNS1_11reduce_implILb1ES3_N6thrust23THRUST_200600_302600_NS6detail15normal_iteratorINS8_10device_ptrItEEEEPtt9plus_mod3ItEEE10hipError_tPvRmT1_T2_T3_mT4_P12ihipStream_tbEUlT_E0_NS1_11comp_targetILNS1_3genE10ELNS1_11target_archE1201ELNS1_3gpuE5ELNS1_3repE0EEENS1_30default_config_static_selectorELNS0_4arch9wavefront6targetE1EEEvSK_
		.amdhsa_group_segment_fixed_size 0
		.amdhsa_private_segment_fixed_size 0
		.amdhsa_kernarg_size 64
		.amdhsa_user_sgpr_count 2
		.amdhsa_user_sgpr_dispatch_ptr 0
		.amdhsa_user_sgpr_queue_ptr 0
		.amdhsa_user_sgpr_kernarg_segment_ptr 1
		.amdhsa_user_sgpr_dispatch_id 0
		.amdhsa_user_sgpr_kernarg_preload_length 0
		.amdhsa_user_sgpr_kernarg_preload_offset 0
		.amdhsa_user_sgpr_private_segment_size 0
		.amdhsa_uses_dynamic_stack 0
		.amdhsa_enable_private_segment 0
		.amdhsa_system_sgpr_workgroup_id_x 1
		.amdhsa_system_sgpr_workgroup_id_y 0
		.amdhsa_system_sgpr_workgroup_id_z 0
		.amdhsa_system_sgpr_workgroup_info 0
		.amdhsa_system_vgpr_workitem_id 0
		.amdhsa_next_free_vgpr 1
		.amdhsa_next_free_sgpr 0
		.amdhsa_accum_offset 4
		.amdhsa_reserve_vcc 0
		.amdhsa_float_round_mode_32 0
		.amdhsa_float_round_mode_16_64 0
		.amdhsa_float_denorm_mode_32 3
		.amdhsa_float_denorm_mode_16_64 3
		.amdhsa_dx10_clamp 1
		.amdhsa_ieee_mode 1
		.amdhsa_fp16_overflow 0
		.amdhsa_tg_split 0
		.amdhsa_exception_fp_ieee_invalid_op 0
		.amdhsa_exception_fp_denorm_src 0
		.amdhsa_exception_fp_ieee_div_zero 0
		.amdhsa_exception_fp_ieee_overflow 0
		.amdhsa_exception_fp_ieee_underflow 0
		.amdhsa_exception_fp_ieee_inexact 0
		.amdhsa_exception_int_div_zero 0
	.end_amdhsa_kernel
	.section	.text._ZN7rocprim17ROCPRIM_400000_NS6detail17trampoline_kernelINS0_14default_configENS1_22reduce_config_selectorItEEZNS1_11reduce_implILb1ES3_N6thrust23THRUST_200600_302600_NS6detail15normal_iteratorINS8_10device_ptrItEEEEPtt9plus_mod3ItEEE10hipError_tPvRmT1_T2_T3_mT4_P12ihipStream_tbEUlT_E0_NS1_11comp_targetILNS1_3genE10ELNS1_11target_archE1201ELNS1_3gpuE5ELNS1_3repE0EEENS1_30default_config_static_selectorELNS0_4arch9wavefront6targetE1EEEvSK_,"axG",@progbits,_ZN7rocprim17ROCPRIM_400000_NS6detail17trampoline_kernelINS0_14default_configENS1_22reduce_config_selectorItEEZNS1_11reduce_implILb1ES3_N6thrust23THRUST_200600_302600_NS6detail15normal_iteratorINS8_10device_ptrItEEEEPtt9plus_mod3ItEEE10hipError_tPvRmT1_T2_T3_mT4_P12ihipStream_tbEUlT_E0_NS1_11comp_targetILNS1_3genE10ELNS1_11target_archE1201ELNS1_3gpuE5ELNS1_3repE0EEENS1_30default_config_static_selectorELNS0_4arch9wavefront6targetE1EEEvSK_,comdat
.Lfunc_end862:
	.size	_ZN7rocprim17ROCPRIM_400000_NS6detail17trampoline_kernelINS0_14default_configENS1_22reduce_config_selectorItEEZNS1_11reduce_implILb1ES3_N6thrust23THRUST_200600_302600_NS6detail15normal_iteratorINS8_10device_ptrItEEEEPtt9plus_mod3ItEEE10hipError_tPvRmT1_T2_T3_mT4_P12ihipStream_tbEUlT_E0_NS1_11comp_targetILNS1_3genE10ELNS1_11target_archE1201ELNS1_3gpuE5ELNS1_3repE0EEENS1_30default_config_static_selectorELNS0_4arch9wavefront6targetE1EEEvSK_, .Lfunc_end862-_ZN7rocprim17ROCPRIM_400000_NS6detail17trampoline_kernelINS0_14default_configENS1_22reduce_config_selectorItEEZNS1_11reduce_implILb1ES3_N6thrust23THRUST_200600_302600_NS6detail15normal_iteratorINS8_10device_ptrItEEEEPtt9plus_mod3ItEEE10hipError_tPvRmT1_T2_T3_mT4_P12ihipStream_tbEUlT_E0_NS1_11comp_targetILNS1_3genE10ELNS1_11target_archE1201ELNS1_3gpuE5ELNS1_3repE0EEENS1_30default_config_static_selectorELNS0_4arch9wavefront6targetE1EEEvSK_
                                        ; -- End function
	.set _ZN7rocprim17ROCPRIM_400000_NS6detail17trampoline_kernelINS0_14default_configENS1_22reduce_config_selectorItEEZNS1_11reduce_implILb1ES3_N6thrust23THRUST_200600_302600_NS6detail15normal_iteratorINS8_10device_ptrItEEEEPtt9plus_mod3ItEEE10hipError_tPvRmT1_T2_T3_mT4_P12ihipStream_tbEUlT_E0_NS1_11comp_targetILNS1_3genE10ELNS1_11target_archE1201ELNS1_3gpuE5ELNS1_3repE0EEENS1_30default_config_static_selectorELNS0_4arch9wavefront6targetE1EEEvSK_.num_vgpr, 0
	.set _ZN7rocprim17ROCPRIM_400000_NS6detail17trampoline_kernelINS0_14default_configENS1_22reduce_config_selectorItEEZNS1_11reduce_implILb1ES3_N6thrust23THRUST_200600_302600_NS6detail15normal_iteratorINS8_10device_ptrItEEEEPtt9plus_mod3ItEEE10hipError_tPvRmT1_T2_T3_mT4_P12ihipStream_tbEUlT_E0_NS1_11comp_targetILNS1_3genE10ELNS1_11target_archE1201ELNS1_3gpuE5ELNS1_3repE0EEENS1_30default_config_static_selectorELNS0_4arch9wavefront6targetE1EEEvSK_.num_agpr, 0
	.set _ZN7rocprim17ROCPRIM_400000_NS6detail17trampoline_kernelINS0_14default_configENS1_22reduce_config_selectorItEEZNS1_11reduce_implILb1ES3_N6thrust23THRUST_200600_302600_NS6detail15normal_iteratorINS8_10device_ptrItEEEEPtt9plus_mod3ItEEE10hipError_tPvRmT1_T2_T3_mT4_P12ihipStream_tbEUlT_E0_NS1_11comp_targetILNS1_3genE10ELNS1_11target_archE1201ELNS1_3gpuE5ELNS1_3repE0EEENS1_30default_config_static_selectorELNS0_4arch9wavefront6targetE1EEEvSK_.numbered_sgpr, 0
	.set _ZN7rocprim17ROCPRIM_400000_NS6detail17trampoline_kernelINS0_14default_configENS1_22reduce_config_selectorItEEZNS1_11reduce_implILb1ES3_N6thrust23THRUST_200600_302600_NS6detail15normal_iteratorINS8_10device_ptrItEEEEPtt9plus_mod3ItEEE10hipError_tPvRmT1_T2_T3_mT4_P12ihipStream_tbEUlT_E0_NS1_11comp_targetILNS1_3genE10ELNS1_11target_archE1201ELNS1_3gpuE5ELNS1_3repE0EEENS1_30default_config_static_selectorELNS0_4arch9wavefront6targetE1EEEvSK_.num_named_barrier, 0
	.set _ZN7rocprim17ROCPRIM_400000_NS6detail17trampoline_kernelINS0_14default_configENS1_22reduce_config_selectorItEEZNS1_11reduce_implILb1ES3_N6thrust23THRUST_200600_302600_NS6detail15normal_iteratorINS8_10device_ptrItEEEEPtt9plus_mod3ItEEE10hipError_tPvRmT1_T2_T3_mT4_P12ihipStream_tbEUlT_E0_NS1_11comp_targetILNS1_3genE10ELNS1_11target_archE1201ELNS1_3gpuE5ELNS1_3repE0EEENS1_30default_config_static_selectorELNS0_4arch9wavefront6targetE1EEEvSK_.private_seg_size, 0
	.set _ZN7rocprim17ROCPRIM_400000_NS6detail17trampoline_kernelINS0_14default_configENS1_22reduce_config_selectorItEEZNS1_11reduce_implILb1ES3_N6thrust23THRUST_200600_302600_NS6detail15normal_iteratorINS8_10device_ptrItEEEEPtt9plus_mod3ItEEE10hipError_tPvRmT1_T2_T3_mT4_P12ihipStream_tbEUlT_E0_NS1_11comp_targetILNS1_3genE10ELNS1_11target_archE1201ELNS1_3gpuE5ELNS1_3repE0EEENS1_30default_config_static_selectorELNS0_4arch9wavefront6targetE1EEEvSK_.uses_vcc, 0
	.set _ZN7rocprim17ROCPRIM_400000_NS6detail17trampoline_kernelINS0_14default_configENS1_22reduce_config_selectorItEEZNS1_11reduce_implILb1ES3_N6thrust23THRUST_200600_302600_NS6detail15normal_iteratorINS8_10device_ptrItEEEEPtt9plus_mod3ItEEE10hipError_tPvRmT1_T2_T3_mT4_P12ihipStream_tbEUlT_E0_NS1_11comp_targetILNS1_3genE10ELNS1_11target_archE1201ELNS1_3gpuE5ELNS1_3repE0EEENS1_30default_config_static_selectorELNS0_4arch9wavefront6targetE1EEEvSK_.uses_flat_scratch, 0
	.set _ZN7rocprim17ROCPRIM_400000_NS6detail17trampoline_kernelINS0_14default_configENS1_22reduce_config_selectorItEEZNS1_11reduce_implILb1ES3_N6thrust23THRUST_200600_302600_NS6detail15normal_iteratorINS8_10device_ptrItEEEEPtt9plus_mod3ItEEE10hipError_tPvRmT1_T2_T3_mT4_P12ihipStream_tbEUlT_E0_NS1_11comp_targetILNS1_3genE10ELNS1_11target_archE1201ELNS1_3gpuE5ELNS1_3repE0EEENS1_30default_config_static_selectorELNS0_4arch9wavefront6targetE1EEEvSK_.has_dyn_sized_stack, 0
	.set _ZN7rocprim17ROCPRIM_400000_NS6detail17trampoline_kernelINS0_14default_configENS1_22reduce_config_selectorItEEZNS1_11reduce_implILb1ES3_N6thrust23THRUST_200600_302600_NS6detail15normal_iteratorINS8_10device_ptrItEEEEPtt9plus_mod3ItEEE10hipError_tPvRmT1_T2_T3_mT4_P12ihipStream_tbEUlT_E0_NS1_11comp_targetILNS1_3genE10ELNS1_11target_archE1201ELNS1_3gpuE5ELNS1_3repE0EEENS1_30default_config_static_selectorELNS0_4arch9wavefront6targetE1EEEvSK_.has_recursion, 0
	.set _ZN7rocprim17ROCPRIM_400000_NS6detail17trampoline_kernelINS0_14default_configENS1_22reduce_config_selectorItEEZNS1_11reduce_implILb1ES3_N6thrust23THRUST_200600_302600_NS6detail15normal_iteratorINS8_10device_ptrItEEEEPtt9plus_mod3ItEEE10hipError_tPvRmT1_T2_T3_mT4_P12ihipStream_tbEUlT_E0_NS1_11comp_targetILNS1_3genE10ELNS1_11target_archE1201ELNS1_3gpuE5ELNS1_3repE0EEENS1_30default_config_static_selectorELNS0_4arch9wavefront6targetE1EEEvSK_.has_indirect_call, 0
	.section	.AMDGPU.csdata,"",@progbits
; Kernel info:
; codeLenInByte = 0
; TotalNumSgprs: 6
; NumVgprs: 0
; NumAgprs: 0
; TotalNumVgprs: 0
; ScratchSize: 0
; MemoryBound: 0
; FloatMode: 240
; IeeeMode: 1
; LDSByteSize: 0 bytes/workgroup (compile time only)
; SGPRBlocks: 0
; VGPRBlocks: 0
; NumSGPRsForWavesPerEU: 6
; NumVGPRsForWavesPerEU: 1
; AccumOffset: 4
; Occupancy: 8
; WaveLimiterHint : 0
; COMPUTE_PGM_RSRC2:SCRATCH_EN: 0
; COMPUTE_PGM_RSRC2:USER_SGPR: 2
; COMPUTE_PGM_RSRC2:TRAP_HANDLER: 0
; COMPUTE_PGM_RSRC2:TGID_X_EN: 1
; COMPUTE_PGM_RSRC2:TGID_Y_EN: 0
; COMPUTE_PGM_RSRC2:TGID_Z_EN: 0
; COMPUTE_PGM_RSRC2:TIDIG_COMP_CNT: 0
; COMPUTE_PGM_RSRC3_GFX90A:ACCUM_OFFSET: 0
; COMPUTE_PGM_RSRC3_GFX90A:TG_SPLIT: 0
	.section	.text._ZN7rocprim17ROCPRIM_400000_NS6detail17trampoline_kernelINS0_14default_configENS1_22reduce_config_selectorItEEZNS1_11reduce_implILb1ES3_N6thrust23THRUST_200600_302600_NS6detail15normal_iteratorINS8_10device_ptrItEEEEPtt9plus_mod3ItEEE10hipError_tPvRmT1_T2_T3_mT4_P12ihipStream_tbEUlT_E0_NS1_11comp_targetILNS1_3genE10ELNS1_11target_archE1200ELNS1_3gpuE4ELNS1_3repE0EEENS1_30default_config_static_selectorELNS0_4arch9wavefront6targetE1EEEvSK_,"axG",@progbits,_ZN7rocprim17ROCPRIM_400000_NS6detail17trampoline_kernelINS0_14default_configENS1_22reduce_config_selectorItEEZNS1_11reduce_implILb1ES3_N6thrust23THRUST_200600_302600_NS6detail15normal_iteratorINS8_10device_ptrItEEEEPtt9plus_mod3ItEEE10hipError_tPvRmT1_T2_T3_mT4_P12ihipStream_tbEUlT_E0_NS1_11comp_targetILNS1_3genE10ELNS1_11target_archE1200ELNS1_3gpuE4ELNS1_3repE0EEENS1_30default_config_static_selectorELNS0_4arch9wavefront6targetE1EEEvSK_,comdat
	.protected	_ZN7rocprim17ROCPRIM_400000_NS6detail17trampoline_kernelINS0_14default_configENS1_22reduce_config_selectorItEEZNS1_11reduce_implILb1ES3_N6thrust23THRUST_200600_302600_NS6detail15normal_iteratorINS8_10device_ptrItEEEEPtt9plus_mod3ItEEE10hipError_tPvRmT1_T2_T3_mT4_P12ihipStream_tbEUlT_E0_NS1_11comp_targetILNS1_3genE10ELNS1_11target_archE1200ELNS1_3gpuE4ELNS1_3repE0EEENS1_30default_config_static_selectorELNS0_4arch9wavefront6targetE1EEEvSK_ ; -- Begin function _ZN7rocprim17ROCPRIM_400000_NS6detail17trampoline_kernelINS0_14default_configENS1_22reduce_config_selectorItEEZNS1_11reduce_implILb1ES3_N6thrust23THRUST_200600_302600_NS6detail15normal_iteratorINS8_10device_ptrItEEEEPtt9plus_mod3ItEEE10hipError_tPvRmT1_T2_T3_mT4_P12ihipStream_tbEUlT_E0_NS1_11comp_targetILNS1_3genE10ELNS1_11target_archE1200ELNS1_3gpuE4ELNS1_3repE0EEENS1_30default_config_static_selectorELNS0_4arch9wavefront6targetE1EEEvSK_
	.globl	_ZN7rocprim17ROCPRIM_400000_NS6detail17trampoline_kernelINS0_14default_configENS1_22reduce_config_selectorItEEZNS1_11reduce_implILb1ES3_N6thrust23THRUST_200600_302600_NS6detail15normal_iteratorINS8_10device_ptrItEEEEPtt9plus_mod3ItEEE10hipError_tPvRmT1_T2_T3_mT4_P12ihipStream_tbEUlT_E0_NS1_11comp_targetILNS1_3genE10ELNS1_11target_archE1200ELNS1_3gpuE4ELNS1_3repE0EEENS1_30default_config_static_selectorELNS0_4arch9wavefront6targetE1EEEvSK_
	.p2align	8
	.type	_ZN7rocprim17ROCPRIM_400000_NS6detail17trampoline_kernelINS0_14default_configENS1_22reduce_config_selectorItEEZNS1_11reduce_implILb1ES3_N6thrust23THRUST_200600_302600_NS6detail15normal_iteratorINS8_10device_ptrItEEEEPtt9plus_mod3ItEEE10hipError_tPvRmT1_T2_T3_mT4_P12ihipStream_tbEUlT_E0_NS1_11comp_targetILNS1_3genE10ELNS1_11target_archE1200ELNS1_3gpuE4ELNS1_3repE0EEENS1_30default_config_static_selectorELNS0_4arch9wavefront6targetE1EEEvSK_,@function
_ZN7rocprim17ROCPRIM_400000_NS6detail17trampoline_kernelINS0_14default_configENS1_22reduce_config_selectorItEEZNS1_11reduce_implILb1ES3_N6thrust23THRUST_200600_302600_NS6detail15normal_iteratorINS8_10device_ptrItEEEEPtt9plus_mod3ItEEE10hipError_tPvRmT1_T2_T3_mT4_P12ihipStream_tbEUlT_E0_NS1_11comp_targetILNS1_3genE10ELNS1_11target_archE1200ELNS1_3gpuE4ELNS1_3repE0EEENS1_30default_config_static_selectorELNS0_4arch9wavefront6targetE1EEEvSK_: ; @_ZN7rocprim17ROCPRIM_400000_NS6detail17trampoline_kernelINS0_14default_configENS1_22reduce_config_selectorItEEZNS1_11reduce_implILb1ES3_N6thrust23THRUST_200600_302600_NS6detail15normal_iteratorINS8_10device_ptrItEEEEPtt9plus_mod3ItEEE10hipError_tPvRmT1_T2_T3_mT4_P12ihipStream_tbEUlT_E0_NS1_11comp_targetILNS1_3genE10ELNS1_11target_archE1200ELNS1_3gpuE4ELNS1_3repE0EEENS1_30default_config_static_selectorELNS0_4arch9wavefront6targetE1EEEvSK_
; %bb.0:
	.section	.rodata,"a",@progbits
	.p2align	6, 0x0
	.amdhsa_kernel _ZN7rocprim17ROCPRIM_400000_NS6detail17trampoline_kernelINS0_14default_configENS1_22reduce_config_selectorItEEZNS1_11reduce_implILb1ES3_N6thrust23THRUST_200600_302600_NS6detail15normal_iteratorINS8_10device_ptrItEEEEPtt9plus_mod3ItEEE10hipError_tPvRmT1_T2_T3_mT4_P12ihipStream_tbEUlT_E0_NS1_11comp_targetILNS1_3genE10ELNS1_11target_archE1200ELNS1_3gpuE4ELNS1_3repE0EEENS1_30default_config_static_selectorELNS0_4arch9wavefront6targetE1EEEvSK_
		.amdhsa_group_segment_fixed_size 0
		.amdhsa_private_segment_fixed_size 0
		.amdhsa_kernarg_size 64
		.amdhsa_user_sgpr_count 2
		.amdhsa_user_sgpr_dispatch_ptr 0
		.amdhsa_user_sgpr_queue_ptr 0
		.amdhsa_user_sgpr_kernarg_segment_ptr 1
		.amdhsa_user_sgpr_dispatch_id 0
		.amdhsa_user_sgpr_kernarg_preload_length 0
		.amdhsa_user_sgpr_kernarg_preload_offset 0
		.amdhsa_user_sgpr_private_segment_size 0
		.amdhsa_uses_dynamic_stack 0
		.amdhsa_enable_private_segment 0
		.amdhsa_system_sgpr_workgroup_id_x 1
		.amdhsa_system_sgpr_workgroup_id_y 0
		.amdhsa_system_sgpr_workgroup_id_z 0
		.amdhsa_system_sgpr_workgroup_info 0
		.amdhsa_system_vgpr_workitem_id 0
		.amdhsa_next_free_vgpr 1
		.amdhsa_next_free_sgpr 0
		.amdhsa_accum_offset 4
		.amdhsa_reserve_vcc 0
		.amdhsa_float_round_mode_32 0
		.amdhsa_float_round_mode_16_64 0
		.amdhsa_float_denorm_mode_32 3
		.amdhsa_float_denorm_mode_16_64 3
		.amdhsa_dx10_clamp 1
		.amdhsa_ieee_mode 1
		.amdhsa_fp16_overflow 0
		.amdhsa_tg_split 0
		.amdhsa_exception_fp_ieee_invalid_op 0
		.amdhsa_exception_fp_denorm_src 0
		.amdhsa_exception_fp_ieee_div_zero 0
		.amdhsa_exception_fp_ieee_overflow 0
		.amdhsa_exception_fp_ieee_underflow 0
		.amdhsa_exception_fp_ieee_inexact 0
		.amdhsa_exception_int_div_zero 0
	.end_amdhsa_kernel
	.section	.text._ZN7rocprim17ROCPRIM_400000_NS6detail17trampoline_kernelINS0_14default_configENS1_22reduce_config_selectorItEEZNS1_11reduce_implILb1ES3_N6thrust23THRUST_200600_302600_NS6detail15normal_iteratorINS8_10device_ptrItEEEEPtt9plus_mod3ItEEE10hipError_tPvRmT1_T2_T3_mT4_P12ihipStream_tbEUlT_E0_NS1_11comp_targetILNS1_3genE10ELNS1_11target_archE1200ELNS1_3gpuE4ELNS1_3repE0EEENS1_30default_config_static_selectorELNS0_4arch9wavefront6targetE1EEEvSK_,"axG",@progbits,_ZN7rocprim17ROCPRIM_400000_NS6detail17trampoline_kernelINS0_14default_configENS1_22reduce_config_selectorItEEZNS1_11reduce_implILb1ES3_N6thrust23THRUST_200600_302600_NS6detail15normal_iteratorINS8_10device_ptrItEEEEPtt9plus_mod3ItEEE10hipError_tPvRmT1_T2_T3_mT4_P12ihipStream_tbEUlT_E0_NS1_11comp_targetILNS1_3genE10ELNS1_11target_archE1200ELNS1_3gpuE4ELNS1_3repE0EEENS1_30default_config_static_selectorELNS0_4arch9wavefront6targetE1EEEvSK_,comdat
.Lfunc_end863:
	.size	_ZN7rocprim17ROCPRIM_400000_NS6detail17trampoline_kernelINS0_14default_configENS1_22reduce_config_selectorItEEZNS1_11reduce_implILb1ES3_N6thrust23THRUST_200600_302600_NS6detail15normal_iteratorINS8_10device_ptrItEEEEPtt9plus_mod3ItEEE10hipError_tPvRmT1_T2_T3_mT4_P12ihipStream_tbEUlT_E0_NS1_11comp_targetILNS1_3genE10ELNS1_11target_archE1200ELNS1_3gpuE4ELNS1_3repE0EEENS1_30default_config_static_selectorELNS0_4arch9wavefront6targetE1EEEvSK_, .Lfunc_end863-_ZN7rocprim17ROCPRIM_400000_NS6detail17trampoline_kernelINS0_14default_configENS1_22reduce_config_selectorItEEZNS1_11reduce_implILb1ES3_N6thrust23THRUST_200600_302600_NS6detail15normal_iteratorINS8_10device_ptrItEEEEPtt9plus_mod3ItEEE10hipError_tPvRmT1_T2_T3_mT4_P12ihipStream_tbEUlT_E0_NS1_11comp_targetILNS1_3genE10ELNS1_11target_archE1200ELNS1_3gpuE4ELNS1_3repE0EEENS1_30default_config_static_selectorELNS0_4arch9wavefront6targetE1EEEvSK_
                                        ; -- End function
	.set _ZN7rocprim17ROCPRIM_400000_NS6detail17trampoline_kernelINS0_14default_configENS1_22reduce_config_selectorItEEZNS1_11reduce_implILb1ES3_N6thrust23THRUST_200600_302600_NS6detail15normal_iteratorINS8_10device_ptrItEEEEPtt9plus_mod3ItEEE10hipError_tPvRmT1_T2_T3_mT4_P12ihipStream_tbEUlT_E0_NS1_11comp_targetILNS1_3genE10ELNS1_11target_archE1200ELNS1_3gpuE4ELNS1_3repE0EEENS1_30default_config_static_selectorELNS0_4arch9wavefront6targetE1EEEvSK_.num_vgpr, 0
	.set _ZN7rocprim17ROCPRIM_400000_NS6detail17trampoline_kernelINS0_14default_configENS1_22reduce_config_selectorItEEZNS1_11reduce_implILb1ES3_N6thrust23THRUST_200600_302600_NS6detail15normal_iteratorINS8_10device_ptrItEEEEPtt9plus_mod3ItEEE10hipError_tPvRmT1_T2_T3_mT4_P12ihipStream_tbEUlT_E0_NS1_11comp_targetILNS1_3genE10ELNS1_11target_archE1200ELNS1_3gpuE4ELNS1_3repE0EEENS1_30default_config_static_selectorELNS0_4arch9wavefront6targetE1EEEvSK_.num_agpr, 0
	.set _ZN7rocprim17ROCPRIM_400000_NS6detail17trampoline_kernelINS0_14default_configENS1_22reduce_config_selectorItEEZNS1_11reduce_implILb1ES3_N6thrust23THRUST_200600_302600_NS6detail15normal_iteratorINS8_10device_ptrItEEEEPtt9plus_mod3ItEEE10hipError_tPvRmT1_T2_T3_mT4_P12ihipStream_tbEUlT_E0_NS1_11comp_targetILNS1_3genE10ELNS1_11target_archE1200ELNS1_3gpuE4ELNS1_3repE0EEENS1_30default_config_static_selectorELNS0_4arch9wavefront6targetE1EEEvSK_.numbered_sgpr, 0
	.set _ZN7rocprim17ROCPRIM_400000_NS6detail17trampoline_kernelINS0_14default_configENS1_22reduce_config_selectorItEEZNS1_11reduce_implILb1ES3_N6thrust23THRUST_200600_302600_NS6detail15normal_iteratorINS8_10device_ptrItEEEEPtt9plus_mod3ItEEE10hipError_tPvRmT1_T2_T3_mT4_P12ihipStream_tbEUlT_E0_NS1_11comp_targetILNS1_3genE10ELNS1_11target_archE1200ELNS1_3gpuE4ELNS1_3repE0EEENS1_30default_config_static_selectorELNS0_4arch9wavefront6targetE1EEEvSK_.num_named_barrier, 0
	.set _ZN7rocprim17ROCPRIM_400000_NS6detail17trampoline_kernelINS0_14default_configENS1_22reduce_config_selectorItEEZNS1_11reduce_implILb1ES3_N6thrust23THRUST_200600_302600_NS6detail15normal_iteratorINS8_10device_ptrItEEEEPtt9plus_mod3ItEEE10hipError_tPvRmT1_T2_T3_mT4_P12ihipStream_tbEUlT_E0_NS1_11comp_targetILNS1_3genE10ELNS1_11target_archE1200ELNS1_3gpuE4ELNS1_3repE0EEENS1_30default_config_static_selectorELNS0_4arch9wavefront6targetE1EEEvSK_.private_seg_size, 0
	.set _ZN7rocprim17ROCPRIM_400000_NS6detail17trampoline_kernelINS0_14default_configENS1_22reduce_config_selectorItEEZNS1_11reduce_implILb1ES3_N6thrust23THRUST_200600_302600_NS6detail15normal_iteratorINS8_10device_ptrItEEEEPtt9plus_mod3ItEEE10hipError_tPvRmT1_T2_T3_mT4_P12ihipStream_tbEUlT_E0_NS1_11comp_targetILNS1_3genE10ELNS1_11target_archE1200ELNS1_3gpuE4ELNS1_3repE0EEENS1_30default_config_static_selectorELNS0_4arch9wavefront6targetE1EEEvSK_.uses_vcc, 0
	.set _ZN7rocprim17ROCPRIM_400000_NS6detail17trampoline_kernelINS0_14default_configENS1_22reduce_config_selectorItEEZNS1_11reduce_implILb1ES3_N6thrust23THRUST_200600_302600_NS6detail15normal_iteratorINS8_10device_ptrItEEEEPtt9plus_mod3ItEEE10hipError_tPvRmT1_T2_T3_mT4_P12ihipStream_tbEUlT_E0_NS1_11comp_targetILNS1_3genE10ELNS1_11target_archE1200ELNS1_3gpuE4ELNS1_3repE0EEENS1_30default_config_static_selectorELNS0_4arch9wavefront6targetE1EEEvSK_.uses_flat_scratch, 0
	.set _ZN7rocprim17ROCPRIM_400000_NS6detail17trampoline_kernelINS0_14default_configENS1_22reduce_config_selectorItEEZNS1_11reduce_implILb1ES3_N6thrust23THRUST_200600_302600_NS6detail15normal_iteratorINS8_10device_ptrItEEEEPtt9plus_mod3ItEEE10hipError_tPvRmT1_T2_T3_mT4_P12ihipStream_tbEUlT_E0_NS1_11comp_targetILNS1_3genE10ELNS1_11target_archE1200ELNS1_3gpuE4ELNS1_3repE0EEENS1_30default_config_static_selectorELNS0_4arch9wavefront6targetE1EEEvSK_.has_dyn_sized_stack, 0
	.set _ZN7rocprim17ROCPRIM_400000_NS6detail17trampoline_kernelINS0_14default_configENS1_22reduce_config_selectorItEEZNS1_11reduce_implILb1ES3_N6thrust23THRUST_200600_302600_NS6detail15normal_iteratorINS8_10device_ptrItEEEEPtt9plus_mod3ItEEE10hipError_tPvRmT1_T2_T3_mT4_P12ihipStream_tbEUlT_E0_NS1_11comp_targetILNS1_3genE10ELNS1_11target_archE1200ELNS1_3gpuE4ELNS1_3repE0EEENS1_30default_config_static_selectorELNS0_4arch9wavefront6targetE1EEEvSK_.has_recursion, 0
	.set _ZN7rocprim17ROCPRIM_400000_NS6detail17trampoline_kernelINS0_14default_configENS1_22reduce_config_selectorItEEZNS1_11reduce_implILb1ES3_N6thrust23THRUST_200600_302600_NS6detail15normal_iteratorINS8_10device_ptrItEEEEPtt9plus_mod3ItEEE10hipError_tPvRmT1_T2_T3_mT4_P12ihipStream_tbEUlT_E0_NS1_11comp_targetILNS1_3genE10ELNS1_11target_archE1200ELNS1_3gpuE4ELNS1_3repE0EEENS1_30default_config_static_selectorELNS0_4arch9wavefront6targetE1EEEvSK_.has_indirect_call, 0
	.section	.AMDGPU.csdata,"",@progbits
; Kernel info:
; codeLenInByte = 0
; TotalNumSgprs: 6
; NumVgprs: 0
; NumAgprs: 0
; TotalNumVgprs: 0
; ScratchSize: 0
; MemoryBound: 0
; FloatMode: 240
; IeeeMode: 1
; LDSByteSize: 0 bytes/workgroup (compile time only)
; SGPRBlocks: 0
; VGPRBlocks: 0
; NumSGPRsForWavesPerEU: 6
; NumVGPRsForWavesPerEU: 1
; AccumOffset: 4
; Occupancy: 8
; WaveLimiterHint : 0
; COMPUTE_PGM_RSRC2:SCRATCH_EN: 0
; COMPUTE_PGM_RSRC2:USER_SGPR: 2
; COMPUTE_PGM_RSRC2:TRAP_HANDLER: 0
; COMPUTE_PGM_RSRC2:TGID_X_EN: 1
; COMPUTE_PGM_RSRC2:TGID_Y_EN: 0
; COMPUTE_PGM_RSRC2:TGID_Z_EN: 0
; COMPUTE_PGM_RSRC2:TIDIG_COMP_CNT: 0
; COMPUTE_PGM_RSRC3_GFX90A:ACCUM_OFFSET: 0
; COMPUTE_PGM_RSRC3_GFX90A:TG_SPLIT: 0
	.section	.text._ZN7rocprim17ROCPRIM_400000_NS6detail17trampoline_kernelINS0_14default_configENS1_22reduce_config_selectorItEEZNS1_11reduce_implILb1ES3_N6thrust23THRUST_200600_302600_NS6detail15normal_iteratorINS8_10device_ptrItEEEEPtt9plus_mod3ItEEE10hipError_tPvRmT1_T2_T3_mT4_P12ihipStream_tbEUlT_E0_NS1_11comp_targetILNS1_3genE9ELNS1_11target_archE1100ELNS1_3gpuE3ELNS1_3repE0EEENS1_30default_config_static_selectorELNS0_4arch9wavefront6targetE1EEEvSK_,"axG",@progbits,_ZN7rocprim17ROCPRIM_400000_NS6detail17trampoline_kernelINS0_14default_configENS1_22reduce_config_selectorItEEZNS1_11reduce_implILb1ES3_N6thrust23THRUST_200600_302600_NS6detail15normal_iteratorINS8_10device_ptrItEEEEPtt9plus_mod3ItEEE10hipError_tPvRmT1_T2_T3_mT4_P12ihipStream_tbEUlT_E0_NS1_11comp_targetILNS1_3genE9ELNS1_11target_archE1100ELNS1_3gpuE3ELNS1_3repE0EEENS1_30default_config_static_selectorELNS0_4arch9wavefront6targetE1EEEvSK_,comdat
	.protected	_ZN7rocprim17ROCPRIM_400000_NS6detail17trampoline_kernelINS0_14default_configENS1_22reduce_config_selectorItEEZNS1_11reduce_implILb1ES3_N6thrust23THRUST_200600_302600_NS6detail15normal_iteratorINS8_10device_ptrItEEEEPtt9plus_mod3ItEEE10hipError_tPvRmT1_T2_T3_mT4_P12ihipStream_tbEUlT_E0_NS1_11comp_targetILNS1_3genE9ELNS1_11target_archE1100ELNS1_3gpuE3ELNS1_3repE0EEENS1_30default_config_static_selectorELNS0_4arch9wavefront6targetE1EEEvSK_ ; -- Begin function _ZN7rocprim17ROCPRIM_400000_NS6detail17trampoline_kernelINS0_14default_configENS1_22reduce_config_selectorItEEZNS1_11reduce_implILb1ES3_N6thrust23THRUST_200600_302600_NS6detail15normal_iteratorINS8_10device_ptrItEEEEPtt9plus_mod3ItEEE10hipError_tPvRmT1_T2_T3_mT4_P12ihipStream_tbEUlT_E0_NS1_11comp_targetILNS1_3genE9ELNS1_11target_archE1100ELNS1_3gpuE3ELNS1_3repE0EEENS1_30default_config_static_selectorELNS0_4arch9wavefront6targetE1EEEvSK_
	.globl	_ZN7rocprim17ROCPRIM_400000_NS6detail17trampoline_kernelINS0_14default_configENS1_22reduce_config_selectorItEEZNS1_11reduce_implILb1ES3_N6thrust23THRUST_200600_302600_NS6detail15normal_iteratorINS8_10device_ptrItEEEEPtt9plus_mod3ItEEE10hipError_tPvRmT1_T2_T3_mT4_P12ihipStream_tbEUlT_E0_NS1_11comp_targetILNS1_3genE9ELNS1_11target_archE1100ELNS1_3gpuE3ELNS1_3repE0EEENS1_30default_config_static_selectorELNS0_4arch9wavefront6targetE1EEEvSK_
	.p2align	8
	.type	_ZN7rocprim17ROCPRIM_400000_NS6detail17trampoline_kernelINS0_14default_configENS1_22reduce_config_selectorItEEZNS1_11reduce_implILb1ES3_N6thrust23THRUST_200600_302600_NS6detail15normal_iteratorINS8_10device_ptrItEEEEPtt9plus_mod3ItEEE10hipError_tPvRmT1_T2_T3_mT4_P12ihipStream_tbEUlT_E0_NS1_11comp_targetILNS1_3genE9ELNS1_11target_archE1100ELNS1_3gpuE3ELNS1_3repE0EEENS1_30default_config_static_selectorELNS0_4arch9wavefront6targetE1EEEvSK_,@function
_ZN7rocprim17ROCPRIM_400000_NS6detail17trampoline_kernelINS0_14default_configENS1_22reduce_config_selectorItEEZNS1_11reduce_implILb1ES3_N6thrust23THRUST_200600_302600_NS6detail15normal_iteratorINS8_10device_ptrItEEEEPtt9plus_mod3ItEEE10hipError_tPvRmT1_T2_T3_mT4_P12ihipStream_tbEUlT_E0_NS1_11comp_targetILNS1_3genE9ELNS1_11target_archE1100ELNS1_3gpuE3ELNS1_3repE0EEENS1_30default_config_static_selectorELNS0_4arch9wavefront6targetE1EEEvSK_: ; @_ZN7rocprim17ROCPRIM_400000_NS6detail17trampoline_kernelINS0_14default_configENS1_22reduce_config_selectorItEEZNS1_11reduce_implILb1ES3_N6thrust23THRUST_200600_302600_NS6detail15normal_iteratorINS8_10device_ptrItEEEEPtt9plus_mod3ItEEE10hipError_tPvRmT1_T2_T3_mT4_P12ihipStream_tbEUlT_E0_NS1_11comp_targetILNS1_3genE9ELNS1_11target_archE1100ELNS1_3gpuE3ELNS1_3repE0EEENS1_30default_config_static_selectorELNS0_4arch9wavefront6targetE1EEEvSK_
; %bb.0:
	.section	.rodata,"a",@progbits
	.p2align	6, 0x0
	.amdhsa_kernel _ZN7rocprim17ROCPRIM_400000_NS6detail17trampoline_kernelINS0_14default_configENS1_22reduce_config_selectorItEEZNS1_11reduce_implILb1ES3_N6thrust23THRUST_200600_302600_NS6detail15normal_iteratorINS8_10device_ptrItEEEEPtt9plus_mod3ItEEE10hipError_tPvRmT1_T2_T3_mT4_P12ihipStream_tbEUlT_E0_NS1_11comp_targetILNS1_3genE9ELNS1_11target_archE1100ELNS1_3gpuE3ELNS1_3repE0EEENS1_30default_config_static_selectorELNS0_4arch9wavefront6targetE1EEEvSK_
		.amdhsa_group_segment_fixed_size 0
		.amdhsa_private_segment_fixed_size 0
		.amdhsa_kernarg_size 64
		.amdhsa_user_sgpr_count 2
		.amdhsa_user_sgpr_dispatch_ptr 0
		.amdhsa_user_sgpr_queue_ptr 0
		.amdhsa_user_sgpr_kernarg_segment_ptr 1
		.amdhsa_user_sgpr_dispatch_id 0
		.amdhsa_user_sgpr_kernarg_preload_length 0
		.amdhsa_user_sgpr_kernarg_preload_offset 0
		.amdhsa_user_sgpr_private_segment_size 0
		.amdhsa_uses_dynamic_stack 0
		.amdhsa_enable_private_segment 0
		.amdhsa_system_sgpr_workgroup_id_x 1
		.amdhsa_system_sgpr_workgroup_id_y 0
		.amdhsa_system_sgpr_workgroup_id_z 0
		.amdhsa_system_sgpr_workgroup_info 0
		.amdhsa_system_vgpr_workitem_id 0
		.amdhsa_next_free_vgpr 1
		.amdhsa_next_free_sgpr 0
		.amdhsa_accum_offset 4
		.amdhsa_reserve_vcc 0
		.amdhsa_float_round_mode_32 0
		.amdhsa_float_round_mode_16_64 0
		.amdhsa_float_denorm_mode_32 3
		.amdhsa_float_denorm_mode_16_64 3
		.amdhsa_dx10_clamp 1
		.amdhsa_ieee_mode 1
		.amdhsa_fp16_overflow 0
		.amdhsa_tg_split 0
		.amdhsa_exception_fp_ieee_invalid_op 0
		.amdhsa_exception_fp_denorm_src 0
		.amdhsa_exception_fp_ieee_div_zero 0
		.amdhsa_exception_fp_ieee_overflow 0
		.amdhsa_exception_fp_ieee_underflow 0
		.amdhsa_exception_fp_ieee_inexact 0
		.amdhsa_exception_int_div_zero 0
	.end_amdhsa_kernel
	.section	.text._ZN7rocprim17ROCPRIM_400000_NS6detail17trampoline_kernelINS0_14default_configENS1_22reduce_config_selectorItEEZNS1_11reduce_implILb1ES3_N6thrust23THRUST_200600_302600_NS6detail15normal_iteratorINS8_10device_ptrItEEEEPtt9plus_mod3ItEEE10hipError_tPvRmT1_T2_T3_mT4_P12ihipStream_tbEUlT_E0_NS1_11comp_targetILNS1_3genE9ELNS1_11target_archE1100ELNS1_3gpuE3ELNS1_3repE0EEENS1_30default_config_static_selectorELNS0_4arch9wavefront6targetE1EEEvSK_,"axG",@progbits,_ZN7rocprim17ROCPRIM_400000_NS6detail17trampoline_kernelINS0_14default_configENS1_22reduce_config_selectorItEEZNS1_11reduce_implILb1ES3_N6thrust23THRUST_200600_302600_NS6detail15normal_iteratorINS8_10device_ptrItEEEEPtt9plus_mod3ItEEE10hipError_tPvRmT1_T2_T3_mT4_P12ihipStream_tbEUlT_E0_NS1_11comp_targetILNS1_3genE9ELNS1_11target_archE1100ELNS1_3gpuE3ELNS1_3repE0EEENS1_30default_config_static_selectorELNS0_4arch9wavefront6targetE1EEEvSK_,comdat
.Lfunc_end864:
	.size	_ZN7rocprim17ROCPRIM_400000_NS6detail17trampoline_kernelINS0_14default_configENS1_22reduce_config_selectorItEEZNS1_11reduce_implILb1ES3_N6thrust23THRUST_200600_302600_NS6detail15normal_iteratorINS8_10device_ptrItEEEEPtt9plus_mod3ItEEE10hipError_tPvRmT1_T2_T3_mT4_P12ihipStream_tbEUlT_E0_NS1_11comp_targetILNS1_3genE9ELNS1_11target_archE1100ELNS1_3gpuE3ELNS1_3repE0EEENS1_30default_config_static_selectorELNS0_4arch9wavefront6targetE1EEEvSK_, .Lfunc_end864-_ZN7rocprim17ROCPRIM_400000_NS6detail17trampoline_kernelINS0_14default_configENS1_22reduce_config_selectorItEEZNS1_11reduce_implILb1ES3_N6thrust23THRUST_200600_302600_NS6detail15normal_iteratorINS8_10device_ptrItEEEEPtt9plus_mod3ItEEE10hipError_tPvRmT1_T2_T3_mT4_P12ihipStream_tbEUlT_E0_NS1_11comp_targetILNS1_3genE9ELNS1_11target_archE1100ELNS1_3gpuE3ELNS1_3repE0EEENS1_30default_config_static_selectorELNS0_4arch9wavefront6targetE1EEEvSK_
                                        ; -- End function
	.set _ZN7rocprim17ROCPRIM_400000_NS6detail17trampoline_kernelINS0_14default_configENS1_22reduce_config_selectorItEEZNS1_11reduce_implILb1ES3_N6thrust23THRUST_200600_302600_NS6detail15normal_iteratorINS8_10device_ptrItEEEEPtt9plus_mod3ItEEE10hipError_tPvRmT1_T2_T3_mT4_P12ihipStream_tbEUlT_E0_NS1_11comp_targetILNS1_3genE9ELNS1_11target_archE1100ELNS1_3gpuE3ELNS1_3repE0EEENS1_30default_config_static_selectorELNS0_4arch9wavefront6targetE1EEEvSK_.num_vgpr, 0
	.set _ZN7rocprim17ROCPRIM_400000_NS6detail17trampoline_kernelINS0_14default_configENS1_22reduce_config_selectorItEEZNS1_11reduce_implILb1ES3_N6thrust23THRUST_200600_302600_NS6detail15normal_iteratorINS8_10device_ptrItEEEEPtt9plus_mod3ItEEE10hipError_tPvRmT1_T2_T3_mT4_P12ihipStream_tbEUlT_E0_NS1_11comp_targetILNS1_3genE9ELNS1_11target_archE1100ELNS1_3gpuE3ELNS1_3repE0EEENS1_30default_config_static_selectorELNS0_4arch9wavefront6targetE1EEEvSK_.num_agpr, 0
	.set _ZN7rocprim17ROCPRIM_400000_NS6detail17trampoline_kernelINS0_14default_configENS1_22reduce_config_selectorItEEZNS1_11reduce_implILb1ES3_N6thrust23THRUST_200600_302600_NS6detail15normal_iteratorINS8_10device_ptrItEEEEPtt9plus_mod3ItEEE10hipError_tPvRmT1_T2_T3_mT4_P12ihipStream_tbEUlT_E0_NS1_11comp_targetILNS1_3genE9ELNS1_11target_archE1100ELNS1_3gpuE3ELNS1_3repE0EEENS1_30default_config_static_selectorELNS0_4arch9wavefront6targetE1EEEvSK_.numbered_sgpr, 0
	.set _ZN7rocprim17ROCPRIM_400000_NS6detail17trampoline_kernelINS0_14default_configENS1_22reduce_config_selectorItEEZNS1_11reduce_implILb1ES3_N6thrust23THRUST_200600_302600_NS6detail15normal_iteratorINS8_10device_ptrItEEEEPtt9plus_mod3ItEEE10hipError_tPvRmT1_T2_T3_mT4_P12ihipStream_tbEUlT_E0_NS1_11comp_targetILNS1_3genE9ELNS1_11target_archE1100ELNS1_3gpuE3ELNS1_3repE0EEENS1_30default_config_static_selectorELNS0_4arch9wavefront6targetE1EEEvSK_.num_named_barrier, 0
	.set _ZN7rocprim17ROCPRIM_400000_NS6detail17trampoline_kernelINS0_14default_configENS1_22reduce_config_selectorItEEZNS1_11reduce_implILb1ES3_N6thrust23THRUST_200600_302600_NS6detail15normal_iteratorINS8_10device_ptrItEEEEPtt9plus_mod3ItEEE10hipError_tPvRmT1_T2_T3_mT4_P12ihipStream_tbEUlT_E0_NS1_11comp_targetILNS1_3genE9ELNS1_11target_archE1100ELNS1_3gpuE3ELNS1_3repE0EEENS1_30default_config_static_selectorELNS0_4arch9wavefront6targetE1EEEvSK_.private_seg_size, 0
	.set _ZN7rocprim17ROCPRIM_400000_NS6detail17trampoline_kernelINS0_14default_configENS1_22reduce_config_selectorItEEZNS1_11reduce_implILb1ES3_N6thrust23THRUST_200600_302600_NS6detail15normal_iteratorINS8_10device_ptrItEEEEPtt9plus_mod3ItEEE10hipError_tPvRmT1_T2_T3_mT4_P12ihipStream_tbEUlT_E0_NS1_11comp_targetILNS1_3genE9ELNS1_11target_archE1100ELNS1_3gpuE3ELNS1_3repE0EEENS1_30default_config_static_selectorELNS0_4arch9wavefront6targetE1EEEvSK_.uses_vcc, 0
	.set _ZN7rocprim17ROCPRIM_400000_NS6detail17trampoline_kernelINS0_14default_configENS1_22reduce_config_selectorItEEZNS1_11reduce_implILb1ES3_N6thrust23THRUST_200600_302600_NS6detail15normal_iteratorINS8_10device_ptrItEEEEPtt9plus_mod3ItEEE10hipError_tPvRmT1_T2_T3_mT4_P12ihipStream_tbEUlT_E0_NS1_11comp_targetILNS1_3genE9ELNS1_11target_archE1100ELNS1_3gpuE3ELNS1_3repE0EEENS1_30default_config_static_selectorELNS0_4arch9wavefront6targetE1EEEvSK_.uses_flat_scratch, 0
	.set _ZN7rocprim17ROCPRIM_400000_NS6detail17trampoline_kernelINS0_14default_configENS1_22reduce_config_selectorItEEZNS1_11reduce_implILb1ES3_N6thrust23THRUST_200600_302600_NS6detail15normal_iteratorINS8_10device_ptrItEEEEPtt9plus_mod3ItEEE10hipError_tPvRmT1_T2_T3_mT4_P12ihipStream_tbEUlT_E0_NS1_11comp_targetILNS1_3genE9ELNS1_11target_archE1100ELNS1_3gpuE3ELNS1_3repE0EEENS1_30default_config_static_selectorELNS0_4arch9wavefront6targetE1EEEvSK_.has_dyn_sized_stack, 0
	.set _ZN7rocprim17ROCPRIM_400000_NS6detail17trampoline_kernelINS0_14default_configENS1_22reduce_config_selectorItEEZNS1_11reduce_implILb1ES3_N6thrust23THRUST_200600_302600_NS6detail15normal_iteratorINS8_10device_ptrItEEEEPtt9plus_mod3ItEEE10hipError_tPvRmT1_T2_T3_mT4_P12ihipStream_tbEUlT_E0_NS1_11comp_targetILNS1_3genE9ELNS1_11target_archE1100ELNS1_3gpuE3ELNS1_3repE0EEENS1_30default_config_static_selectorELNS0_4arch9wavefront6targetE1EEEvSK_.has_recursion, 0
	.set _ZN7rocprim17ROCPRIM_400000_NS6detail17trampoline_kernelINS0_14default_configENS1_22reduce_config_selectorItEEZNS1_11reduce_implILb1ES3_N6thrust23THRUST_200600_302600_NS6detail15normal_iteratorINS8_10device_ptrItEEEEPtt9plus_mod3ItEEE10hipError_tPvRmT1_T2_T3_mT4_P12ihipStream_tbEUlT_E0_NS1_11comp_targetILNS1_3genE9ELNS1_11target_archE1100ELNS1_3gpuE3ELNS1_3repE0EEENS1_30default_config_static_selectorELNS0_4arch9wavefront6targetE1EEEvSK_.has_indirect_call, 0
	.section	.AMDGPU.csdata,"",@progbits
; Kernel info:
; codeLenInByte = 0
; TotalNumSgprs: 6
; NumVgprs: 0
; NumAgprs: 0
; TotalNumVgprs: 0
; ScratchSize: 0
; MemoryBound: 0
; FloatMode: 240
; IeeeMode: 1
; LDSByteSize: 0 bytes/workgroup (compile time only)
; SGPRBlocks: 0
; VGPRBlocks: 0
; NumSGPRsForWavesPerEU: 6
; NumVGPRsForWavesPerEU: 1
; AccumOffset: 4
; Occupancy: 8
; WaveLimiterHint : 0
; COMPUTE_PGM_RSRC2:SCRATCH_EN: 0
; COMPUTE_PGM_RSRC2:USER_SGPR: 2
; COMPUTE_PGM_RSRC2:TRAP_HANDLER: 0
; COMPUTE_PGM_RSRC2:TGID_X_EN: 1
; COMPUTE_PGM_RSRC2:TGID_Y_EN: 0
; COMPUTE_PGM_RSRC2:TGID_Z_EN: 0
; COMPUTE_PGM_RSRC2:TIDIG_COMP_CNT: 0
; COMPUTE_PGM_RSRC3_GFX90A:ACCUM_OFFSET: 0
; COMPUTE_PGM_RSRC3_GFX90A:TG_SPLIT: 0
	.section	.text._ZN7rocprim17ROCPRIM_400000_NS6detail17trampoline_kernelINS0_14default_configENS1_22reduce_config_selectorItEEZNS1_11reduce_implILb1ES3_N6thrust23THRUST_200600_302600_NS6detail15normal_iteratorINS8_10device_ptrItEEEEPtt9plus_mod3ItEEE10hipError_tPvRmT1_T2_T3_mT4_P12ihipStream_tbEUlT_E0_NS1_11comp_targetILNS1_3genE8ELNS1_11target_archE1030ELNS1_3gpuE2ELNS1_3repE0EEENS1_30default_config_static_selectorELNS0_4arch9wavefront6targetE1EEEvSK_,"axG",@progbits,_ZN7rocprim17ROCPRIM_400000_NS6detail17trampoline_kernelINS0_14default_configENS1_22reduce_config_selectorItEEZNS1_11reduce_implILb1ES3_N6thrust23THRUST_200600_302600_NS6detail15normal_iteratorINS8_10device_ptrItEEEEPtt9plus_mod3ItEEE10hipError_tPvRmT1_T2_T3_mT4_P12ihipStream_tbEUlT_E0_NS1_11comp_targetILNS1_3genE8ELNS1_11target_archE1030ELNS1_3gpuE2ELNS1_3repE0EEENS1_30default_config_static_selectorELNS0_4arch9wavefront6targetE1EEEvSK_,comdat
	.protected	_ZN7rocprim17ROCPRIM_400000_NS6detail17trampoline_kernelINS0_14default_configENS1_22reduce_config_selectorItEEZNS1_11reduce_implILb1ES3_N6thrust23THRUST_200600_302600_NS6detail15normal_iteratorINS8_10device_ptrItEEEEPtt9plus_mod3ItEEE10hipError_tPvRmT1_T2_T3_mT4_P12ihipStream_tbEUlT_E0_NS1_11comp_targetILNS1_3genE8ELNS1_11target_archE1030ELNS1_3gpuE2ELNS1_3repE0EEENS1_30default_config_static_selectorELNS0_4arch9wavefront6targetE1EEEvSK_ ; -- Begin function _ZN7rocprim17ROCPRIM_400000_NS6detail17trampoline_kernelINS0_14default_configENS1_22reduce_config_selectorItEEZNS1_11reduce_implILb1ES3_N6thrust23THRUST_200600_302600_NS6detail15normal_iteratorINS8_10device_ptrItEEEEPtt9plus_mod3ItEEE10hipError_tPvRmT1_T2_T3_mT4_P12ihipStream_tbEUlT_E0_NS1_11comp_targetILNS1_3genE8ELNS1_11target_archE1030ELNS1_3gpuE2ELNS1_3repE0EEENS1_30default_config_static_selectorELNS0_4arch9wavefront6targetE1EEEvSK_
	.globl	_ZN7rocprim17ROCPRIM_400000_NS6detail17trampoline_kernelINS0_14default_configENS1_22reduce_config_selectorItEEZNS1_11reduce_implILb1ES3_N6thrust23THRUST_200600_302600_NS6detail15normal_iteratorINS8_10device_ptrItEEEEPtt9plus_mod3ItEEE10hipError_tPvRmT1_T2_T3_mT4_P12ihipStream_tbEUlT_E0_NS1_11comp_targetILNS1_3genE8ELNS1_11target_archE1030ELNS1_3gpuE2ELNS1_3repE0EEENS1_30default_config_static_selectorELNS0_4arch9wavefront6targetE1EEEvSK_
	.p2align	8
	.type	_ZN7rocprim17ROCPRIM_400000_NS6detail17trampoline_kernelINS0_14default_configENS1_22reduce_config_selectorItEEZNS1_11reduce_implILb1ES3_N6thrust23THRUST_200600_302600_NS6detail15normal_iteratorINS8_10device_ptrItEEEEPtt9plus_mod3ItEEE10hipError_tPvRmT1_T2_T3_mT4_P12ihipStream_tbEUlT_E0_NS1_11comp_targetILNS1_3genE8ELNS1_11target_archE1030ELNS1_3gpuE2ELNS1_3repE0EEENS1_30default_config_static_selectorELNS0_4arch9wavefront6targetE1EEEvSK_,@function
_ZN7rocprim17ROCPRIM_400000_NS6detail17trampoline_kernelINS0_14default_configENS1_22reduce_config_selectorItEEZNS1_11reduce_implILb1ES3_N6thrust23THRUST_200600_302600_NS6detail15normal_iteratorINS8_10device_ptrItEEEEPtt9plus_mod3ItEEE10hipError_tPvRmT1_T2_T3_mT4_P12ihipStream_tbEUlT_E0_NS1_11comp_targetILNS1_3genE8ELNS1_11target_archE1030ELNS1_3gpuE2ELNS1_3repE0EEENS1_30default_config_static_selectorELNS0_4arch9wavefront6targetE1EEEvSK_: ; @_ZN7rocprim17ROCPRIM_400000_NS6detail17trampoline_kernelINS0_14default_configENS1_22reduce_config_selectorItEEZNS1_11reduce_implILb1ES3_N6thrust23THRUST_200600_302600_NS6detail15normal_iteratorINS8_10device_ptrItEEEEPtt9plus_mod3ItEEE10hipError_tPvRmT1_T2_T3_mT4_P12ihipStream_tbEUlT_E0_NS1_11comp_targetILNS1_3genE8ELNS1_11target_archE1030ELNS1_3gpuE2ELNS1_3repE0EEENS1_30default_config_static_selectorELNS0_4arch9wavefront6targetE1EEEvSK_
; %bb.0:
	.section	.rodata,"a",@progbits
	.p2align	6, 0x0
	.amdhsa_kernel _ZN7rocprim17ROCPRIM_400000_NS6detail17trampoline_kernelINS0_14default_configENS1_22reduce_config_selectorItEEZNS1_11reduce_implILb1ES3_N6thrust23THRUST_200600_302600_NS6detail15normal_iteratorINS8_10device_ptrItEEEEPtt9plus_mod3ItEEE10hipError_tPvRmT1_T2_T3_mT4_P12ihipStream_tbEUlT_E0_NS1_11comp_targetILNS1_3genE8ELNS1_11target_archE1030ELNS1_3gpuE2ELNS1_3repE0EEENS1_30default_config_static_selectorELNS0_4arch9wavefront6targetE1EEEvSK_
		.amdhsa_group_segment_fixed_size 0
		.amdhsa_private_segment_fixed_size 0
		.amdhsa_kernarg_size 64
		.amdhsa_user_sgpr_count 2
		.amdhsa_user_sgpr_dispatch_ptr 0
		.amdhsa_user_sgpr_queue_ptr 0
		.amdhsa_user_sgpr_kernarg_segment_ptr 1
		.amdhsa_user_sgpr_dispatch_id 0
		.amdhsa_user_sgpr_kernarg_preload_length 0
		.amdhsa_user_sgpr_kernarg_preload_offset 0
		.amdhsa_user_sgpr_private_segment_size 0
		.amdhsa_uses_dynamic_stack 0
		.amdhsa_enable_private_segment 0
		.amdhsa_system_sgpr_workgroup_id_x 1
		.amdhsa_system_sgpr_workgroup_id_y 0
		.amdhsa_system_sgpr_workgroup_id_z 0
		.amdhsa_system_sgpr_workgroup_info 0
		.amdhsa_system_vgpr_workitem_id 0
		.amdhsa_next_free_vgpr 1
		.amdhsa_next_free_sgpr 0
		.amdhsa_accum_offset 4
		.amdhsa_reserve_vcc 0
		.amdhsa_float_round_mode_32 0
		.amdhsa_float_round_mode_16_64 0
		.amdhsa_float_denorm_mode_32 3
		.amdhsa_float_denorm_mode_16_64 3
		.amdhsa_dx10_clamp 1
		.amdhsa_ieee_mode 1
		.amdhsa_fp16_overflow 0
		.amdhsa_tg_split 0
		.amdhsa_exception_fp_ieee_invalid_op 0
		.amdhsa_exception_fp_denorm_src 0
		.amdhsa_exception_fp_ieee_div_zero 0
		.amdhsa_exception_fp_ieee_overflow 0
		.amdhsa_exception_fp_ieee_underflow 0
		.amdhsa_exception_fp_ieee_inexact 0
		.amdhsa_exception_int_div_zero 0
	.end_amdhsa_kernel
	.section	.text._ZN7rocprim17ROCPRIM_400000_NS6detail17trampoline_kernelINS0_14default_configENS1_22reduce_config_selectorItEEZNS1_11reduce_implILb1ES3_N6thrust23THRUST_200600_302600_NS6detail15normal_iteratorINS8_10device_ptrItEEEEPtt9plus_mod3ItEEE10hipError_tPvRmT1_T2_T3_mT4_P12ihipStream_tbEUlT_E0_NS1_11comp_targetILNS1_3genE8ELNS1_11target_archE1030ELNS1_3gpuE2ELNS1_3repE0EEENS1_30default_config_static_selectorELNS0_4arch9wavefront6targetE1EEEvSK_,"axG",@progbits,_ZN7rocprim17ROCPRIM_400000_NS6detail17trampoline_kernelINS0_14default_configENS1_22reduce_config_selectorItEEZNS1_11reduce_implILb1ES3_N6thrust23THRUST_200600_302600_NS6detail15normal_iteratorINS8_10device_ptrItEEEEPtt9plus_mod3ItEEE10hipError_tPvRmT1_T2_T3_mT4_P12ihipStream_tbEUlT_E0_NS1_11comp_targetILNS1_3genE8ELNS1_11target_archE1030ELNS1_3gpuE2ELNS1_3repE0EEENS1_30default_config_static_selectorELNS0_4arch9wavefront6targetE1EEEvSK_,comdat
.Lfunc_end865:
	.size	_ZN7rocprim17ROCPRIM_400000_NS6detail17trampoline_kernelINS0_14default_configENS1_22reduce_config_selectorItEEZNS1_11reduce_implILb1ES3_N6thrust23THRUST_200600_302600_NS6detail15normal_iteratorINS8_10device_ptrItEEEEPtt9plus_mod3ItEEE10hipError_tPvRmT1_T2_T3_mT4_P12ihipStream_tbEUlT_E0_NS1_11comp_targetILNS1_3genE8ELNS1_11target_archE1030ELNS1_3gpuE2ELNS1_3repE0EEENS1_30default_config_static_selectorELNS0_4arch9wavefront6targetE1EEEvSK_, .Lfunc_end865-_ZN7rocprim17ROCPRIM_400000_NS6detail17trampoline_kernelINS0_14default_configENS1_22reduce_config_selectorItEEZNS1_11reduce_implILb1ES3_N6thrust23THRUST_200600_302600_NS6detail15normal_iteratorINS8_10device_ptrItEEEEPtt9plus_mod3ItEEE10hipError_tPvRmT1_T2_T3_mT4_P12ihipStream_tbEUlT_E0_NS1_11comp_targetILNS1_3genE8ELNS1_11target_archE1030ELNS1_3gpuE2ELNS1_3repE0EEENS1_30default_config_static_selectorELNS0_4arch9wavefront6targetE1EEEvSK_
                                        ; -- End function
	.set _ZN7rocprim17ROCPRIM_400000_NS6detail17trampoline_kernelINS0_14default_configENS1_22reduce_config_selectorItEEZNS1_11reduce_implILb1ES3_N6thrust23THRUST_200600_302600_NS6detail15normal_iteratorINS8_10device_ptrItEEEEPtt9plus_mod3ItEEE10hipError_tPvRmT1_T2_T3_mT4_P12ihipStream_tbEUlT_E0_NS1_11comp_targetILNS1_3genE8ELNS1_11target_archE1030ELNS1_3gpuE2ELNS1_3repE0EEENS1_30default_config_static_selectorELNS0_4arch9wavefront6targetE1EEEvSK_.num_vgpr, 0
	.set _ZN7rocprim17ROCPRIM_400000_NS6detail17trampoline_kernelINS0_14default_configENS1_22reduce_config_selectorItEEZNS1_11reduce_implILb1ES3_N6thrust23THRUST_200600_302600_NS6detail15normal_iteratorINS8_10device_ptrItEEEEPtt9plus_mod3ItEEE10hipError_tPvRmT1_T2_T3_mT4_P12ihipStream_tbEUlT_E0_NS1_11comp_targetILNS1_3genE8ELNS1_11target_archE1030ELNS1_3gpuE2ELNS1_3repE0EEENS1_30default_config_static_selectorELNS0_4arch9wavefront6targetE1EEEvSK_.num_agpr, 0
	.set _ZN7rocprim17ROCPRIM_400000_NS6detail17trampoline_kernelINS0_14default_configENS1_22reduce_config_selectorItEEZNS1_11reduce_implILb1ES3_N6thrust23THRUST_200600_302600_NS6detail15normal_iteratorINS8_10device_ptrItEEEEPtt9plus_mod3ItEEE10hipError_tPvRmT1_T2_T3_mT4_P12ihipStream_tbEUlT_E0_NS1_11comp_targetILNS1_3genE8ELNS1_11target_archE1030ELNS1_3gpuE2ELNS1_3repE0EEENS1_30default_config_static_selectorELNS0_4arch9wavefront6targetE1EEEvSK_.numbered_sgpr, 0
	.set _ZN7rocprim17ROCPRIM_400000_NS6detail17trampoline_kernelINS0_14default_configENS1_22reduce_config_selectorItEEZNS1_11reduce_implILb1ES3_N6thrust23THRUST_200600_302600_NS6detail15normal_iteratorINS8_10device_ptrItEEEEPtt9plus_mod3ItEEE10hipError_tPvRmT1_T2_T3_mT4_P12ihipStream_tbEUlT_E0_NS1_11comp_targetILNS1_3genE8ELNS1_11target_archE1030ELNS1_3gpuE2ELNS1_3repE0EEENS1_30default_config_static_selectorELNS0_4arch9wavefront6targetE1EEEvSK_.num_named_barrier, 0
	.set _ZN7rocprim17ROCPRIM_400000_NS6detail17trampoline_kernelINS0_14default_configENS1_22reduce_config_selectorItEEZNS1_11reduce_implILb1ES3_N6thrust23THRUST_200600_302600_NS6detail15normal_iteratorINS8_10device_ptrItEEEEPtt9plus_mod3ItEEE10hipError_tPvRmT1_T2_T3_mT4_P12ihipStream_tbEUlT_E0_NS1_11comp_targetILNS1_3genE8ELNS1_11target_archE1030ELNS1_3gpuE2ELNS1_3repE0EEENS1_30default_config_static_selectorELNS0_4arch9wavefront6targetE1EEEvSK_.private_seg_size, 0
	.set _ZN7rocprim17ROCPRIM_400000_NS6detail17trampoline_kernelINS0_14default_configENS1_22reduce_config_selectorItEEZNS1_11reduce_implILb1ES3_N6thrust23THRUST_200600_302600_NS6detail15normal_iteratorINS8_10device_ptrItEEEEPtt9plus_mod3ItEEE10hipError_tPvRmT1_T2_T3_mT4_P12ihipStream_tbEUlT_E0_NS1_11comp_targetILNS1_3genE8ELNS1_11target_archE1030ELNS1_3gpuE2ELNS1_3repE0EEENS1_30default_config_static_selectorELNS0_4arch9wavefront6targetE1EEEvSK_.uses_vcc, 0
	.set _ZN7rocprim17ROCPRIM_400000_NS6detail17trampoline_kernelINS0_14default_configENS1_22reduce_config_selectorItEEZNS1_11reduce_implILb1ES3_N6thrust23THRUST_200600_302600_NS6detail15normal_iteratorINS8_10device_ptrItEEEEPtt9plus_mod3ItEEE10hipError_tPvRmT1_T2_T3_mT4_P12ihipStream_tbEUlT_E0_NS1_11comp_targetILNS1_3genE8ELNS1_11target_archE1030ELNS1_3gpuE2ELNS1_3repE0EEENS1_30default_config_static_selectorELNS0_4arch9wavefront6targetE1EEEvSK_.uses_flat_scratch, 0
	.set _ZN7rocprim17ROCPRIM_400000_NS6detail17trampoline_kernelINS0_14default_configENS1_22reduce_config_selectorItEEZNS1_11reduce_implILb1ES3_N6thrust23THRUST_200600_302600_NS6detail15normal_iteratorINS8_10device_ptrItEEEEPtt9plus_mod3ItEEE10hipError_tPvRmT1_T2_T3_mT4_P12ihipStream_tbEUlT_E0_NS1_11comp_targetILNS1_3genE8ELNS1_11target_archE1030ELNS1_3gpuE2ELNS1_3repE0EEENS1_30default_config_static_selectorELNS0_4arch9wavefront6targetE1EEEvSK_.has_dyn_sized_stack, 0
	.set _ZN7rocprim17ROCPRIM_400000_NS6detail17trampoline_kernelINS0_14default_configENS1_22reduce_config_selectorItEEZNS1_11reduce_implILb1ES3_N6thrust23THRUST_200600_302600_NS6detail15normal_iteratorINS8_10device_ptrItEEEEPtt9plus_mod3ItEEE10hipError_tPvRmT1_T2_T3_mT4_P12ihipStream_tbEUlT_E0_NS1_11comp_targetILNS1_3genE8ELNS1_11target_archE1030ELNS1_3gpuE2ELNS1_3repE0EEENS1_30default_config_static_selectorELNS0_4arch9wavefront6targetE1EEEvSK_.has_recursion, 0
	.set _ZN7rocprim17ROCPRIM_400000_NS6detail17trampoline_kernelINS0_14default_configENS1_22reduce_config_selectorItEEZNS1_11reduce_implILb1ES3_N6thrust23THRUST_200600_302600_NS6detail15normal_iteratorINS8_10device_ptrItEEEEPtt9plus_mod3ItEEE10hipError_tPvRmT1_T2_T3_mT4_P12ihipStream_tbEUlT_E0_NS1_11comp_targetILNS1_3genE8ELNS1_11target_archE1030ELNS1_3gpuE2ELNS1_3repE0EEENS1_30default_config_static_selectorELNS0_4arch9wavefront6targetE1EEEvSK_.has_indirect_call, 0
	.section	.AMDGPU.csdata,"",@progbits
; Kernel info:
; codeLenInByte = 0
; TotalNumSgprs: 6
; NumVgprs: 0
; NumAgprs: 0
; TotalNumVgprs: 0
; ScratchSize: 0
; MemoryBound: 0
; FloatMode: 240
; IeeeMode: 1
; LDSByteSize: 0 bytes/workgroup (compile time only)
; SGPRBlocks: 0
; VGPRBlocks: 0
; NumSGPRsForWavesPerEU: 6
; NumVGPRsForWavesPerEU: 1
; AccumOffset: 4
; Occupancy: 8
; WaveLimiterHint : 0
; COMPUTE_PGM_RSRC2:SCRATCH_EN: 0
; COMPUTE_PGM_RSRC2:USER_SGPR: 2
; COMPUTE_PGM_RSRC2:TRAP_HANDLER: 0
; COMPUTE_PGM_RSRC2:TGID_X_EN: 1
; COMPUTE_PGM_RSRC2:TGID_Y_EN: 0
; COMPUTE_PGM_RSRC2:TGID_Z_EN: 0
; COMPUTE_PGM_RSRC2:TIDIG_COMP_CNT: 0
; COMPUTE_PGM_RSRC3_GFX90A:ACCUM_OFFSET: 0
; COMPUTE_PGM_RSRC3_GFX90A:TG_SPLIT: 0
	.section	.text._ZN7rocprim17ROCPRIM_400000_NS6detail17trampoline_kernelINS0_14default_configENS1_22reduce_config_selectorItEEZNS1_11reduce_implILb1ES3_N6thrust23THRUST_200600_302600_NS6detail15normal_iteratorINS8_10device_ptrItEEEEPtt9plus_mod3ItEEE10hipError_tPvRmT1_T2_T3_mT4_P12ihipStream_tbEUlT_E1_NS1_11comp_targetILNS1_3genE0ELNS1_11target_archE4294967295ELNS1_3gpuE0ELNS1_3repE0EEENS1_30default_config_static_selectorELNS0_4arch9wavefront6targetE1EEEvSK_,"axG",@progbits,_ZN7rocprim17ROCPRIM_400000_NS6detail17trampoline_kernelINS0_14default_configENS1_22reduce_config_selectorItEEZNS1_11reduce_implILb1ES3_N6thrust23THRUST_200600_302600_NS6detail15normal_iteratorINS8_10device_ptrItEEEEPtt9plus_mod3ItEEE10hipError_tPvRmT1_T2_T3_mT4_P12ihipStream_tbEUlT_E1_NS1_11comp_targetILNS1_3genE0ELNS1_11target_archE4294967295ELNS1_3gpuE0ELNS1_3repE0EEENS1_30default_config_static_selectorELNS0_4arch9wavefront6targetE1EEEvSK_,comdat
	.protected	_ZN7rocprim17ROCPRIM_400000_NS6detail17trampoline_kernelINS0_14default_configENS1_22reduce_config_selectorItEEZNS1_11reduce_implILb1ES3_N6thrust23THRUST_200600_302600_NS6detail15normal_iteratorINS8_10device_ptrItEEEEPtt9plus_mod3ItEEE10hipError_tPvRmT1_T2_T3_mT4_P12ihipStream_tbEUlT_E1_NS1_11comp_targetILNS1_3genE0ELNS1_11target_archE4294967295ELNS1_3gpuE0ELNS1_3repE0EEENS1_30default_config_static_selectorELNS0_4arch9wavefront6targetE1EEEvSK_ ; -- Begin function _ZN7rocprim17ROCPRIM_400000_NS6detail17trampoline_kernelINS0_14default_configENS1_22reduce_config_selectorItEEZNS1_11reduce_implILb1ES3_N6thrust23THRUST_200600_302600_NS6detail15normal_iteratorINS8_10device_ptrItEEEEPtt9plus_mod3ItEEE10hipError_tPvRmT1_T2_T3_mT4_P12ihipStream_tbEUlT_E1_NS1_11comp_targetILNS1_3genE0ELNS1_11target_archE4294967295ELNS1_3gpuE0ELNS1_3repE0EEENS1_30default_config_static_selectorELNS0_4arch9wavefront6targetE1EEEvSK_
	.globl	_ZN7rocprim17ROCPRIM_400000_NS6detail17trampoline_kernelINS0_14default_configENS1_22reduce_config_selectorItEEZNS1_11reduce_implILb1ES3_N6thrust23THRUST_200600_302600_NS6detail15normal_iteratorINS8_10device_ptrItEEEEPtt9plus_mod3ItEEE10hipError_tPvRmT1_T2_T3_mT4_P12ihipStream_tbEUlT_E1_NS1_11comp_targetILNS1_3genE0ELNS1_11target_archE4294967295ELNS1_3gpuE0ELNS1_3repE0EEENS1_30default_config_static_selectorELNS0_4arch9wavefront6targetE1EEEvSK_
	.p2align	8
	.type	_ZN7rocprim17ROCPRIM_400000_NS6detail17trampoline_kernelINS0_14default_configENS1_22reduce_config_selectorItEEZNS1_11reduce_implILb1ES3_N6thrust23THRUST_200600_302600_NS6detail15normal_iteratorINS8_10device_ptrItEEEEPtt9plus_mod3ItEEE10hipError_tPvRmT1_T2_T3_mT4_P12ihipStream_tbEUlT_E1_NS1_11comp_targetILNS1_3genE0ELNS1_11target_archE4294967295ELNS1_3gpuE0ELNS1_3repE0EEENS1_30default_config_static_selectorELNS0_4arch9wavefront6targetE1EEEvSK_,@function
_ZN7rocprim17ROCPRIM_400000_NS6detail17trampoline_kernelINS0_14default_configENS1_22reduce_config_selectorItEEZNS1_11reduce_implILb1ES3_N6thrust23THRUST_200600_302600_NS6detail15normal_iteratorINS8_10device_ptrItEEEEPtt9plus_mod3ItEEE10hipError_tPvRmT1_T2_T3_mT4_P12ihipStream_tbEUlT_E1_NS1_11comp_targetILNS1_3genE0ELNS1_11target_archE4294967295ELNS1_3gpuE0ELNS1_3repE0EEENS1_30default_config_static_selectorELNS0_4arch9wavefront6targetE1EEEvSK_: ; @_ZN7rocprim17ROCPRIM_400000_NS6detail17trampoline_kernelINS0_14default_configENS1_22reduce_config_selectorItEEZNS1_11reduce_implILb1ES3_N6thrust23THRUST_200600_302600_NS6detail15normal_iteratorINS8_10device_ptrItEEEEPtt9plus_mod3ItEEE10hipError_tPvRmT1_T2_T3_mT4_P12ihipStream_tbEUlT_E1_NS1_11comp_targetILNS1_3genE0ELNS1_11target_archE4294967295ELNS1_3gpuE0ELNS1_3repE0EEENS1_30default_config_static_selectorELNS0_4arch9wavefront6targetE1EEEvSK_
; %bb.0:
	s_load_dword s80, s[0:1], 0x4
	s_load_dwordx4 s[68:71], s[0:1], 0x8
	s_load_dword s33, s[0:1], 0x20
	s_load_dwordx2 s[66:67], s[0:1], 0x28
	s_waitcnt lgkmcnt(0)
	s_cmp_lt_i32 s80, 8
	s_cbranch_scc1 .LBB866_10
; %bb.1:
	s_cmp_gt_i32 s80, 31
	s_cbranch_scc0 .LBB866_11
; %bb.2:
	s_cmp_gt_i32 s80, 63
	s_cbranch_scc0 .LBB866_12
; %bb.3:
	s_cmp_eq_u32 s80, 64
	s_mov_b64 s[40:41], 0
	s_cbranch_scc0 .LBB866_13
; %bb.4:
	s_mov_b32 s3, 0
	s_lshl_b32 s4, s2, 13
	s_mov_b32 s5, s3
	s_lshr_b64 s[6:7], s[70:71], 13
	s_lshl_b64 s[8:9], s[4:5], 1
	s_add_u32 s42, s68, s8
	s_addc_u32 s43, s69, s9
	s_cmp_lg_u64 s[6:7], s[2:3]
	s_cbranch_scc0 .LBB866_22
; %bb.5:
	v_lshlrev_b32_e32 v2, 1, v0
	global_load_ushort v1, v2, s[42:43]
	global_load_ushort v8, v2, s[42:43] offset:256
	v_mov_b32_e32 v3, 0
	v_lshl_add_u64 v[4:5], s[42:43], 0, v[2:3]
	global_load_ushort v9, v2, s[42:43] offset:512
	global_load_ushort v10, v2, s[42:43] offset:768
	;; [unrolled: 1-line block ×14, first 2 shown]
	s_movk_i32 s5, 0x2000
	s_waitcnt vmcnt(15)
	v_lshlrev_b32_e32 v2, 1, v1
	v_lshl_add_u64 v[6:7], s[66:67], 0, v[2:3]
	s_waitcnt vmcnt(14)
	v_lshlrev_b32_e32 v2, 1, v8
	v_lshl_add_u64 v[6:7], v[6:7], 0, v[2:3]
	global_load_ushort v1, v[6:7], off
	s_waitcnt vmcnt(0)
	v_lshlrev_b32_e32 v2, 1, v1
	v_lshl_add_u64 v[6:7], s[66:67], 0, v[2:3]
	v_lshlrev_b32_e32 v2, 1, v9
	v_lshl_add_u64 v[6:7], v[6:7], 0, v[2:3]
	global_load_ushort v1, v[6:7], off
	s_waitcnt vmcnt(0)
	v_lshlrev_b32_e32 v2, 1, v1
	v_lshl_add_u64 v[6:7], s[66:67], 0, v[2:3]
	;; [unrolled: 6-line block ×14, first 2 shown]
	v_lshlrev_b32_e32 v2, 1, v22
	v_lshl_add_u64 v[6:7], v[6:7], 0, v[2:3]
	global_load_ushort v1, v[6:7], off
	v_add_co_u32_e32 v6, vcc, s5, v4
	s_movk_i32 s5, 0x1000
	s_nop 0
	v_addc_co_u32_e32 v7, vcc, 0, v5, vcc
	global_load_ushort v10, v[6:7], off offset:-4096
	global_load_ushort v12, v[6:7], off
	global_load_ushort v13, v[6:7], off offset:256
	global_load_ushort v14, v[6:7], off offset:512
	;; [unrolled: 1-line block ×6, first 2 shown]
	s_waitcnt vmcnt(8)
	v_lshlrev_b32_e32 v2, 1, v1
	v_lshl_add_u64 v[8:9], s[66:67], 0, v[2:3]
	s_waitcnt vmcnt(7)
	v_lshlrev_b32_e32 v2, 1, v10
	v_lshl_add_u64 v[8:9], v[8:9], 0, v[2:3]
	global_load_ushort v1, v[8:9], off
	v_add_co_u32_e32 v8, vcc, s5, v4
	s_movk_i32 s5, 0x3000
	s_nop 0
	v_addc_co_u32_e32 v9, vcc, 0, v5, vcc
	global_load_ushort v19, v[8:9], off offset:256
	global_load_ushort v20, v[8:9], off offset:512
	global_load_ushort v21, v[8:9], off offset:768
	global_load_ushort v22, v[8:9], off offset:1024
	global_load_ushort v23, v[8:9], off offset:1280
	global_load_ushort v24, v[8:9], off offset:1536
	global_load_ushort v25, v[8:9], off offset:1792
	global_load_ushort v26, v[8:9], off offset:2048
	v_add_co_u32_e32 v4, vcc, s5, v4
	s_waitcnt vmcnt(8)
	v_lshlrev_b32_e32 v2, 1, v1
	v_lshl_add_u64 v[10:11], s[66:67], 0, v[2:3]
	s_waitcnt vmcnt(7)
	v_lshlrev_b32_e32 v2, 1, v19
	v_lshl_add_u64 v[10:11], v[10:11], 0, v[2:3]
	global_load_ushort v1, v[10:11], off
	v_addc_co_u32_e32 v5, vcc, 0, v5, vcc
	s_waitcnt vmcnt(0)
	v_lshlrev_b32_e32 v2, 1, v1
	v_lshl_add_u64 v[10:11], s[66:67], 0, v[2:3]
	v_lshlrev_b32_e32 v2, 1, v20
	v_lshl_add_u64 v[10:11], v[10:11], 0, v[2:3]
	global_load_ushort v1, v[10:11], off
	s_waitcnt vmcnt(0)
	v_lshlrev_b32_e32 v2, 1, v1
	v_lshl_add_u64 v[10:11], s[66:67], 0, v[2:3]
	v_lshlrev_b32_e32 v2, 1, v21
	v_lshl_add_u64 v[10:11], v[10:11], 0, v[2:3]
	global_load_ushort v1, v[10:11], off
	;; [unrolled: 6-line block ×7, first 2 shown]
	global_load_ushort v19, v[8:9], off offset:2304
	s_nop 0
	global_load_ushort v10, v[8:9], off offset:2560
	global_load_ushort v11, v[8:9], off offset:2816
	;; [unrolled: 1-line block ×6, first 2 shown]
	global_load_ushort v24, v[4:5], off
	s_waitcnt vmcnt(8)
	v_lshlrev_b32_e32 v2, 1, v1
	v_lshl_add_u64 v[8:9], s[66:67], 0, v[2:3]
	s_waitcnt vmcnt(7)
	v_lshlrev_b32_e32 v2, 1, v19
	v_lshl_add_u64 v[8:9], v[8:9], 0, v[2:3]
	global_load_ushort v1, v[8:9], off
	s_waitcnt vmcnt(0)
	v_lshlrev_b32_e32 v2, 1, v1
	v_lshl_add_u64 v[8:9], s[66:67], 0, v[2:3]
	v_lshlrev_b32_e32 v2, 1, v10
	v_lshl_add_u64 v[8:9], v[8:9], 0, v[2:3]
	global_load_ushort v1, v[8:9], off
	s_waitcnt vmcnt(0)
	v_lshlrev_b32_e32 v2, 1, v1
	v_lshl_add_u64 v[8:9], s[66:67], 0, v[2:3]
	;; [unrolled: 6-line block ×13, first 2 shown]
	v_lshlrev_b32_e32 v2, 1, v18
	v_lshl_add_u64 v[8:9], v[8:9], 0, v[2:3]
	global_load_ushort v1, v[8:9], off
	global_load_ushort v10, v[6:7], off offset:1792
	global_load_ushort v11, v[6:7], off offset:2048
	global_load_ushort v12, v[6:7], off offset:2304
	global_load_ushort v13, v[6:7], off offset:2560
	global_load_ushort v14, v[6:7], off offset:2816
	global_load_ushort v15, v[6:7], off offset:3072
	global_load_ushort v16, v[6:7], off offset:3328
	global_load_ushort v17, v[6:7], off offset:3584
	s_waitcnt vmcnt(8)
	v_lshlrev_b32_e32 v2, 1, v1
	v_lshl_add_u64 v[8:9], s[66:67], 0, v[2:3]
	s_waitcnt vmcnt(7)
	v_lshlrev_b32_e32 v2, 1, v10
	v_lshl_add_u64 v[8:9], v[8:9], 0, v[2:3]
	global_load_ushort v1, v[8:9], off
	s_waitcnt vmcnt(0)
	v_lshlrev_b32_e32 v2, 1, v1
	v_lshl_add_u64 v[8:9], s[66:67], 0, v[2:3]
	v_lshlrev_b32_e32 v2, 1, v11
	v_lshl_add_u64 v[8:9], v[8:9], 0, v[2:3]
	global_load_ushort v1, v[8:9], off
	s_waitcnt vmcnt(0)
	v_lshlrev_b32_e32 v2, 1, v1
	v_lshl_add_u64 v[8:9], s[66:67], 0, v[2:3]
	;; [unrolled: 6-line block ×7, first 2 shown]
	v_lshlrev_b32_e32 v2, 1, v17
	v_lshl_add_u64 v[8:9], v[8:9], 0, v[2:3]
	global_load_ushort v1, v[8:9], off
	global_load_ushort v10, v[6:7], off offset:3840
	s_waitcnt vmcnt(1)
	v_lshlrev_b32_e32 v2, 1, v1
	v_lshl_add_u64 v[6:7], s[66:67], 0, v[2:3]
	s_waitcnt vmcnt(0)
	v_lshlrev_b32_e32 v2, 1, v10
	v_lshl_add_u64 v[6:7], v[6:7], 0, v[2:3]
	global_load_ushort v1, v[6:7], off
	s_waitcnt vmcnt(0)
	v_lshlrev_b32_e32 v2, 1, v1
	v_lshl_add_u64 v[6:7], s[66:67], 0, v[2:3]
	v_lshlrev_b32_e32 v2, 1, v24
	v_lshl_add_u64 v[6:7], v[6:7], 0, v[2:3]
	global_load_ushort v1, v[6:7], off
	global_load_ushort v8, v[4:5], off offset:256
	global_load_ushort v9, v[4:5], off offset:512
	;; [unrolled: 1-line block ×8, first 2 shown]
	s_waitcnt vmcnt(8)
	v_lshlrev_b32_e32 v2, 1, v1
	v_lshl_add_u64 v[6:7], s[66:67], 0, v[2:3]
	s_waitcnt vmcnt(7)
	v_lshlrev_b32_e32 v2, 1, v8
	v_lshl_add_u64 v[6:7], v[6:7], 0, v[2:3]
	global_load_ushort v1, v[6:7], off
	s_waitcnt vmcnt(0)
	v_lshlrev_b32_e32 v2, 1, v1
	v_lshl_add_u64 v[6:7], s[66:67], 0, v[2:3]
	v_lshlrev_b32_e32 v2, 1, v9
	v_lshl_add_u64 v[6:7], v[6:7], 0, v[2:3]
	global_load_ushort v1, v[6:7], off
	s_waitcnt vmcnt(0)
	v_lshlrev_b32_e32 v2, 1, v1
	v_lshl_add_u64 v[6:7], s[66:67], 0, v[2:3]
	;; [unrolled: 6-line block ×7, first 2 shown]
	v_lshlrev_b32_e32 v2, 1, v15
	v_lshl_add_u64 v[6:7], v[6:7], 0, v[2:3]
	global_load_ushort v1, v[6:7], off
	global_load_ushort v8, v[4:5], off offset:2304
	global_load_ushort v9, v[4:5], off offset:2560
	global_load_ushort v10, v[4:5], off offset:2816
	global_load_ushort v11, v[4:5], off offset:3072
	global_load_ushort v12, v[4:5], off offset:3328
	global_load_ushort v13, v[4:5], off offset:3584
	global_load_ushort v14, v[4:5], off offset:3840
	v_mov_b32_e32 v6, 1
	s_waitcnt vmcnt(7)
	v_lshlrev_b32_e32 v2, 1, v1
	v_lshl_add_u64 v[4:5], s[66:67], 0, v[2:3]
	s_waitcnt vmcnt(6)
	v_lshlrev_b32_e32 v2, 1, v8
	v_lshl_add_u64 v[4:5], v[4:5], 0, v[2:3]
	global_load_ushort v1, v[4:5], off
	s_waitcnt vmcnt(0)
	v_lshlrev_b32_e32 v2, 1, v1
	v_lshl_add_u64 v[4:5], s[66:67], 0, v[2:3]
	v_lshlrev_b32_e32 v2, 1, v9
	v_lshl_add_u64 v[4:5], v[4:5], 0, v[2:3]
	global_load_ushort v1, v[4:5], off
	s_waitcnt vmcnt(0)
	v_lshlrev_b32_e32 v2, 1, v1
	v_lshl_add_u64 v[4:5], s[66:67], 0, v[2:3]
	v_lshlrev_b32_e32 v2, 1, v10
	v_lshl_add_u64 v[4:5], v[4:5], 0, v[2:3]
	global_load_ushort v1, v[4:5], off
	s_waitcnt vmcnt(0)
	v_lshlrev_b32_e32 v2, 1, v1
	v_lshl_add_u64 v[4:5], s[66:67], 0, v[2:3]
	v_lshlrev_b32_e32 v2, 1, v11
	v_lshl_add_u64 v[4:5], v[4:5], 0, v[2:3]
	global_load_ushort v1, v[4:5], off
	s_waitcnt vmcnt(0)
	v_lshlrev_b32_e32 v2, 1, v1
	v_lshl_add_u64 v[4:5], s[66:67], 0, v[2:3]
	v_lshlrev_b32_e32 v2, 1, v12
	v_lshl_add_u64 v[4:5], v[4:5], 0, v[2:3]
	global_load_ushort v1, v[4:5], off
	s_waitcnt vmcnt(0)
	v_lshlrev_b32_e32 v2, 1, v1
	v_lshl_add_u64 v[4:5], s[66:67], 0, v[2:3]
	v_lshlrev_b32_e32 v2, 1, v13
	v_lshl_add_u64 v[4:5], v[4:5], 0, v[2:3]
	global_load_ushort v1, v[4:5], off
	s_waitcnt vmcnt(0)
	v_lshlrev_b32_e32 v2, 1, v1
	v_lshl_add_u64 v[4:5], s[66:67], 0, v[2:3]
	v_lshlrev_b32_e32 v2, 1, v14
	v_lshl_add_u64 v[4:5], v[4:5], 0, v[2:3]
	global_load_ushort v1, v[4:5], off
	s_waitcnt vmcnt(0)
	s_nop 0
	v_mov_b32_dpp v2, v1 quad_perm:[1,0,3,2] row_mask:0xf bank_mask:0xf bound_ctrl:1
	v_lshlrev_b32_sdwa v2, v6, v2 dst_sel:DWORD dst_unused:UNUSED_PAD src0_sel:DWORD src1_sel:WORD_0
	v_lshl_add_u64 v[4:5], s[66:67], 0, v[2:3]
	v_lshlrev_b32_e32 v2, 1, v1
	v_lshl_add_u64 v[4:5], v[4:5], 0, v[2:3]
	global_load_ushort v1, v[4:5], off
	s_waitcnt vmcnt(0)
	s_nop 0
	v_mov_b32_dpp v2, v1 quad_perm:[2,3,0,1] row_mask:0xf bank_mask:0xf bound_ctrl:1
	v_lshlrev_b32_sdwa v2, v6, v2 dst_sel:DWORD dst_unused:UNUSED_PAD src0_sel:DWORD src1_sel:WORD_0
	v_lshl_add_u64 v[4:5], s[66:67], 0, v[2:3]
	v_lshlrev_b32_e32 v2, 1, v1
	v_lshl_add_u64 v[4:5], v[4:5], 0, v[2:3]
	global_load_ushort v1, v[4:5], off
	s_waitcnt vmcnt(0)
	s_nop 0
	v_mov_b32_dpp v2, v1 row_ror:4 row_mask:0xf bank_mask:0xf bound_ctrl:1
	v_lshlrev_b32_sdwa v2, v6, v2 dst_sel:DWORD dst_unused:UNUSED_PAD src0_sel:DWORD src1_sel:WORD_0
	v_lshl_add_u64 v[4:5], s[66:67], 0, v[2:3]
	v_lshlrev_b32_e32 v2, 1, v1
	v_lshl_add_u64 v[4:5], v[4:5], 0, v[2:3]
	global_load_ushort v1, v[4:5], off
	s_waitcnt vmcnt(0)
	s_nop 0
	v_mov_b32_dpp v2, v1 row_ror:8 row_mask:0xf bank_mask:0xf bound_ctrl:1
	v_lshlrev_b32_sdwa v2, v6, v2 dst_sel:DWORD dst_unused:UNUSED_PAD src0_sel:DWORD src1_sel:WORD_0
	v_lshl_add_u64 v[4:5], s[66:67], 0, v[2:3]
	v_lshlrev_b32_e32 v2, 1, v1
	v_lshl_add_u64 v[4:5], v[4:5], 0, v[2:3]
	global_load_ushort v1, v[4:5], off
	s_waitcnt vmcnt(0)
	s_nop 0
	v_mov_b32_dpp v2, v1 row_bcast:15 row_mask:0xf bank_mask:0xf bound_ctrl:1
	v_lshlrev_b32_sdwa v2, v6, v2 dst_sel:DWORD dst_unused:UNUSED_PAD src0_sel:DWORD src1_sel:WORD_0
	v_lshl_add_u64 v[4:5], s[66:67], 0, v[2:3]
	v_lshlrev_b32_e32 v2, 1, v1
	v_lshl_add_u64 v[4:5], v[4:5], 0, v[2:3]
	global_load_ushort v1, v[4:5], off
	s_waitcnt vmcnt(0)
	s_nop 0
	v_mov_b32_dpp v2, v1 row_bcast:31 row_mask:0xf bank_mask:0xf bound_ctrl:1
	v_lshlrev_b32_sdwa v2, v6, v2 dst_sel:DWORD dst_unused:UNUSED_PAD src0_sel:DWORD src1_sel:WORD_0
	v_lshl_add_u64 v[4:5], s[66:67], 0, v[2:3]
	v_lshlrev_b32_e32 v2, 1, v1
	v_lshl_add_u64 v[2:3], v[4:5], 0, v[2:3]
	global_load_ushort v2, v[2:3], off
	v_mbcnt_lo_u32_b32 v1, -1, 0
	v_mbcnt_hi_u32_b32 v3, -1, v1
	v_lshlrev_b32_e32 v1, 2, v3
	v_or_b32_e32 v4, 0xfc, v1
	v_cmp_eq_u32_e32 vcc, 0, v3
	s_waitcnt vmcnt(0)
	ds_bpermute_b32 v2, v4, v2
	s_and_saveexec_b64 s[6:7], vcc
	s_cbranch_execz .LBB866_7
; %bb.6:
	v_lshrrev_b32_e32 v4, 5, v0
	v_and_b32_e32 v4, 2, v4
	s_waitcnt lgkmcnt(0)
	ds_write_b16 v4, v2 offset:24
.LBB866_7:
	s_or_b64 exec, exec, s[6:7]
	v_cmp_gt_u32_e32 vcc, 64, v0
	s_waitcnt lgkmcnt(0)
	s_barrier
	s_and_saveexec_b64 s[6:7], vcc
	s_cbranch_execz .LBB866_9
; %bb.8:
	v_and_b32_e32 v2, 1, v3
	v_lshlrev_b32_e32 v2, 1, v2
	ds_read_u16 v2, v2 offset:24
	v_or_b32_e32 v1, 4, v1
	v_mov_b32_e32 v3, 0
	s_waitcnt lgkmcnt(0)
	ds_bpermute_b32 v1, v1, v2
	v_lshlrev_b32_e32 v2, 1, v2
	v_lshl_add_u64 v[4:5], s[66:67], 0, v[2:3]
	v_mov_b32_e32 v2, 1
	s_waitcnt lgkmcnt(0)
	v_lshlrev_b32_sdwa v2, v2, v1 dst_sel:DWORD dst_unused:UNUSED_PAD src0_sel:DWORD src1_sel:WORD_0
	v_lshl_add_u64 v[2:3], v[4:5], 0, v[2:3]
	global_load_ushort v2, v[2:3], off
.LBB866_9:
	s_or_b64 exec, exec, s[6:7]
	s_mov_b64 s[6:7], 0
	s_branch .LBB866_23
.LBB866_10:
	s_mov_b64 s[74:75], 0
	s_mov_b64 s[72:73], 0
                                        ; implicit-def: $vgpr2
	s_cbranch_execz .LBB866_707
	s_branch .LBB866_556
.LBB866_11:
	s_mov_b64 s[74:75], 0
	s_mov_b64 s[72:73], 0
                                        ; implicit-def: $vgpr2
	s_cbranch_execnz .LBB866_451
	s_branch .LBB866_555
.LBB866_12:
	s_mov_b64 s[40:41], -1
.LBB866_13:
	s_mov_b64 s[74:75], 0
	s_mov_b64 s[72:73], 0
                                        ; implicit-def: $vgpr2
	s_and_b64 vcc, exec, s[40:41]
	s_cbranch_vccz .LBB866_260
.LBB866_14:
	s_cmp_eq_u32 s80, 32
	s_cbranch_scc0 .LBB866_21
; %bb.15:
	s_mov_b32 s3, 0
	s_lshl_b32 s4, s2, 12
	s_mov_b32 s5, s3
	s_lshr_b64 s[6:7], s[70:71], 12
	s_lshl_b64 s[8:9], s[4:5], 1
	s_add_u32 s76, s68, s8
	s_addc_u32 s77, s69, s9
	s_cmp_lg_u64 s[6:7], s[2:3]
	s_cbranch_scc0 .LBB866_261
; %bb.16:
	s_waitcnt vmcnt(0)
	v_lshlrev_b32_e32 v2, 1, v0
	global_load_ushort v1, v2, s[76:77]
	global_load_ushort v8, v2, s[76:77] offset:256
	s_waitcnt lgkmcnt(0)
	v_mov_b32_e32 v3, 0
	v_lshl_add_u64 v[4:5], s[76:77], 0, v[2:3]
	global_load_ushort v9, v2, s[76:77] offset:512
	global_load_ushort v10, v2, s[76:77] offset:768
	;; [unrolled: 1-line block ×14, first 2 shown]
	s_movk_i32 s5, 0x1000
	v_add_co_u32_e32 v4, vcc, s5, v4
	s_waitcnt vmcnt(15)
	v_lshlrev_b32_e32 v2, 1, v1
	v_lshl_add_u64 v[6:7], s[66:67], 0, v[2:3]
	s_waitcnt vmcnt(14)
	v_lshlrev_b32_e32 v2, 1, v8
	v_lshl_add_u64 v[6:7], v[6:7], 0, v[2:3]
	global_load_ushort v1, v[6:7], off
	v_addc_co_u32_e32 v5, vcc, 0, v5, vcc
	s_waitcnt vmcnt(0)
	v_lshlrev_b32_e32 v2, 1, v1
	v_lshl_add_u64 v[6:7], s[66:67], 0, v[2:3]
	v_lshlrev_b32_e32 v2, 1, v9
	v_lshl_add_u64 v[6:7], v[6:7], 0, v[2:3]
	global_load_ushort v1, v[6:7], off
	s_waitcnt vmcnt(0)
	v_lshlrev_b32_e32 v2, 1, v1
	v_lshl_add_u64 v[6:7], s[66:67], 0, v[2:3]
	v_lshlrev_b32_e32 v2, 1, v10
	v_lshl_add_u64 v[6:7], v[6:7], 0, v[2:3]
	global_load_ushort v1, v[6:7], off
	;; [unrolled: 6-line block ×14, first 2 shown]
	global_load_ushort v8, v[4:5], off
	global_load_ushort v9, v[4:5], off offset:256
	global_load_ushort v10, v[4:5], off offset:512
	;; [unrolled: 1-line block ×7, first 2 shown]
	s_waitcnt vmcnt(8)
	v_lshlrev_b32_e32 v2, 1, v1
	v_lshl_add_u64 v[6:7], s[66:67], 0, v[2:3]
	s_waitcnt vmcnt(7)
	v_lshlrev_b32_e32 v2, 1, v8
	v_lshl_add_u64 v[6:7], v[6:7], 0, v[2:3]
	global_load_ushort v1, v[6:7], off
	s_waitcnt vmcnt(0)
	v_lshlrev_b32_e32 v2, 1, v1
	v_lshl_add_u64 v[6:7], s[66:67], 0, v[2:3]
	v_lshlrev_b32_e32 v2, 1, v9
	v_lshl_add_u64 v[6:7], v[6:7], 0, v[2:3]
	global_load_ushort v1, v[6:7], off
	s_waitcnt vmcnt(0)
	v_lshlrev_b32_e32 v2, 1, v1
	v_lshl_add_u64 v[6:7], s[66:67], 0, v[2:3]
	;; [unrolled: 6-line block ×7, first 2 shown]
	v_lshlrev_b32_e32 v2, 1, v15
	v_lshl_add_u64 v[6:7], v[6:7], 0, v[2:3]
	global_load_ushort v1, v[6:7], off
	global_load_ushort v8, v[4:5], off offset:2048
	global_load_ushort v9, v[4:5], off offset:2304
	global_load_ushort v10, v[4:5], off offset:2560
	global_load_ushort v11, v[4:5], off offset:2816
	global_load_ushort v12, v[4:5], off offset:3072
	global_load_ushort v13, v[4:5], off offset:3328
	global_load_ushort v14, v[4:5], off offset:3584
	global_load_ushort v15, v[4:5], off offset:3840
	v_mov_b32_e32 v6, 1
	s_waitcnt vmcnt(8)
	v_lshlrev_b32_e32 v2, 1, v1
	v_lshl_add_u64 v[4:5], s[66:67], 0, v[2:3]
	s_waitcnt vmcnt(7)
	v_lshlrev_b32_e32 v2, 1, v8
	v_lshl_add_u64 v[4:5], v[4:5], 0, v[2:3]
	global_load_ushort v1, v[4:5], off
	s_waitcnt vmcnt(0)
	v_lshlrev_b32_e32 v2, 1, v1
	v_lshl_add_u64 v[4:5], s[66:67], 0, v[2:3]
	v_lshlrev_b32_e32 v2, 1, v9
	v_lshl_add_u64 v[4:5], v[4:5], 0, v[2:3]
	global_load_ushort v1, v[4:5], off
	s_waitcnt vmcnt(0)
	v_lshlrev_b32_e32 v2, 1, v1
	v_lshl_add_u64 v[4:5], s[66:67], 0, v[2:3]
	;; [unrolled: 6-line block ×7, first 2 shown]
	v_lshlrev_b32_e32 v2, 1, v15
	v_lshl_add_u64 v[4:5], v[4:5], 0, v[2:3]
	global_load_ushort v1, v[4:5], off
	s_waitcnt vmcnt(0)
	s_nop 0
	v_mov_b32_dpp v2, v1 quad_perm:[1,0,3,2] row_mask:0xf bank_mask:0xf bound_ctrl:1
	v_lshlrev_b32_sdwa v2, v6, v2 dst_sel:DWORD dst_unused:UNUSED_PAD src0_sel:DWORD src1_sel:WORD_0
	v_lshl_add_u64 v[4:5], s[66:67], 0, v[2:3]
	v_lshlrev_b32_e32 v2, 1, v1
	v_lshl_add_u64 v[4:5], v[4:5], 0, v[2:3]
	global_load_ushort v1, v[4:5], off
	s_waitcnt vmcnt(0)
	s_nop 0
	v_mov_b32_dpp v2, v1 quad_perm:[2,3,0,1] row_mask:0xf bank_mask:0xf bound_ctrl:1
	v_lshlrev_b32_sdwa v2, v6, v2 dst_sel:DWORD dst_unused:UNUSED_PAD src0_sel:DWORD src1_sel:WORD_0
	v_lshl_add_u64 v[4:5], s[66:67], 0, v[2:3]
	v_lshlrev_b32_e32 v2, 1, v1
	v_lshl_add_u64 v[4:5], v[4:5], 0, v[2:3]
	global_load_ushort v1, v[4:5], off
	s_waitcnt vmcnt(0)
	s_nop 0
	v_mov_b32_dpp v2, v1 row_ror:4 row_mask:0xf bank_mask:0xf bound_ctrl:1
	v_lshlrev_b32_sdwa v2, v6, v2 dst_sel:DWORD dst_unused:UNUSED_PAD src0_sel:DWORD src1_sel:WORD_0
	v_lshl_add_u64 v[4:5], s[66:67], 0, v[2:3]
	v_lshlrev_b32_e32 v2, 1, v1
	v_lshl_add_u64 v[4:5], v[4:5], 0, v[2:3]
	global_load_ushort v1, v[4:5], off
	s_waitcnt vmcnt(0)
	s_nop 0
	v_mov_b32_dpp v2, v1 row_ror:8 row_mask:0xf bank_mask:0xf bound_ctrl:1
	v_lshlrev_b32_sdwa v2, v6, v2 dst_sel:DWORD dst_unused:UNUSED_PAD src0_sel:DWORD src1_sel:WORD_0
	v_lshl_add_u64 v[4:5], s[66:67], 0, v[2:3]
	v_lshlrev_b32_e32 v2, 1, v1
	v_lshl_add_u64 v[4:5], v[4:5], 0, v[2:3]
	global_load_ushort v1, v[4:5], off
	s_waitcnt vmcnt(0)
	s_nop 0
	v_mov_b32_dpp v2, v1 row_bcast:15 row_mask:0xf bank_mask:0xf bound_ctrl:1
	v_lshlrev_b32_sdwa v2, v6, v2 dst_sel:DWORD dst_unused:UNUSED_PAD src0_sel:DWORD src1_sel:WORD_0
	v_lshl_add_u64 v[4:5], s[66:67], 0, v[2:3]
	v_lshlrev_b32_e32 v2, 1, v1
	v_lshl_add_u64 v[4:5], v[4:5], 0, v[2:3]
	global_load_ushort v1, v[4:5], off
	s_waitcnt vmcnt(0)
	s_nop 0
	v_mov_b32_dpp v2, v1 row_bcast:31 row_mask:0xf bank_mask:0xf bound_ctrl:1
	v_lshlrev_b32_sdwa v2, v6, v2 dst_sel:DWORD dst_unused:UNUSED_PAD src0_sel:DWORD src1_sel:WORD_0
	v_lshl_add_u64 v[4:5], s[66:67], 0, v[2:3]
	v_lshlrev_b32_e32 v2, 1, v1
	v_lshl_add_u64 v[2:3], v[4:5], 0, v[2:3]
	global_load_ushort v2, v[2:3], off
	v_mbcnt_lo_u32_b32 v1, -1, 0
	v_mbcnt_hi_u32_b32 v3, -1, v1
	v_lshlrev_b32_e32 v1, 2, v3
	v_or_b32_e32 v4, 0xfc, v1
	v_cmp_eq_u32_e32 vcc, 0, v3
	s_waitcnt vmcnt(0)
	ds_bpermute_b32 v2, v4, v2
	s_and_saveexec_b64 s[6:7], vcc
	s_cbranch_execz .LBB866_18
; %bb.17:
	v_lshrrev_b32_e32 v4, 5, v0
	v_and_b32_e32 v4, 2, v4
	s_waitcnt lgkmcnt(0)
	ds_write_b16 v4, v2 offset:16
.LBB866_18:
	s_or_b64 exec, exec, s[6:7]
	v_cmp_gt_u32_e32 vcc, 64, v0
	s_waitcnt lgkmcnt(0)
	s_barrier
	s_and_saveexec_b64 s[6:7], vcc
	s_cbranch_execz .LBB866_20
; %bb.19:
	v_and_b32_e32 v2, 1, v3
	v_lshlrev_b32_e32 v2, 1, v2
	ds_read_u16 v2, v2 offset:16
	v_or_b32_e32 v1, 4, v1
	v_mov_b32_e32 v3, 0
	s_waitcnt lgkmcnt(0)
	ds_bpermute_b32 v1, v1, v2
	v_lshlrev_b32_e32 v2, 1, v2
	v_lshl_add_u64 v[4:5], s[66:67], 0, v[2:3]
	v_mov_b32_e32 v2, 1
	s_waitcnt lgkmcnt(0)
	v_lshlrev_b32_sdwa v2, v2, v1 dst_sel:DWORD dst_unused:UNUSED_PAD src0_sel:DWORD src1_sel:WORD_0
	v_lshl_add_u64 v[2:3], v[4:5], 0, v[2:3]
	global_load_ushort v2, v[2:3], off
.LBB866_20:
	s_or_b64 exec, exec, s[6:7]
	s_mov_b64 s[6:7], 0
	s_branch .LBB866_262
.LBB866_21:
                                        ; implicit-def: $vgpr2
	s_branch .LBB866_555
.LBB866_22:
	s_mov_b64 s[6:7], -1
                                        ; implicit-def: $vgpr2
.LBB866_23:
	s_and_b64 vcc, exec, s[6:7]
	s_cbranch_vccz .LBB866_257
; %bb.24:
	s_sub_i32 s81, s70, s4
	s_mov_b32 s4, 0
	s_mov_b32 s5, s4
	;; [unrolled: 1-line block ×16, first 2 shown]
	s_waitcnt vmcnt(0)
	v_mov_b64_e32 v[2:3], s[4:5]
	v_mov_b64_e32 v[16:17], s[18:19]
	;; [unrolled: 1-line block ×9, first 2 shown]
	v_cmp_gt_u32_e32 vcc, s81, v0
	v_mov_b64_e32 v[30:31], v[14:15]
	v_mov_b64_e32 v[28:29], v[12:13]
	;; [unrolled: 1-line block ×7, first 2 shown]
	s_and_saveexec_b64 s[4:5], vcc
	s_cbranch_execz .LBB866_26
; %bb.25:
	v_lshlrev_b32_e32 v1, 1, v0
	global_load_ushort v1, v1, s[42:43]
	v_mov_b32_e32 v3, 0
	v_mov_b32_e32 v4, v3
	;; [unrolled: 1-line block ×31, first 2 shown]
	s_waitcnt vmcnt(0)
	v_and_b32_e32 v2, 0xffff, v1
.LBB866_26:
	s_or_b64 exec, exec, s[4:5]
	v_or_b32_e32 v1, 0x80, v0
	v_cmp_gt_u32_e64 s[6:7], s81, v1
	s_mov_b64 s[4:5], exec
                                        ; implicit-def: $vgpr38 : SGPR spill to VGPR lane
	s_nop 0
	v_writelane_b32 v38, s6, 0
	s_nop 1
	v_writelane_b32 v38, s7, 1
	s_and_b64 s[6:7], s[4:5], s[6:7]
	s_mov_b64 exec, s[6:7]
	s_cbranch_execz .LBB866_28
; %bb.27:
	v_lshlrev_b32_e32 v1, 1, v0
	global_load_ushort v1, v1, s[42:43] offset:256
	s_mov_b32 s6, 0x5040100
	s_waitcnt vmcnt(0)
	v_perm_b32 v2, v1, v2, s6
.LBB866_28:
	s_or_b64 exec, exec, s[4:5]
	v_or_b32_e32 v1, 0x100, v0
	v_cmp_gt_u32_e64 s[6:7], s81, v1
	s_mov_b64 s[4:5], exec
	s_nop 0
	v_writelane_b32 v38, s6, 2
	s_nop 1
	v_writelane_b32 v38, s7, 3
	s_and_b64 s[6:7], s[4:5], s[6:7]
	s_mov_b64 exec, s[6:7]
	s_cbranch_execz .LBB866_30
; %bb.29:
	v_lshlrev_b32_e32 v1, 1, v0
	global_load_ushort v1, v1, s[42:43] offset:512
	s_mov_b32 s6, 0xffff
	s_waitcnt vmcnt(0)
	v_bfi_b32 v3, s6, v1, v3
.LBB866_30:
	s_or_b64 exec, exec, s[4:5]
	v_or_b32_e32 v1, 0x180, v0
	v_cmp_gt_u32_e64 s[6:7], s81, v1
	s_mov_b64 s[4:5], exec
	s_nop 0
	v_writelane_b32 v38, s6, 4
	s_nop 1
	v_writelane_b32 v38, s7, 5
	s_and_b64 s[6:7], s[4:5], s[6:7]
	s_mov_b64 exec, s[6:7]
	s_cbranch_execz .LBB866_32
; %bb.31:
	v_lshlrev_b32_e32 v1, 1, v0
	global_load_ushort v1, v1, s[42:43] offset:768
	s_mov_b32 s6, 0x5040100
	s_waitcnt vmcnt(0)
	v_perm_b32 v3, v1, v3, s6
.LBB866_32:
	s_or_b64 exec, exec, s[4:5]
	v_or_b32_e32 v1, 0x200, v0
	v_cmp_gt_u32_e64 s[6:7], s81, v1
	s_mov_b64 s[4:5], exec
	s_nop 0
	v_writelane_b32 v38, s6, 6
	s_nop 1
	v_writelane_b32 v38, s7, 7
	s_and_b64 s[6:7], s[4:5], s[6:7]
	s_mov_b64 exec, s[6:7]
	s_cbranch_execz .LBB866_34
; %bb.33:
	v_lshlrev_b32_e32 v1, 1, v0
	global_load_ushort v1, v1, s[42:43] offset:1024
	s_mov_b32 s6, 0xffff
	s_waitcnt vmcnt(0)
	v_bfi_b32 v4, s6, v1, v4
.LBB866_34:
	s_or_b64 exec, exec, s[4:5]
	v_or_b32_e32 v1, 0x280, v0
	v_cmp_gt_u32_e64 s[6:7], s81, v1
	s_mov_b64 s[4:5], exec
	s_nop 0
	v_writelane_b32 v38, s6, 8
	s_nop 1
	v_writelane_b32 v38, s7, 9
	s_and_b64 s[6:7], s[4:5], s[6:7]
	s_mov_b64 exec, s[6:7]
	s_cbranch_execz .LBB866_36
; %bb.35:
	v_lshlrev_b32_e32 v1, 1, v0
	global_load_ushort v1, v1, s[42:43] offset:1280
	s_mov_b32 s6, 0x5040100
	s_waitcnt vmcnt(0)
	v_perm_b32 v4, v1, v4, s6
.LBB866_36:
	s_or_b64 exec, exec, s[4:5]
	v_or_b32_e32 v1, 0x300, v0
	v_cmp_gt_u32_e64 s[6:7], s81, v1
	s_mov_b64 s[4:5], exec
	s_nop 0
	v_writelane_b32 v38, s6, 10
	s_nop 1
	v_writelane_b32 v38, s7, 11
	s_and_b64 s[6:7], s[4:5], s[6:7]
	s_mov_b64 exec, s[6:7]
	s_cbranch_execz .LBB866_38
; %bb.37:
	v_lshlrev_b32_e32 v1, 1, v0
	global_load_ushort v1, v1, s[42:43] offset:1536
	s_mov_b32 s6, 0xffff
	s_waitcnt vmcnt(0)
	v_bfi_b32 v5, s6, v1, v5
.LBB866_38:
	s_or_b64 exec, exec, s[4:5]
	v_or_b32_e32 v1, 0x380, v0
	v_cmp_gt_u32_e64 s[6:7], s81, v1
	s_mov_b64 s[4:5], exec
	s_nop 0
	v_writelane_b32 v38, s6, 12
	s_nop 1
	v_writelane_b32 v38, s7, 13
	s_and_b64 s[6:7], s[4:5], s[6:7]
	s_mov_b64 exec, s[6:7]
	s_cbranch_execz .LBB866_40
; %bb.39:
	v_lshlrev_b32_e32 v1, 1, v0
	global_load_ushort v1, v1, s[42:43] offset:1792
	s_mov_b32 s6, 0x5040100
	s_waitcnt vmcnt(0)
	v_perm_b32 v5, v1, v5, s6
.LBB866_40:
	s_or_b64 exec, exec, s[4:5]
	v_or_b32_e32 v1, 0x400, v0
	v_cmp_gt_u32_e64 s[6:7], s81, v1
	s_mov_b64 s[4:5], exec
	s_nop 0
	v_writelane_b32 v38, s6, 14
	s_nop 1
	v_writelane_b32 v38, s7, 15
	s_and_b64 s[6:7], s[4:5], s[6:7]
	s_mov_b64 exec, s[6:7]
	s_cbranch_execz .LBB866_42
; %bb.41:
	v_lshlrev_b32_e32 v1, 1, v0
	global_load_ushort v1, v1, s[42:43] offset:2048
	s_mov_b32 s6, 0xffff
	s_waitcnt vmcnt(0)
	v_bfi_b32 v6, s6, v1, v6
.LBB866_42:
	s_or_b64 exec, exec, s[4:5]
	v_or_b32_e32 v1, 0x480, v0
	v_cmp_gt_u32_e64 s[6:7], s81, v1
	s_mov_b64 s[4:5], exec
	s_nop 0
	v_writelane_b32 v38, s6, 16
	s_nop 1
	v_writelane_b32 v38, s7, 17
	s_and_b64 s[6:7], s[4:5], s[6:7]
	s_mov_b64 exec, s[6:7]
	s_cbranch_execz .LBB866_44
; %bb.43:
	v_lshlrev_b32_e32 v1, 1, v0
	global_load_ushort v1, v1, s[42:43] offset:2304
	s_mov_b32 s6, 0x5040100
	s_waitcnt vmcnt(0)
	v_perm_b32 v6, v1, v6, s6
.LBB866_44:
	s_or_b64 exec, exec, s[4:5]
	v_or_b32_e32 v1, 0x500, v0
	v_cmp_gt_u32_e64 s[6:7], s81, v1
	s_mov_b64 s[4:5], exec
	s_nop 0
	v_writelane_b32 v38, s6, 18
	s_nop 1
	v_writelane_b32 v38, s7, 19
	s_and_b64 s[6:7], s[4:5], s[6:7]
	s_mov_b64 exec, s[6:7]
	s_cbranch_execz .LBB866_46
; %bb.45:
	v_lshlrev_b32_e32 v1, 1, v0
	global_load_ushort v1, v1, s[42:43] offset:2560
	s_mov_b32 s6, 0xffff
	s_waitcnt vmcnt(0)
	v_bfi_b32 v7, s6, v1, v7
.LBB866_46:
	s_or_b64 exec, exec, s[4:5]
	v_or_b32_e32 v1, 0x580, v0
	v_cmp_gt_u32_e64 s[6:7], s81, v1
	s_mov_b64 s[4:5], exec
	s_nop 0
	v_writelane_b32 v38, s6, 20
	s_nop 1
	v_writelane_b32 v38, s7, 21
	s_and_b64 s[6:7], s[4:5], s[6:7]
	s_mov_b64 exec, s[6:7]
	s_cbranch_execz .LBB866_48
; %bb.47:
	v_lshlrev_b32_e32 v1, 1, v0
	global_load_ushort v1, v1, s[42:43] offset:2816
	s_mov_b32 s6, 0x5040100
	s_waitcnt vmcnt(0)
	v_perm_b32 v7, v1, v7, s6
.LBB866_48:
	s_or_b64 exec, exec, s[4:5]
	v_or_b32_e32 v1, 0x600, v0
	v_cmp_gt_u32_e64 s[6:7], s81, v1
	s_mov_b64 s[4:5], exec
	s_nop 0
	v_writelane_b32 v38, s6, 22
	s_nop 1
	v_writelane_b32 v38, s7, 23
	s_and_b64 s[6:7], s[4:5], s[6:7]
	s_mov_b64 exec, s[6:7]
	s_cbranch_execz .LBB866_50
; %bb.49:
	v_lshlrev_b32_e32 v1, 1, v0
	global_load_ushort v1, v1, s[42:43] offset:3072
	s_mov_b32 s6, 0xffff
	s_waitcnt vmcnt(0)
	v_bfi_b32 v8, s6, v1, v8
.LBB866_50:
	s_or_b64 exec, exec, s[4:5]
	v_or_b32_e32 v1, 0x680, v0
	v_cmp_gt_u32_e64 s[6:7], s81, v1
	s_mov_b64 s[4:5], exec
	s_nop 0
	v_writelane_b32 v38, s6, 24
	s_nop 1
	v_writelane_b32 v38, s7, 25
	s_and_b64 s[6:7], s[4:5], s[6:7]
	s_mov_b64 exec, s[6:7]
	s_cbranch_execz .LBB866_52
; %bb.51:
	v_lshlrev_b32_e32 v1, 1, v0
	global_load_ushort v1, v1, s[42:43] offset:3328
	s_mov_b32 s6, 0x5040100
	s_waitcnt vmcnt(0)
	v_perm_b32 v8, v1, v8, s6
.LBB866_52:
	s_or_b64 exec, exec, s[4:5]
	v_or_b32_e32 v1, 0x700, v0
	v_cmp_gt_u32_e64 s[6:7], s81, v1
	s_mov_b64 s[4:5], exec
	s_nop 0
	v_writelane_b32 v38, s6, 26
	s_nop 1
	v_writelane_b32 v38, s7, 27
	s_and_b64 s[6:7], s[4:5], s[6:7]
	s_mov_b64 exec, s[6:7]
	s_cbranch_execz .LBB866_54
; %bb.53:
	v_lshlrev_b32_e32 v1, 1, v0
	global_load_ushort v1, v1, s[42:43] offset:3584
	s_mov_b32 s6, 0xffff
	s_waitcnt vmcnt(0)
	v_bfi_b32 v9, s6, v1, v9
.LBB866_54:
	s_or_b64 exec, exec, s[4:5]
	v_or_b32_e32 v1, 0x780, v0
	v_cmp_gt_u32_e64 s[6:7], s81, v1
	s_mov_b64 s[4:5], exec
	s_nop 0
	v_writelane_b32 v38, s6, 28
	s_nop 1
	v_writelane_b32 v38, s7, 29
	s_and_b64 s[6:7], s[4:5], s[6:7]
	s_mov_b64 exec, s[6:7]
	s_cbranch_execz .LBB866_56
; %bb.55:
	v_lshlrev_b32_e32 v1, 1, v0
	global_load_ushort v1, v1, s[42:43] offset:3840
	s_mov_b32 s6, 0x5040100
	s_waitcnt vmcnt(0)
	v_perm_b32 v9, v1, v9, s6
.LBB866_56:
	s_or_b64 exec, exec, s[4:5]
	v_or_b32_e32 v1, 0x800, v0
	v_cmp_gt_u32_e64 s[6:7], s81, v1
	s_mov_b64 s[4:5], exec
	s_nop 0
	v_writelane_b32 v38, s6, 30
	s_nop 1
	v_writelane_b32 v38, s7, 31
	s_and_b64 s[6:7], s[4:5], s[6:7]
	s_mov_b64 exec, s[6:7]
	s_cbranch_execz .LBB866_58
; %bb.57:
	v_lshlrev_b32_e32 v1, 1, v1
	global_load_ushort v1, v1, s[42:43]
	s_mov_b32 s6, 0xffff
	s_waitcnt vmcnt(0)
	v_bfi_b32 v10, s6, v1, v10
.LBB866_58:
	s_or_b64 exec, exec, s[4:5]
	v_or_b32_e32 v1, 0x880, v0
	v_cmp_gt_u32_e64 s[6:7], s81, v1
	s_mov_b64 s[4:5], exec
	s_nop 0
	v_writelane_b32 v38, s6, 32
	s_nop 1
	v_writelane_b32 v38, s7, 33
	s_and_b64 s[6:7], s[4:5], s[6:7]
	s_mov_b64 exec, s[6:7]
	s_cbranch_execz .LBB866_60
; %bb.59:
	v_lshlrev_b32_e32 v1, 1, v1
	global_load_ushort v1, v1, s[42:43]
	s_mov_b32 s6, 0x5040100
	s_waitcnt vmcnt(0)
	v_perm_b32 v10, v1, v10, s6
.LBB866_60:
	s_or_b64 exec, exec, s[4:5]
	v_or_b32_e32 v1, 0x900, v0
	v_cmp_gt_u32_e64 s[6:7], s81, v1
	s_mov_b64 s[4:5], exec
	s_nop 0
	v_writelane_b32 v38, s6, 34
	s_nop 1
	v_writelane_b32 v38, s7, 35
	s_and_b64 s[6:7], s[4:5], s[6:7]
	s_mov_b64 exec, s[6:7]
	s_cbranch_execz .LBB866_62
; %bb.61:
	v_lshlrev_b32_e32 v1, 1, v1
	global_load_ushort v1, v1, s[42:43]
	s_mov_b32 s6, 0xffff
	s_waitcnt vmcnt(0)
	v_bfi_b32 v11, s6, v1, v11
.LBB866_62:
	s_or_b64 exec, exec, s[4:5]
	v_or_b32_e32 v1, 0x980, v0
	v_cmp_gt_u32_e64 s[6:7], s81, v1
	s_mov_b64 s[4:5], exec
	s_nop 0
	v_writelane_b32 v38, s6, 36
	s_nop 1
	v_writelane_b32 v38, s7, 37
	s_and_b64 s[6:7], s[4:5], s[6:7]
	s_mov_b64 exec, s[6:7]
	s_cbranch_execz .LBB866_64
; %bb.63:
	v_lshlrev_b32_e32 v1, 1, v1
	global_load_ushort v1, v1, s[42:43]
	s_mov_b32 s6, 0x5040100
	s_waitcnt vmcnt(0)
	v_perm_b32 v11, v1, v11, s6
.LBB866_64:
	;; [unrolled: 36-line block ×4, first 2 shown]
	s_or_b64 exec, exec, s[4:5]
	v_or_b32_e32 v1, 0xc00, v0
	v_cmp_gt_u32_e64 s[50:51], s81, v1
	s_and_saveexec_b64 s[4:5], s[50:51]
	s_cbranch_execz .LBB866_74
; %bb.73:
	v_lshlrev_b32_e32 v1, 1, v1
	global_load_ushort v1, v1, s[42:43]
	s_mov_b32 s6, 0xffff
	s_waitcnt vmcnt(0)
	v_bfi_b32 v14, s6, v1, v14
.LBB866_74:
	s_or_b64 exec, exec, s[4:5]
	v_or_b32_e32 v1, 0xc80, v0
	v_cmp_gt_u32_e64 s[52:53], s81, v1
	s_and_saveexec_b64 s[4:5], s[52:53]
	s_cbranch_execz .LBB866_76
; %bb.75:
	v_lshlrev_b32_e32 v1, 1, v1
	global_load_ushort v1, v1, s[42:43]
	s_mov_b32 s6, 0x5040100
	s_waitcnt vmcnt(0)
	v_perm_b32 v14, v1, v14, s6
.LBB866_76:
	s_or_b64 exec, exec, s[4:5]
	v_or_b32_e32 v1, 0xd00, v0
	v_cmp_gt_u32_e64 s[54:55], s81, v1
	s_and_saveexec_b64 s[4:5], s[54:55]
	s_cbranch_execz .LBB866_78
; %bb.77:
	v_lshlrev_b32_e32 v1, 1, v1
	global_load_ushort v1, v1, s[42:43]
	s_mov_b32 s6, 0xffff
	s_waitcnt vmcnt(0)
	v_bfi_b32 v15, s6, v1, v15
.LBB866_78:
	s_or_b64 exec, exec, s[4:5]
	v_or_b32_e32 v1, 0xd80, v0
	v_cmp_gt_u32_e64 s[56:57], s81, v1
	s_and_saveexec_b64 s[4:5], s[56:57]
	s_cbranch_execz .LBB866_80
; %bb.79:
	v_lshlrev_b32_e32 v1, 1, v1
	global_load_ushort v1, v1, s[42:43]
	s_mov_b32 s6, 0x5040100
	s_waitcnt vmcnt(0)
	v_perm_b32 v15, v1, v15, s6
.LBB866_80:
	;; [unrolled: 24-line block ×19, first 2 shown]
	s_or_b64 exec, exec, s[30:31]
	v_or_b32_e32 v1, 0x1f00, v0
	v_cmp_gt_u32_e64 s[30:31], s81, v1
	s_and_saveexec_b64 vcc, s[30:31]
	s_cbranch_execz .LBB866_150
; %bb.149:
	v_lshlrev_b32_e32 v1, 1, v1
	global_load_ushort v1, v1, s[42:43]
	s_mov_b32 s44, 0xffff
	s_waitcnt vmcnt(0)
	v_bfi_b32 v33, s44, v1, v33
.LBB866_150:
	s_or_b64 exec, exec, vcc
	v_or_b32_e32 v1, 0x1f80, v0
	v_cmp_gt_u32_e32 vcc, s81, v1
	s_and_saveexec_b64 s[44:45], vcc
	s_cbranch_execz .LBB866_152
; %bb.151:
	v_lshlrev_b32_e32 v1, 1, v1
	global_load_ushort v1, v1, s[42:43]
	s_mov_b32 s42, 0x5040100
	s_waitcnt vmcnt(0)
	v_perm_b32 v33, v1, v33, s42
.LBB866_152:
	s_or_b64 exec, exec, s[44:45]
	s_mov_b64 s[42:43], exec
	v_readlane_b32 s44, v38, 0
	v_readlane_b32 s45, v38, 1
	s_and_b64 s[44:45], s[42:43], s[44:45]
	s_mov_b64 exec, s[44:45]
	s_cbranch_execz .LBB866_154
; %bb.153:
	v_mov_b32_e32 v1, 1
	v_lshlrev_b32_sdwa v34, v1, v2 dst_sel:DWORD dst_unused:UNUSED_PAD src0_sel:DWORD src1_sel:WORD_0
	v_mov_b32_e32 v35, 0
	v_lshl_add_u64 v[36:37], s[66:67], 0, v[34:35]
	v_lshlrev_b32_sdwa v34, v1, v2 dst_sel:DWORD dst_unused:UNUSED_PAD src0_sel:DWORD src1_sel:WORD_1
	v_lshl_add_u64 v[34:35], v[36:37], 0, v[34:35]
	global_load_ushort v2, v[34:35], off
.LBB866_154:
	s_or_b64 exec, exec, s[42:43]
	s_mov_b64 s[42:43], exec
	v_readlane_b32 s44, v38, 2
	v_readlane_b32 s45, v38, 3
	s_and_b64 s[44:45], s[42:43], s[44:45]
	s_mov_b64 exec, s[44:45]
	s_cbranch_execz .LBB866_156
; %bb.155:
	v_mov_b32_e32 v1, 1
	s_waitcnt vmcnt(0)
	v_lshlrev_b32_sdwa v34, v1, v2 dst_sel:DWORD dst_unused:UNUSED_PAD src0_sel:DWORD src1_sel:WORD_0
	v_mov_b32_e32 v35, 0
	v_lshl_add_u64 v[36:37], s[66:67], 0, v[34:35]
	v_lshlrev_b32_sdwa v34, v1, v3 dst_sel:DWORD dst_unused:UNUSED_PAD src0_sel:DWORD src1_sel:WORD_0
	v_lshl_add_u64 v[34:35], v[36:37], 0, v[34:35]
	global_load_ushort v2, v[34:35], off
.LBB866_156:
	s_or_b64 exec, exec, s[42:43]
	s_mov_b64 s[42:43], exec
	v_readlane_b32 s44, v38, 4
	v_readlane_b32 s45, v38, 5
	s_and_b64 s[44:45], s[42:43], s[44:45]
	s_mov_b64 exec, s[44:45]
	s_cbranch_execz .LBB866_158
; %bb.157:
	v_mov_b32_e32 v1, 1
	s_waitcnt vmcnt(0)
	v_lshlrev_b32_sdwa v34, v1, v2 dst_sel:DWORD dst_unused:UNUSED_PAD src0_sel:DWORD src1_sel:WORD_0
	v_mov_b32_e32 v35, 0
	v_lshl_add_u64 v[36:37], s[66:67], 0, v[34:35]
	v_lshlrev_b32_sdwa v34, v1, v3 dst_sel:DWORD dst_unused:UNUSED_PAD src0_sel:DWORD src1_sel:WORD_1
	v_lshl_add_u64 v[2:3], v[36:37], 0, v[34:35]
	global_load_ushort v2, v[2:3], off
.LBB866_158:
	s_or_b64 exec, exec, s[42:43]
	s_mov_b64 s[42:43], exec
	v_readlane_b32 s44, v38, 6
	v_readlane_b32 s45, v38, 7
	s_and_b64 s[44:45], s[42:43], s[44:45]
	s_mov_b64 exec, s[44:45]
	s_cbranch_execz .LBB866_160
; %bb.159:
	v_mov_b32_e32 v1, 1
	s_waitcnt vmcnt(0)
	v_lshlrev_b32_sdwa v2, v1, v2 dst_sel:DWORD dst_unused:UNUSED_PAD src0_sel:DWORD src1_sel:WORD_0
	v_mov_b32_e32 v3, 0
	v_lshl_add_u64 v[34:35], s[66:67], 0, v[2:3]
	v_lshlrev_b32_sdwa v2, v1, v4 dst_sel:DWORD dst_unused:UNUSED_PAD src0_sel:DWORD src1_sel:WORD_0
	v_lshl_add_u64 v[2:3], v[34:35], 0, v[2:3]
	global_load_ushort v2, v[2:3], off
.LBB866_160:
	s_or_b64 exec, exec, s[42:43]
	s_mov_b64 s[42:43], exec
	v_readlane_b32 s44, v38, 8
	v_readlane_b32 s45, v38, 9
	s_and_b64 s[44:45], s[42:43], s[44:45]
	s_mov_b64 exec, s[44:45]
	s_cbranch_execz .LBB866_162
; %bb.161:
	v_mov_b32_e32 v1, 1
	s_waitcnt vmcnt(0)
	v_lshlrev_b32_sdwa v2, v1, v2 dst_sel:DWORD dst_unused:UNUSED_PAD src0_sel:DWORD src1_sel:WORD_0
	v_mov_b32_e32 v3, 0
	v_lshl_add_u64 v[34:35], s[66:67], 0, v[2:3]
	v_lshlrev_b32_sdwa v2, v1, v4 dst_sel:DWORD dst_unused:UNUSED_PAD src0_sel:DWORD src1_sel:WORD_1
	v_lshl_add_u64 v[2:3], v[34:35], 0, v[2:3]
	global_load_ushort v2, v[2:3], off
.LBB866_162:
	s_or_b64 exec, exec, s[42:43]
	s_mov_b64 s[42:43], exec
	v_readlane_b32 s44, v38, 10
	v_readlane_b32 s45, v38, 11
	s_and_b64 s[44:45], s[42:43], s[44:45]
	s_mov_b64 exec, s[44:45]
	s_cbranch_execz .LBB866_164
; %bb.163:
	v_mov_b32_e32 v1, 1
	s_waitcnt vmcnt(0)
	v_lshlrev_b32_sdwa v2, v1, v2 dst_sel:DWORD dst_unused:UNUSED_PAD src0_sel:DWORD src1_sel:WORD_0
	v_mov_b32_e32 v3, 0
	v_lshl_add_u64 v[34:35], s[66:67], 0, v[2:3]
	v_lshlrev_b32_sdwa v2, v1, v5 dst_sel:DWORD dst_unused:UNUSED_PAD src0_sel:DWORD src1_sel:WORD_0
	v_lshl_add_u64 v[2:3], v[34:35], 0, v[2:3]
	global_load_ushort v2, v[2:3], off
.LBB866_164:
	s_or_b64 exec, exec, s[42:43]
	s_mov_b64 s[42:43], exec
	v_readlane_b32 s44, v38, 12
	v_readlane_b32 s45, v38, 13
	s_and_b64 s[44:45], s[42:43], s[44:45]
	s_mov_b64 exec, s[44:45]
	s_cbranch_execz .LBB866_166
; %bb.165:
	v_mov_b32_e32 v1, 1
	s_waitcnt vmcnt(0)
	v_lshlrev_b32_sdwa v2, v1, v2 dst_sel:DWORD dst_unused:UNUSED_PAD src0_sel:DWORD src1_sel:WORD_0
	v_mov_b32_e32 v3, 0
	v_lshl_add_u64 v[34:35], s[66:67], 0, v[2:3]
	v_lshlrev_b32_sdwa v2, v1, v5 dst_sel:DWORD dst_unused:UNUSED_PAD src0_sel:DWORD src1_sel:WORD_1
	v_lshl_add_u64 v[2:3], v[34:35], 0, v[2:3]
	global_load_ushort v2, v[2:3], off
.LBB866_166:
	s_or_b64 exec, exec, s[42:43]
	s_mov_b64 s[42:43], exec
	v_readlane_b32 s44, v38, 14
	v_readlane_b32 s45, v38, 15
	s_and_b64 s[44:45], s[42:43], s[44:45]
	s_mov_b64 exec, s[44:45]
	s_cbranch_execz .LBB866_168
; %bb.167:
	v_mov_b32_e32 v1, 1
	s_waitcnt vmcnt(0)
	v_lshlrev_b32_sdwa v2, v1, v2 dst_sel:DWORD dst_unused:UNUSED_PAD src0_sel:DWORD src1_sel:WORD_0
	v_mov_b32_e32 v3, 0
	v_lshl_add_u64 v[4:5], s[66:67], 0, v[2:3]
	v_lshlrev_b32_sdwa v2, v1, v6 dst_sel:DWORD dst_unused:UNUSED_PAD src0_sel:DWORD src1_sel:WORD_0
	v_lshl_add_u64 v[2:3], v[4:5], 0, v[2:3]
	global_load_ushort v2, v[2:3], off
.LBB866_168:
	s_or_b64 exec, exec, s[42:43]
	s_mov_b64 s[42:43], exec
	v_readlane_b32 s44, v38, 16
	v_readlane_b32 s45, v38, 17
	s_and_b64 s[44:45], s[42:43], s[44:45]
	s_mov_b64 exec, s[44:45]
	s_cbranch_execz .LBB866_170
; %bb.169:
	v_mov_b32_e32 v1, 1
	s_waitcnt vmcnt(0)
	v_lshlrev_b32_sdwa v2, v1, v2 dst_sel:DWORD dst_unused:UNUSED_PAD src0_sel:DWORD src1_sel:WORD_0
	v_mov_b32_e32 v3, 0
	v_lshl_add_u64 v[4:5], s[66:67], 0, v[2:3]
	v_lshlrev_b32_sdwa v2, v1, v6 dst_sel:DWORD dst_unused:UNUSED_PAD src0_sel:DWORD src1_sel:WORD_1
	v_lshl_add_u64 v[2:3], v[4:5], 0, v[2:3]
	global_load_ushort v2, v[2:3], off
.LBB866_170:
	s_or_b64 exec, exec, s[42:43]
	s_mov_b64 s[42:43], exec
	v_readlane_b32 s44, v38, 18
	v_readlane_b32 s45, v38, 19
	s_and_b64 s[44:45], s[42:43], s[44:45]
	s_mov_b64 exec, s[44:45]
	s_cbranch_execz .LBB866_172
; %bb.171:
	v_mov_b32_e32 v1, 1
	s_waitcnt vmcnt(0)
	v_lshlrev_b32_sdwa v2, v1, v2 dst_sel:DWORD dst_unused:UNUSED_PAD src0_sel:DWORD src1_sel:WORD_0
	v_mov_b32_e32 v3, 0
	v_lshl_add_u64 v[4:5], s[66:67], 0, v[2:3]
	v_lshlrev_b32_sdwa v2, v1, v7 dst_sel:DWORD dst_unused:UNUSED_PAD src0_sel:DWORD src1_sel:WORD_0
	v_lshl_add_u64 v[2:3], v[4:5], 0, v[2:3]
	global_load_ushort v2, v[2:3], off
.LBB866_172:
	s_or_b64 exec, exec, s[42:43]
	s_mov_b64 s[42:43], exec
	v_readlane_b32 s44, v38, 20
	v_readlane_b32 s45, v38, 21
	s_and_b64 s[44:45], s[42:43], s[44:45]
	s_mov_b64 exec, s[44:45]
	s_cbranch_execz .LBB866_174
; %bb.173:
	v_mov_b32_e32 v1, 1
	s_waitcnt vmcnt(0)
	v_lshlrev_b32_sdwa v2, v1, v2 dst_sel:DWORD dst_unused:UNUSED_PAD src0_sel:DWORD src1_sel:WORD_0
	v_mov_b32_e32 v3, 0
	v_lshl_add_u64 v[4:5], s[66:67], 0, v[2:3]
	v_lshlrev_b32_sdwa v2, v1, v7 dst_sel:DWORD dst_unused:UNUSED_PAD src0_sel:DWORD src1_sel:WORD_1
	v_lshl_add_u64 v[2:3], v[4:5], 0, v[2:3]
	global_load_ushort v2, v[2:3], off
.LBB866_174:
	s_or_b64 exec, exec, s[42:43]
	s_mov_b64 s[42:43], exec
	v_readlane_b32 s44, v38, 22
	v_readlane_b32 s45, v38, 23
	s_and_b64 s[44:45], s[42:43], s[44:45]
	s_mov_b64 exec, s[44:45]
	s_cbranch_execz .LBB866_176
; %bb.175:
	v_mov_b32_e32 v1, 1
	s_waitcnt vmcnt(0)
	v_lshlrev_b32_sdwa v2, v1, v2 dst_sel:DWORD dst_unused:UNUSED_PAD src0_sel:DWORD src1_sel:WORD_0
	v_mov_b32_e32 v3, 0
	v_lshl_add_u64 v[4:5], s[66:67], 0, v[2:3]
	v_lshlrev_b32_sdwa v2, v1, v8 dst_sel:DWORD dst_unused:UNUSED_PAD src0_sel:DWORD src1_sel:WORD_0
	v_lshl_add_u64 v[2:3], v[4:5], 0, v[2:3]
	global_load_ushort v2, v[2:3], off
.LBB866_176:
	s_or_b64 exec, exec, s[42:43]
	s_mov_b64 s[42:43], exec
	v_readlane_b32 s44, v38, 24
	v_readlane_b32 s45, v38, 25
	s_and_b64 s[44:45], s[42:43], s[44:45]
	s_mov_b64 exec, s[44:45]
	s_cbranch_execz .LBB866_178
; %bb.177:
	v_mov_b32_e32 v1, 1
	s_waitcnt vmcnt(0)
	v_lshlrev_b32_sdwa v2, v1, v2 dst_sel:DWORD dst_unused:UNUSED_PAD src0_sel:DWORD src1_sel:WORD_0
	v_mov_b32_e32 v3, 0
	v_lshl_add_u64 v[4:5], s[66:67], 0, v[2:3]
	v_lshlrev_b32_sdwa v2, v1, v8 dst_sel:DWORD dst_unused:UNUSED_PAD src0_sel:DWORD src1_sel:WORD_1
	v_lshl_add_u64 v[2:3], v[4:5], 0, v[2:3]
	global_load_ushort v2, v[2:3], off
.LBB866_178:
	s_or_b64 exec, exec, s[42:43]
	s_mov_b64 s[42:43], exec
	v_readlane_b32 s44, v38, 26
	v_readlane_b32 s45, v38, 27
	s_and_b64 s[44:45], s[42:43], s[44:45]
	s_mov_b64 exec, s[44:45]
	s_cbranch_execz .LBB866_180
; %bb.179:
	v_mov_b32_e32 v1, 1
	s_waitcnt vmcnt(0)
	v_lshlrev_b32_sdwa v2, v1, v2 dst_sel:DWORD dst_unused:UNUSED_PAD src0_sel:DWORD src1_sel:WORD_0
	v_mov_b32_e32 v3, 0
	v_lshl_add_u64 v[4:5], s[66:67], 0, v[2:3]
	v_lshlrev_b32_sdwa v2, v1, v9 dst_sel:DWORD dst_unused:UNUSED_PAD src0_sel:DWORD src1_sel:WORD_0
	v_lshl_add_u64 v[2:3], v[4:5], 0, v[2:3]
	global_load_ushort v2, v[2:3], off
.LBB866_180:
	s_or_b64 exec, exec, s[42:43]
	s_mov_b64 s[42:43], exec
	v_readlane_b32 s44, v38, 28
	v_readlane_b32 s45, v38, 29
	s_and_b64 s[44:45], s[42:43], s[44:45]
	s_mov_b64 exec, s[44:45]
	s_cbranch_execz .LBB866_182
; %bb.181:
	v_mov_b32_e32 v1, 1
	s_waitcnt vmcnt(0)
	v_lshlrev_b32_sdwa v2, v1, v2 dst_sel:DWORD dst_unused:UNUSED_PAD src0_sel:DWORD src1_sel:WORD_0
	v_mov_b32_e32 v3, 0
	v_lshl_add_u64 v[4:5], s[66:67], 0, v[2:3]
	v_lshlrev_b32_sdwa v2, v1, v9 dst_sel:DWORD dst_unused:UNUSED_PAD src0_sel:DWORD src1_sel:WORD_1
	v_lshl_add_u64 v[2:3], v[4:5], 0, v[2:3]
	global_load_ushort v2, v[2:3], off
.LBB866_182:
	s_or_b64 exec, exec, s[42:43]
	s_mov_b64 s[42:43], exec
	v_readlane_b32 s44, v38, 30
	v_readlane_b32 s45, v38, 31
	s_and_b64 s[44:45], s[42:43], s[44:45]
	s_mov_b64 exec, s[44:45]
	s_cbranch_execz .LBB866_184
; %bb.183:
	v_mov_b32_e32 v1, 1
	s_waitcnt vmcnt(0)
	v_lshlrev_b32_sdwa v2, v1, v2 dst_sel:DWORD dst_unused:UNUSED_PAD src0_sel:DWORD src1_sel:WORD_0
	v_mov_b32_e32 v3, 0
	v_lshl_add_u64 v[4:5], s[66:67], 0, v[2:3]
	v_lshlrev_b32_sdwa v2, v1, v10 dst_sel:DWORD dst_unused:UNUSED_PAD src0_sel:DWORD src1_sel:WORD_0
	v_lshl_add_u64 v[2:3], v[4:5], 0, v[2:3]
	global_load_ushort v2, v[2:3], off
.LBB866_184:
	s_or_b64 exec, exec, s[42:43]
	s_mov_b64 s[42:43], exec
	v_readlane_b32 s44, v38, 32
	v_readlane_b32 s45, v38, 33
	s_and_b64 s[44:45], s[42:43], s[44:45]
	s_mov_b64 exec, s[44:45]
	s_cbranch_execz .LBB866_186
; %bb.185:
	v_mov_b32_e32 v1, 1
	s_waitcnt vmcnt(0)
	v_lshlrev_b32_sdwa v2, v1, v2 dst_sel:DWORD dst_unused:UNUSED_PAD src0_sel:DWORD src1_sel:WORD_0
	v_mov_b32_e32 v3, 0
	v_lshl_add_u64 v[4:5], s[66:67], 0, v[2:3]
	v_lshlrev_b32_sdwa v2, v1, v10 dst_sel:DWORD dst_unused:UNUSED_PAD src0_sel:DWORD src1_sel:WORD_1
	v_lshl_add_u64 v[2:3], v[4:5], 0, v[2:3]
	global_load_ushort v2, v[2:3], off
.LBB866_186:
	s_or_b64 exec, exec, s[42:43]
	s_mov_b64 s[42:43], exec
	v_readlane_b32 s44, v38, 34
	v_readlane_b32 s45, v38, 35
	s_and_b64 s[44:45], s[42:43], s[44:45]
	s_mov_b64 exec, s[44:45]
	s_cbranch_execz .LBB866_188
; %bb.187:
	v_mov_b32_e32 v1, 1
	s_waitcnt vmcnt(0)
	v_lshlrev_b32_sdwa v2, v1, v2 dst_sel:DWORD dst_unused:UNUSED_PAD src0_sel:DWORD src1_sel:WORD_0
	v_mov_b32_e32 v3, 0
	v_lshl_add_u64 v[4:5], s[66:67], 0, v[2:3]
	v_lshlrev_b32_sdwa v2, v1, v11 dst_sel:DWORD dst_unused:UNUSED_PAD src0_sel:DWORD src1_sel:WORD_0
	v_lshl_add_u64 v[2:3], v[4:5], 0, v[2:3]
	global_load_ushort v2, v[2:3], off
.LBB866_188:
	s_or_b64 exec, exec, s[42:43]
	s_mov_b64 s[42:43], exec
	v_readlane_b32 s44, v38, 36
	v_readlane_b32 s45, v38, 37
	s_and_b64 s[44:45], s[42:43], s[44:45]
	s_mov_b64 exec, s[44:45]
	s_cbranch_execz .LBB866_190
; %bb.189:
	v_mov_b32_e32 v1, 1
	s_waitcnt vmcnt(0)
	v_lshlrev_b32_sdwa v2, v1, v2 dst_sel:DWORD dst_unused:UNUSED_PAD src0_sel:DWORD src1_sel:WORD_0
	v_mov_b32_e32 v3, 0
	v_lshl_add_u64 v[4:5], s[66:67], 0, v[2:3]
	v_lshlrev_b32_sdwa v2, v1, v11 dst_sel:DWORD dst_unused:UNUSED_PAD src0_sel:DWORD src1_sel:WORD_1
	v_lshl_add_u64 v[2:3], v[4:5], 0, v[2:3]
	global_load_ushort v2, v[2:3], off
.LBB866_190:
	s_or_b64 exec, exec, s[42:43]
	s_mov_b64 s[42:43], exec
	v_readlane_b32 s44, v38, 38
	v_readlane_b32 s45, v38, 39
	s_and_b64 s[44:45], s[42:43], s[44:45]
	s_mov_b64 exec, s[44:45]
	s_cbranch_execz .LBB866_192
; %bb.191:
	v_mov_b32_e32 v1, 1
	s_waitcnt vmcnt(0)
	v_lshlrev_b32_sdwa v2, v1, v2 dst_sel:DWORD dst_unused:UNUSED_PAD src0_sel:DWORD src1_sel:WORD_0
	v_mov_b32_e32 v3, 0
	v_lshl_add_u64 v[4:5], s[66:67], 0, v[2:3]
	v_lshlrev_b32_sdwa v2, v1, v12 dst_sel:DWORD dst_unused:UNUSED_PAD src0_sel:DWORD src1_sel:WORD_0
	v_lshl_add_u64 v[2:3], v[4:5], 0, v[2:3]
	global_load_ushort v2, v[2:3], off
.LBB866_192:
	s_or_b64 exec, exec, s[42:43]
	s_mov_b64 s[42:43], exec
	v_readlane_b32 s44, v38, 40
	v_readlane_b32 s45, v38, 41
	s_and_b64 s[44:45], s[42:43], s[44:45]
	s_mov_b64 exec, s[44:45]
	s_cbranch_execz .LBB866_194
; %bb.193:
	v_mov_b32_e32 v1, 1
	s_waitcnt vmcnt(0)
	v_lshlrev_b32_sdwa v2, v1, v2 dst_sel:DWORD dst_unused:UNUSED_PAD src0_sel:DWORD src1_sel:WORD_0
	v_mov_b32_e32 v3, 0
	v_lshl_add_u64 v[4:5], s[66:67], 0, v[2:3]
	v_lshlrev_b32_sdwa v2, v1, v12 dst_sel:DWORD dst_unused:UNUSED_PAD src0_sel:DWORD src1_sel:WORD_1
	v_lshl_add_u64 v[2:3], v[4:5], 0, v[2:3]
	global_load_ushort v2, v[2:3], off
.LBB866_194:
	s_or_b64 exec, exec, s[42:43]
	s_mov_b64 s[42:43], exec
	v_readlane_b32 s44, v38, 42
	v_readlane_b32 s45, v38, 43
	s_and_b64 s[44:45], s[42:43], s[44:45]
	s_mov_b64 exec, s[44:45]
	s_cbranch_execz .LBB866_196
; %bb.195:
	v_mov_b32_e32 v1, 1
	s_waitcnt vmcnt(0)
	v_lshlrev_b32_sdwa v2, v1, v2 dst_sel:DWORD dst_unused:UNUSED_PAD src0_sel:DWORD src1_sel:WORD_0
	v_mov_b32_e32 v3, 0
	v_lshl_add_u64 v[4:5], s[66:67], 0, v[2:3]
	v_lshlrev_b32_sdwa v2, v1, v13 dst_sel:DWORD dst_unused:UNUSED_PAD src0_sel:DWORD src1_sel:WORD_0
	v_lshl_add_u64 v[2:3], v[4:5], 0, v[2:3]
	global_load_ushort v2, v[2:3], off
.LBB866_196:
	s_or_b64 exec, exec, s[42:43]
	s_mov_b64 s[42:43], exec
	v_readlane_b32 s44, v38, 44
	v_readlane_b32 s45, v38, 45
	s_and_b64 s[44:45], s[42:43], s[44:45]
	s_mov_b64 exec, s[44:45]
	s_cbranch_execz .LBB866_357
; %bb.197:
	v_mov_b32_e32 v1, 1
	s_waitcnt vmcnt(0)
	v_lshlrev_b32_sdwa v2, v1, v2 dst_sel:DWORD dst_unused:UNUSED_PAD src0_sel:DWORD src1_sel:WORD_0
	v_mov_b32_e32 v3, 0
	v_lshl_add_u64 v[4:5], s[66:67], 0, v[2:3]
	v_lshlrev_b32_sdwa v2, v1, v13 dst_sel:DWORD dst_unused:UNUSED_PAD src0_sel:DWORD src1_sel:WORD_1
	v_lshl_add_u64 v[2:3], v[4:5], 0, v[2:3]
	global_load_ushort v2, v[2:3], off
	s_or_b64 exec, exec, s[42:43]
	s_and_saveexec_b64 s[42:43], s[50:51]
	s_cbranch_execnz .LBB866_358
.LBB866_198:
	s_or_b64 exec, exec, s[42:43]
	s_and_saveexec_b64 s[42:43], s[52:53]
	s_cbranch_execz .LBB866_359
.LBB866_199:
	v_mov_b32_e32 v1, 1
	s_waitcnt vmcnt(0)
	v_lshlrev_b32_sdwa v2, v1, v2 dst_sel:DWORD dst_unused:UNUSED_PAD src0_sel:DWORD src1_sel:WORD_0
	v_mov_b32_e32 v3, 0
	v_lshl_add_u64 v[4:5], s[66:67], 0, v[2:3]
	v_lshlrev_b32_sdwa v2, v1, v14 dst_sel:DWORD dst_unused:UNUSED_PAD src0_sel:DWORD src1_sel:WORD_1
	v_lshl_add_u64 v[2:3], v[4:5], 0, v[2:3]
	global_load_ushort v2, v[2:3], off
	s_or_b64 exec, exec, s[42:43]
	s_and_saveexec_b64 s[42:43], s[54:55]
	s_cbranch_execnz .LBB866_360
.LBB866_200:
	s_or_b64 exec, exec, s[42:43]
	s_and_saveexec_b64 s[42:43], s[56:57]
	s_cbranch_execz .LBB866_361
.LBB866_201:
	v_mov_b32_e32 v1, 1
	s_waitcnt vmcnt(0)
	v_lshlrev_b32_sdwa v2, v1, v2 dst_sel:DWORD dst_unused:UNUSED_PAD src0_sel:DWORD src1_sel:WORD_0
	v_mov_b32_e32 v3, 0
	v_lshl_add_u64 v[4:5], s[66:67], 0, v[2:3]
	v_lshlrev_b32_sdwa v2, v1, v15 dst_sel:DWORD dst_unused:UNUSED_PAD src0_sel:DWORD src1_sel:WORD_1
	v_lshl_add_u64 v[2:3], v[4:5], 0, v[2:3]
	global_load_ushort v2, v[2:3], off
	s_or_b64 exec, exec, s[42:43]
	s_and_saveexec_b64 s[42:43], s[58:59]
	s_cbranch_execnz .LBB866_362
.LBB866_202:
	s_or_b64 exec, exec, s[42:43]
	s_and_saveexec_b64 s[42:43], s[60:61]
	s_cbranch_execz .LBB866_363
.LBB866_203:
	v_mov_b32_e32 v1, 1
	s_waitcnt vmcnt(0)
	v_lshlrev_b32_sdwa v2, v1, v2 dst_sel:DWORD dst_unused:UNUSED_PAD src0_sel:DWORD src1_sel:WORD_0
	v_mov_b32_e32 v3, 0
	v_lshl_add_u64 v[4:5], s[66:67], 0, v[2:3]
	v_lshlrev_b32_sdwa v2, v1, v16 dst_sel:DWORD dst_unused:UNUSED_PAD src0_sel:DWORD src1_sel:WORD_1
	v_lshl_add_u64 v[2:3], v[4:5], 0, v[2:3]
	global_load_ushort v2, v[2:3], off
	s_or_b64 exec, exec, s[42:43]
	s_and_saveexec_b64 s[42:43], s[62:63]
	s_cbranch_execnz .LBB866_364
.LBB866_204:
	s_or_b64 exec, exec, s[42:43]
	s_and_saveexec_b64 s[42:43], s[64:65]
	s_cbranch_execz .LBB866_365
.LBB866_205:
	v_mov_b32_e32 v1, 1
	s_waitcnt vmcnt(0)
	v_lshlrev_b32_sdwa v2, v1, v2 dst_sel:DWORD dst_unused:UNUSED_PAD src0_sel:DWORD src1_sel:WORD_0
	v_mov_b32_e32 v3, 0
	v_lshl_add_u64 v[4:5], s[66:67], 0, v[2:3]
	v_lshlrev_b32_sdwa v2, v1, v17 dst_sel:DWORD dst_unused:UNUSED_PAD src0_sel:DWORD src1_sel:WORD_1
	v_lshl_add_u64 v[2:3], v[4:5], 0, v[2:3]
	global_load_ushort v2, v[2:3], off
	s_or_b64 exec, exec, s[42:43]
	s_and_saveexec_b64 s[42:43], s[38:39]
	s_cbranch_execnz .LBB866_366
.LBB866_206:
	s_or_b64 exec, exec, s[42:43]
	s_and_saveexec_b64 s[38:39], s[34:35]
	s_cbranch_execz .LBB866_367
.LBB866_207:
	v_mov_b32_e32 v1, 1
	s_waitcnt vmcnt(0)
	v_lshlrev_b32_sdwa v2, v1, v2 dst_sel:DWORD dst_unused:UNUSED_PAD src0_sel:DWORD src1_sel:WORD_0
	v_mov_b32_e32 v3, 0
	v_lshl_add_u64 v[4:5], s[66:67], 0, v[2:3]
	v_lshlrev_b32_sdwa v2, v1, v18 dst_sel:DWORD dst_unused:UNUSED_PAD src0_sel:DWORD src1_sel:WORD_1
	v_lshl_add_u64 v[2:3], v[4:5], 0, v[2:3]
	global_load_ushort v2, v[2:3], off
	s_or_b64 exec, exec, s[38:39]
	s_and_saveexec_b64 s[34:35], s[36:37]
	s_cbranch_execnz .LBB866_368
.LBB866_208:
	s_or_b64 exec, exec, s[34:35]
	s_and_saveexec_b64 s[34:35], s[72:73]
	s_cbranch_execz .LBB866_369
.LBB866_209:
	v_mov_b32_e32 v1, 1
	s_waitcnt vmcnt(0)
	v_lshlrev_b32_sdwa v2, v1, v2 dst_sel:DWORD dst_unused:UNUSED_PAD src0_sel:DWORD src1_sel:WORD_0
	v_mov_b32_e32 v3, 0
	v_lshl_add_u64 v[4:5], s[66:67], 0, v[2:3]
	v_lshlrev_b32_sdwa v2, v1, v19 dst_sel:DWORD dst_unused:UNUSED_PAD src0_sel:DWORD src1_sel:WORD_1
	v_lshl_add_u64 v[2:3], v[4:5], 0, v[2:3]
	global_load_ushort v2, v[2:3], off
	s_or_b64 exec, exec, s[34:35]
	s_and_saveexec_b64 s[34:35], s[74:75]
	s_cbranch_execnz .LBB866_370
.LBB866_210:
	s_or_b64 exec, exec, s[34:35]
	s_and_saveexec_b64 s[34:35], s[76:77]
	s_cbranch_execz .LBB866_371
.LBB866_211:
	v_mov_b32_e32 v1, 1
	s_waitcnt vmcnt(0)
	v_lshlrev_b32_sdwa v2, v1, v2 dst_sel:DWORD dst_unused:UNUSED_PAD src0_sel:DWORD src1_sel:WORD_0
	v_mov_b32_e32 v3, 0
	v_lshl_add_u64 v[4:5], s[66:67], 0, v[2:3]
	v_lshlrev_b32_sdwa v2, v1, v20 dst_sel:DWORD dst_unused:UNUSED_PAD src0_sel:DWORD src1_sel:WORD_1
	v_lshl_add_u64 v[2:3], v[4:5], 0, v[2:3]
	global_load_ushort v2, v[2:3], off
	s_or_b64 exec, exec, s[34:35]
	s_and_saveexec_b64 s[34:35], s[78:79]
	s_cbranch_execnz .LBB866_372
.LBB866_212:
	s_or_b64 exec, exec, s[34:35]
	s_and_saveexec_b64 s[34:35], s[46:47]
	s_cbranch_execz .LBB866_373
.LBB866_213:
	v_mov_b32_e32 v1, 1
	s_waitcnt vmcnt(0)
	v_lshlrev_b32_sdwa v2, v1, v2 dst_sel:DWORD dst_unused:UNUSED_PAD src0_sel:DWORD src1_sel:WORD_0
	v_mov_b32_e32 v3, 0
	v_lshl_add_u64 v[4:5], s[66:67], 0, v[2:3]
	v_lshlrev_b32_sdwa v2, v1, v21 dst_sel:DWORD dst_unused:UNUSED_PAD src0_sel:DWORD src1_sel:WORD_1
	v_lshl_add_u64 v[2:3], v[4:5], 0, v[2:3]
	global_load_ushort v2, v[2:3], off
	s_or_b64 exec, exec, s[34:35]
	s_and_saveexec_b64 s[34:35], s[82:83]
	s_cbranch_execnz .LBB866_374
.LBB866_214:
	s_or_b64 exec, exec, s[34:35]
	s_and_saveexec_b64 s[34:35], s[84:85]
	s_cbranch_execz .LBB866_375
.LBB866_215:
	v_mov_b32_e32 v1, 1
	s_waitcnt vmcnt(0)
	v_lshlrev_b32_sdwa v2, v1, v2 dst_sel:DWORD dst_unused:UNUSED_PAD src0_sel:DWORD src1_sel:WORD_0
	v_mov_b32_e32 v3, 0
	v_lshl_add_u64 v[4:5], s[66:67], 0, v[2:3]
	v_lshlrev_b32_sdwa v2, v1, v22 dst_sel:DWORD dst_unused:UNUSED_PAD src0_sel:DWORD src1_sel:WORD_1
	v_lshl_add_u64 v[2:3], v[4:5], 0, v[2:3]
	global_load_ushort v2, v[2:3], off
	s_or_b64 exec, exec, s[34:35]
	s_and_saveexec_b64 s[34:35], s[86:87]
	s_cbranch_execnz .LBB866_376
.LBB866_216:
	s_or_b64 exec, exec, s[34:35]
	s_and_saveexec_b64 s[34:35], s[88:89]
	s_cbranch_execz .LBB866_377
.LBB866_217:
	v_mov_b32_e32 v1, 1
	s_waitcnt vmcnt(0)
	v_lshlrev_b32_sdwa v2, v1, v2 dst_sel:DWORD dst_unused:UNUSED_PAD src0_sel:DWORD src1_sel:WORD_0
	v_mov_b32_e32 v3, 0
	v_lshl_add_u64 v[4:5], s[66:67], 0, v[2:3]
	v_lshlrev_b32_sdwa v2, v1, v23 dst_sel:DWORD dst_unused:UNUSED_PAD src0_sel:DWORD src1_sel:WORD_1
	v_lshl_add_u64 v[2:3], v[4:5], 0, v[2:3]
	global_load_ushort v2, v[2:3], off
	s_or_b64 exec, exec, s[34:35]
	s_and_saveexec_b64 s[34:35], s[90:91]
	s_cbranch_execnz .LBB866_378
.LBB866_218:
	s_or_b64 exec, exec, s[34:35]
	s_and_saveexec_b64 s[34:35], s[92:93]
	s_cbranch_execz .LBB866_379
.LBB866_219:
	v_mov_b32_e32 v1, 1
	s_waitcnt vmcnt(0)
	v_lshlrev_b32_sdwa v2, v1, v2 dst_sel:DWORD dst_unused:UNUSED_PAD src0_sel:DWORD src1_sel:WORD_0
	v_mov_b32_e32 v3, 0
	v_lshl_add_u64 v[4:5], s[66:67], 0, v[2:3]
	v_lshlrev_b32_sdwa v2, v1, v24 dst_sel:DWORD dst_unused:UNUSED_PAD src0_sel:DWORD src1_sel:WORD_1
	v_lshl_add_u64 v[2:3], v[4:5], 0, v[2:3]
	global_load_ushort v2, v[2:3], off
	s_or_b64 exec, exec, s[34:35]
	s_and_saveexec_b64 s[34:35], s[94:95]
	s_cbranch_execnz .LBB866_380
.LBB866_220:
	s_or_b64 exec, exec, s[34:35]
	s_and_saveexec_b64 s[34:35], s[96:97]
	s_cbranch_execz .LBB866_381
.LBB866_221:
	v_mov_b32_e32 v1, 1
	s_waitcnt vmcnt(0)
	v_lshlrev_b32_sdwa v2, v1, v2 dst_sel:DWORD dst_unused:UNUSED_PAD src0_sel:DWORD src1_sel:WORD_0
	v_mov_b32_e32 v3, 0
	v_lshl_add_u64 v[4:5], s[66:67], 0, v[2:3]
	v_lshlrev_b32_sdwa v2, v1, v25 dst_sel:DWORD dst_unused:UNUSED_PAD src0_sel:DWORD src1_sel:WORD_1
	v_lshl_add_u64 v[2:3], v[4:5], 0, v[2:3]
	global_load_ushort v2, v[2:3], off
	s_or_b64 exec, exec, s[34:35]
	s_and_saveexec_b64 s[34:35], s[98:99]
	s_cbranch_execnz .LBB866_382
.LBB866_222:
	s_or_b64 exec, exec, s[34:35]
	s_and_saveexec_b64 s[34:35], s[4:5]
	s_cbranch_execz .LBB866_383
.LBB866_223:
	v_mov_b32_e32 v1, 1
	s_waitcnt vmcnt(0)
	v_lshlrev_b32_sdwa v2, v1, v2 dst_sel:DWORD dst_unused:UNUSED_PAD src0_sel:DWORD src1_sel:WORD_0
	v_mov_b32_e32 v3, 0
	v_lshl_add_u64 v[4:5], s[66:67], 0, v[2:3]
	v_lshlrev_b32_sdwa v2, v1, v26 dst_sel:DWORD dst_unused:UNUSED_PAD src0_sel:DWORD src1_sel:WORD_1
	v_lshl_add_u64 v[2:3], v[4:5], 0, v[2:3]
	global_load_ushort v2, v[2:3], off
	s_or_b64 exec, exec, s[34:35]
	s_and_saveexec_b64 s[4:5], s[6:7]
	s_cbranch_execnz .LBB866_384
.LBB866_224:
	s_or_b64 exec, exec, s[4:5]
	s_and_saveexec_b64 s[4:5], s[8:9]
	s_cbranch_execz .LBB866_385
.LBB866_225:
	v_mov_b32_e32 v1, 1
	s_waitcnt vmcnt(0)
	v_lshlrev_b32_sdwa v2, v1, v2 dst_sel:DWORD dst_unused:UNUSED_PAD src0_sel:DWORD src1_sel:WORD_0
	v_mov_b32_e32 v3, 0
	v_lshl_add_u64 v[4:5], s[66:67], 0, v[2:3]
	v_lshlrev_b32_sdwa v2, v1, v27 dst_sel:DWORD dst_unused:UNUSED_PAD src0_sel:DWORD src1_sel:WORD_1
	v_lshl_add_u64 v[2:3], v[4:5], 0, v[2:3]
	global_load_ushort v2, v[2:3], off
	s_or_b64 exec, exec, s[4:5]
	s_and_saveexec_b64 s[4:5], s[10:11]
	s_cbranch_execnz .LBB866_386
.LBB866_226:
	s_or_b64 exec, exec, s[4:5]
	s_and_saveexec_b64 s[4:5], s[12:13]
	s_cbranch_execz .LBB866_387
.LBB866_227:
	v_mov_b32_e32 v1, 1
	s_waitcnt vmcnt(0)
	v_lshlrev_b32_sdwa v2, v1, v2 dst_sel:DWORD dst_unused:UNUSED_PAD src0_sel:DWORD src1_sel:WORD_0
	v_mov_b32_e32 v3, 0
	v_lshl_add_u64 v[4:5], s[66:67], 0, v[2:3]
	v_lshlrev_b32_sdwa v2, v1, v28 dst_sel:DWORD dst_unused:UNUSED_PAD src0_sel:DWORD src1_sel:WORD_1
	v_lshl_add_u64 v[2:3], v[4:5], 0, v[2:3]
	global_load_ushort v2, v[2:3], off
	s_or_b64 exec, exec, s[4:5]
	s_and_saveexec_b64 s[4:5], s[14:15]
	s_cbranch_execnz .LBB866_388
.LBB866_228:
	s_or_b64 exec, exec, s[4:5]
	s_and_saveexec_b64 s[4:5], s[16:17]
	s_cbranch_execz .LBB866_389
.LBB866_229:
	v_mov_b32_e32 v1, 1
	s_waitcnt vmcnt(0)
	v_lshlrev_b32_sdwa v2, v1, v2 dst_sel:DWORD dst_unused:UNUSED_PAD src0_sel:DWORD src1_sel:WORD_0
	v_mov_b32_e32 v3, 0
	v_lshl_add_u64 v[4:5], s[66:67], 0, v[2:3]
	v_lshlrev_b32_sdwa v2, v1, v29 dst_sel:DWORD dst_unused:UNUSED_PAD src0_sel:DWORD src1_sel:WORD_1
	v_lshl_add_u64 v[2:3], v[4:5], 0, v[2:3]
	global_load_ushort v2, v[2:3], off
	s_or_b64 exec, exec, s[4:5]
	s_and_saveexec_b64 s[4:5], s[18:19]
	s_cbranch_execnz .LBB866_390
.LBB866_230:
	s_or_b64 exec, exec, s[4:5]
	s_and_saveexec_b64 s[4:5], s[20:21]
	s_cbranch_execz .LBB866_391
.LBB866_231:
	v_mov_b32_e32 v1, 1
	s_waitcnt vmcnt(0)
	v_lshlrev_b32_sdwa v2, v1, v2 dst_sel:DWORD dst_unused:UNUSED_PAD src0_sel:DWORD src1_sel:WORD_0
	v_mov_b32_e32 v3, 0
	v_lshl_add_u64 v[4:5], s[66:67], 0, v[2:3]
	v_lshlrev_b32_sdwa v2, v1, v30 dst_sel:DWORD dst_unused:UNUSED_PAD src0_sel:DWORD src1_sel:WORD_1
	v_lshl_add_u64 v[2:3], v[4:5], 0, v[2:3]
	global_load_ushort v2, v[2:3], off
	s_or_b64 exec, exec, s[4:5]
	s_and_saveexec_b64 s[4:5], s[22:23]
	s_cbranch_execnz .LBB866_392
.LBB866_232:
	s_or_b64 exec, exec, s[4:5]
	s_and_saveexec_b64 s[4:5], s[24:25]
	s_cbranch_execz .LBB866_393
.LBB866_233:
	v_mov_b32_e32 v1, 1
	s_waitcnt vmcnt(0)
	v_lshlrev_b32_sdwa v2, v1, v2 dst_sel:DWORD dst_unused:UNUSED_PAD src0_sel:DWORD src1_sel:WORD_0
	v_mov_b32_e32 v3, 0
	v_lshl_add_u64 v[4:5], s[66:67], 0, v[2:3]
	v_lshlrev_b32_sdwa v2, v1, v31 dst_sel:DWORD dst_unused:UNUSED_PAD src0_sel:DWORD src1_sel:WORD_1
	v_lshl_add_u64 v[2:3], v[4:5], 0, v[2:3]
	global_load_ushort v2, v[2:3], off
	s_or_b64 exec, exec, s[4:5]
	s_and_saveexec_b64 s[4:5], s[26:27]
	s_cbranch_execnz .LBB866_394
.LBB866_234:
	s_or_b64 exec, exec, s[4:5]
	s_and_saveexec_b64 s[4:5], s[28:29]
	s_cbranch_execz .LBB866_395
.LBB866_235:
	v_mov_b32_e32 v1, 1
	s_waitcnt vmcnt(0)
	v_lshlrev_b32_sdwa v2, v1, v2 dst_sel:DWORD dst_unused:UNUSED_PAD src0_sel:DWORD src1_sel:WORD_0
	v_mov_b32_e32 v3, 0
	v_lshl_add_u64 v[4:5], s[66:67], 0, v[2:3]
	v_lshlrev_b32_sdwa v2, v1, v32 dst_sel:DWORD dst_unused:UNUSED_PAD src0_sel:DWORD src1_sel:WORD_1
	v_lshl_add_u64 v[2:3], v[4:5], 0, v[2:3]
	global_load_ushort v2, v[2:3], off
	s_or_b64 exec, exec, s[4:5]
	s_and_saveexec_b64 s[4:5], s[30:31]
	s_cbranch_execnz .LBB866_396
.LBB866_236:
	s_or_b64 exec, exec, s[4:5]
	s_and_saveexec_b64 s[4:5], vcc
	s_cbranch_execz .LBB866_238
.LBB866_237:
	v_mov_b32_e32 v1, 1
	s_waitcnt vmcnt(0)
	v_lshlrev_b32_sdwa v2, v1, v2 dst_sel:DWORD dst_unused:UNUSED_PAD src0_sel:DWORD src1_sel:WORD_0
	v_mov_b32_e32 v3, 0
	v_lshl_add_u64 v[4:5], s[66:67], 0, v[2:3]
	v_lshlrev_b32_sdwa v2, v1, v33 dst_sel:DWORD dst_unused:UNUSED_PAD src0_sel:DWORD src1_sel:WORD_1
	v_lshl_add_u64 v[2:3], v[4:5], 0, v[2:3]
	global_load_ushort v2, v[2:3], off
.LBB866_238:
	s_or_b64 exec, exec, s[4:5]
	v_mbcnt_lo_u32_b32 v1, -1, 0
	v_mbcnt_hi_u32_b32 v1, -1, v1
	v_and_b32_e32 v3, 63, v1
	v_cmp_ne_u32_e32 vcc, 63, v3
	s_waitcnt vmcnt(0)
	v_and_b32_e32 v5, 0xffff, v2
	s_min_u32 s6, s81, 0x80
	v_addc_co_u32_e32 v4, vcc, 0, v1, vcc
	v_lshlrev_b32_e32 v4, 2, v4
	ds_bpermute_b32 v6, v4, v5
	v_and_b32_e32 v4, 64, v0
	v_sub_u32_e64 v4, s6, v4 clamp
	v_add_u32_e32 v7, 1, v3
	v_cmp_lt_u32_e32 vcc, v7, v4
	s_and_saveexec_b64 s[4:5], vcc
	s_xor_b64 s[4:5], exec, s[4:5]
	s_cbranch_execz .LBB866_240
; %bb.239:
	v_mov_b32_e32 v5, 1
	v_lshlrev_b32_sdwa v8, v5, v2 dst_sel:DWORD dst_unused:UNUSED_PAD src0_sel:DWORD src1_sel:WORD_0
	v_mov_b32_e32 v9, 0
	v_lshl_add_u64 v[10:11], s[66:67], 0, v[8:9]
	s_waitcnt lgkmcnt(0)
	v_lshlrev_b32_sdwa v8, v5, v6 dst_sel:DWORD dst_unused:UNUSED_PAD src0_sel:DWORD src1_sel:WORD_0
	v_lshl_add_u64 v[6:7], v[10:11], 0, v[8:9]
	global_load_ushort v2, v[6:7], off
	s_waitcnt vmcnt(0)
	v_and_b32_e32 v5, 0xffff, v2
.LBB866_240:
	s_or_b64 exec, exec, s[4:5]
	v_cmp_gt_u32_e32 vcc, 62, v3
	v_add_u32_e32 v7, 2, v3
	s_waitcnt lgkmcnt(0)
	v_cndmask_b32_e64 v6, 0, 2, vcc
	v_add_lshl_u32 v6, v6, v1, 2
	ds_bpermute_b32 v6, v6, v5
	v_cmp_lt_u32_e32 vcc, v7, v4
	s_and_saveexec_b64 s[4:5], vcc
	s_cbranch_execz .LBB866_242
; %bb.241:
	v_mov_b32_e32 v5, 1
	v_lshlrev_b32_sdwa v8, v5, v2 dst_sel:DWORD dst_unused:UNUSED_PAD src0_sel:DWORD src1_sel:WORD_0
	v_mov_b32_e32 v9, 0
	v_lshl_add_u64 v[10:11], s[66:67], 0, v[8:9]
	s_waitcnt lgkmcnt(0)
	v_lshlrev_b32_sdwa v8, v5, v6 dst_sel:DWORD dst_unused:UNUSED_PAD src0_sel:DWORD src1_sel:WORD_0
	v_lshl_add_u64 v[6:7], v[10:11], 0, v[8:9]
	global_load_ushort v2, v[6:7], off
	s_waitcnt vmcnt(0)
	v_and_b32_e32 v5, 0xffff, v2
.LBB866_242:
	s_or_b64 exec, exec, s[4:5]
	v_cmp_gt_u32_e32 vcc, 60, v3
	v_add_u32_e32 v7, 4, v3
	s_waitcnt lgkmcnt(0)
	v_cndmask_b32_e64 v6, 0, 4, vcc
	v_add_lshl_u32 v6, v6, v1, 2
	ds_bpermute_b32 v6, v6, v5
	v_cmp_lt_u32_e32 vcc, v7, v4
	s_and_saveexec_b64 s[4:5], vcc
	;; [unrolled: 22-line block ×4, first 2 shown]
	s_cbranch_execz .LBB866_248
; %bb.247:
	v_mov_b32_e32 v5, 1
	v_lshlrev_b32_sdwa v8, v5, v2 dst_sel:DWORD dst_unused:UNUSED_PAD src0_sel:DWORD src1_sel:WORD_0
	v_mov_b32_e32 v9, 0
	v_lshl_add_u64 v[10:11], s[66:67], 0, v[8:9]
	s_waitcnt lgkmcnt(0)
	v_lshlrev_b32_sdwa v8, v5, v6 dst_sel:DWORD dst_unused:UNUSED_PAD src0_sel:DWORD src1_sel:WORD_0
	v_lshl_add_u64 v[6:7], v[10:11], 0, v[8:9]
	global_load_ushort v2, v[6:7], off
	s_waitcnt vmcnt(0)
	v_and_b32_e32 v5, 0xffff, v2
.LBB866_248:
	s_or_b64 exec, exec, s[4:5]
	s_waitcnt lgkmcnt(0)
	v_lshlrev_b32_e32 v6, 2, v1
	v_or_b32_e32 v7, 0x80, v6
	ds_bpermute_b32 v5, v7, v5
	v_add_u32_e32 v3, 32, v3
	v_cmp_lt_u32_e32 vcc, v3, v4
	s_and_saveexec_b64 s[4:5], vcc
	s_cbranch_execz .LBB866_250
; %bb.249:
	v_mov_b32_e32 v4, 1
	v_lshlrev_b32_sdwa v2, v4, v2 dst_sel:DWORD dst_unused:UNUSED_PAD src0_sel:DWORD src1_sel:WORD_0
	v_mov_b32_e32 v3, 0
	v_lshl_add_u64 v[8:9], s[66:67], 0, v[2:3]
	s_waitcnt lgkmcnt(0)
	v_lshlrev_b32_sdwa v2, v4, v5 dst_sel:DWORD dst_unused:UNUSED_PAD src0_sel:DWORD src1_sel:WORD_0
	v_lshl_add_u64 v[2:3], v[8:9], 0, v[2:3]
	global_load_ushort v2, v[2:3], off
.LBB866_250:
	s_or_b64 exec, exec, s[4:5]
	v_cmp_eq_u32_e32 vcc, 0, v1
	s_and_saveexec_b64 s[4:5], vcc
	s_cbranch_execz .LBB866_252
; %bb.251:
	v_lshrrev_b32_e32 v3, 5, v0
	v_and_b32_e32 v3, 2, v3
	s_waitcnt vmcnt(0)
	ds_write_b16 v3, v2
.LBB866_252:
	s_or_b64 exec, exec, s[4:5]
	v_cmp_gt_u32_e32 vcc, 2, v0
	s_waitcnt lgkmcnt(0)
	s_barrier
	s_and_saveexec_b64 s[4:5], vcc
	s_cbranch_execz .LBB866_256
; %bb.253:
	s_waitcnt vmcnt(0)
	v_lshlrev_b32_e32 v2, 1, v1
	ds_read_u16 v2, v2
	v_or_b32_e32 v3, 4, v6
	s_add_i32 s6, s6, 63
	v_and_b32_e32 v1, 1, v1
	s_lshr_b32 s6, s6, 6
	s_waitcnt lgkmcnt(0)
	v_and_b32_e32 v4, 0xffff, v2
	ds_bpermute_b32 v3, v3, v4
	v_add_u32_e32 v1, 1, v1
	v_cmp_gt_u32_e32 vcc, s6, v1
	s_and_saveexec_b64 s[6:7], vcc
	s_cbranch_execz .LBB866_255
; %bb.254:
	v_lshlrev_b32_e32 v4, 1, v4
	v_mov_b32_e32 v5, 0
	v_mov_b32_e32 v1, 1
	v_lshl_add_u64 v[6:7], s[66:67], 0, v[4:5]
	s_waitcnt lgkmcnt(0)
	v_lshlrev_b32_sdwa v4, v1, v3 dst_sel:DWORD dst_unused:UNUSED_PAD src0_sel:DWORD src1_sel:WORD_0
	v_lshl_add_u64 v[2:3], v[6:7], 0, v[4:5]
	global_load_ushort v2, v[2:3], off
.LBB866_255:
	s_or_b64 exec, exec, s[6:7]
.LBB866_256:
	s_or_b64 exec, exec, s[4:5]
.LBB866_257:
	v_cmp_eq_u32_e32 vcc, 0, v0
	s_mov_b64 s[74:75], 0
	s_mov_b64 s[72:73], 0
	s_and_saveexec_b64 s[4:5], vcc
	s_xor_b64 s[4:5], exec, s[4:5]
; %bb.258:
	s_cmp_eq_u64 s[70:71], 0
	s_cselect_b64 s[6:7], -1, 0
	s_cmp_lg_u64 s[70:71], 0
	s_cselect_b64 s[8:9], -1, 0
	s_and_b64 s[72:73], s[6:7], exec
	s_and_b64 s[74:75], s[8:9], exec
; %bb.259:
	s_or_b64 exec, exec, s[4:5]
	s_and_b64 vcc, exec, s[40:41]
	s_cbranch_vccnz .LBB866_14
.LBB866_260:
	s_branch .LBB866_555
.LBB866_261:
	s_mov_b64 s[6:7], -1
                                        ; implicit-def: $vgpr2
.LBB866_262:
	s_and_b64 vcc, exec, s[6:7]
	s_cbranch_vccz .LBB866_448
; %bb.263:
	s_sub_i32 s81, s70, s4
	s_waitcnt vmcnt(0)
	v_mov_b32_e32 v2, 0
	v_cmp_gt_u32_e32 vcc, s81, v0
	s_waitcnt lgkmcnt(0)
	v_mov_b32_e32 v3, v2
	v_mov_b32_e32 v4, v2
	;; [unrolled: 1-line block ×15, first 2 shown]
	s_and_saveexec_b64 s[4:5], vcc
	s_cbranch_execz .LBB866_265
; %bb.264:
	v_lshlrev_b32_e32 v1, 1, v0
	global_load_ushort v1, v1, s[76:77]
	v_mov_b32_e32 v5, v2
	v_mov_b32_e32 v6, v2
	;; [unrolled: 1-line block ×15, first 2 shown]
	s_waitcnt vmcnt(0)
	v_and_b32_e32 v4, 0xffff, v1
	v_mov_b64_e32 v[2:3], v[4:5]
	v_mov_b64_e32 v[4:5], v[6:7]
	;; [unrolled: 1-line block ×8, first 2 shown]
.LBB866_265:
	s_or_b64 exec, exec, s[4:5]
	v_or_b32_e32 v1, 0x80, v0
	v_cmp_gt_u32_e32 vcc, s81, v1
	s_and_saveexec_b64 s[4:5], vcc
	s_cbranch_execz .LBB866_267
; %bb.266:
	v_lshlrev_b32_e32 v1, 1, v0
	global_load_ushort v1, v1, s[76:77] offset:256
	s_mov_b32 s6, 0x5040100
	s_waitcnt vmcnt(0)
	v_perm_b32 v2, v1, v2, s6
.LBB866_267:
	s_or_b64 exec, exec, s[4:5]
	v_or_b32_e32 v1, 0x100, v0
	v_cmp_gt_u32_e64 s[4:5], s81, v1
	s_and_saveexec_b64 s[6:7], s[4:5]
	s_cbranch_execz .LBB866_269
; %bb.268:
	v_lshlrev_b32_e32 v1, 1, v0
	global_load_ushort v1, v1, s[76:77] offset:512
	s_mov_b32 s8, 0xffff
	s_waitcnt vmcnt(0)
	v_bfi_b32 v3, s8, v1, v3
.LBB866_269:
	s_or_b64 exec, exec, s[6:7]
	v_or_b32_e32 v1, 0x180, v0
	v_cmp_gt_u32_e64 s[6:7], s81, v1
	s_and_saveexec_b64 s[8:9], s[6:7]
	s_cbranch_execz .LBB866_271
; %bb.270:
	v_lshlrev_b32_e32 v1, 1, v0
	global_load_ushort v1, v1, s[76:77] offset:768
	s_mov_b32 s10, 0x5040100
	s_waitcnt vmcnt(0)
	v_perm_b32 v3, v1, v3, s10
.LBB866_271:
	s_or_b64 exec, exec, s[8:9]
	v_or_b32_e32 v1, 0x200, v0
	v_cmp_gt_u32_e64 s[8:9], s81, v1
	s_and_saveexec_b64 s[10:11], s[8:9]
	s_cbranch_execz .LBB866_273
; %bb.272:
	v_lshlrev_b32_e32 v1, 1, v0
	global_load_ushort v1, v1, s[76:77] offset:1024
	s_mov_b32 s12, 0xffff
	s_waitcnt vmcnt(0)
	v_bfi_b32 v4, s12, v1, v4
.LBB866_273:
	s_or_b64 exec, exec, s[10:11]
	v_or_b32_e32 v1, 0x280, v0
	v_cmp_gt_u32_e64 s[10:11], s81, v1
	s_and_saveexec_b64 s[12:13], s[10:11]
	;; [unrolled: 24-line block ×7, first 2 shown]
	s_cbranch_execz .LBB866_295
; %bb.294:
	v_lshlrev_b32_e32 v1, 1, v0
	global_load_ushort v1, v1, s[76:77] offset:3840
	s_mov_b32 s36, 0x5040100
	s_waitcnt vmcnt(0)
	v_perm_b32 v9, v1, v9, s36
.LBB866_295:
	s_or_b64 exec, exec, s[34:35]
	v_or_b32_e32 v1, 0x800, v0
	v_cmp_gt_u32_e64 s[34:35], s81, v1
	s_and_saveexec_b64 s[36:37], s[34:35]
	s_cbranch_execz .LBB866_297
; %bb.296:
	v_lshlrev_b32_e32 v1, 1, v1
	global_load_ushort v1, v1, s[76:77]
	s_mov_b32 s38, 0xffff
	s_waitcnt vmcnt(0)
	v_bfi_b32 v10, s38, v1, v10
.LBB866_297:
	s_or_b64 exec, exec, s[36:37]
	v_or_b32_e32 v1, 0x880, v0
	v_cmp_gt_u32_e64 s[36:37], s81, v1
	s_and_saveexec_b64 s[38:39], s[36:37]
	s_cbranch_execz .LBB866_299
; %bb.298:
	v_lshlrev_b32_e32 v1, 1, v1
	global_load_ushort v1, v1, s[76:77]
	s_mov_b32 s40, 0x5040100
	s_waitcnt vmcnt(0)
	v_perm_b32 v10, v1, v10, s40
.LBB866_299:
	s_or_b64 exec, exec, s[38:39]
	v_or_b32_e32 v1, 0x900, v0
	v_cmp_gt_u32_e64 s[38:39], s81, v1
	s_and_saveexec_b64 s[40:41], s[38:39]
	s_cbranch_execz .LBB866_301
; %bb.300:
	v_lshlrev_b32_e32 v1, 1, v1
	global_load_ushort v1, v1, s[76:77]
	s_mov_b32 s42, 0xffff
	s_waitcnt vmcnt(0)
	v_bfi_b32 v11, s42, v1, v11
.LBB866_301:
	s_or_b64 exec, exec, s[40:41]
	v_or_b32_e32 v1, 0x980, v0
	v_cmp_gt_u32_e64 s[40:41], s81, v1
	s_and_saveexec_b64 s[42:43], s[40:41]
	s_cbranch_execz .LBB866_303
; %bb.302:
	v_lshlrev_b32_e32 v1, 1, v1
	global_load_ushort v1, v1, s[76:77]
	s_mov_b32 s44, 0x5040100
	s_waitcnt vmcnt(0)
	v_perm_b32 v11, v1, v11, s44
.LBB866_303:
	;; [unrolled: 24-line block ×7, first 2 shown]
	s_or_b64 exec, exec, s[62:63]
	v_or_b32_e32 v1, 0xf00, v0
	v_cmp_gt_u32_e64 s[62:63], s81, v1
	s_and_saveexec_b64 s[64:65], s[62:63]
	s_cbranch_execz .LBB866_325
; %bb.324:
	v_lshlrev_b32_e32 v1, 1, v1
	global_load_ushort v1, v1, s[76:77]
	s_mov_b32 s78, 0xffff
	s_waitcnt vmcnt(0)
	v_bfi_b32 v17, s78, v1, v17
.LBB866_325:
	s_or_b64 exec, exec, s[64:65]
	v_or_b32_e32 v1, 0xf80, v0
	v_cmp_gt_u32_e64 s[64:65], s81, v1
	s_and_saveexec_b64 s[78:79], s[64:65]
	s_cbranch_execz .LBB866_397
; %bb.326:
	v_lshlrev_b32_e32 v1, 1, v1
	global_load_ushort v1, v1, s[76:77]
	s_mov_b32 s76, 0x5040100
	s_waitcnt vmcnt(0)
	v_perm_b32 v17, v1, v17, s76
	s_or_b64 exec, exec, s[78:79]
	s_and_saveexec_b64 s[76:77], vcc
	s_cbranch_execnz .LBB866_398
.LBB866_327:
	s_or_b64 exec, exec, s[76:77]
	s_and_saveexec_b64 s[76:77], s[4:5]
	s_cbranch_execz .LBB866_399
.LBB866_328:
	v_mov_b32_e32 v1, 1
	s_waitcnt vmcnt(0)
	v_lshlrev_b32_sdwa v18, v1, v2 dst_sel:DWORD dst_unused:UNUSED_PAD src0_sel:DWORD src1_sel:WORD_0
	v_mov_b32_e32 v19, 0
	v_lshl_add_u64 v[20:21], s[66:67], 0, v[18:19]
	v_lshlrev_b32_sdwa v18, v1, v3 dst_sel:DWORD dst_unused:UNUSED_PAD src0_sel:DWORD src1_sel:WORD_0
	v_lshl_add_u64 v[18:19], v[20:21], 0, v[18:19]
	global_load_ushort v2, v[18:19], off
	s_or_b64 exec, exec, s[76:77]
	s_and_saveexec_b64 s[4:5], s[6:7]
	s_cbranch_execnz .LBB866_400
.LBB866_329:
	s_or_b64 exec, exec, s[4:5]
	s_and_saveexec_b64 s[4:5], s[8:9]
	s_cbranch_execz .LBB866_401
.LBB866_330:
	v_mov_b32_e32 v1, 1
	s_waitcnt vmcnt(0)
	v_lshlrev_b32_sdwa v2, v1, v2 dst_sel:DWORD dst_unused:UNUSED_PAD src0_sel:DWORD src1_sel:WORD_0
	v_mov_b32_e32 v3, 0
	v_lshl_add_u64 v[18:19], s[66:67], 0, v[2:3]
	v_lshlrev_b32_sdwa v2, v1, v4 dst_sel:DWORD dst_unused:UNUSED_PAD src0_sel:DWORD src1_sel:WORD_0
	v_lshl_add_u64 v[2:3], v[18:19], 0, v[2:3]
	global_load_ushort v2, v[2:3], off
	s_or_b64 exec, exec, s[4:5]
	s_and_saveexec_b64 s[4:5], s[10:11]
	s_cbranch_execnz .LBB866_402
.LBB866_331:
	s_or_b64 exec, exec, s[4:5]
	s_and_saveexec_b64 s[4:5], s[12:13]
	s_cbranch_execz .LBB866_403
.LBB866_332:
	v_mov_b32_e32 v1, 1
	s_waitcnt vmcnt(0)
	v_lshlrev_b32_sdwa v2, v1, v2 dst_sel:DWORD dst_unused:UNUSED_PAD src0_sel:DWORD src1_sel:WORD_0
	v_mov_b32_e32 v3, 0
	v_lshl_add_u64 v[18:19], s[66:67], 0, v[2:3]
	v_lshlrev_b32_sdwa v2, v1, v5 dst_sel:DWORD dst_unused:UNUSED_PAD src0_sel:DWORD src1_sel:WORD_0
	v_lshl_add_u64 v[2:3], v[18:19], 0, v[2:3]
	global_load_ushort v2, v[2:3], off
	s_or_b64 exec, exec, s[4:5]
	s_and_saveexec_b64 s[4:5], s[14:15]
	s_cbranch_execnz .LBB866_404
.LBB866_333:
	s_or_b64 exec, exec, s[4:5]
	s_and_saveexec_b64 s[4:5], s[16:17]
	s_cbranch_execz .LBB866_405
.LBB866_334:
	v_mov_b32_e32 v1, 1
	s_waitcnt vmcnt(0)
	v_lshlrev_b32_sdwa v2, v1, v2 dst_sel:DWORD dst_unused:UNUSED_PAD src0_sel:DWORD src1_sel:WORD_0
	v_mov_b32_e32 v3, 0
	v_lshl_add_u64 v[4:5], s[66:67], 0, v[2:3]
	v_lshlrev_b32_sdwa v2, v1, v6 dst_sel:DWORD dst_unused:UNUSED_PAD src0_sel:DWORD src1_sel:WORD_0
	v_lshl_add_u64 v[2:3], v[4:5], 0, v[2:3]
	global_load_ushort v2, v[2:3], off
	s_or_b64 exec, exec, s[4:5]
	s_and_saveexec_b64 s[4:5], s[18:19]
	s_cbranch_execnz .LBB866_406
.LBB866_335:
	s_or_b64 exec, exec, s[4:5]
	s_and_saveexec_b64 s[4:5], s[20:21]
	s_cbranch_execz .LBB866_407
.LBB866_336:
	v_mov_b32_e32 v1, 1
	s_waitcnt vmcnt(0)
	v_lshlrev_b32_sdwa v2, v1, v2 dst_sel:DWORD dst_unused:UNUSED_PAD src0_sel:DWORD src1_sel:WORD_0
	v_mov_b32_e32 v3, 0
	v_lshl_add_u64 v[4:5], s[66:67], 0, v[2:3]
	v_lshlrev_b32_sdwa v2, v1, v7 dst_sel:DWORD dst_unused:UNUSED_PAD src0_sel:DWORD src1_sel:WORD_0
	v_lshl_add_u64 v[2:3], v[4:5], 0, v[2:3]
	global_load_ushort v2, v[2:3], off
	s_or_b64 exec, exec, s[4:5]
	s_and_saveexec_b64 s[4:5], s[22:23]
	s_cbranch_execnz .LBB866_408
.LBB866_337:
	s_or_b64 exec, exec, s[4:5]
	s_and_saveexec_b64 s[4:5], s[24:25]
	s_cbranch_execz .LBB866_409
.LBB866_338:
	v_mov_b32_e32 v1, 1
	s_waitcnt vmcnt(0)
	v_lshlrev_b32_sdwa v2, v1, v2 dst_sel:DWORD dst_unused:UNUSED_PAD src0_sel:DWORD src1_sel:WORD_0
	v_mov_b32_e32 v3, 0
	v_lshl_add_u64 v[4:5], s[66:67], 0, v[2:3]
	v_lshlrev_b32_sdwa v2, v1, v8 dst_sel:DWORD dst_unused:UNUSED_PAD src0_sel:DWORD src1_sel:WORD_0
	v_lshl_add_u64 v[2:3], v[4:5], 0, v[2:3]
	global_load_ushort v2, v[2:3], off
	s_or_b64 exec, exec, s[4:5]
	s_and_saveexec_b64 s[4:5], s[26:27]
	s_cbranch_execnz .LBB866_410
.LBB866_339:
	s_or_b64 exec, exec, s[4:5]
	s_and_saveexec_b64 s[4:5], s[28:29]
	s_cbranch_execz .LBB866_411
.LBB866_340:
	v_mov_b32_e32 v1, 1
	s_waitcnt vmcnt(0)
	v_lshlrev_b32_sdwa v2, v1, v2 dst_sel:DWORD dst_unused:UNUSED_PAD src0_sel:DWORD src1_sel:WORD_0
	v_mov_b32_e32 v3, 0
	v_lshl_add_u64 v[4:5], s[66:67], 0, v[2:3]
	v_lshlrev_b32_sdwa v2, v1, v9 dst_sel:DWORD dst_unused:UNUSED_PAD src0_sel:DWORD src1_sel:WORD_0
	v_lshl_add_u64 v[2:3], v[4:5], 0, v[2:3]
	global_load_ushort v2, v[2:3], off
	s_or_b64 exec, exec, s[4:5]
	s_and_saveexec_b64 s[4:5], s[30:31]
	s_cbranch_execnz .LBB866_412
.LBB866_341:
	s_or_b64 exec, exec, s[4:5]
	s_and_saveexec_b64 s[4:5], s[34:35]
	s_cbranch_execz .LBB866_413
.LBB866_342:
	v_mov_b32_e32 v1, 1
	s_waitcnt vmcnt(0)
	v_lshlrev_b32_sdwa v2, v1, v2 dst_sel:DWORD dst_unused:UNUSED_PAD src0_sel:DWORD src1_sel:WORD_0
	v_mov_b32_e32 v3, 0
	v_lshl_add_u64 v[4:5], s[66:67], 0, v[2:3]
	v_lshlrev_b32_sdwa v2, v1, v10 dst_sel:DWORD dst_unused:UNUSED_PAD src0_sel:DWORD src1_sel:WORD_0
	v_lshl_add_u64 v[2:3], v[4:5], 0, v[2:3]
	global_load_ushort v2, v[2:3], off
	s_or_b64 exec, exec, s[4:5]
	s_and_saveexec_b64 s[4:5], s[36:37]
	s_cbranch_execnz .LBB866_414
.LBB866_343:
	s_or_b64 exec, exec, s[4:5]
	s_and_saveexec_b64 s[4:5], s[38:39]
	s_cbranch_execz .LBB866_415
.LBB866_344:
	v_mov_b32_e32 v1, 1
	s_waitcnt vmcnt(0)
	v_lshlrev_b32_sdwa v2, v1, v2 dst_sel:DWORD dst_unused:UNUSED_PAD src0_sel:DWORD src1_sel:WORD_0
	v_mov_b32_e32 v3, 0
	v_lshl_add_u64 v[4:5], s[66:67], 0, v[2:3]
	v_lshlrev_b32_sdwa v2, v1, v11 dst_sel:DWORD dst_unused:UNUSED_PAD src0_sel:DWORD src1_sel:WORD_0
	v_lshl_add_u64 v[2:3], v[4:5], 0, v[2:3]
	global_load_ushort v2, v[2:3], off
	s_or_b64 exec, exec, s[4:5]
	s_and_saveexec_b64 s[4:5], s[40:41]
	s_cbranch_execnz .LBB866_416
.LBB866_345:
	s_or_b64 exec, exec, s[4:5]
	s_and_saveexec_b64 s[4:5], s[42:43]
	s_cbranch_execz .LBB866_417
.LBB866_346:
	v_mov_b32_e32 v1, 1
	s_waitcnt vmcnt(0)
	v_lshlrev_b32_sdwa v2, v1, v2 dst_sel:DWORD dst_unused:UNUSED_PAD src0_sel:DWORD src1_sel:WORD_0
	v_mov_b32_e32 v3, 0
	v_lshl_add_u64 v[4:5], s[66:67], 0, v[2:3]
	v_lshlrev_b32_sdwa v2, v1, v12 dst_sel:DWORD dst_unused:UNUSED_PAD src0_sel:DWORD src1_sel:WORD_0
	v_lshl_add_u64 v[2:3], v[4:5], 0, v[2:3]
	global_load_ushort v2, v[2:3], off
	s_or_b64 exec, exec, s[4:5]
	s_and_saveexec_b64 s[4:5], s[44:45]
	s_cbranch_execnz .LBB866_418
.LBB866_347:
	s_or_b64 exec, exec, s[4:5]
	s_and_saveexec_b64 s[4:5], s[46:47]
	s_cbranch_execz .LBB866_419
.LBB866_348:
	v_mov_b32_e32 v1, 1
	s_waitcnt vmcnt(0)
	v_lshlrev_b32_sdwa v2, v1, v2 dst_sel:DWORD dst_unused:UNUSED_PAD src0_sel:DWORD src1_sel:WORD_0
	v_mov_b32_e32 v3, 0
	v_lshl_add_u64 v[4:5], s[66:67], 0, v[2:3]
	v_lshlrev_b32_sdwa v2, v1, v13 dst_sel:DWORD dst_unused:UNUSED_PAD src0_sel:DWORD src1_sel:WORD_0
	v_lshl_add_u64 v[2:3], v[4:5], 0, v[2:3]
	global_load_ushort v2, v[2:3], off
	s_or_b64 exec, exec, s[4:5]
	s_and_saveexec_b64 s[4:5], s[48:49]
	s_cbranch_execnz .LBB866_420
.LBB866_349:
	s_or_b64 exec, exec, s[4:5]
	s_and_saveexec_b64 s[4:5], s[50:51]
	s_cbranch_execz .LBB866_421
.LBB866_350:
	v_mov_b32_e32 v1, 1
	s_waitcnt vmcnt(0)
	v_lshlrev_b32_sdwa v2, v1, v2 dst_sel:DWORD dst_unused:UNUSED_PAD src0_sel:DWORD src1_sel:WORD_0
	v_mov_b32_e32 v3, 0
	v_lshl_add_u64 v[4:5], s[66:67], 0, v[2:3]
	v_lshlrev_b32_sdwa v2, v1, v14 dst_sel:DWORD dst_unused:UNUSED_PAD src0_sel:DWORD src1_sel:WORD_0
	v_lshl_add_u64 v[2:3], v[4:5], 0, v[2:3]
	global_load_ushort v2, v[2:3], off
	s_or_b64 exec, exec, s[4:5]
	s_and_saveexec_b64 s[4:5], s[52:53]
	s_cbranch_execnz .LBB866_422
.LBB866_351:
	s_or_b64 exec, exec, s[4:5]
	s_and_saveexec_b64 s[4:5], s[54:55]
	s_cbranch_execz .LBB866_423
.LBB866_352:
	v_mov_b32_e32 v1, 1
	s_waitcnt vmcnt(0)
	v_lshlrev_b32_sdwa v2, v1, v2 dst_sel:DWORD dst_unused:UNUSED_PAD src0_sel:DWORD src1_sel:WORD_0
	v_mov_b32_e32 v3, 0
	v_lshl_add_u64 v[4:5], s[66:67], 0, v[2:3]
	v_lshlrev_b32_sdwa v2, v1, v15 dst_sel:DWORD dst_unused:UNUSED_PAD src0_sel:DWORD src1_sel:WORD_0
	v_lshl_add_u64 v[2:3], v[4:5], 0, v[2:3]
	global_load_ushort v2, v[2:3], off
	s_or_b64 exec, exec, s[4:5]
	s_and_saveexec_b64 s[4:5], s[56:57]
	s_cbranch_execnz .LBB866_424
.LBB866_353:
	s_or_b64 exec, exec, s[4:5]
	s_and_saveexec_b64 s[4:5], s[58:59]
	s_cbranch_execz .LBB866_425
.LBB866_354:
	v_mov_b32_e32 v1, 1
	s_waitcnt vmcnt(0)
	v_lshlrev_b32_sdwa v2, v1, v2 dst_sel:DWORD dst_unused:UNUSED_PAD src0_sel:DWORD src1_sel:WORD_0
	v_mov_b32_e32 v3, 0
	v_lshl_add_u64 v[4:5], s[66:67], 0, v[2:3]
	v_lshlrev_b32_sdwa v2, v1, v16 dst_sel:DWORD dst_unused:UNUSED_PAD src0_sel:DWORD src1_sel:WORD_0
	v_lshl_add_u64 v[2:3], v[4:5], 0, v[2:3]
	global_load_ushort v2, v[2:3], off
	s_or_b64 exec, exec, s[4:5]
	s_and_saveexec_b64 s[4:5], s[60:61]
	s_cbranch_execnz .LBB866_426
.LBB866_355:
	s_or_b64 exec, exec, s[4:5]
	s_and_saveexec_b64 s[4:5], s[62:63]
	s_cbranch_execz .LBB866_427
.LBB866_356:
	v_mov_b32_e32 v1, 1
	s_waitcnt vmcnt(0)
	v_lshlrev_b32_sdwa v2, v1, v2 dst_sel:DWORD dst_unused:UNUSED_PAD src0_sel:DWORD src1_sel:WORD_0
	v_mov_b32_e32 v3, 0
	v_lshl_add_u64 v[4:5], s[66:67], 0, v[2:3]
	v_lshlrev_b32_sdwa v2, v1, v17 dst_sel:DWORD dst_unused:UNUSED_PAD src0_sel:DWORD src1_sel:WORD_0
	v_lshl_add_u64 v[2:3], v[4:5], 0, v[2:3]
	global_load_ushort v2, v[2:3], off
	s_or_b64 exec, exec, s[4:5]
	s_and_saveexec_b64 s[4:5], s[64:65]
	s_cbranch_execnz .LBB866_428
	s_branch .LBB866_429
.LBB866_357:
	s_or_b64 exec, exec, s[42:43]
	s_and_saveexec_b64 s[42:43], s[50:51]
	s_cbranch_execz .LBB866_198
.LBB866_358:
	v_mov_b32_e32 v1, 1
	s_waitcnt vmcnt(0)
	v_lshlrev_b32_sdwa v2, v1, v2 dst_sel:DWORD dst_unused:UNUSED_PAD src0_sel:DWORD src1_sel:WORD_0
	v_mov_b32_e32 v3, 0
	v_lshl_add_u64 v[4:5], s[66:67], 0, v[2:3]
	v_lshlrev_b32_sdwa v2, v1, v14 dst_sel:DWORD dst_unused:UNUSED_PAD src0_sel:DWORD src1_sel:WORD_0
	v_lshl_add_u64 v[2:3], v[4:5], 0, v[2:3]
	global_load_ushort v2, v[2:3], off
	s_or_b64 exec, exec, s[42:43]
	s_and_saveexec_b64 s[42:43], s[52:53]
	s_cbranch_execnz .LBB866_199
.LBB866_359:
	s_or_b64 exec, exec, s[42:43]
	s_and_saveexec_b64 s[42:43], s[54:55]
	s_cbranch_execz .LBB866_200
.LBB866_360:
	v_mov_b32_e32 v1, 1
	s_waitcnt vmcnt(0)
	v_lshlrev_b32_sdwa v2, v1, v2 dst_sel:DWORD dst_unused:UNUSED_PAD src0_sel:DWORD src1_sel:WORD_0
	v_mov_b32_e32 v3, 0
	v_lshl_add_u64 v[4:5], s[66:67], 0, v[2:3]
	v_lshlrev_b32_sdwa v2, v1, v15 dst_sel:DWORD dst_unused:UNUSED_PAD src0_sel:DWORD src1_sel:WORD_0
	v_lshl_add_u64 v[2:3], v[4:5], 0, v[2:3]
	global_load_ushort v2, v[2:3], off
	s_or_b64 exec, exec, s[42:43]
	s_and_saveexec_b64 s[42:43], s[56:57]
	s_cbranch_execnz .LBB866_201
.LBB866_361:
	s_or_b64 exec, exec, s[42:43]
	s_and_saveexec_b64 s[42:43], s[58:59]
	s_cbranch_execz .LBB866_202
.LBB866_362:
	v_mov_b32_e32 v1, 1
	s_waitcnt vmcnt(0)
	v_lshlrev_b32_sdwa v2, v1, v2 dst_sel:DWORD dst_unused:UNUSED_PAD src0_sel:DWORD src1_sel:WORD_0
	v_mov_b32_e32 v3, 0
	v_lshl_add_u64 v[4:5], s[66:67], 0, v[2:3]
	v_lshlrev_b32_sdwa v2, v1, v16 dst_sel:DWORD dst_unused:UNUSED_PAD src0_sel:DWORD src1_sel:WORD_0
	v_lshl_add_u64 v[2:3], v[4:5], 0, v[2:3]
	global_load_ushort v2, v[2:3], off
	s_or_b64 exec, exec, s[42:43]
	s_and_saveexec_b64 s[42:43], s[60:61]
	s_cbranch_execnz .LBB866_203
.LBB866_363:
	s_or_b64 exec, exec, s[42:43]
	s_and_saveexec_b64 s[42:43], s[62:63]
	s_cbranch_execz .LBB866_204
.LBB866_364:
	v_mov_b32_e32 v1, 1
	s_waitcnt vmcnt(0)
	v_lshlrev_b32_sdwa v2, v1, v2 dst_sel:DWORD dst_unused:UNUSED_PAD src0_sel:DWORD src1_sel:WORD_0
	v_mov_b32_e32 v3, 0
	v_lshl_add_u64 v[4:5], s[66:67], 0, v[2:3]
	v_lshlrev_b32_sdwa v2, v1, v17 dst_sel:DWORD dst_unused:UNUSED_PAD src0_sel:DWORD src1_sel:WORD_0
	v_lshl_add_u64 v[2:3], v[4:5], 0, v[2:3]
	global_load_ushort v2, v[2:3], off
	s_or_b64 exec, exec, s[42:43]
	s_and_saveexec_b64 s[42:43], s[64:65]
	s_cbranch_execnz .LBB866_205
.LBB866_365:
	s_or_b64 exec, exec, s[42:43]
	s_and_saveexec_b64 s[42:43], s[38:39]
	s_cbranch_execz .LBB866_206
.LBB866_366:
	v_mov_b32_e32 v1, 1
	s_waitcnt vmcnt(0)
	v_lshlrev_b32_sdwa v2, v1, v2 dst_sel:DWORD dst_unused:UNUSED_PAD src0_sel:DWORD src1_sel:WORD_0
	v_mov_b32_e32 v3, 0
	v_lshl_add_u64 v[4:5], s[66:67], 0, v[2:3]
	v_lshlrev_b32_sdwa v2, v1, v18 dst_sel:DWORD dst_unused:UNUSED_PAD src0_sel:DWORD src1_sel:WORD_0
	v_lshl_add_u64 v[2:3], v[4:5], 0, v[2:3]
	global_load_ushort v2, v[2:3], off
	s_or_b64 exec, exec, s[42:43]
	s_and_saveexec_b64 s[38:39], s[34:35]
	s_cbranch_execnz .LBB866_207
.LBB866_367:
	s_or_b64 exec, exec, s[38:39]
	s_and_saveexec_b64 s[34:35], s[36:37]
	s_cbranch_execz .LBB866_208
.LBB866_368:
	v_mov_b32_e32 v1, 1
	s_waitcnt vmcnt(0)
	v_lshlrev_b32_sdwa v2, v1, v2 dst_sel:DWORD dst_unused:UNUSED_PAD src0_sel:DWORD src1_sel:WORD_0
	v_mov_b32_e32 v3, 0
	v_lshl_add_u64 v[4:5], s[66:67], 0, v[2:3]
	v_lshlrev_b32_sdwa v2, v1, v19 dst_sel:DWORD dst_unused:UNUSED_PAD src0_sel:DWORD src1_sel:WORD_0
	v_lshl_add_u64 v[2:3], v[4:5], 0, v[2:3]
	global_load_ushort v2, v[2:3], off
	s_or_b64 exec, exec, s[34:35]
	s_and_saveexec_b64 s[34:35], s[72:73]
	s_cbranch_execnz .LBB866_209
.LBB866_369:
	s_or_b64 exec, exec, s[34:35]
	s_and_saveexec_b64 s[34:35], s[74:75]
	s_cbranch_execz .LBB866_210
.LBB866_370:
	v_mov_b32_e32 v1, 1
	s_waitcnt vmcnt(0)
	v_lshlrev_b32_sdwa v2, v1, v2 dst_sel:DWORD dst_unused:UNUSED_PAD src0_sel:DWORD src1_sel:WORD_0
	v_mov_b32_e32 v3, 0
	v_lshl_add_u64 v[4:5], s[66:67], 0, v[2:3]
	v_lshlrev_b32_sdwa v2, v1, v20 dst_sel:DWORD dst_unused:UNUSED_PAD src0_sel:DWORD src1_sel:WORD_0
	v_lshl_add_u64 v[2:3], v[4:5], 0, v[2:3]
	global_load_ushort v2, v[2:3], off
	s_or_b64 exec, exec, s[34:35]
	s_and_saveexec_b64 s[34:35], s[76:77]
	s_cbranch_execnz .LBB866_211
.LBB866_371:
	s_or_b64 exec, exec, s[34:35]
	s_and_saveexec_b64 s[34:35], s[78:79]
	s_cbranch_execz .LBB866_212
.LBB866_372:
	v_mov_b32_e32 v1, 1
	s_waitcnt vmcnt(0)
	v_lshlrev_b32_sdwa v2, v1, v2 dst_sel:DWORD dst_unused:UNUSED_PAD src0_sel:DWORD src1_sel:WORD_0
	v_mov_b32_e32 v3, 0
	v_lshl_add_u64 v[4:5], s[66:67], 0, v[2:3]
	v_lshlrev_b32_sdwa v2, v1, v21 dst_sel:DWORD dst_unused:UNUSED_PAD src0_sel:DWORD src1_sel:WORD_0
	v_lshl_add_u64 v[2:3], v[4:5], 0, v[2:3]
	global_load_ushort v2, v[2:3], off
	s_or_b64 exec, exec, s[34:35]
	s_and_saveexec_b64 s[34:35], s[46:47]
	s_cbranch_execnz .LBB866_213
.LBB866_373:
	s_or_b64 exec, exec, s[34:35]
	s_and_saveexec_b64 s[34:35], s[82:83]
	s_cbranch_execz .LBB866_214
.LBB866_374:
	v_mov_b32_e32 v1, 1
	s_waitcnt vmcnt(0)
	v_lshlrev_b32_sdwa v2, v1, v2 dst_sel:DWORD dst_unused:UNUSED_PAD src0_sel:DWORD src1_sel:WORD_0
	v_mov_b32_e32 v3, 0
	v_lshl_add_u64 v[4:5], s[66:67], 0, v[2:3]
	v_lshlrev_b32_sdwa v2, v1, v22 dst_sel:DWORD dst_unused:UNUSED_PAD src0_sel:DWORD src1_sel:WORD_0
	v_lshl_add_u64 v[2:3], v[4:5], 0, v[2:3]
	global_load_ushort v2, v[2:3], off
	s_or_b64 exec, exec, s[34:35]
	s_and_saveexec_b64 s[34:35], s[84:85]
	s_cbranch_execnz .LBB866_215
.LBB866_375:
	s_or_b64 exec, exec, s[34:35]
	s_and_saveexec_b64 s[34:35], s[86:87]
	s_cbranch_execz .LBB866_216
.LBB866_376:
	v_mov_b32_e32 v1, 1
	s_waitcnt vmcnt(0)
	v_lshlrev_b32_sdwa v2, v1, v2 dst_sel:DWORD dst_unused:UNUSED_PAD src0_sel:DWORD src1_sel:WORD_0
	v_mov_b32_e32 v3, 0
	v_lshl_add_u64 v[4:5], s[66:67], 0, v[2:3]
	v_lshlrev_b32_sdwa v2, v1, v23 dst_sel:DWORD dst_unused:UNUSED_PAD src0_sel:DWORD src1_sel:WORD_0
	v_lshl_add_u64 v[2:3], v[4:5], 0, v[2:3]
	global_load_ushort v2, v[2:3], off
	s_or_b64 exec, exec, s[34:35]
	s_and_saveexec_b64 s[34:35], s[88:89]
	s_cbranch_execnz .LBB866_217
.LBB866_377:
	s_or_b64 exec, exec, s[34:35]
	s_and_saveexec_b64 s[34:35], s[90:91]
	s_cbranch_execz .LBB866_218
.LBB866_378:
	v_mov_b32_e32 v1, 1
	s_waitcnt vmcnt(0)
	v_lshlrev_b32_sdwa v2, v1, v2 dst_sel:DWORD dst_unused:UNUSED_PAD src0_sel:DWORD src1_sel:WORD_0
	v_mov_b32_e32 v3, 0
	v_lshl_add_u64 v[4:5], s[66:67], 0, v[2:3]
	v_lshlrev_b32_sdwa v2, v1, v24 dst_sel:DWORD dst_unused:UNUSED_PAD src0_sel:DWORD src1_sel:WORD_0
	v_lshl_add_u64 v[2:3], v[4:5], 0, v[2:3]
	global_load_ushort v2, v[2:3], off
	s_or_b64 exec, exec, s[34:35]
	s_and_saveexec_b64 s[34:35], s[92:93]
	s_cbranch_execnz .LBB866_219
.LBB866_379:
	s_or_b64 exec, exec, s[34:35]
	s_and_saveexec_b64 s[34:35], s[94:95]
	s_cbranch_execz .LBB866_220
.LBB866_380:
	v_mov_b32_e32 v1, 1
	s_waitcnt vmcnt(0)
	v_lshlrev_b32_sdwa v2, v1, v2 dst_sel:DWORD dst_unused:UNUSED_PAD src0_sel:DWORD src1_sel:WORD_0
	v_mov_b32_e32 v3, 0
	v_lshl_add_u64 v[4:5], s[66:67], 0, v[2:3]
	v_lshlrev_b32_sdwa v2, v1, v25 dst_sel:DWORD dst_unused:UNUSED_PAD src0_sel:DWORD src1_sel:WORD_0
	v_lshl_add_u64 v[2:3], v[4:5], 0, v[2:3]
	global_load_ushort v2, v[2:3], off
	s_or_b64 exec, exec, s[34:35]
	s_and_saveexec_b64 s[34:35], s[96:97]
	s_cbranch_execnz .LBB866_221
.LBB866_381:
	s_or_b64 exec, exec, s[34:35]
	s_and_saveexec_b64 s[34:35], s[98:99]
	s_cbranch_execz .LBB866_222
.LBB866_382:
	v_mov_b32_e32 v1, 1
	s_waitcnt vmcnt(0)
	v_lshlrev_b32_sdwa v2, v1, v2 dst_sel:DWORD dst_unused:UNUSED_PAD src0_sel:DWORD src1_sel:WORD_0
	v_mov_b32_e32 v3, 0
	v_lshl_add_u64 v[4:5], s[66:67], 0, v[2:3]
	v_lshlrev_b32_sdwa v2, v1, v26 dst_sel:DWORD dst_unused:UNUSED_PAD src0_sel:DWORD src1_sel:WORD_0
	v_lshl_add_u64 v[2:3], v[4:5], 0, v[2:3]
	global_load_ushort v2, v[2:3], off
	s_or_b64 exec, exec, s[34:35]
	s_and_saveexec_b64 s[34:35], s[4:5]
	s_cbranch_execnz .LBB866_223
.LBB866_383:
	s_or_b64 exec, exec, s[34:35]
	s_and_saveexec_b64 s[4:5], s[6:7]
	s_cbranch_execz .LBB866_224
.LBB866_384:
	v_mov_b32_e32 v1, 1
	s_waitcnt vmcnt(0)
	v_lshlrev_b32_sdwa v2, v1, v2 dst_sel:DWORD dst_unused:UNUSED_PAD src0_sel:DWORD src1_sel:WORD_0
	v_mov_b32_e32 v3, 0
	v_lshl_add_u64 v[4:5], s[66:67], 0, v[2:3]
	v_lshlrev_b32_sdwa v2, v1, v27 dst_sel:DWORD dst_unused:UNUSED_PAD src0_sel:DWORD src1_sel:WORD_0
	v_lshl_add_u64 v[2:3], v[4:5], 0, v[2:3]
	global_load_ushort v2, v[2:3], off
	s_or_b64 exec, exec, s[4:5]
	s_and_saveexec_b64 s[4:5], s[8:9]
	s_cbranch_execnz .LBB866_225
.LBB866_385:
	s_or_b64 exec, exec, s[4:5]
	s_and_saveexec_b64 s[4:5], s[10:11]
	s_cbranch_execz .LBB866_226
.LBB866_386:
	v_mov_b32_e32 v1, 1
	s_waitcnt vmcnt(0)
	v_lshlrev_b32_sdwa v2, v1, v2 dst_sel:DWORD dst_unused:UNUSED_PAD src0_sel:DWORD src1_sel:WORD_0
	v_mov_b32_e32 v3, 0
	v_lshl_add_u64 v[4:5], s[66:67], 0, v[2:3]
	v_lshlrev_b32_sdwa v2, v1, v28 dst_sel:DWORD dst_unused:UNUSED_PAD src0_sel:DWORD src1_sel:WORD_0
	v_lshl_add_u64 v[2:3], v[4:5], 0, v[2:3]
	global_load_ushort v2, v[2:3], off
	s_or_b64 exec, exec, s[4:5]
	s_and_saveexec_b64 s[4:5], s[12:13]
	s_cbranch_execnz .LBB866_227
.LBB866_387:
	s_or_b64 exec, exec, s[4:5]
	s_and_saveexec_b64 s[4:5], s[14:15]
	s_cbranch_execz .LBB866_228
.LBB866_388:
	v_mov_b32_e32 v1, 1
	s_waitcnt vmcnt(0)
	v_lshlrev_b32_sdwa v2, v1, v2 dst_sel:DWORD dst_unused:UNUSED_PAD src0_sel:DWORD src1_sel:WORD_0
	v_mov_b32_e32 v3, 0
	v_lshl_add_u64 v[4:5], s[66:67], 0, v[2:3]
	v_lshlrev_b32_sdwa v2, v1, v29 dst_sel:DWORD dst_unused:UNUSED_PAD src0_sel:DWORD src1_sel:WORD_0
	v_lshl_add_u64 v[2:3], v[4:5], 0, v[2:3]
	global_load_ushort v2, v[2:3], off
	s_or_b64 exec, exec, s[4:5]
	s_and_saveexec_b64 s[4:5], s[16:17]
	s_cbranch_execnz .LBB866_229
.LBB866_389:
	s_or_b64 exec, exec, s[4:5]
	s_and_saveexec_b64 s[4:5], s[18:19]
	s_cbranch_execz .LBB866_230
.LBB866_390:
	v_mov_b32_e32 v1, 1
	s_waitcnt vmcnt(0)
	v_lshlrev_b32_sdwa v2, v1, v2 dst_sel:DWORD dst_unused:UNUSED_PAD src0_sel:DWORD src1_sel:WORD_0
	v_mov_b32_e32 v3, 0
	v_lshl_add_u64 v[4:5], s[66:67], 0, v[2:3]
	v_lshlrev_b32_sdwa v2, v1, v30 dst_sel:DWORD dst_unused:UNUSED_PAD src0_sel:DWORD src1_sel:WORD_0
	v_lshl_add_u64 v[2:3], v[4:5], 0, v[2:3]
	global_load_ushort v2, v[2:3], off
	s_or_b64 exec, exec, s[4:5]
	s_and_saveexec_b64 s[4:5], s[20:21]
	s_cbranch_execnz .LBB866_231
.LBB866_391:
	s_or_b64 exec, exec, s[4:5]
	s_and_saveexec_b64 s[4:5], s[22:23]
	s_cbranch_execz .LBB866_232
.LBB866_392:
	v_mov_b32_e32 v1, 1
	s_waitcnt vmcnt(0)
	v_lshlrev_b32_sdwa v2, v1, v2 dst_sel:DWORD dst_unused:UNUSED_PAD src0_sel:DWORD src1_sel:WORD_0
	v_mov_b32_e32 v3, 0
	v_lshl_add_u64 v[4:5], s[66:67], 0, v[2:3]
	v_lshlrev_b32_sdwa v2, v1, v31 dst_sel:DWORD dst_unused:UNUSED_PAD src0_sel:DWORD src1_sel:WORD_0
	v_lshl_add_u64 v[2:3], v[4:5], 0, v[2:3]
	global_load_ushort v2, v[2:3], off
	s_or_b64 exec, exec, s[4:5]
	s_and_saveexec_b64 s[4:5], s[24:25]
	s_cbranch_execnz .LBB866_233
.LBB866_393:
	s_or_b64 exec, exec, s[4:5]
	s_and_saveexec_b64 s[4:5], s[26:27]
	s_cbranch_execz .LBB866_234
.LBB866_394:
	v_mov_b32_e32 v1, 1
	s_waitcnt vmcnt(0)
	v_lshlrev_b32_sdwa v2, v1, v2 dst_sel:DWORD dst_unused:UNUSED_PAD src0_sel:DWORD src1_sel:WORD_0
	v_mov_b32_e32 v3, 0
	v_lshl_add_u64 v[4:5], s[66:67], 0, v[2:3]
	v_lshlrev_b32_sdwa v2, v1, v32 dst_sel:DWORD dst_unused:UNUSED_PAD src0_sel:DWORD src1_sel:WORD_0
	v_lshl_add_u64 v[2:3], v[4:5], 0, v[2:3]
	global_load_ushort v2, v[2:3], off
	s_or_b64 exec, exec, s[4:5]
	s_and_saveexec_b64 s[4:5], s[28:29]
	s_cbranch_execnz .LBB866_235
.LBB866_395:
	s_or_b64 exec, exec, s[4:5]
	s_and_saveexec_b64 s[4:5], s[30:31]
	s_cbranch_execz .LBB866_236
.LBB866_396:
	v_mov_b32_e32 v1, 1
	s_waitcnt vmcnt(0)
	v_lshlrev_b32_sdwa v2, v1, v2 dst_sel:DWORD dst_unused:UNUSED_PAD src0_sel:DWORD src1_sel:WORD_0
	v_mov_b32_e32 v3, 0
	v_lshl_add_u64 v[4:5], s[66:67], 0, v[2:3]
	v_lshlrev_b32_sdwa v2, v1, v33 dst_sel:DWORD dst_unused:UNUSED_PAD src0_sel:DWORD src1_sel:WORD_0
	v_lshl_add_u64 v[2:3], v[4:5], 0, v[2:3]
	global_load_ushort v2, v[2:3], off
	s_or_b64 exec, exec, s[4:5]
	s_and_saveexec_b64 s[4:5], vcc
	s_cbranch_execnz .LBB866_237
	s_branch .LBB866_238
.LBB866_397:
	s_or_b64 exec, exec, s[78:79]
	s_and_saveexec_b64 s[76:77], vcc
	s_cbranch_execz .LBB866_327
.LBB866_398:
	v_mov_b32_e32 v1, 1
	v_lshlrev_b32_sdwa v18, v1, v2 dst_sel:DWORD dst_unused:UNUSED_PAD src0_sel:DWORD src1_sel:WORD_0
	v_mov_b32_e32 v19, 0
	v_lshl_add_u64 v[20:21], s[66:67], 0, v[18:19]
	v_lshlrev_b32_sdwa v18, v1, v2 dst_sel:DWORD dst_unused:UNUSED_PAD src0_sel:DWORD src1_sel:WORD_1
	v_lshl_add_u64 v[18:19], v[20:21], 0, v[18:19]
	global_load_ushort v2, v[18:19], off
	s_or_b64 exec, exec, s[76:77]
	s_and_saveexec_b64 s[76:77], s[4:5]
	s_cbranch_execnz .LBB866_328
.LBB866_399:
	s_or_b64 exec, exec, s[76:77]
	s_and_saveexec_b64 s[4:5], s[6:7]
	s_cbranch_execz .LBB866_329
.LBB866_400:
	v_mov_b32_e32 v1, 1
	s_waitcnt vmcnt(0)
	v_lshlrev_b32_sdwa v18, v1, v2 dst_sel:DWORD dst_unused:UNUSED_PAD src0_sel:DWORD src1_sel:WORD_0
	v_mov_b32_e32 v19, 0
	v_lshl_add_u64 v[20:21], s[66:67], 0, v[18:19]
	v_lshlrev_b32_sdwa v18, v1, v3 dst_sel:DWORD dst_unused:UNUSED_PAD src0_sel:DWORD src1_sel:WORD_1
	v_lshl_add_u64 v[2:3], v[20:21], 0, v[18:19]
	global_load_ushort v2, v[2:3], off
	s_or_b64 exec, exec, s[4:5]
	s_and_saveexec_b64 s[4:5], s[8:9]
	s_cbranch_execnz .LBB866_330
.LBB866_401:
	s_or_b64 exec, exec, s[4:5]
	s_and_saveexec_b64 s[4:5], s[10:11]
	s_cbranch_execz .LBB866_331
.LBB866_402:
	v_mov_b32_e32 v1, 1
	s_waitcnt vmcnt(0)
	v_lshlrev_b32_sdwa v2, v1, v2 dst_sel:DWORD dst_unused:UNUSED_PAD src0_sel:DWORD src1_sel:WORD_0
	v_mov_b32_e32 v3, 0
	v_lshl_add_u64 v[18:19], s[66:67], 0, v[2:3]
	v_lshlrev_b32_sdwa v2, v1, v4 dst_sel:DWORD dst_unused:UNUSED_PAD src0_sel:DWORD src1_sel:WORD_1
	v_lshl_add_u64 v[2:3], v[18:19], 0, v[2:3]
	global_load_ushort v2, v[2:3], off
	s_or_b64 exec, exec, s[4:5]
	s_and_saveexec_b64 s[4:5], s[12:13]
	s_cbranch_execnz .LBB866_332
.LBB866_403:
	s_or_b64 exec, exec, s[4:5]
	s_and_saveexec_b64 s[4:5], s[14:15]
	s_cbranch_execz .LBB866_333
.LBB866_404:
	v_mov_b32_e32 v1, 1
	s_waitcnt vmcnt(0)
	v_lshlrev_b32_sdwa v2, v1, v2 dst_sel:DWORD dst_unused:UNUSED_PAD src0_sel:DWORD src1_sel:WORD_0
	v_mov_b32_e32 v3, 0
	v_lshl_add_u64 v[18:19], s[66:67], 0, v[2:3]
	v_lshlrev_b32_sdwa v2, v1, v5 dst_sel:DWORD dst_unused:UNUSED_PAD src0_sel:DWORD src1_sel:WORD_1
	v_lshl_add_u64 v[2:3], v[18:19], 0, v[2:3]
	global_load_ushort v2, v[2:3], off
	s_or_b64 exec, exec, s[4:5]
	s_and_saveexec_b64 s[4:5], s[16:17]
	s_cbranch_execnz .LBB866_334
.LBB866_405:
	s_or_b64 exec, exec, s[4:5]
	s_and_saveexec_b64 s[4:5], s[18:19]
	s_cbranch_execz .LBB866_335
.LBB866_406:
	v_mov_b32_e32 v1, 1
	s_waitcnt vmcnt(0)
	v_lshlrev_b32_sdwa v2, v1, v2 dst_sel:DWORD dst_unused:UNUSED_PAD src0_sel:DWORD src1_sel:WORD_0
	v_mov_b32_e32 v3, 0
	v_lshl_add_u64 v[4:5], s[66:67], 0, v[2:3]
	v_lshlrev_b32_sdwa v2, v1, v6 dst_sel:DWORD dst_unused:UNUSED_PAD src0_sel:DWORD src1_sel:WORD_1
	v_lshl_add_u64 v[2:3], v[4:5], 0, v[2:3]
	global_load_ushort v2, v[2:3], off
	s_or_b64 exec, exec, s[4:5]
	s_and_saveexec_b64 s[4:5], s[20:21]
	s_cbranch_execnz .LBB866_336
.LBB866_407:
	s_or_b64 exec, exec, s[4:5]
	s_and_saveexec_b64 s[4:5], s[22:23]
	s_cbranch_execz .LBB866_337
.LBB866_408:
	v_mov_b32_e32 v1, 1
	s_waitcnt vmcnt(0)
	v_lshlrev_b32_sdwa v2, v1, v2 dst_sel:DWORD dst_unused:UNUSED_PAD src0_sel:DWORD src1_sel:WORD_0
	v_mov_b32_e32 v3, 0
	v_lshl_add_u64 v[4:5], s[66:67], 0, v[2:3]
	v_lshlrev_b32_sdwa v2, v1, v7 dst_sel:DWORD dst_unused:UNUSED_PAD src0_sel:DWORD src1_sel:WORD_1
	v_lshl_add_u64 v[2:3], v[4:5], 0, v[2:3]
	global_load_ushort v2, v[2:3], off
	s_or_b64 exec, exec, s[4:5]
	s_and_saveexec_b64 s[4:5], s[24:25]
	s_cbranch_execnz .LBB866_338
.LBB866_409:
	s_or_b64 exec, exec, s[4:5]
	s_and_saveexec_b64 s[4:5], s[26:27]
	s_cbranch_execz .LBB866_339
.LBB866_410:
	v_mov_b32_e32 v1, 1
	s_waitcnt vmcnt(0)
	v_lshlrev_b32_sdwa v2, v1, v2 dst_sel:DWORD dst_unused:UNUSED_PAD src0_sel:DWORD src1_sel:WORD_0
	v_mov_b32_e32 v3, 0
	v_lshl_add_u64 v[4:5], s[66:67], 0, v[2:3]
	v_lshlrev_b32_sdwa v2, v1, v8 dst_sel:DWORD dst_unused:UNUSED_PAD src0_sel:DWORD src1_sel:WORD_1
	v_lshl_add_u64 v[2:3], v[4:5], 0, v[2:3]
	global_load_ushort v2, v[2:3], off
	s_or_b64 exec, exec, s[4:5]
	s_and_saveexec_b64 s[4:5], s[28:29]
	s_cbranch_execnz .LBB866_340
.LBB866_411:
	s_or_b64 exec, exec, s[4:5]
	s_and_saveexec_b64 s[4:5], s[30:31]
	s_cbranch_execz .LBB866_341
.LBB866_412:
	v_mov_b32_e32 v1, 1
	s_waitcnt vmcnt(0)
	v_lshlrev_b32_sdwa v2, v1, v2 dst_sel:DWORD dst_unused:UNUSED_PAD src0_sel:DWORD src1_sel:WORD_0
	v_mov_b32_e32 v3, 0
	v_lshl_add_u64 v[4:5], s[66:67], 0, v[2:3]
	v_lshlrev_b32_sdwa v2, v1, v9 dst_sel:DWORD dst_unused:UNUSED_PAD src0_sel:DWORD src1_sel:WORD_1
	v_lshl_add_u64 v[2:3], v[4:5], 0, v[2:3]
	global_load_ushort v2, v[2:3], off
	s_or_b64 exec, exec, s[4:5]
	s_and_saveexec_b64 s[4:5], s[34:35]
	s_cbranch_execnz .LBB866_342
.LBB866_413:
	s_or_b64 exec, exec, s[4:5]
	s_and_saveexec_b64 s[4:5], s[36:37]
	s_cbranch_execz .LBB866_343
.LBB866_414:
	v_mov_b32_e32 v1, 1
	s_waitcnt vmcnt(0)
	v_lshlrev_b32_sdwa v2, v1, v2 dst_sel:DWORD dst_unused:UNUSED_PAD src0_sel:DWORD src1_sel:WORD_0
	v_mov_b32_e32 v3, 0
	v_lshl_add_u64 v[4:5], s[66:67], 0, v[2:3]
	v_lshlrev_b32_sdwa v2, v1, v10 dst_sel:DWORD dst_unused:UNUSED_PAD src0_sel:DWORD src1_sel:WORD_1
	v_lshl_add_u64 v[2:3], v[4:5], 0, v[2:3]
	global_load_ushort v2, v[2:3], off
	s_or_b64 exec, exec, s[4:5]
	s_and_saveexec_b64 s[4:5], s[38:39]
	s_cbranch_execnz .LBB866_344
.LBB866_415:
	s_or_b64 exec, exec, s[4:5]
	s_and_saveexec_b64 s[4:5], s[40:41]
	s_cbranch_execz .LBB866_345
.LBB866_416:
	v_mov_b32_e32 v1, 1
	s_waitcnt vmcnt(0)
	v_lshlrev_b32_sdwa v2, v1, v2 dst_sel:DWORD dst_unused:UNUSED_PAD src0_sel:DWORD src1_sel:WORD_0
	v_mov_b32_e32 v3, 0
	v_lshl_add_u64 v[4:5], s[66:67], 0, v[2:3]
	v_lshlrev_b32_sdwa v2, v1, v11 dst_sel:DWORD dst_unused:UNUSED_PAD src0_sel:DWORD src1_sel:WORD_1
	v_lshl_add_u64 v[2:3], v[4:5], 0, v[2:3]
	global_load_ushort v2, v[2:3], off
	s_or_b64 exec, exec, s[4:5]
	s_and_saveexec_b64 s[4:5], s[42:43]
	s_cbranch_execnz .LBB866_346
.LBB866_417:
	s_or_b64 exec, exec, s[4:5]
	s_and_saveexec_b64 s[4:5], s[44:45]
	s_cbranch_execz .LBB866_347
.LBB866_418:
	v_mov_b32_e32 v1, 1
	s_waitcnt vmcnt(0)
	v_lshlrev_b32_sdwa v2, v1, v2 dst_sel:DWORD dst_unused:UNUSED_PAD src0_sel:DWORD src1_sel:WORD_0
	v_mov_b32_e32 v3, 0
	v_lshl_add_u64 v[4:5], s[66:67], 0, v[2:3]
	v_lshlrev_b32_sdwa v2, v1, v12 dst_sel:DWORD dst_unused:UNUSED_PAD src0_sel:DWORD src1_sel:WORD_1
	v_lshl_add_u64 v[2:3], v[4:5], 0, v[2:3]
	global_load_ushort v2, v[2:3], off
	s_or_b64 exec, exec, s[4:5]
	s_and_saveexec_b64 s[4:5], s[46:47]
	s_cbranch_execnz .LBB866_348
.LBB866_419:
	s_or_b64 exec, exec, s[4:5]
	s_and_saveexec_b64 s[4:5], s[48:49]
	s_cbranch_execz .LBB866_349
.LBB866_420:
	v_mov_b32_e32 v1, 1
	s_waitcnt vmcnt(0)
	v_lshlrev_b32_sdwa v2, v1, v2 dst_sel:DWORD dst_unused:UNUSED_PAD src0_sel:DWORD src1_sel:WORD_0
	v_mov_b32_e32 v3, 0
	v_lshl_add_u64 v[4:5], s[66:67], 0, v[2:3]
	v_lshlrev_b32_sdwa v2, v1, v13 dst_sel:DWORD dst_unused:UNUSED_PAD src0_sel:DWORD src1_sel:WORD_1
	v_lshl_add_u64 v[2:3], v[4:5], 0, v[2:3]
	global_load_ushort v2, v[2:3], off
	s_or_b64 exec, exec, s[4:5]
	s_and_saveexec_b64 s[4:5], s[50:51]
	s_cbranch_execnz .LBB866_350
.LBB866_421:
	s_or_b64 exec, exec, s[4:5]
	s_and_saveexec_b64 s[4:5], s[52:53]
	s_cbranch_execz .LBB866_351
.LBB866_422:
	v_mov_b32_e32 v1, 1
	s_waitcnt vmcnt(0)
	v_lshlrev_b32_sdwa v2, v1, v2 dst_sel:DWORD dst_unused:UNUSED_PAD src0_sel:DWORD src1_sel:WORD_0
	v_mov_b32_e32 v3, 0
	v_lshl_add_u64 v[4:5], s[66:67], 0, v[2:3]
	v_lshlrev_b32_sdwa v2, v1, v14 dst_sel:DWORD dst_unused:UNUSED_PAD src0_sel:DWORD src1_sel:WORD_1
	v_lshl_add_u64 v[2:3], v[4:5], 0, v[2:3]
	global_load_ushort v2, v[2:3], off
	s_or_b64 exec, exec, s[4:5]
	s_and_saveexec_b64 s[4:5], s[54:55]
	s_cbranch_execnz .LBB866_352
.LBB866_423:
	s_or_b64 exec, exec, s[4:5]
	s_and_saveexec_b64 s[4:5], s[56:57]
	s_cbranch_execz .LBB866_353
.LBB866_424:
	v_mov_b32_e32 v1, 1
	s_waitcnt vmcnt(0)
	v_lshlrev_b32_sdwa v2, v1, v2 dst_sel:DWORD dst_unused:UNUSED_PAD src0_sel:DWORD src1_sel:WORD_0
	v_mov_b32_e32 v3, 0
	v_lshl_add_u64 v[4:5], s[66:67], 0, v[2:3]
	v_lshlrev_b32_sdwa v2, v1, v15 dst_sel:DWORD dst_unused:UNUSED_PAD src0_sel:DWORD src1_sel:WORD_1
	v_lshl_add_u64 v[2:3], v[4:5], 0, v[2:3]
	global_load_ushort v2, v[2:3], off
	s_or_b64 exec, exec, s[4:5]
	s_and_saveexec_b64 s[4:5], s[58:59]
	s_cbranch_execnz .LBB866_354
.LBB866_425:
	s_or_b64 exec, exec, s[4:5]
	s_and_saveexec_b64 s[4:5], s[60:61]
	s_cbranch_execz .LBB866_355
.LBB866_426:
	v_mov_b32_e32 v1, 1
	s_waitcnt vmcnt(0)
	v_lshlrev_b32_sdwa v2, v1, v2 dst_sel:DWORD dst_unused:UNUSED_PAD src0_sel:DWORD src1_sel:WORD_0
	v_mov_b32_e32 v3, 0
	v_lshl_add_u64 v[4:5], s[66:67], 0, v[2:3]
	v_lshlrev_b32_sdwa v2, v1, v16 dst_sel:DWORD dst_unused:UNUSED_PAD src0_sel:DWORD src1_sel:WORD_1
	v_lshl_add_u64 v[2:3], v[4:5], 0, v[2:3]
	global_load_ushort v2, v[2:3], off
	s_or_b64 exec, exec, s[4:5]
	s_and_saveexec_b64 s[4:5], s[62:63]
	s_cbranch_execnz .LBB866_356
.LBB866_427:
	s_or_b64 exec, exec, s[4:5]
	s_and_saveexec_b64 s[4:5], s[64:65]
	s_cbranch_execz .LBB866_429
.LBB866_428:
	v_mov_b32_e32 v1, 1
	s_waitcnt vmcnt(0)
	v_lshlrev_b32_sdwa v2, v1, v2 dst_sel:DWORD dst_unused:UNUSED_PAD src0_sel:DWORD src1_sel:WORD_0
	v_mov_b32_e32 v3, 0
	v_lshl_add_u64 v[4:5], s[66:67], 0, v[2:3]
	v_lshlrev_b32_sdwa v2, v1, v17 dst_sel:DWORD dst_unused:UNUSED_PAD src0_sel:DWORD src1_sel:WORD_1
	v_lshl_add_u64 v[2:3], v[4:5], 0, v[2:3]
	global_load_ushort v2, v[2:3], off
.LBB866_429:
	s_or_b64 exec, exec, s[4:5]
	v_mbcnt_lo_u32_b32 v1, -1, 0
	v_mbcnt_hi_u32_b32 v1, -1, v1
	v_and_b32_e32 v3, 63, v1
	v_cmp_ne_u32_e32 vcc, 63, v3
	s_waitcnt vmcnt(0)
	v_and_b32_e32 v5, 0xffff, v2
	s_min_u32 s6, s81, 0x80
	v_addc_co_u32_e32 v4, vcc, 0, v1, vcc
	v_lshlrev_b32_e32 v4, 2, v4
	ds_bpermute_b32 v6, v4, v5
	v_and_b32_e32 v4, 64, v0
	v_sub_u32_e64 v4, s6, v4 clamp
	v_add_u32_e32 v7, 1, v3
	v_cmp_lt_u32_e32 vcc, v7, v4
	s_and_saveexec_b64 s[4:5], vcc
	s_xor_b64 s[4:5], exec, s[4:5]
	s_cbranch_execz .LBB866_431
; %bb.430:
	v_mov_b32_e32 v5, 1
	v_lshlrev_b32_sdwa v8, v5, v2 dst_sel:DWORD dst_unused:UNUSED_PAD src0_sel:DWORD src1_sel:WORD_0
	v_mov_b32_e32 v9, 0
	v_lshl_add_u64 v[10:11], s[66:67], 0, v[8:9]
	s_waitcnt lgkmcnt(0)
	v_lshlrev_b32_sdwa v8, v5, v6 dst_sel:DWORD dst_unused:UNUSED_PAD src0_sel:DWORD src1_sel:WORD_0
	v_lshl_add_u64 v[6:7], v[10:11], 0, v[8:9]
	global_load_ushort v2, v[6:7], off
	s_waitcnt vmcnt(0)
	v_and_b32_e32 v5, 0xffff, v2
.LBB866_431:
	s_or_b64 exec, exec, s[4:5]
	v_cmp_gt_u32_e32 vcc, 62, v3
	v_add_u32_e32 v7, 2, v3
	s_waitcnt lgkmcnt(0)
	v_cndmask_b32_e64 v6, 0, 2, vcc
	v_add_lshl_u32 v6, v6, v1, 2
	ds_bpermute_b32 v6, v6, v5
	v_cmp_lt_u32_e32 vcc, v7, v4
	s_and_saveexec_b64 s[4:5], vcc
	s_cbranch_execz .LBB866_433
; %bb.432:
	v_mov_b32_e32 v5, 1
	v_lshlrev_b32_sdwa v8, v5, v2 dst_sel:DWORD dst_unused:UNUSED_PAD src0_sel:DWORD src1_sel:WORD_0
	v_mov_b32_e32 v9, 0
	v_lshl_add_u64 v[10:11], s[66:67], 0, v[8:9]
	s_waitcnt lgkmcnt(0)
	v_lshlrev_b32_sdwa v8, v5, v6 dst_sel:DWORD dst_unused:UNUSED_PAD src0_sel:DWORD src1_sel:WORD_0
	v_lshl_add_u64 v[6:7], v[10:11], 0, v[8:9]
	global_load_ushort v2, v[6:7], off
	s_waitcnt vmcnt(0)
	v_and_b32_e32 v5, 0xffff, v2
.LBB866_433:
	s_or_b64 exec, exec, s[4:5]
	v_cmp_gt_u32_e32 vcc, 60, v3
	v_add_u32_e32 v7, 4, v3
	s_waitcnt lgkmcnt(0)
	v_cndmask_b32_e64 v6, 0, 4, vcc
	v_add_lshl_u32 v6, v6, v1, 2
	ds_bpermute_b32 v6, v6, v5
	v_cmp_lt_u32_e32 vcc, v7, v4
	s_and_saveexec_b64 s[4:5], vcc
	;; [unrolled: 22-line block ×4, first 2 shown]
	s_cbranch_execz .LBB866_439
; %bb.438:
	v_mov_b32_e32 v5, 1
	v_lshlrev_b32_sdwa v8, v5, v2 dst_sel:DWORD dst_unused:UNUSED_PAD src0_sel:DWORD src1_sel:WORD_0
	v_mov_b32_e32 v9, 0
	v_lshl_add_u64 v[10:11], s[66:67], 0, v[8:9]
	s_waitcnt lgkmcnt(0)
	v_lshlrev_b32_sdwa v8, v5, v6 dst_sel:DWORD dst_unused:UNUSED_PAD src0_sel:DWORD src1_sel:WORD_0
	v_lshl_add_u64 v[6:7], v[10:11], 0, v[8:9]
	global_load_ushort v2, v[6:7], off
	s_waitcnt vmcnt(0)
	v_and_b32_e32 v5, 0xffff, v2
.LBB866_439:
	s_or_b64 exec, exec, s[4:5]
	s_waitcnt lgkmcnt(0)
	v_lshlrev_b32_e32 v6, 2, v1
	v_or_b32_e32 v7, 0x80, v6
	ds_bpermute_b32 v5, v7, v5
	v_add_u32_e32 v3, 32, v3
	v_cmp_lt_u32_e32 vcc, v3, v4
	s_and_saveexec_b64 s[4:5], vcc
	s_cbranch_execz .LBB866_441
; %bb.440:
	v_mov_b32_e32 v4, 1
	v_lshlrev_b32_sdwa v2, v4, v2 dst_sel:DWORD dst_unused:UNUSED_PAD src0_sel:DWORD src1_sel:WORD_0
	v_mov_b32_e32 v3, 0
	v_lshl_add_u64 v[8:9], s[66:67], 0, v[2:3]
	s_waitcnt lgkmcnt(0)
	v_lshlrev_b32_sdwa v2, v4, v5 dst_sel:DWORD dst_unused:UNUSED_PAD src0_sel:DWORD src1_sel:WORD_0
	v_lshl_add_u64 v[2:3], v[8:9], 0, v[2:3]
	global_load_ushort v2, v[2:3], off
.LBB866_441:
	s_or_b64 exec, exec, s[4:5]
	v_cmp_eq_u32_e32 vcc, 0, v1
	s_and_saveexec_b64 s[4:5], vcc
	s_cbranch_execz .LBB866_443
; %bb.442:
	v_lshrrev_b32_e32 v3, 5, v0
	v_and_b32_e32 v3, 2, v3
	s_waitcnt vmcnt(0)
	ds_write_b16 v3, v2
.LBB866_443:
	s_or_b64 exec, exec, s[4:5]
	v_cmp_gt_u32_e32 vcc, 2, v0
	s_waitcnt lgkmcnt(0)
	s_barrier
	s_and_saveexec_b64 s[4:5], vcc
	s_cbranch_execz .LBB866_447
; %bb.444:
	s_waitcnt vmcnt(0)
	v_lshlrev_b32_e32 v2, 1, v1
	ds_read_u16 v2, v2
	v_or_b32_e32 v3, 4, v6
	s_add_i32 s6, s6, 63
	v_and_b32_e32 v1, 1, v1
	s_lshr_b32 s6, s6, 6
	s_waitcnt lgkmcnt(0)
	v_and_b32_e32 v4, 0xffff, v2
	ds_bpermute_b32 v3, v3, v4
	v_add_u32_e32 v1, 1, v1
	v_cmp_gt_u32_e32 vcc, s6, v1
	s_and_saveexec_b64 s[6:7], vcc
	s_cbranch_execz .LBB866_446
; %bb.445:
	v_lshlrev_b32_e32 v4, 1, v4
	v_mov_b32_e32 v5, 0
	v_mov_b32_e32 v1, 1
	v_lshl_add_u64 v[6:7], s[66:67], 0, v[4:5]
	s_waitcnt lgkmcnt(0)
	v_lshlrev_b32_sdwa v4, v1, v3 dst_sel:DWORD dst_unused:UNUSED_PAD src0_sel:DWORD src1_sel:WORD_0
	v_lshl_add_u64 v[2:3], v[6:7], 0, v[4:5]
	global_load_ushort v2, v[2:3], off
.LBB866_446:
	s_or_b64 exec, exec, s[6:7]
.LBB866_447:
	s_or_b64 exec, exec, s[4:5]
.LBB866_448:
	v_cmp_eq_u32_e32 vcc, 0, v0
	s_and_saveexec_b64 s[4:5], vcc
	s_xor_b64 s[4:5], exec, s[4:5]
	s_cbranch_execz .LBB866_450
; %bb.449:
	s_cmp_eq_u64 s[70:71], 0
	s_cselect_b64 s[6:7], -1, 0
	s_cmp_lg_u64 s[70:71], 0
	s_cselect_b64 s[8:9], -1, 0
	s_andn2_b64 s[10:11], s[72:73], exec
	s_and_b64 s[6:7], s[6:7], exec
	s_or_b64 s[72:73], s[10:11], s[6:7]
	s_andn2_b64 s[6:7], s[74:75], exec
	s_and_b64 s[8:9], s[8:9], exec
	s_or_b64 s[74:75], s[6:7], s[8:9]
.LBB866_450:
	s_or_b64 exec, exec, s[4:5]
	s_branch .LBB866_555
.LBB866_451:
	s_cmp_gt_i32 s80, 15
	s_cbranch_scc0 .LBB866_459
; %bb.452:
	s_cmp_eq_u32 s80, 16
	s_cbranch_scc0 .LBB866_460
; %bb.453:
	s_mov_b32 s3, 0
	s_lshl_b32 s4, s2, 11
	s_mov_b32 s5, s3
	s_lshr_b64 s[6:7], s[70:71], 11
	s_lshl_b64 s[8:9], s[4:5], 1
	s_add_u32 s34, s68, s8
	s_addc_u32 s35, s69, s9
	s_cmp_lg_u64 s[6:7], s[2:3]
	s_cbranch_scc0 .LBB866_461
; %bb.454:
	v_lshlrev_b32_e32 v1, 1, v0
	global_load_ushort v2, v1, s[34:35]
	global_load_ushort v6, v1, s[34:35] offset:256
	s_waitcnt lgkmcnt(0)
	v_mov_b32_e32 v3, 0
	global_load_ushort v7, v1, s[34:35] offset:512
	global_load_ushort v8, v1, s[34:35] offset:768
	global_load_ushort v9, v1, s[34:35] offset:1024
	global_load_ushort v10, v1, s[34:35] offset:1280
	global_load_ushort v11, v1, s[34:35] offset:1536
	global_load_ushort v12, v1, s[34:35] offset:1792
	s_waitcnt vmcnt(7)
	v_lshlrev_b32_e32 v2, 1, v2
	v_lshl_add_u64 v[4:5], s[66:67], 0, v[2:3]
	s_waitcnt vmcnt(6)
	v_lshlrev_b32_e32 v2, 1, v6
	v_lshl_add_u64 v[4:5], v[4:5], 0, v[2:3]
	global_load_ushort v2, v[4:5], off
	s_waitcnt vmcnt(0)
	v_lshlrev_b32_e32 v2, 1, v2
	v_lshl_add_u64 v[4:5], s[66:67], 0, v[2:3]
	v_lshlrev_b32_e32 v2, 1, v7
	v_lshl_add_u64 v[4:5], v[4:5], 0, v[2:3]
	global_load_ushort v2, v[4:5], off
	s_waitcnt vmcnt(0)
	v_lshlrev_b32_e32 v2, 1, v2
	v_lshl_add_u64 v[4:5], s[66:67], 0, v[2:3]
	;; [unrolled: 6-line block ×6, first 2 shown]
	v_lshlrev_b32_e32 v2, 1, v12
	v_lshl_add_u64 v[4:5], v[4:5], 0, v[2:3]
	global_load_ushort v2, v[4:5], off
	global_load_ushort v6, v1, s[34:35] offset:2048
	global_load_ushort v7, v1, s[34:35] offset:2304
	;; [unrolled: 1-line block ×8, first 2 shown]
	s_waitcnt vmcnt(8)
	v_lshlrev_b32_e32 v2, 1, v2
	v_lshl_add_u64 v[4:5], s[66:67], 0, v[2:3]
	s_waitcnt vmcnt(7)
	v_lshlrev_b32_e32 v2, 1, v6
	v_lshl_add_u64 v[4:5], v[4:5], 0, v[2:3]
	global_load_ushort v1, v[4:5], off
	v_mov_b32_e32 v6, 1
	s_waitcnt vmcnt(0)
	v_lshlrev_b32_e32 v2, 1, v1
	v_lshl_add_u64 v[4:5], s[66:67], 0, v[2:3]
	v_lshlrev_b32_e32 v2, 1, v7
	v_lshl_add_u64 v[4:5], v[4:5], 0, v[2:3]
	global_load_ushort v1, v[4:5], off
	s_waitcnt vmcnt(0)
	v_lshlrev_b32_e32 v2, 1, v1
	v_lshl_add_u64 v[4:5], s[66:67], 0, v[2:3]
	v_lshlrev_b32_e32 v2, 1, v8
	v_lshl_add_u64 v[4:5], v[4:5], 0, v[2:3]
	global_load_ushort v1, v[4:5], off
	s_waitcnt vmcnt(0)
	v_lshlrev_b32_e32 v2, 1, v1
	v_lshl_add_u64 v[4:5], s[66:67], 0, v[2:3]
	v_lshlrev_b32_e32 v2, 1, v9
	v_lshl_add_u64 v[4:5], v[4:5], 0, v[2:3]
	global_load_ushort v1, v[4:5], off
	s_waitcnt vmcnt(0)
	v_lshlrev_b32_e32 v2, 1, v1
	v_lshl_add_u64 v[4:5], s[66:67], 0, v[2:3]
	v_lshlrev_b32_e32 v2, 1, v10
	v_lshl_add_u64 v[4:5], v[4:5], 0, v[2:3]
	global_load_ushort v1, v[4:5], off
	s_waitcnt vmcnt(0)
	v_lshlrev_b32_e32 v2, 1, v1
	v_lshl_add_u64 v[4:5], s[66:67], 0, v[2:3]
	v_lshlrev_b32_e32 v2, 1, v11
	v_lshl_add_u64 v[4:5], v[4:5], 0, v[2:3]
	global_load_ushort v1, v[4:5], off
	s_waitcnt vmcnt(0)
	v_lshlrev_b32_e32 v2, 1, v1
	v_lshl_add_u64 v[4:5], s[66:67], 0, v[2:3]
	v_lshlrev_b32_e32 v2, 1, v12
	v_lshl_add_u64 v[4:5], v[4:5], 0, v[2:3]
	global_load_ushort v1, v[4:5], off
	s_waitcnt vmcnt(0)
	v_lshlrev_b32_e32 v2, 1, v1
	v_lshl_add_u64 v[4:5], s[66:67], 0, v[2:3]
	v_lshlrev_b32_e32 v2, 1, v13
	v_lshl_add_u64 v[4:5], v[4:5], 0, v[2:3]
	global_load_ushort v1, v[4:5], off
	s_waitcnt vmcnt(0)
	s_nop 0
	v_mov_b32_dpp v2, v1 quad_perm:[1,0,3,2] row_mask:0xf bank_mask:0xf bound_ctrl:1
	v_lshlrev_b32_sdwa v2, v6, v2 dst_sel:DWORD dst_unused:UNUSED_PAD src0_sel:DWORD src1_sel:WORD_0
	v_lshl_add_u64 v[4:5], s[66:67], 0, v[2:3]
	v_lshlrev_b32_e32 v2, 1, v1
	v_lshl_add_u64 v[4:5], v[4:5], 0, v[2:3]
	global_load_ushort v1, v[4:5], off
	s_waitcnt vmcnt(0)
	s_nop 0
	v_mov_b32_dpp v2, v1 quad_perm:[2,3,0,1] row_mask:0xf bank_mask:0xf bound_ctrl:1
	v_lshlrev_b32_sdwa v2, v6, v2 dst_sel:DWORD dst_unused:UNUSED_PAD src0_sel:DWORD src1_sel:WORD_0
	v_lshl_add_u64 v[4:5], s[66:67], 0, v[2:3]
	v_lshlrev_b32_e32 v2, 1, v1
	v_lshl_add_u64 v[4:5], v[4:5], 0, v[2:3]
	global_load_ushort v1, v[4:5], off
	s_waitcnt vmcnt(0)
	s_nop 0
	v_mov_b32_dpp v2, v1 row_ror:4 row_mask:0xf bank_mask:0xf bound_ctrl:1
	v_lshlrev_b32_sdwa v2, v6, v2 dst_sel:DWORD dst_unused:UNUSED_PAD src0_sel:DWORD src1_sel:WORD_0
	v_lshl_add_u64 v[4:5], s[66:67], 0, v[2:3]
	v_lshlrev_b32_e32 v2, 1, v1
	v_lshl_add_u64 v[4:5], v[4:5], 0, v[2:3]
	global_load_ushort v1, v[4:5], off
	s_waitcnt vmcnt(0)
	s_nop 0
	v_mov_b32_dpp v2, v1 row_ror:8 row_mask:0xf bank_mask:0xf bound_ctrl:1
	v_lshlrev_b32_sdwa v2, v6, v2 dst_sel:DWORD dst_unused:UNUSED_PAD src0_sel:DWORD src1_sel:WORD_0
	v_lshl_add_u64 v[4:5], s[66:67], 0, v[2:3]
	v_lshlrev_b32_e32 v2, 1, v1
	v_lshl_add_u64 v[4:5], v[4:5], 0, v[2:3]
	global_load_ushort v1, v[4:5], off
	s_waitcnt vmcnt(0)
	s_nop 0
	v_mov_b32_dpp v2, v1 row_bcast:15 row_mask:0xf bank_mask:0xf bound_ctrl:1
	v_lshlrev_b32_sdwa v2, v6, v2 dst_sel:DWORD dst_unused:UNUSED_PAD src0_sel:DWORD src1_sel:WORD_0
	v_lshl_add_u64 v[4:5], s[66:67], 0, v[2:3]
	v_lshlrev_b32_e32 v2, 1, v1
	v_lshl_add_u64 v[4:5], v[4:5], 0, v[2:3]
	global_load_ushort v1, v[4:5], off
	s_waitcnt vmcnt(0)
	s_nop 0
	v_mov_b32_dpp v2, v1 row_bcast:31 row_mask:0xf bank_mask:0xf bound_ctrl:1
	v_lshlrev_b32_sdwa v2, v6, v2 dst_sel:DWORD dst_unused:UNUSED_PAD src0_sel:DWORD src1_sel:WORD_0
	v_lshl_add_u64 v[4:5], s[66:67], 0, v[2:3]
	v_lshlrev_b32_e32 v2, 1, v1
	v_lshl_add_u64 v[2:3], v[4:5], 0, v[2:3]
	global_load_ushort v2, v[2:3], off
	v_mbcnt_lo_u32_b32 v1, -1, 0
	v_mbcnt_hi_u32_b32 v3, -1, v1
	v_lshlrev_b32_e32 v1, 2, v3
	v_or_b32_e32 v4, 0xfc, v1
	v_cmp_eq_u32_e32 vcc, 0, v3
	s_waitcnt vmcnt(0)
	ds_bpermute_b32 v2, v4, v2
	s_and_saveexec_b64 s[6:7], vcc
	s_cbranch_execz .LBB866_456
; %bb.455:
	v_lshrrev_b32_e32 v4, 5, v0
	v_and_b32_e32 v4, 2, v4
	s_waitcnt lgkmcnt(0)
	ds_write_b16 v4, v2 offset:4
.LBB866_456:
	s_or_b64 exec, exec, s[6:7]
	v_cmp_gt_u32_e32 vcc, 64, v0
	s_waitcnt lgkmcnt(0)
	s_barrier
	s_and_saveexec_b64 s[6:7], vcc
	s_cbranch_execz .LBB866_458
; %bb.457:
	v_and_b32_e32 v2, 1, v3
	v_lshlrev_b32_e32 v2, 1, v2
	ds_read_u16 v2, v2 offset:4
	v_or_b32_e32 v1, 4, v1
	v_mov_b32_e32 v3, 0
	s_waitcnt lgkmcnt(0)
	ds_bpermute_b32 v1, v1, v2
	v_lshlrev_b32_e32 v2, 1, v2
	v_lshl_add_u64 v[4:5], s[66:67], 0, v[2:3]
	v_mov_b32_e32 v2, 1
	s_waitcnt lgkmcnt(0)
	v_lshlrev_b32_sdwa v2, v2, v1 dst_sel:DWORD dst_unused:UNUSED_PAD src0_sel:DWORD src1_sel:WORD_0
	v_lshl_add_u64 v[2:3], v[4:5], 0, v[2:3]
	global_load_ushort v2, v[2:3], off
.LBB866_458:
	s_or_b64 exec, exec, s[6:7]
	s_mov_b64 s[6:7], 0
	s_branch .LBB866_462
.LBB866_459:
                                        ; implicit-def: $vgpr2
	s_cbranch_execz .LBB866_555
	s_branch .LBB866_547
.LBB866_460:
                                        ; implicit-def: $vgpr2
	s_branch .LBB866_555
.LBB866_461:
	s_mov_b64 s[6:7], -1
                                        ; implicit-def: $vgpr2
.LBB866_462:
	s_and_b64 vcc, exec, s[6:7]
	s_cbranch_vccz .LBB866_544
; %bb.463:
	s_sub_i32 s38, s70, s4
	s_waitcnt vmcnt(0)
	v_mov_b32_e32 v2, 0
	v_cmp_gt_u32_e32 vcc, s38, v0
	s_waitcnt lgkmcnt(0)
	v_mov_b32_e32 v3, v2
	v_mov_b32_e32 v4, v2
	;; [unrolled: 1-line block ×7, first 2 shown]
	s_and_saveexec_b64 s[4:5], vcc
	s_cbranch_execz .LBB866_465
; %bb.464:
	v_lshlrev_b32_e32 v1, 1, v0
	global_load_ushort v1, v1, s[34:35]
	v_mov_b32_e32 v5, v2
	v_mov_b32_e32 v6, v2
	;; [unrolled: 1-line block ×7, first 2 shown]
	s_waitcnt vmcnt(0)
	v_and_b32_e32 v4, 0xffff, v1
	v_mov_b64_e32 v[2:3], v[4:5]
	v_mov_b64_e32 v[4:5], v[6:7]
	;; [unrolled: 1-line block ×4, first 2 shown]
.LBB866_465:
	s_or_b64 exec, exec, s[4:5]
	v_or_b32_e32 v1, 0x80, v0
	v_cmp_gt_u32_e32 vcc, s38, v1
	s_and_saveexec_b64 s[4:5], vcc
	s_cbranch_execz .LBB866_467
; %bb.466:
	v_lshlrev_b32_e32 v1, 1, v0
	global_load_ushort v1, v1, s[34:35] offset:256
	s_mov_b32 s6, 0x5040100
	s_waitcnt vmcnt(0)
	v_perm_b32 v2, v1, v2, s6
.LBB866_467:
	s_or_b64 exec, exec, s[4:5]
	v_or_b32_e32 v1, 0x100, v0
	v_cmp_gt_u32_e64 s[4:5], s38, v1
	s_and_saveexec_b64 s[6:7], s[4:5]
	s_cbranch_execz .LBB866_469
; %bb.468:
	v_lshlrev_b32_e32 v1, 1, v0
	global_load_ushort v1, v1, s[34:35] offset:512
	s_mov_b32 s8, 0xffff
	s_waitcnt vmcnt(0)
	v_bfi_b32 v3, s8, v1, v3
.LBB866_469:
	s_or_b64 exec, exec, s[6:7]
	v_or_b32_e32 v1, 0x180, v0
	v_cmp_gt_u32_e64 s[6:7], s38, v1
	s_and_saveexec_b64 s[8:9], s[6:7]
	s_cbranch_execz .LBB866_471
; %bb.470:
	v_lshlrev_b32_e32 v1, 1, v0
	global_load_ushort v1, v1, s[34:35] offset:768
	s_mov_b32 s10, 0x5040100
	s_waitcnt vmcnt(0)
	v_perm_b32 v3, v1, v3, s10
.LBB866_471:
	s_or_b64 exec, exec, s[8:9]
	v_or_b32_e32 v1, 0x200, v0
	v_cmp_gt_u32_e64 s[8:9], s38, v1
	s_and_saveexec_b64 s[10:11], s[8:9]
	s_cbranch_execz .LBB866_473
; %bb.472:
	v_lshlrev_b32_e32 v1, 1, v0
	global_load_ushort v1, v1, s[34:35] offset:1024
	s_mov_b32 s12, 0xffff
	s_waitcnt vmcnt(0)
	v_bfi_b32 v4, s12, v1, v4
.LBB866_473:
	s_or_b64 exec, exec, s[10:11]
	v_or_b32_e32 v1, 0x280, v0
	v_cmp_gt_u32_e64 s[10:11], s38, v1
	s_and_saveexec_b64 s[12:13], s[10:11]
	;; [unrolled: 24-line block ×7, first 2 shown]
	s_cbranch_execz .LBB866_509
; %bb.494:
	v_lshlrev_b32_e32 v1, 1, v0
	global_load_ushort v1, v1, s[34:35] offset:3840
	s_mov_b32 s34, 0x5040100
	s_waitcnt vmcnt(0)
	v_perm_b32 v9, v1, v9, s34
	s_or_b64 exec, exec, s[36:37]
	s_and_saveexec_b64 s[34:35], vcc
	s_cbranch_execnz .LBB866_510
.LBB866_495:
	s_or_b64 exec, exec, s[34:35]
	s_and_saveexec_b64 s[34:35], s[4:5]
	s_cbranch_execz .LBB866_511
.LBB866_496:
	v_mov_b32_e32 v1, 1
	s_waitcnt vmcnt(0)
	v_lshlrev_b32_sdwa v10, v1, v2 dst_sel:DWORD dst_unused:UNUSED_PAD src0_sel:DWORD src1_sel:WORD_0
	v_mov_b32_e32 v11, 0
	v_lshl_add_u64 v[12:13], s[66:67], 0, v[10:11]
	v_lshlrev_b32_sdwa v10, v1, v3 dst_sel:DWORD dst_unused:UNUSED_PAD src0_sel:DWORD src1_sel:WORD_0
	v_lshl_add_u64 v[10:11], v[12:13], 0, v[10:11]
	global_load_ushort v2, v[10:11], off
	s_or_b64 exec, exec, s[34:35]
	s_and_saveexec_b64 s[4:5], s[6:7]
	s_cbranch_execnz .LBB866_512
.LBB866_497:
	s_or_b64 exec, exec, s[4:5]
	s_and_saveexec_b64 s[4:5], s[8:9]
	s_cbranch_execz .LBB866_513
.LBB866_498:
	v_mov_b32_e32 v1, 1
	s_waitcnt vmcnt(0)
	v_lshlrev_b32_sdwa v2, v1, v2 dst_sel:DWORD dst_unused:UNUSED_PAD src0_sel:DWORD src1_sel:WORD_0
	v_mov_b32_e32 v3, 0
	v_lshl_add_u64 v[10:11], s[66:67], 0, v[2:3]
	v_lshlrev_b32_sdwa v2, v1, v4 dst_sel:DWORD dst_unused:UNUSED_PAD src0_sel:DWORD src1_sel:WORD_0
	v_lshl_add_u64 v[2:3], v[10:11], 0, v[2:3]
	global_load_ushort v2, v[2:3], off
	s_or_b64 exec, exec, s[4:5]
	s_and_saveexec_b64 s[4:5], s[10:11]
	s_cbranch_execnz .LBB866_514
.LBB866_499:
	s_or_b64 exec, exec, s[4:5]
	s_and_saveexec_b64 s[4:5], s[12:13]
	s_cbranch_execz .LBB866_515
.LBB866_500:
	v_mov_b32_e32 v1, 1
	s_waitcnt vmcnt(0)
	v_lshlrev_b32_sdwa v2, v1, v2 dst_sel:DWORD dst_unused:UNUSED_PAD src0_sel:DWORD src1_sel:WORD_0
	v_mov_b32_e32 v3, 0
	v_lshl_add_u64 v[10:11], s[66:67], 0, v[2:3]
	v_lshlrev_b32_sdwa v2, v1, v5 dst_sel:DWORD dst_unused:UNUSED_PAD src0_sel:DWORD src1_sel:WORD_0
	v_lshl_add_u64 v[2:3], v[10:11], 0, v[2:3]
	global_load_ushort v2, v[2:3], off
	s_or_b64 exec, exec, s[4:5]
	s_and_saveexec_b64 s[4:5], s[14:15]
	s_cbranch_execnz .LBB866_516
.LBB866_501:
	s_or_b64 exec, exec, s[4:5]
	s_and_saveexec_b64 s[4:5], s[16:17]
	s_cbranch_execz .LBB866_517
.LBB866_502:
	v_mov_b32_e32 v1, 1
	s_waitcnt vmcnt(0)
	v_lshlrev_b32_sdwa v2, v1, v2 dst_sel:DWORD dst_unused:UNUSED_PAD src0_sel:DWORD src1_sel:WORD_0
	v_mov_b32_e32 v3, 0
	v_lshl_add_u64 v[4:5], s[66:67], 0, v[2:3]
	v_lshlrev_b32_sdwa v2, v1, v6 dst_sel:DWORD dst_unused:UNUSED_PAD src0_sel:DWORD src1_sel:WORD_0
	v_lshl_add_u64 v[2:3], v[4:5], 0, v[2:3]
	global_load_ushort v2, v[2:3], off
	s_or_b64 exec, exec, s[4:5]
	s_and_saveexec_b64 s[4:5], s[18:19]
	s_cbranch_execnz .LBB866_518
.LBB866_503:
	s_or_b64 exec, exec, s[4:5]
	s_and_saveexec_b64 s[4:5], s[20:21]
	s_cbranch_execz .LBB866_519
.LBB866_504:
	v_mov_b32_e32 v1, 1
	s_waitcnt vmcnt(0)
	v_lshlrev_b32_sdwa v2, v1, v2 dst_sel:DWORD dst_unused:UNUSED_PAD src0_sel:DWORD src1_sel:WORD_0
	v_mov_b32_e32 v3, 0
	v_lshl_add_u64 v[4:5], s[66:67], 0, v[2:3]
	v_lshlrev_b32_sdwa v2, v1, v7 dst_sel:DWORD dst_unused:UNUSED_PAD src0_sel:DWORD src1_sel:WORD_0
	v_lshl_add_u64 v[2:3], v[4:5], 0, v[2:3]
	global_load_ushort v2, v[2:3], off
	s_or_b64 exec, exec, s[4:5]
	s_and_saveexec_b64 s[4:5], s[22:23]
	s_cbranch_execnz .LBB866_520
.LBB866_505:
	s_or_b64 exec, exec, s[4:5]
	s_and_saveexec_b64 s[4:5], s[24:25]
	s_cbranch_execz .LBB866_521
.LBB866_506:
	v_mov_b32_e32 v1, 1
	s_waitcnt vmcnt(0)
	v_lshlrev_b32_sdwa v2, v1, v2 dst_sel:DWORD dst_unused:UNUSED_PAD src0_sel:DWORD src1_sel:WORD_0
	v_mov_b32_e32 v3, 0
	v_lshl_add_u64 v[4:5], s[66:67], 0, v[2:3]
	v_lshlrev_b32_sdwa v2, v1, v8 dst_sel:DWORD dst_unused:UNUSED_PAD src0_sel:DWORD src1_sel:WORD_0
	v_lshl_add_u64 v[2:3], v[4:5], 0, v[2:3]
	global_load_ushort v2, v[2:3], off
	s_or_b64 exec, exec, s[4:5]
	s_and_saveexec_b64 s[4:5], s[26:27]
	s_cbranch_execnz .LBB866_522
.LBB866_507:
	s_or_b64 exec, exec, s[4:5]
	s_and_saveexec_b64 s[4:5], s[28:29]
	s_cbranch_execz .LBB866_523
.LBB866_508:
	v_mov_b32_e32 v1, 1
	s_waitcnt vmcnt(0)
	v_lshlrev_b32_sdwa v2, v1, v2 dst_sel:DWORD dst_unused:UNUSED_PAD src0_sel:DWORD src1_sel:WORD_0
	v_mov_b32_e32 v3, 0
	v_lshl_add_u64 v[4:5], s[66:67], 0, v[2:3]
	v_lshlrev_b32_sdwa v2, v1, v9 dst_sel:DWORD dst_unused:UNUSED_PAD src0_sel:DWORD src1_sel:WORD_0
	v_lshl_add_u64 v[2:3], v[4:5], 0, v[2:3]
	global_load_ushort v2, v[2:3], off
	s_or_b64 exec, exec, s[4:5]
	s_and_saveexec_b64 s[4:5], s[30:31]
	s_cbranch_execnz .LBB866_524
	s_branch .LBB866_525
.LBB866_509:
	s_or_b64 exec, exec, s[36:37]
	s_and_saveexec_b64 s[34:35], vcc
	s_cbranch_execz .LBB866_495
.LBB866_510:
	v_mov_b32_e32 v1, 1
	v_lshlrev_b32_sdwa v10, v1, v2 dst_sel:DWORD dst_unused:UNUSED_PAD src0_sel:DWORD src1_sel:WORD_0
	v_mov_b32_e32 v11, 0
	v_lshl_add_u64 v[12:13], s[66:67], 0, v[10:11]
	v_lshlrev_b32_sdwa v10, v1, v2 dst_sel:DWORD dst_unused:UNUSED_PAD src0_sel:DWORD src1_sel:WORD_1
	v_lshl_add_u64 v[10:11], v[12:13], 0, v[10:11]
	global_load_ushort v2, v[10:11], off
	s_or_b64 exec, exec, s[34:35]
	s_and_saveexec_b64 s[34:35], s[4:5]
	s_cbranch_execnz .LBB866_496
.LBB866_511:
	s_or_b64 exec, exec, s[34:35]
	s_and_saveexec_b64 s[4:5], s[6:7]
	s_cbranch_execz .LBB866_497
.LBB866_512:
	v_mov_b32_e32 v1, 1
	s_waitcnt vmcnt(0)
	v_lshlrev_b32_sdwa v10, v1, v2 dst_sel:DWORD dst_unused:UNUSED_PAD src0_sel:DWORD src1_sel:WORD_0
	v_mov_b32_e32 v11, 0
	v_lshl_add_u64 v[12:13], s[66:67], 0, v[10:11]
	v_lshlrev_b32_sdwa v10, v1, v3 dst_sel:DWORD dst_unused:UNUSED_PAD src0_sel:DWORD src1_sel:WORD_1
	v_lshl_add_u64 v[2:3], v[12:13], 0, v[10:11]
	global_load_ushort v2, v[2:3], off
	s_or_b64 exec, exec, s[4:5]
	s_and_saveexec_b64 s[4:5], s[8:9]
	s_cbranch_execnz .LBB866_498
.LBB866_513:
	s_or_b64 exec, exec, s[4:5]
	s_and_saveexec_b64 s[4:5], s[10:11]
	s_cbranch_execz .LBB866_499
.LBB866_514:
	v_mov_b32_e32 v1, 1
	s_waitcnt vmcnt(0)
	v_lshlrev_b32_sdwa v2, v1, v2 dst_sel:DWORD dst_unused:UNUSED_PAD src0_sel:DWORD src1_sel:WORD_0
	v_mov_b32_e32 v3, 0
	v_lshl_add_u64 v[10:11], s[66:67], 0, v[2:3]
	v_lshlrev_b32_sdwa v2, v1, v4 dst_sel:DWORD dst_unused:UNUSED_PAD src0_sel:DWORD src1_sel:WORD_1
	v_lshl_add_u64 v[2:3], v[10:11], 0, v[2:3]
	global_load_ushort v2, v[2:3], off
	s_or_b64 exec, exec, s[4:5]
	s_and_saveexec_b64 s[4:5], s[12:13]
	s_cbranch_execnz .LBB866_500
.LBB866_515:
	s_or_b64 exec, exec, s[4:5]
	s_and_saveexec_b64 s[4:5], s[14:15]
	s_cbranch_execz .LBB866_501
.LBB866_516:
	v_mov_b32_e32 v1, 1
	s_waitcnt vmcnt(0)
	v_lshlrev_b32_sdwa v2, v1, v2 dst_sel:DWORD dst_unused:UNUSED_PAD src0_sel:DWORD src1_sel:WORD_0
	v_mov_b32_e32 v3, 0
	v_lshl_add_u64 v[10:11], s[66:67], 0, v[2:3]
	v_lshlrev_b32_sdwa v2, v1, v5 dst_sel:DWORD dst_unused:UNUSED_PAD src0_sel:DWORD src1_sel:WORD_1
	v_lshl_add_u64 v[2:3], v[10:11], 0, v[2:3]
	global_load_ushort v2, v[2:3], off
	s_or_b64 exec, exec, s[4:5]
	s_and_saveexec_b64 s[4:5], s[16:17]
	s_cbranch_execnz .LBB866_502
.LBB866_517:
	s_or_b64 exec, exec, s[4:5]
	s_and_saveexec_b64 s[4:5], s[18:19]
	s_cbranch_execz .LBB866_503
.LBB866_518:
	v_mov_b32_e32 v1, 1
	s_waitcnt vmcnt(0)
	v_lshlrev_b32_sdwa v2, v1, v2 dst_sel:DWORD dst_unused:UNUSED_PAD src0_sel:DWORD src1_sel:WORD_0
	v_mov_b32_e32 v3, 0
	v_lshl_add_u64 v[4:5], s[66:67], 0, v[2:3]
	v_lshlrev_b32_sdwa v2, v1, v6 dst_sel:DWORD dst_unused:UNUSED_PAD src0_sel:DWORD src1_sel:WORD_1
	v_lshl_add_u64 v[2:3], v[4:5], 0, v[2:3]
	global_load_ushort v2, v[2:3], off
	s_or_b64 exec, exec, s[4:5]
	s_and_saveexec_b64 s[4:5], s[20:21]
	s_cbranch_execnz .LBB866_504
.LBB866_519:
	s_or_b64 exec, exec, s[4:5]
	s_and_saveexec_b64 s[4:5], s[22:23]
	s_cbranch_execz .LBB866_505
.LBB866_520:
	v_mov_b32_e32 v1, 1
	s_waitcnt vmcnt(0)
	v_lshlrev_b32_sdwa v2, v1, v2 dst_sel:DWORD dst_unused:UNUSED_PAD src0_sel:DWORD src1_sel:WORD_0
	v_mov_b32_e32 v3, 0
	v_lshl_add_u64 v[4:5], s[66:67], 0, v[2:3]
	v_lshlrev_b32_sdwa v2, v1, v7 dst_sel:DWORD dst_unused:UNUSED_PAD src0_sel:DWORD src1_sel:WORD_1
	v_lshl_add_u64 v[2:3], v[4:5], 0, v[2:3]
	global_load_ushort v2, v[2:3], off
	s_or_b64 exec, exec, s[4:5]
	s_and_saveexec_b64 s[4:5], s[24:25]
	s_cbranch_execnz .LBB866_506
.LBB866_521:
	s_or_b64 exec, exec, s[4:5]
	s_and_saveexec_b64 s[4:5], s[26:27]
	s_cbranch_execz .LBB866_507
.LBB866_522:
	v_mov_b32_e32 v1, 1
	s_waitcnt vmcnt(0)
	v_lshlrev_b32_sdwa v2, v1, v2 dst_sel:DWORD dst_unused:UNUSED_PAD src0_sel:DWORD src1_sel:WORD_0
	v_mov_b32_e32 v3, 0
	v_lshl_add_u64 v[4:5], s[66:67], 0, v[2:3]
	v_lshlrev_b32_sdwa v2, v1, v8 dst_sel:DWORD dst_unused:UNUSED_PAD src0_sel:DWORD src1_sel:WORD_1
	v_lshl_add_u64 v[2:3], v[4:5], 0, v[2:3]
	global_load_ushort v2, v[2:3], off
	s_or_b64 exec, exec, s[4:5]
	s_and_saveexec_b64 s[4:5], s[28:29]
	s_cbranch_execnz .LBB866_508
.LBB866_523:
	s_or_b64 exec, exec, s[4:5]
	s_and_saveexec_b64 s[4:5], s[30:31]
	s_cbranch_execz .LBB866_525
.LBB866_524:
	v_mov_b32_e32 v1, 1
	s_waitcnt vmcnt(0)
	v_lshlrev_b32_sdwa v2, v1, v2 dst_sel:DWORD dst_unused:UNUSED_PAD src0_sel:DWORD src1_sel:WORD_0
	v_mov_b32_e32 v3, 0
	v_lshl_add_u64 v[4:5], s[66:67], 0, v[2:3]
	v_lshlrev_b32_sdwa v2, v1, v9 dst_sel:DWORD dst_unused:UNUSED_PAD src0_sel:DWORD src1_sel:WORD_1
	v_lshl_add_u64 v[2:3], v[4:5], 0, v[2:3]
	global_load_ushort v2, v[2:3], off
.LBB866_525:
	s_or_b64 exec, exec, s[4:5]
	v_mbcnt_lo_u32_b32 v1, -1, 0
	v_mbcnt_hi_u32_b32 v1, -1, v1
	v_and_b32_e32 v3, 63, v1
	v_cmp_ne_u32_e32 vcc, 63, v3
	s_waitcnt vmcnt(0)
	v_and_b32_e32 v5, 0xffff, v2
	s_min_u32 s6, s38, 0x80
	v_addc_co_u32_e32 v4, vcc, 0, v1, vcc
	v_lshlrev_b32_e32 v4, 2, v4
	ds_bpermute_b32 v6, v4, v5
	v_and_b32_e32 v4, 64, v0
	v_sub_u32_e64 v4, s6, v4 clamp
	v_add_u32_e32 v7, 1, v3
	v_cmp_lt_u32_e32 vcc, v7, v4
	s_and_saveexec_b64 s[4:5], vcc
	s_xor_b64 s[4:5], exec, s[4:5]
	s_cbranch_execz .LBB866_527
; %bb.526:
	v_mov_b32_e32 v5, 1
	v_lshlrev_b32_sdwa v8, v5, v2 dst_sel:DWORD dst_unused:UNUSED_PAD src0_sel:DWORD src1_sel:WORD_0
	v_mov_b32_e32 v9, 0
	v_lshl_add_u64 v[10:11], s[66:67], 0, v[8:9]
	s_waitcnt lgkmcnt(0)
	v_lshlrev_b32_sdwa v8, v5, v6 dst_sel:DWORD dst_unused:UNUSED_PAD src0_sel:DWORD src1_sel:WORD_0
	v_lshl_add_u64 v[6:7], v[10:11], 0, v[8:9]
	global_load_ushort v2, v[6:7], off
	s_waitcnt vmcnt(0)
	v_and_b32_e32 v5, 0xffff, v2
.LBB866_527:
	s_or_b64 exec, exec, s[4:5]
	v_cmp_gt_u32_e32 vcc, 62, v3
	v_add_u32_e32 v7, 2, v3
	s_waitcnt lgkmcnt(0)
	v_cndmask_b32_e64 v6, 0, 2, vcc
	v_add_lshl_u32 v6, v6, v1, 2
	ds_bpermute_b32 v6, v6, v5
	v_cmp_lt_u32_e32 vcc, v7, v4
	s_and_saveexec_b64 s[4:5], vcc
	s_cbranch_execz .LBB866_529
; %bb.528:
	v_mov_b32_e32 v5, 1
	v_lshlrev_b32_sdwa v8, v5, v2 dst_sel:DWORD dst_unused:UNUSED_PAD src0_sel:DWORD src1_sel:WORD_0
	v_mov_b32_e32 v9, 0
	v_lshl_add_u64 v[10:11], s[66:67], 0, v[8:9]
	s_waitcnt lgkmcnt(0)
	v_lshlrev_b32_sdwa v8, v5, v6 dst_sel:DWORD dst_unused:UNUSED_PAD src0_sel:DWORD src1_sel:WORD_0
	v_lshl_add_u64 v[6:7], v[10:11], 0, v[8:9]
	global_load_ushort v2, v[6:7], off
	s_waitcnt vmcnt(0)
	v_and_b32_e32 v5, 0xffff, v2
.LBB866_529:
	s_or_b64 exec, exec, s[4:5]
	v_cmp_gt_u32_e32 vcc, 60, v3
	v_add_u32_e32 v7, 4, v3
	s_waitcnt lgkmcnt(0)
	v_cndmask_b32_e64 v6, 0, 4, vcc
	v_add_lshl_u32 v6, v6, v1, 2
	ds_bpermute_b32 v6, v6, v5
	v_cmp_lt_u32_e32 vcc, v7, v4
	s_and_saveexec_b64 s[4:5], vcc
	;; [unrolled: 22-line block ×4, first 2 shown]
	s_cbranch_execz .LBB866_535
; %bb.534:
	v_mov_b32_e32 v5, 1
	v_lshlrev_b32_sdwa v8, v5, v2 dst_sel:DWORD dst_unused:UNUSED_PAD src0_sel:DWORD src1_sel:WORD_0
	v_mov_b32_e32 v9, 0
	v_lshl_add_u64 v[10:11], s[66:67], 0, v[8:9]
	s_waitcnt lgkmcnt(0)
	v_lshlrev_b32_sdwa v8, v5, v6 dst_sel:DWORD dst_unused:UNUSED_PAD src0_sel:DWORD src1_sel:WORD_0
	v_lshl_add_u64 v[6:7], v[10:11], 0, v[8:9]
	global_load_ushort v2, v[6:7], off
	s_waitcnt vmcnt(0)
	v_and_b32_e32 v5, 0xffff, v2
.LBB866_535:
	s_or_b64 exec, exec, s[4:5]
	s_waitcnt lgkmcnt(0)
	v_lshlrev_b32_e32 v6, 2, v1
	v_or_b32_e32 v7, 0x80, v6
	ds_bpermute_b32 v5, v7, v5
	v_add_u32_e32 v3, 32, v3
	v_cmp_lt_u32_e32 vcc, v3, v4
	s_and_saveexec_b64 s[4:5], vcc
	s_cbranch_execz .LBB866_537
; %bb.536:
	v_mov_b32_e32 v4, 1
	v_lshlrev_b32_sdwa v2, v4, v2 dst_sel:DWORD dst_unused:UNUSED_PAD src0_sel:DWORD src1_sel:WORD_0
	v_mov_b32_e32 v3, 0
	v_lshl_add_u64 v[8:9], s[66:67], 0, v[2:3]
	s_waitcnt lgkmcnt(0)
	v_lshlrev_b32_sdwa v2, v4, v5 dst_sel:DWORD dst_unused:UNUSED_PAD src0_sel:DWORD src1_sel:WORD_0
	v_lshl_add_u64 v[2:3], v[8:9], 0, v[2:3]
	global_load_ushort v2, v[2:3], off
.LBB866_537:
	s_or_b64 exec, exec, s[4:5]
	v_cmp_eq_u32_e32 vcc, 0, v1
	s_and_saveexec_b64 s[4:5], vcc
	s_cbranch_execz .LBB866_539
; %bb.538:
	v_lshrrev_b32_e32 v3, 5, v0
	v_and_b32_e32 v3, 2, v3
	s_waitcnt vmcnt(0)
	ds_write_b16 v3, v2
.LBB866_539:
	s_or_b64 exec, exec, s[4:5]
	v_cmp_gt_u32_e32 vcc, 2, v0
	s_waitcnt lgkmcnt(0)
	s_barrier
	s_and_saveexec_b64 s[4:5], vcc
	s_cbranch_execz .LBB866_543
; %bb.540:
	s_waitcnt vmcnt(0)
	v_lshlrev_b32_e32 v2, 1, v1
	ds_read_u16 v2, v2
	v_or_b32_e32 v3, 4, v6
	s_add_i32 s6, s6, 63
	v_and_b32_e32 v1, 1, v1
	s_lshr_b32 s6, s6, 6
	s_waitcnt lgkmcnt(0)
	v_and_b32_e32 v4, 0xffff, v2
	ds_bpermute_b32 v3, v3, v4
	v_add_u32_e32 v1, 1, v1
	v_cmp_gt_u32_e32 vcc, s6, v1
	s_and_saveexec_b64 s[6:7], vcc
	s_cbranch_execz .LBB866_542
; %bb.541:
	v_lshlrev_b32_e32 v4, 1, v4
	v_mov_b32_e32 v5, 0
	v_mov_b32_e32 v1, 1
	v_lshl_add_u64 v[6:7], s[66:67], 0, v[4:5]
	s_waitcnt lgkmcnt(0)
	v_lshlrev_b32_sdwa v4, v1, v3 dst_sel:DWORD dst_unused:UNUSED_PAD src0_sel:DWORD src1_sel:WORD_0
	v_lshl_add_u64 v[2:3], v[6:7], 0, v[4:5]
	global_load_ushort v2, v[2:3], off
.LBB866_542:
	s_or_b64 exec, exec, s[6:7]
.LBB866_543:
	s_or_b64 exec, exec, s[4:5]
.LBB866_544:
	v_cmp_eq_u32_e32 vcc, 0, v0
	s_and_saveexec_b64 s[4:5], vcc
	s_xor_b64 s[4:5], exec, s[4:5]
	s_cbranch_execz .LBB866_546
; %bb.545:
	s_cmp_eq_u64 s[70:71], 0
	s_cselect_b64 s[6:7], -1, 0
	s_cmp_lg_u64 s[70:71], 0
	s_cselect_b64 s[8:9], -1, 0
	s_andn2_b64 s[10:11], s[72:73], exec
	s_and_b64 s[6:7], s[6:7], exec
	s_or_b64 s[72:73], s[10:11], s[6:7]
	s_andn2_b64 s[6:7], s[74:75], exec
	s_and_b64 s[8:9], s[8:9], exec
	s_or_b64 s[74:75], s[6:7], s[8:9]
.LBB866_546:
	s_or_b64 exec, exec, s[4:5]
	s_branch .LBB866_555
.LBB866_547:
	s_cmp_eq_u32 s80, 8
	s_cbranch_scc0 .LBB866_554
; %bb.548:
	s_mov_b32 s3, 0
	s_lshl_b32 s4, s2, 10
	s_mov_b32 s5, s3
	s_lshr_b64 s[6:7], s[70:71], 10
	s_lshl_b64 s[8:9], s[4:5], 1
	s_add_u32 s16, s68, s8
	s_addc_u32 s17, s69, s9
	s_cmp_lg_u64 s[6:7], s[2:3]
	s_cbranch_scc0 .LBB866_576
; %bb.549:
	v_lshlrev_b32_e32 v1, 1, v0
	global_load_ushort v2, v1, s[16:17]
	global_load_ushort v6, v1, s[16:17] offset:256
	s_waitcnt lgkmcnt(0)
	v_mov_b32_e32 v3, 0
	global_load_ushort v7, v1, s[16:17] offset:512
	global_load_ushort v8, v1, s[16:17] offset:768
	;; [unrolled: 1-line block ×6, first 2 shown]
	s_waitcnt vmcnt(7)
	v_lshlrev_b32_e32 v2, 1, v2
	v_lshl_add_u64 v[4:5], s[66:67], 0, v[2:3]
	s_waitcnt vmcnt(6)
	v_lshlrev_b32_e32 v2, 1, v6
	v_lshl_add_u64 v[4:5], v[4:5], 0, v[2:3]
	global_load_ushort v1, v[4:5], off
	v_mov_b32_e32 v6, 1
	s_waitcnt vmcnt(0)
	v_lshlrev_b32_e32 v2, 1, v1
	v_lshl_add_u64 v[4:5], s[66:67], 0, v[2:3]
	v_lshlrev_b32_e32 v2, 1, v7
	v_lshl_add_u64 v[4:5], v[4:5], 0, v[2:3]
	global_load_ushort v1, v[4:5], off
	s_waitcnt vmcnt(0)
	v_lshlrev_b32_e32 v2, 1, v1
	v_lshl_add_u64 v[4:5], s[66:67], 0, v[2:3]
	v_lshlrev_b32_e32 v2, 1, v8
	v_lshl_add_u64 v[4:5], v[4:5], 0, v[2:3]
	global_load_ushort v1, v[4:5], off
	;; [unrolled: 6-line block ×6, first 2 shown]
	s_waitcnt vmcnt(0)
	s_nop 0
	v_mov_b32_dpp v2, v1 quad_perm:[1,0,3,2] row_mask:0xf bank_mask:0xf bound_ctrl:1
	v_lshlrev_b32_sdwa v2, v6, v2 dst_sel:DWORD dst_unused:UNUSED_PAD src0_sel:DWORD src1_sel:WORD_0
	v_lshl_add_u64 v[4:5], s[66:67], 0, v[2:3]
	v_lshlrev_b32_e32 v2, 1, v1
	v_lshl_add_u64 v[4:5], v[4:5], 0, v[2:3]
	global_load_ushort v1, v[4:5], off
	s_waitcnt vmcnt(0)
	s_nop 0
	v_mov_b32_dpp v2, v1 quad_perm:[2,3,0,1] row_mask:0xf bank_mask:0xf bound_ctrl:1
	v_lshlrev_b32_sdwa v2, v6, v2 dst_sel:DWORD dst_unused:UNUSED_PAD src0_sel:DWORD src1_sel:WORD_0
	v_lshl_add_u64 v[4:5], s[66:67], 0, v[2:3]
	v_lshlrev_b32_e32 v2, 1, v1
	v_lshl_add_u64 v[4:5], v[4:5], 0, v[2:3]
	global_load_ushort v1, v[4:5], off
	s_waitcnt vmcnt(0)
	s_nop 0
	v_mov_b32_dpp v2, v1 row_ror:4 row_mask:0xf bank_mask:0xf bound_ctrl:1
	v_lshlrev_b32_sdwa v2, v6, v2 dst_sel:DWORD dst_unused:UNUSED_PAD src0_sel:DWORD src1_sel:WORD_0
	v_lshl_add_u64 v[4:5], s[66:67], 0, v[2:3]
	v_lshlrev_b32_e32 v2, 1, v1
	v_lshl_add_u64 v[4:5], v[4:5], 0, v[2:3]
	global_load_ushort v1, v[4:5], off
	s_waitcnt vmcnt(0)
	s_nop 0
	v_mov_b32_dpp v2, v1 row_ror:8 row_mask:0xf bank_mask:0xf bound_ctrl:1
	v_lshlrev_b32_sdwa v2, v6, v2 dst_sel:DWORD dst_unused:UNUSED_PAD src0_sel:DWORD src1_sel:WORD_0
	v_lshl_add_u64 v[4:5], s[66:67], 0, v[2:3]
	v_lshlrev_b32_e32 v2, 1, v1
	v_lshl_add_u64 v[4:5], v[4:5], 0, v[2:3]
	global_load_ushort v1, v[4:5], off
	s_waitcnt vmcnt(0)
	s_nop 0
	v_mov_b32_dpp v2, v1 row_bcast:15 row_mask:0xf bank_mask:0xf bound_ctrl:1
	v_lshlrev_b32_sdwa v2, v6, v2 dst_sel:DWORD dst_unused:UNUSED_PAD src0_sel:DWORD src1_sel:WORD_0
	v_lshl_add_u64 v[4:5], s[66:67], 0, v[2:3]
	v_lshlrev_b32_e32 v2, 1, v1
	v_lshl_add_u64 v[4:5], v[4:5], 0, v[2:3]
	global_load_ushort v1, v[4:5], off
	s_waitcnt vmcnt(0)
	s_nop 0
	v_mov_b32_dpp v2, v1 row_bcast:31 row_mask:0xf bank_mask:0xf bound_ctrl:1
	v_lshlrev_b32_sdwa v2, v6, v2 dst_sel:DWORD dst_unused:UNUSED_PAD src0_sel:DWORD src1_sel:WORD_0
	v_lshl_add_u64 v[4:5], s[66:67], 0, v[2:3]
	v_lshlrev_b32_e32 v2, 1, v1
	v_lshl_add_u64 v[2:3], v[4:5], 0, v[2:3]
	global_load_ushort v2, v[2:3], off
	v_mbcnt_lo_u32_b32 v1, -1, 0
	v_mbcnt_hi_u32_b32 v3, -1, v1
	v_lshlrev_b32_e32 v1, 2, v3
	v_or_b32_e32 v4, 0xfc, v1
	v_cmp_eq_u32_e32 vcc, 0, v3
	s_waitcnt vmcnt(0)
	ds_bpermute_b32 v2, v4, v2
	s_and_saveexec_b64 s[6:7], vcc
	s_cbranch_execz .LBB866_551
; %bb.550:
	v_lshrrev_b32_e32 v4, 5, v0
	v_and_b32_e32 v4, 2, v4
	s_waitcnt lgkmcnt(0)
	ds_write_b16 v4, v2 offset:28
.LBB866_551:
	s_or_b64 exec, exec, s[6:7]
	v_cmp_gt_u32_e32 vcc, 64, v0
	s_waitcnt lgkmcnt(0)
	s_barrier
	s_and_saveexec_b64 s[6:7], vcc
	s_cbranch_execz .LBB866_553
; %bb.552:
	v_and_b32_e32 v2, 1, v3
	v_lshlrev_b32_e32 v2, 1, v2
	ds_read_u16 v2, v2 offset:28
	v_or_b32_e32 v1, 4, v1
	v_mov_b32_e32 v3, 0
	s_waitcnt lgkmcnt(0)
	ds_bpermute_b32 v1, v1, v2
	v_lshlrev_b32_e32 v2, 1, v2
	v_lshl_add_u64 v[4:5], s[66:67], 0, v[2:3]
	v_mov_b32_e32 v2, 1
	s_waitcnt lgkmcnt(0)
	v_lshlrev_b32_sdwa v2, v2, v1 dst_sel:DWORD dst_unused:UNUSED_PAD src0_sel:DWORD src1_sel:WORD_0
	v_lshl_add_u64 v[2:3], v[4:5], 0, v[2:3]
	global_load_ushort v2, v[2:3], off
.LBB866_553:
	s_or_b64 exec, exec, s[6:7]
	s_mov_b64 s[6:7], 0
	s_branch .LBB866_577
.LBB866_554:
                                        ; implicit-def: $vgpr2
.LBB866_555:
	s_branch .LBB866_707
.LBB866_556:
	s_cmp_gt_i32 s80, 1
	s_cbranch_scc0 .LBB866_565
; %bb.557:
	s_cmp_gt_i32 s80, 3
	s_cbranch_scc0 .LBB866_566
; %bb.558:
	s_cmp_eq_u32 s80, 4
	s_cbranch_scc0 .LBB866_574
; %bb.559:
	s_mov_b32 s3, 0
	s_lshl_b32 s4, s2, 9
	s_mov_b32 s5, s3
	s_lshr_b64 s[6:7], s[70:71], 9
	s_lshl_b64 s[8:9], s[4:5], 1
	s_add_u32 s8, s68, s8
	s_addc_u32 s9, s69, s9
	s_cmp_lg_u64 s[6:7], s[2:3]
	s_cbranch_scc0 .LBB866_600
; %bb.560:
	v_lshlrev_b32_e32 v1, 1, v0
	global_load_ushort v2, v1, s[8:9]
	global_load_ushort v6, v1, s[8:9] offset:256
	s_waitcnt lgkmcnt(0)
	v_mov_b32_e32 v3, 0
	global_load_ushort v7, v1, s[8:9] offset:512
	global_load_ushort v8, v1, s[8:9] offset:768
	s_waitcnt vmcnt(3)
	v_lshlrev_b32_e32 v2, 1, v2
	v_lshl_add_u64 v[4:5], s[66:67], 0, v[2:3]
	s_waitcnt vmcnt(2)
	v_lshlrev_b32_e32 v2, 1, v6
	v_lshl_add_u64 v[4:5], v[4:5], 0, v[2:3]
	global_load_ushort v1, v[4:5], off
	v_mov_b32_e32 v6, 1
	s_waitcnt vmcnt(0)
	v_lshlrev_b32_e32 v2, 1, v1
	v_lshl_add_u64 v[4:5], s[66:67], 0, v[2:3]
	v_lshlrev_b32_e32 v2, 1, v7
	v_lshl_add_u64 v[4:5], v[4:5], 0, v[2:3]
	global_load_ushort v1, v[4:5], off
	s_waitcnt vmcnt(0)
	v_lshlrev_b32_e32 v2, 1, v1
	v_lshl_add_u64 v[4:5], s[66:67], 0, v[2:3]
	v_lshlrev_b32_e32 v2, 1, v8
	v_lshl_add_u64 v[4:5], v[4:5], 0, v[2:3]
	global_load_ushort v1, v[4:5], off
	s_waitcnt vmcnt(0)
	s_nop 0
	v_mov_b32_dpp v2, v1 quad_perm:[1,0,3,2] row_mask:0xf bank_mask:0xf bound_ctrl:1
	v_lshlrev_b32_sdwa v2, v6, v2 dst_sel:DWORD dst_unused:UNUSED_PAD src0_sel:DWORD src1_sel:WORD_0
	v_lshl_add_u64 v[4:5], s[66:67], 0, v[2:3]
	v_lshlrev_b32_e32 v2, 1, v1
	v_lshl_add_u64 v[4:5], v[4:5], 0, v[2:3]
	global_load_ushort v1, v[4:5], off
	s_waitcnt vmcnt(0)
	s_nop 0
	v_mov_b32_dpp v2, v1 quad_perm:[2,3,0,1] row_mask:0xf bank_mask:0xf bound_ctrl:1
	v_lshlrev_b32_sdwa v2, v6, v2 dst_sel:DWORD dst_unused:UNUSED_PAD src0_sel:DWORD src1_sel:WORD_0
	v_lshl_add_u64 v[4:5], s[66:67], 0, v[2:3]
	v_lshlrev_b32_e32 v2, 1, v1
	v_lshl_add_u64 v[4:5], v[4:5], 0, v[2:3]
	global_load_ushort v1, v[4:5], off
	s_waitcnt vmcnt(0)
	s_nop 0
	v_mov_b32_dpp v2, v1 row_ror:4 row_mask:0xf bank_mask:0xf bound_ctrl:1
	v_lshlrev_b32_sdwa v2, v6, v2 dst_sel:DWORD dst_unused:UNUSED_PAD src0_sel:DWORD src1_sel:WORD_0
	v_lshl_add_u64 v[4:5], s[66:67], 0, v[2:3]
	v_lshlrev_b32_e32 v2, 1, v1
	v_lshl_add_u64 v[4:5], v[4:5], 0, v[2:3]
	global_load_ushort v1, v[4:5], off
	s_waitcnt vmcnt(0)
	s_nop 0
	v_mov_b32_dpp v2, v1 row_ror:8 row_mask:0xf bank_mask:0xf bound_ctrl:1
	v_lshlrev_b32_sdwa v2, v6, v2 dst_sel:DWORD dst_unused:UNUSED_PAD src0_sel:DWORD src1_sel:WORD_0
	v_lshl_add_u64 v[4:5], s[66:67], 0, v[2:3]
	v_lshlrev_b32_e32 v2, 1, v1
	v_lshl_add_u64 v[4:5], v[4:5], 0, v[2:3]
	global_load_ushort v1, v[4:5], off
	s_waitcnt vmcnt(0)
	s_nop 0
	v_mov_b32_dpp v2, v1 row_bcast:15 row_mask:0xf bank_mask:0xf bound_ctrl:1
	v_lshlrev_b32_sdwa v2, v6, v2 dst_sel:DWORD dst_unused:UNUSED_PAD src0_sel:DWORD src1_sel:WORD_0
	v_lshl_add_u64 v[4:5], s[66:67], 0, v[2:3]
	v_lshlrev_b32_e32 v2, 1, v1
	v_lshl_add_u64 v[4:5], v[4:5], 0, v[2:3]
	global_load_ushort v1, v[4:5], off
	s_waitcnt vmcnt(0)
	s_nop 0
	v_mov_b32_dpp v2, v1 row_bcast:31 row_mask:0xf bank_mask:0xf bound_ctrl:1
	v_lshlrev_b32_sdwa v2, v6, v2 dst_sel:DWORD dst_unused:UNUSED_PAD src0_sel:DWORD src1_sel:WORD_0
	v_lshl_add_u64 v[4:5], s[66:67], 0, v[2:3]
	v_lshlrev_b32_e32 v2, 1, v1
	v_lshl_add_u64 v[2:3], v[4:5], 0, v[2:3]
	global_load_ushort v2, v[2:3], off
	v_mbcnt_lo_u32_b32 v1, -1, 0
	v_mbcnt_hi_u32_b32 v3, -1, v1
	v_lshlrev_b32_e32 v1, 2, v3
	v_or_b32_e32 v4, 0xfc, v1
	v_cmp_eq_u32_e32 vcc, 0, v3
	s_waitcnt vmcnt(0)
	ds_bpermute_b32 v2, v4, v2
	s_and_saveexec_b64 s[6:7], vcc
	s_cbranch_execz .LBB866_562
; %bb.561:
	v_lshrrev_b32_e32 v4, 5, v0
	v_and_b32_e32 v4, 2, v4
	s_waitcnt lgkmcnt(0)
	ds_write_b16 v4, v2 offset:20
.LBB866_562:
	s_or_b64 exec, exec, s[6:7]
	v_cmp_gt_u32_e32 vcc, 64, v0
	s_waitcnt lgkmcnt(0)
	s_barrier
	s_and_saveexec_b64 s[6:7], vcc
	s_cbranch_execz .LBB866_564
; %bb.563:
	v_and_b32_e32 v2, 1, v3
	v_lshlrev_b32_e32 v2, 1, v2
	ds_read_u16 v2, v2 offset:20
	v_or_b32_e32 v1, 4, v1
	v_mov_b32_e32 v3, 0
	s_waitcnt lgkmcnt(0)
	ds_bpermute_b32 v1, v1, v2
	v_lshlrev_b32_e32 v2, 1, v2
	v_lshl_add_u64 v[4:5], s[66:67], 0, v[2:3]
	v_mov_b32_e32 v2, 1
	s_waitcnt lgkmcnt(0)
	v_lshlrev_b32_sdwa v2, v2, v1 dst_sel:DWORD dst_unused:UNUSED_PAD src0_sel:DWORD src1_sel:WORD_0
	v_lshl_add_u64 v[2:3], v[4:5], 0, v[2:3]
	global_load_ushort v2, v[2:3], off
.LBB866_564:
	s_or_b64 exec, exec, s[6:7]
	s_mov_b64 s[6:7], 0
	s_branch .LBB866_601
.LBB866_565:
                                        ; implicit-def: $vgpr2
	s_cbranch_execnz .LBB866_699
	s_branch .LBB866_707
.LBB866_566:
                                        ; implicit-def: $vgpr2
	s_cbranch_execz .LBB866_698
; %bb.567:
	s_cmp_eq_u32 s80, 2
	s_cbranch_scc0 .LBB866_575
; %bb.568:
	s_mov_b32 s3, 0
	s_lshl_b32 s6, s2, 8
	s_mov_b32 s7, s3
	s_lshr_b64 s[8:9], s[70:71], 8
	s_lshl_b64 s[4:5], s[6:7], 1
	s_add_u32 s4, s68, s4
	s_addc_u32 s5, s69, s5
	s_cmp_lg_u64 s[8:9], s[2:3]
	s_cbranch_scc0 .LBB866_612
; %bb.569:
	v_lshlrev_b32_e32 v1, 1, v0
	global_load_ushort v2, v1, s[4:5] offset:256
	global_load_ushort v6, v1, s[4:5]
	s_waitcnt lgkmcnt(0)
	v_mov_b32_e32 v3, 0
	s_waitcnt vmcnt(1)
	v_lshlrev_b32_e32 v2, 1, v2
	v_lshl_add_u64 v[4:5], s[66:67], 0, v[2:3]
	s_waitcnt vmcnt(0)
	v_lshlrev_b32_e32 v2, 1, v6
	v_lshl_add_u64 v[4:5], v[4:5], 0, v[2:3]
	global_load_ushort v1, v[4:5], off
	v_mov_b32_e32 v6, 1
	s_waitcnt vmcnt(0)
	v_mov_b32_dpp v2, v1 quad_perm:[1,0,3,2] row_mask:0xf bank_mask:0xf bound_ctrl:1
	v_lshlrev_b32_sdwa v2, v6, v2 dst_sel:DWORD dst_unused:UNUSED_PAD src0_sel:DWORD src1_sel:WORD_0
	v_lshl_add_u64 v[4:5], s[66:67], 0, v[2:3]
	v_lshlrev_b32_e32 v2, 1, v1
	v_lshl_add_u64 v[4:5], v[4:5], 0, v[2:3]
	global_load_ushort v1, v[4:5], off
	s_waitcnt vmcnt(0)
	s_nop 0
	v_mov_b32_dpp v2, v1 quad_perm:[2,3,0,1] row_mask:0xf bank_mask:0xf bound_ctrl:1
	v_lshlrev_b32_sdwa v2, v6, v2 dst_sel:DWORD dst_unused:UNUSED_PAD src0_sel:DWORD src1_sel:WORD_0
	v_lshl_add_u64 v[4:5], s[66:67], 0, v[2:3]
	v_lshlrev_b32_e32 v2, 1, v1
	v_lshl_add_u64 v[4:5], v[4:5], 0, v[2:3]
	global_load_ushort v1, v[4:5], off
	s_waitcnt vmcnt(0)
	s_nop 0
	v_mov_b32_dpp v2, v1 row_ror:4 row_mask:0xf bank_mask:0xf bound_ctrl:1
	v_lshlrev_b32_sdwa v2, v6, v2 dst_sel:DWORD dst_unused:UNUSED_PAD src0_sel:DWORD src1_sel:WORD_0
	v_lshl_add_u64 v[4:5], s[66:67], 0, v[2:3]
	v_lshlrev_b32_e32 v2, 1, v1
	v_lshl_add_u64 v[4:5], v[4:5], 0, v[2:3]
	global_load_ushort v1, v[4:5], off
	s_waitcnt vmcnt(0)
	s_nop 0
	v_mov_b32_dpp v2, v1 row_ror:8 row_mask:0xf bank_mask:0xf bound_ctrl:1
	v_lshlrev_b32_sdwa v2, v6, v2 dst_sel:DWORD dst_unused:UNUSED_PAD src0_sel:DWORD src1_sel:WORD_0
	v_lshl_add_u64 v[4:5], s[66:67], 0, v[2:3]
	v_lshlrev_b32_e32 v2, 1, v1
	v_lshl_add_u64 v[4:5], v[4:5], 0, v[2:3]
	global_load_ushort v1, v[4:5], off
	s_waitcnt vmcnt(0)
	s_nop 0
	v_mov_b32_dpp v2, v1 row_bcast:15 row_mask:0xf bank_mask:0xf bound_ctrl:1
	v_lshlrev_b32_sdwa v2, v6, v2 dst_sel:DWORD dst_unused:UNUSED_PAD src0_sel:DWORD src1_sel:WORD_0
	v_lshl_add_u64 v[4:5], s[66:67], 0, v[2:3]
	v_lshlrev_b32_e32 v2, 1, v1
	v_lshl_add_u64 v[4:5], v[4:5], 0, v[2:3]
	global_load_ushort v1, v[4:5], off
	s_waitcnt vmcnt(0)
	s_nop 0
	v_mov_b32_dpp v2, v1 row_bcast:31 row_mask:0xf bank_mask:0xf bound_ctrl:1
	v_lshlrev_b32_sdwa v2, v6, v2 dst_sel:DWORD dst_unused:UNUSED_PAD src0_sel:DWORD src1_sel:WORD_0
	v_lshl_add_u64 v[4:5], s[66:67], 0, v[2:3]
	v_lshlrev_b32_e32 v2, 1, v1
	v_lshl_add_u64 v[2:3], v[4:5], 0, v[2:3]
	global_load_ushort v2, v[2:3], off
	v_mbcnt_lo_u32_b32 v1, -1, 0
	v_mbcnt_hi_u32_b32 v3, -1, v1
	v_lshlrev_b32_e32 v1, 2, v3
	v_or_b32_e32 v4, 0xfc, v1
	v_cmp_eq_u32_e32 vcc, 0, v3
	s_waitcnt vmcnt(0)
	ds_bpermute_b32 v2, v4, v2
	s_and_saveexec_b64 s[8:9], vcc
	s_cbranch_execz .LBB866_571
; %bb.570:
	v_lshrrev_b32_e32 v4, 5, v0
	v_and_b32_e32 v4, 2, v4
	s_waitcnt lgkmcnt(0)
	ds_write_b16 v4, v2 offset:12
.LBB866_571:
	s_or_b64 exec, exec, s[8:9]
	v_cmp_gt_u32_e32 vcc, 64, v0
	s_waitcnt lgkmcnt(0)
	s_barrier
	s_and_saveexec_b64 s[8:9], vcc
	s_cbranch_execz .LBB866_573
; %bb.572:
	v_and_b32_e32 v2, 1, v3
	v_lshlrev_b32_e32 v2, 1, v2
	ds_read_u16 v2, v2 offset:12
	v_or_b32_e32 v1, 4, v1
	v_mov_b32_e32 v3, 0
	s_waitcnt lgkmcnt(0)
	ds_bpermute_b32 v1, v1, v2
	v_lshlrev_b32_e32 v2, 1, v2
	v_lshl_add_u64 v[4:5], s[66:67], 0, v[2:3]
	v_mov_b32_e32 v2, 1
	s_waitcnt lgkmcnt(0)
	v_lshlrev_b32_sdwa v2, v2, v1 dst_sel:DWORD dst_unused:UNUSED_PAD src0_sel:DWORD src1_sel:WORD_0
	v_lshl_add_u64 v[2:3], v[4:5], 0, v[2:3]
	global_load_ushort v2, v[2:3], off
.LBB866_573:
	s_or_b64 exec, exec, s[8:9]
	s_mov_b64 s[8:9], 0
	s_branch .LBB866_613
.LBB866_574:
                                        ; implicit-def: $vgpr2
	s_branch .LBB866_698
.LBB866_575:
                                        ; implicit-def: $vgpr2
	s_branch .LBB866_707
.LBB866_576:
	s_mov_b64 s[6:7], -1
                                        ; implicit-def: $vgpr2
.LBB866_577:
	s_and_b64 vcc, exec, s[6:7]
	s_cbranch_vccz .LBB866_669
; %bb.578:
	s_sub_i32 s20, s70, s4
	s_waitcnt vmcnt(0)
	v_mov_b32_e32 v2, 0
	v_cmp_gt_u32_e32 vcc, s20, v0
	s_waitcnt lgkmcnt(0)
	v_mov_b32_e32 v3, v2
	v_mov_b32_e32 v4, v2
	;; [unrolled: 1-line block ×3, first 2 shown]
	s_and_saveexec_b64 s[4:5], vcc
	s_cbranch_execz .LBB866_580
; %bb.579:
	v_lshlrev_b32_e32 v1, 1, v0
	global_load_ushort v1, v1, s[16:17]
	v_mov_b32_e32 v5, v2
	v_mov_b32_e32 v6, v2
	;; [unrolled: 1-line block ×3, first 2 shown]
	s_waitcnt vmcnt(0)
	v_and_b32_e32 v4, 0xffff, v1
	v_mov_b64_e32 v[2:3], v[4:5]
	v_mov_b64_e32 v[4:5], v[6:7]
.LBB866_580:
	s_or_b64 exec, exec, s[4:5]
	v_or_b32_e32 v1, 0x80, v0
	v_cmp_gt_u32_e32 vcc, s20, v1
	s_and_saveexec_b64 s[4:5], vcc
	s_cbranch_execz .LBB866_582
; %bb.581:
	v_lshlrev_b32_e32 v1, 1, v0
	global_load_ushort v1, v1, s[16:17] offset:256
	s_mov_b32 s6, 0x5040100
	s_waitcnt vmcnt(0)
	v_perm_b32 v2, v1, v2, s6
.LBB866_582:
	s_or_b64 exec, exec, s[4:5]
	v_or_b32_e32 v1, 0x100, v0
	v_cmp_gt_u32_e64 s[4:5], s20, v1
	s_and_saveexec_b64 s[6:7], s[4:5]
	s_cbranch_execz .LBB866_584
; %bb.583:
	v_lshlrev_b32_e32 v1, 1, v0
	global_load_ushort v1, v1, s[16:17] offset:512
	s_mov_b32 s8, 0xffff
	s_waitcnt vmcnt(0)
	v_bfi_b32 v3, s8, v1, v3
.LBB866_584:
	s_or_b64 exec, exec, s[6:7]
	v_or_b32_e32 v1, 0x180, v0
	v_cmp_gt_u32_e64 s[6:7], s20, v1
	s_and_saveexec_b64 s[8:9], s[6:7]
	s_cbranch_execz .LBB866_586
; %bb.585:
	v_lshlrev_b32_e32 v1, 1, v0
	global_load_ushort v1, v1, s[16:17] offset:768
	s_mov_b32 s10, 0x5040100
	s_waitcnt vmcnt(0)
	v_perm_b32 v3, v1, v3, s10
.LBB866_586:
	s_or_b64 exec, exec, s[8:9]
	v_or_b32_e32 v1, 0x200, v0
	v_cmp_gt_u32_e64 s[8:9], s20, v1
	s_and_saveexec_b64 s[10:11], s[8:9]
	s_cbranch_execz .LBB866_588
; %bb.587:
	v_lshlrev_b32_e32 v1, 1, v0
	global_load_ushort v1, v1, s[16:17] offset:1024
	s_mov_b32 s12, 0xffff
	s_waitcnt vmcnt(0)
	v_bfi_b32 v4, s12, v1, v4
.LBB866_588:
	s_or_b64 exec, exec, s[10:11]
	v_or_b32_e32 v1, 0x280, v0
	v_cmp_gt_u32_e64 s[10:11], s20, v1
	s_and_saveexec_b64 s[12:13], s[10:11]
	;; [unrolled: 24-line block ×3, first 2 shown]
	s_cbranch_execz .LBB866_642
; %bb.593:
	v_lshlrev_b32_e32 v1, 1, v0
	global_load_ushort v1, v1, s[16:17] offset:1792
	s_mov_b32 s16, 0x5040100
	s_waitcnt vmcnt(0)
	v_perm_b32 v5, v1, v5, s16
	s_or_b64 exec, exec, s[18:19]
	s_and_saveexec_b64 s[16:17], vcc
	s_cbranch_execnz .LBB866_643
.LBB866_594:
	s_or_b64 exec, exec, s[16:17]
	s_and_saveexec_b64 s[16:17], s[4:5]
	s_cbranch_execz .LBB866_644
.LBB866_595:
	v_mov_b32_e32 v1, 1
	s_waitcnt vmcnt(0)
	v_lshlrev_b32_sdwa v6, v1, v2 dst_sel:DWORD dst_unused:UNUSED_PAD src0_sel:DWORD src1_sel:WORD_0
	v_mov_b32_e32 v7, 0
	v_lshl_add_u64 v[8:9], s[66:67], 0, v[6:7]
	v_lshlrev_b32_sdwa v6, v1, v3 dst_sel:DWORD dst_unused:UNUSED_PAD src0_sel:DWORD src1_sel:WORD_0
	v_lshl_add_u64 v[6:7], v[8:9], 0, v[6:7]
	global_load_ushort v2, v[6:7], off
	s_or_b64 exec, exec, s[16:17]
	s_and_saveexec_b64 s[4:5], s[6:7]
	s_cbranch_execnz .LBB866_645
.LBB866_596:
	s_or_b64 exec, exec, s[4:5]
	s_and_saveexec_b64 s[4:5], s[8:9]
	s_cbranch_execz .LBB866_646
.LBB866_597:
	v_mov_b32_e32 v1, 1
	s_waitcnt vmcnt(0)
	v_lshlrev_b32_sdwa v2, v1, v2 dst_sel:DWORD dst_unused:UNUSED_PAD src0_sel:DWORD src1_sel:WORD_0
	v_mov_b32_e32 v3, 0
	v_lshl_add_u64 v[6:7], s[66:67], 0, v[2:3]
	v_lshlrev_b32_sdwa v2, v1, v4 dst_sel:DWORD dst_unused:UNUSED_PAD src0_sel:DWORD src1_sel:WORD_0
	v_lshl_add_u64 v[2:3], v[6:7], 0, v[2:3]
	global_load_ushort v2, v[2:3], off
	s_or_b64 exec, exec, s[4:5]
	s_and_saveexec_b64 s[4:5], s[10:11]
	s_cbranch_execnz .LBB866_647
.LBB866_598:
	s_or_b64 exec, exec, s[4:5]
	s_and_saveexec_b64 s[4:5], s[12:13]
	s_cbranch_execz .LBB866_648
.LBB866_599:
	v_mov_b32_e32 v1, 1
	s_waitcnt vmcnt(0)
	v_lshlrev_b32_sdwa v2, v1, v2 dst_sel:DWORD dst_unused:UNUSED_PAD src0_sel:DWORD src1_sel:WORD_0
	v_mov_b32_e32 v3, 0
	v_lshl_add_u64 v[6:7], s[66:67], 0, v[2:3]
	v_lshlrev_b32_sdwa v2, v1, v5 dst_sel:DWORD dst_unused:UNUSED_PAD src0_sel:DWORD src1_sel:WORD_0
	v_lshl_add_u64 v[2:3], v[6:7], 0, v[2:3]
	global_load_ushort v2, v[2:3], off
	s_or_b64 exec, exec, s[4:5]
	s_and_saveexec_b64 s[4:5], s[14:15]
	s_cbranch_execnz .LBB866_649
	s_branch .LBB866_650
.LBB866_600:
	s_mov_b64 s[6:7], -1
                                        ; implicit-def: $vgpr2
.LBB866_601:
	s_and_b64 vcc, exec, s[6:7]
	s_cbranch_vccz .LBB866_695
; %bb.602:
	s_sub_i32 s12, s70, s4
	s_waitcnt vmcnt(0)
	v_mov_b32_e32 v2, 0
	v_cmp_gt_u32_e32 vcc, s12, v0
	s_waitcnt lgkmcnt(0)
	v_mov_b32_e32 v3, v2
	s_and_saveexec_b64 s[4:5], vcc
	s_cbranch_execz .LBB866_604
; %bb.603:
	v_lshlrev_b32_e32 v1, 1, v0
	global_load_ushort v1, v1, s[8:9]
	v_mov_b32_e32 v5, v2
	s_waitcnt vmcnt(0)
	v_and_b32_e32 v4, 0xffff, v1
	v_mov_b64_e32 v[2:3], v[4:5]
.LBB866_604:
	s_or_b64 exec, exec, s[4:5]
	v_or_b32_e32 v1, 0x80, v0
	v_cmp_gt_u32_e64 s[6:7], s12, v1
	s_and_saveexec_b64 s[4:5], s[6:7]
	s_cbranch_execz .LBB866_606
; %bb.605:
	v_lshlrev_b32_e32 v1, 1, v0
	global_load_ushort v1, v1, s[8:9] offset:256
	s_mov_b32 s10, 0x5040100
	s_waitcnt vmcnt(0)
	v_perm_b32 v2, v1, v2, s10
.LBB866_606:
	s_or_b64 exec, exec, s[4:5]
	v_or_b32_e32 v1, 0x100, v0
	v_cmp_gt_u32_e64 s[4:5], s12, v1
	s_and_saveexec_b64 s[10:11], s[4:5]
	s_cbranch_execz .LBB866_608
; %bb.607:
	v_lshlrev_b32_e32 v1, 1, v0
	global_load_ushort v1, v1, s[8:9] offset:512
	s_mov_b32 s13, 0xffff
	s_waitcnt vmcnt(0)
	v_bfi_b32 v3, s13, v1, v3
.LBB866_608:
	s_or_b64 exec, exec, s[10:11]
	v_or_b32_e32 v1, 0x180, v0
	v_cmp_gt_u32_e32 vcc, s12, v1
	s_and_saveexec_b64 s[10:11], vcc
	s_cbranch_execz .LBB866_672
; %bb.609:
	v_lshlrev_b32_e32 v1, 1, v0
	global_load_ushort v1, v1, s[8:9] offset:768
	s_mov_b32 s8, 0x5040100
	s_waitcnt vmcnt(0)
	v_perm_b32 v3, v1, v3, s8
	s_or_b64 exec, exec, s[10:11]
	s_and_saveexec_b64 s[8:9], s[6:7]
	s_cbranch_execnz .LBB866_673
.LBB866_610:
	s_or_b64 exec, exec, s[8:9]
	s_and_saveexec_b64 s[6:7], s[4:5]
	s_cbranch_execz .LBB866_674
.LBB866_611:
	v_mov_b32_e32 v1, 1
	s_waitcnt vmcnt(0)
	v_lshlrev_b32_sdwa v4, v1, v2 dst_sel:DWORD dst_unused:UNUSED_PAD src0_sel:DWORD src1_sel:WORD_0
	v_mov_b32_e32 v5, 0
	v_lshl_add_u64 v[6:7], s[66:67], 0, v[4:5]
	v_lshlrev_b32_sdwa v4, v1, v3 dst_sel:DWORD dst_unused:UNUSED_PAD src0_sel:DWORD src1_sel:WORD_0
	v_lshl_add_u64 v[4:5], v[6:7], 0, v[4:5]
	global_load_ushort v2, v[4:5], off
	s_or_b64 exec, exec, s[6:7]
	s_and_saveexec_b64 s[4:5], vcc
	s_cbranch_execnz .LBB866_675
	s_branch .LBB866_676
.LBB866_612:
	s_mov_b64 s[8:9], -1
                                        ; implicit-def: $vgpr2
.LBB866_613:
	s_and_b64 vcc, exec, s[8:9]
	s_cbranch_vccz .LBB866_639
; %bb.614:
	s_sub_i32 s8, s70, s6
	v_cmp_gt_u32_e32 vcc, s8, v0
	s_waitcnt vmcnt(0)
	v_mov_b32_e32 v2, 0
	s_and_saveexec_b64 s[6:7], vcc
	s_cbranch_execz .LBB866_616
; %bb.615:
	v_lshlrev_b32_e32 v1, 1, v0
	global_load_ushort v1, v1, s[4:5]
	s_waitcnt vmcnt(0)
	v_and_b32_e32 v2, 0xffff, v1
.LBB866_616:
	s_or_b64 exec, exec, s[6:7]
	v_or_b32_e32 v1, 0x80, v0
	v_cmp_gt_u32_e32 vcc, s8, v1
	s_and_saveexec_b64 s[6:7], vcc
	s_cbranch_execz .LBB866_618
; %bb.617:
	v_lshlrev_b32_e32 v1, 1, v0
	global_load_ushort v1, v1, s[4:5] offset:256
	s_mov_b32 s4, 0x5040100
	s_waitcnt vmcnt(0)
	v_perm_b32 v2, v1, v2, s4
.LBB866_618:
	s_or_b64 exec, exec, s[6:7]
	s_and_saveexec_b64 s[4:5], vcc
	s_cbranch_execz .LBB866_620
; %bb.619:
	v_mov_b32_e32 v1, 1
	v_lshlrev_b32_sdwa v4, v1, v2 dst_sel:DWORD dst_unused:UNUSED_PAD src0_sel:DWORD src1_sel:WORD_1
	v_mov_b32_e32 v5, 0
	v_lshl_add_u64 v[6:7], s[66:67], 0, v[4:5]
	v_lshlrev_b32_sdwa v4, v1, v2 dst_sel:DWORD dst_unused:UNUSED_PAD src0_sel:DWORD src1_sel:WORD_0
	s_waitcnt lgkmcnt(0)
	v_lshl_add_u64 v[2:3], v[6:7], 0, v[4:5]
	global_load_ushort v2, v[2:3], off
.LBB866_620:
	s_or_b64 exec, exec, s[4:5]
	v_mbcnt_lo_u32_b32 v1, -1, 0
	v_mbcnt_hi_u32_b32 v1, -1, v1
	s_waitcnt lgkmcnt(0)
	v_and_b32_e32 v3, 63, v1
	v_cmp_ne_u32_e32 vcc, 63, v3
	s_waitcnt vmcnt(0)
	v_and_b32_e32 v5, 0xffff, v2
	s_min_u32 s6, s8, 0x80
	v_addc_co_u32_e32 v4, vcc, 0, v1, vcc
	v_lshlrev_b32_e32 v4, 2, v4
	ds_bpermute_b32 v6, v4, v5
	v_and_b32_e32 v4, 64, v0
	v_sub_u32_e64 v4, s6, v4 clamp
	v_add_u32_e32 v7, 1, v3
	v_cmp_lt_u32_e32 vcc, v7, v4
	s_and_saveexec_b64 s[4:5], vcc
	s_xor_b64 s[4:5], exec, s[4:5]
	s_cbranch_execz .LBB866_622
; %bb.621:
	v_mov_b32_e32 v5, 1
	v_lshlrev_b32_sdwa v8, v5, v2 dst_sel:DWORD dst_unused:UNUSED_PAD src0_sel:DWORD src1_sel:WORD_0
	v_mov_b32_e32 v9, 0
	v_lshl_add_u64 v[10:11], s[66:67], 0, v[8:9]
	s_waitcnt lgkmcnt(0)
	v_lshlrev_b32_sdwa v8, v5, v6 dst_sel:DWORD dst_unused:UNUSED_PAD src0_sel:DWORD src1_sel:WORD_0
	v_lshl_add_u64 v[6:7], v[10:11], 0, v[8:9]
	global_load_ushort v2, v[6:7], off
	s_waitcnt vmcnt(0)
	v_and_b32_e32 v5, 0xffff, v2
.LBB866_622:
	s_or_b64 exec, exec, s[4:5]
	v_cmp_gt_u32_e32 vcc, 62, v3
	v_add_u32_e32 v7, 2, v3
	s_waitcnt lgkmcnt(0)
	v_cndmask_b32_e64 v6, 0, 2, vcc
	v_add_lshl_u32 v6, v6, v1, 2
	ds_bpermute_b32 v6, v6, v5
	v_cmp_lt_u32_e32 vcc, v7, v4
	s_and_saveexec_b64 s[4:5], vcc
	s_cbranch_execz .LBB866_624
; %bb.623:
	v_mov_b32_e32 v5, 1
	v_lshlrev_b32_sdwa v8, v5, v2 dst_sel:DWORD dst_unused:UNUSED_PAD src0_sel:DWORD src1_sel:WORD_0
	v_mov_b32_e32 v9, 0
	v_lshl_add_u64 v[10:11], s[66:67], 0, v[8:9]
	s_waitcnt lgkmcnt(0)
	v_lshlrev_b32_sdwa v8, v5, v6 dst_sel:DWORD dst_unused:UNUSED_PAD src0_sel:DWORD src1_sel:WORD_0
	v_lshl_add_u64 v[6:7], v[10:11], 0, v[8:9]
	global_load_ushort v2, v[6:7], off
	s_waitcnt vmcnt(0)
	v_and_b32_e32 v5, 0xffff, v2
.LBB866_624:
	s_or_b64 exec, exec, s[4:5]
	v_cmp_gt_u32_e32 vcc, 60, v3
	v_add_u32_e32 v7, 4, v3
	s_waitcnt lgkmcnt(0)
	v_cndmask_b32_e64 v6, 0, 4, vcc
	v_add_lshl_u32 v6, v6, v1, 2
	ds_bpermute_b32 v6, v6, v5
	v_cmp_lt_u32_e32 vcc, v7, v4
	s_and_saveexec_b64 s[4:5], vcc
	;; [unrolled: 22-line block ×4, first 2 shown]
	s_cbranch_execz .LBB866_630
; %bb.629:
	v_mov_b32_e32 v5, 1
	v_lshlrev_b32_sdwa v8, v5, v2 dst_sel:DWORD dst_unused:UNUSED_PAD src0_sel:DWORD src1_sel:WORD_0
	v_mov_b32_e32 v9, 0
	v_lshl_add_u64 v[10:11], s[66:67], 0, v[8:9]
	s_waitcnt lgkmcnt(0)
	v_lshlrev_b32_sdwa v8, v5, v6 dst_sel:DWORD dst_unused:UNUSED_PAD src0_sel:DWORD src1_sel:WORD_0
	v_lshl_add_u64 v[6:7], v[10:11], 0, v[8:9]
	global_load_ushort v2, v[6:7], off
	s_waitcnt vmcnt(0)
	v_and_b32_e32 v5, 0xffff, v2
.LBB866_630:
	s_or_b64 exec, exec, s[4:5]
	s_waitcnt lgkmcnt(0)
	v_lshlrev_b32_e32 v6, 2, v1
	v_or_b32_e32 v7, 0x80, v6
	ds_bpermute_b32 v5, v7, v5
	v_add_u32_e32 v3, 32, v3
	v_cmp_lt_u32_e32 vcc, v3, v4
	s_and_saveexec_b64 s[4:5], vcc
	s_cbranch_execz .LBB866_632
; %bb.631:
	v_mov_b32_e32 v4, 1
	v_lshlrev_b32_sdwa v2, v4, v2 dst_sel:DWORD dst_unused:UNUSED_PAD src0_sel:DWORD src1_sel:WORD_0
	v_mov_b32_e32 v3, 0
	v_lshl_add_u64 v[8:9], s[66:67], 0, v[2:3]
	s_waitcnt lgkmcnt(0)
	v_lshlrev_b32_sdwa v2, v4, v5 dst_sel:DWORD dst_unused:UNUSED_PAD src0_sel:DWORD src1_sel:WORD_0
	v_lshl_add_u64 v[2:3], v[8:9], 0, v[2:3]
	global_load_ushort v2, v[2:3], off
.LBB866_632:
	s_or_b64 exec, exec, s[4:5]
	v_cmp_eq_u32_e32 vcc, 0, v1
	s_and_saveexec_b64 s[4:5], vcc
	s_cbranch_execz .LBB866_634
; %bb.633:
	v_lshrrev_b32_e32 v3, 5, v0
	v_and_b32_e32 v3, 2, v3
	s_waitcnt vmcnt(0)
	ds_write_b16 v3, v2
.LBB866_634:
	s_or_b64 exec, exec, s[4:5]
	v_cmp_gt_u32_e32 vcc, 2, v0
	s_waitcnt lgkmcnt(0)
	s_barrier
	s_and_saveexec_b64 s[4:5], vcc
	s_cbranch_execz .LBB866_638
; %bb.635:
	s_waitcnt vmcnt(0)
	v_lshlrev_b32_e32 v2, 1, v1
	ds_read_u16 v2, v2
	v_or_b32_e32 v3, 4, v6
	s_add_i32 s6, s6, 63
	v_and_b32_e32 v1, 1, v1
	s_lshr_b32 s6, s6, 6
	s_waitcnt lgkmcnt(0)
	v_and_b32_e32 v4, 0xffff, v2
	ds_bpermute_b32 v3, v3, v4
	v_add_u32_e32 v1, 1, v1
	v_cmp_gt_u32_e32 vcc, s6, v1
	s_and_saveexec_b64 s[6:7], vcc
	s_cbranch_execz .LBB866_637
; %bb.636:
	v_lshlrev_b32_e32 v4, 1, v4
	v_mov_b32_e32 v5, 0
	v_mov_b32_e32 v1, 1
	v_lshl_add_u64 v[6:7], s[66:67], 0, v[4:5]
	s_waitcnt lgkmcnt(0)
	v_lshlrev_b32_sdwa v4, v1, v3 dst_sel:DWORD dst_unused:UNUSED_PAD src0_sel:DWORD src1_sel:WORD_0
	v_lshl_add_u64 v[2:3], v[6:7], 0, v[4:5]
	global_load_ushort v2, v[2:3], off
.LBB866_637:
	s_or_b64 exec, exec, s[6:7]
.LBB866_638:
	s_or_b64 exec, exec, s[4:5]
.LBB866_639:
	v_cmp_eq_u32_e32 vcc, 0, v0
	s_and_saveexec_b64 s[4:5], vcc
	s_xor_b64 s[4:5], exec, s[4:5]
	s_cbranch_execz .LBB866_641
; %bb.640:
	s_cmp_eq_u64 s[70:71], 0
	s_cselect_b64 s[6:7], -1, 0
	s_cmp_lg_u64 s[70:71], 0
	s_cselect_b64 s[8:9], -1, 0
	s_andn2_b64 s[10:11], s[72:73], exec
	s_and_b64 s[6:7], s[6:7], exec
	s_or_b64 s[72:73], s[10:11], s[6:7]
	s_andn2_b64 s[6:7], s[74:75], exec
	s_and_b64 s[8:9], s[8:9], exec
	s_or_b64 s[74:75], s[6:7], s[8:9]
.LBB866_641:
	s_or_b64 exec, exec, s[4:5]
	s_branch .LBB866_707
.LBB866_642:
	s_or_b64 exec, exec, s[18:19]
	s_and_saveexec_b64 s[16:17], vcc
	s_cbranch_execz .LBB866_594
.LBB866_643:
	v_mov_b32_e32 v1, 1
	v_lshlrev_b32_sdwa v6, v1, v2 dst_sel:DWORD dst_unused:UNUSED_PAD src0_sel:DWORD src1_sel:WORD_0
	v_mov_b32_e32 v7, 0
	v_lshl_add_u64 v[8:9], s[66:67], 0, v[6:7]
	v_lshlrev_b32_sdwa v6, v1, v2 dst_sel:DWORD dst_unused:UNUSED_PAD src0_sel:DWORD src1_sel:WORD_1
	v_lshl_add_u64 v[6:7], v[8:9], 0, v[6:7]
	global_load_ushort v2, v[6:7], off
	s_or_b64 exec, exec, s[16:17]
	s_and_saveexec_b64 s[16:17], s[4:5]
	s_cbranch_execnz .LBB866_595
.LBB866_644:
	s_or_b64 exec, exec, s[16:17]
	s_and_saveexec_b64 s[4:5], s[6:7]
	s_cbranch_execz .LBB866_596
.LBB866_645:
	v_mov_b32_e32 v1, 1
	s_waitcnt vmcnt(0)
	v_lshlrev_b32_sdwa v6, v1, v2 dst_sel:DWORD dst_unused:UNUSED_PAD src0_sel:DWORD src1_sel:WORD_0
	v_mov_b32_e32 v7, 0
	v_lshl_add_u64 v[8:9], s[66:67], 0, v[6:7]
	v_lshlrev_b32_sdwa v6, v1, v3 dst_sel:DWORD dst_unused:UNUSED_PAD src0_sel:DWORD src1_sel:WORD_1
	v_lshl_add_u64 v[2:3], v[8:9], 0, v[6:7]
	global_load_ushort v2, v[2:3], off
	s_or_b64 exec, exec, s[4:5]
	s_and_saveexec_b64 s[4:5], s[8:9]
	s_cbranch_execnz .LBB866_597
.LBB866_646:
	s_or_b64 exec, exec, s[4:5]
	s_and_saveexec_b64 s[4:5], s[10:11]
	s_cbranch_execz .LBB866_598
.LBB866_647:
	v_mov_b32_e32 v1, 1
	s_waitcnt vmcnt(0)
	v_lshlrev_b32_sdwa v2, v1, v2 dst_sel:DWORD dst_unused:UNUSED_PAD src0_sel:DWORD src1_sel:WORD_0
	v_mov_b32_e32 v3, 0
	v_lshl_add_u64 v[6:7], s[66:67], 0, v[2:3]
	v_lshlrev_b32_sdwa v2, v1, v4 dst_sel:DWORD dst_unused:UNUSED_PAD src0_sel:DWORD src1_sel:WORD_1
	v_lshl_add_u64 v[2:3], v[6:7], 0, v[2:3]
	global_load_ushort v2, v[2:3], off
	s_or_b64 exec, exec, s[4:5]
	s_and_saveexec_b64 s[4:5], s[12:13]
	s_cbranch_execnz .LBB866_599
.LBB866_648:
	s_or_b64 exec, exec, s[4:5]
	s_and_saveexec_b64 s[4:5], s[14:15]
	s_cbranch_execz .LBB866_650
.LBB866_649:
	v_mov_b32_e32 v1, 1
	s_waitcnt vmcnt(0)
	v_lshlrev_b32_sdwa v2, v1, v2 dst_sel:DWORD dst_unused:UNUSED_PAD src0_sel:DWORD src1_sel:WORD_0
	v_mov_b32_e32 v3, 0
	v_lshl_add_u64 v[6:7], s[66:67], 0, v[2:3]
	v_lshlrev_b32_sdwa v2, v1, v5 dst_sel:DWORD dst_unused:UNUSED_PAD src0_sel:DWORD src1_sel:WORD_1
	v_lshl_add_u64 v[2:3], v[6:7], 0, v[2:3]
	global_load_ushort v2, v[2:3], off
.LBB866_650:
	s_or_b64 exec, exec, s[4:5]
	v_mbcnt_lo_u32_b32 v1, -1, 0
	v_mbcnt_hi_u32_b32 v1, -1, v1
	v_and_b32_e32 v3, 63, v1
	v_cmp_ne_u32_e32 vcc, 63, v3
	s_waitcnt vmcnt(0)
	v_and_b32_e32 v5, 0xffff, v2
	s_min_u32 s6, s20, 0x80
	v_addc_co_u32_e32 v4, vcc, 0, v1, vcc
	v_lshlrev_b32_e32 v4, 2, v4
	ds_bpermute_b32 v6, v4, v5
	v_and_b32_e32 v4, 64, v0
	v_sub_u32_e64 v4, s6, v4 clamp
	v_add_u32_e32 v7, 1, v3
	v_cmp_lt_u32_e32 vcc, v7, v4
	s_and_saveexec_b64 s[4:5], vcc
	s_xor_b64 s[4:5], exec, s[4:5]
	s_cbranch_execz .LBB866_652
; %bb.651:
	v_mov_b32_e32 v5, 1
	v_lshlrev_b32_sdwa v8, v5, v2 dst_sel:DWORD dst_unused:UNUSED_PAD src0_sel:DWORD src1_sel:WORD_0
	v_mov_b32_e32 v9, 0
	v_lshl_add_u64 v[10:11], s[66:67], 0, v[8:9]
	s_waitcnt lgkmcnt(0)
	v_lshlrev_b32_sdwa v8, v5, v6 dst_sel:DWORD dst_unused:UNUSED_PAD src0_sel:DWORD src1_sel:WORD_0
	v_lshl_add_u64 v[6:7], v[10:11], 0, v[8:9]
	global_load_ushort v2, v[6:7], off
	s_waitcnt vmcnt(0)
	v_and_b32_e32 v5, 0xffff, v2
.LBB866_652:
	s_or_b64 exec, exec, s[4:5]
	v_cmp_gt_u32_e32 vcc, 62, v3
	v_add_u32_e32 v7, 2, v3
	s_waitcnt lgkmcnt(0)
	v_cndmask_b32_e64 v6, 0, 2, vcc
	v_add_lshl_u32 v6, v6, v1, 2
	ds_bpermute_b32 v6, v6, v5
	v_cmp_lt_u32_e32 vcc, v7, v4
	s_and_saveexec_b64 s[4:5], vcc
	s_cbranch_execz .LBB866_654
; %bb.653:
	v_mov_b32_e32 v5, 1
	v_lshlrev_b32_sdwa v8, v5, v2 dst_sel:DWORD dst_unused:UNUSED_PAD src0_sel:DWORD src1_sel:WORD_0
	v_mov_b32_e32 v9, 0
	v_lshl_add_u64 v[10:11], s[66:67], 0, v[8:9]
	s_waitcnt lgkmcnt(0)
	v_lshlrev_b32_sdwa v8, v5, v6 dst_sel:DWORD dst_unused:UNUSED_PAD src0_sel:DWORD src1_sel:WORD_0
	v_lshl_add_u64 v[6:7], v[10:11], 0, v[8:9]
	global_load_ushort v2, v[6:7], off
	s_waitcnt vmcnt(0)
	v_and_b32_e32 v5, 0xffff, v2
.LBB866_654:
	s_or_b64 exec, exec, s[4:5]
	v_cmp_gt_u32_e32 vcc, 60, v3
	v_add_u32_e32 v7, 4, v3
	s_waitcnt lgkmcnt(0)
	v_cndmask_b32_e64 v6, 0, 4, vcc
	v_add_lshl_u32 v6, v6, v1, 2
	ds_bpermute_b32 v6, v6, v5
	v_cmp_lt_u32_e32 vcc, v7, v4
	s_and_saveexec_b64 s[4:5], vcc
	;; [unrolled: 22-line block ×4, first 2 shown]
	s_cbranch_execz .LBB866_660
; %bb.659:
	v_mov_b32_e32 v5, 1
	v_lshlrev_b32_sdwa v8, v5, v2 dst_sel:DWORD dst_unused:UNUSED_PAD src0_sel:DWORD src1_sel:WORD_0
	v_mov_b32_e32 v9, 0
	v_lshl_add_u64 v[10:11], s[66:67], 0, v[8:9]
	s_waitcnt lgkmcnt(0)
	v_lshlrev_b32_sdwa v8, v5, v6 dst_sel:DWORD dst_unused:UNUSED_PAD src0_sel:DWORD src1_sel:WORD_0
	v_lshl_add_u64 v[6:7], v[10:11], 0, v[8:9]
	global_load_ushort v2, v[6:7], off
	s_waitcnt vmcnt(0)
	v_and_b32_e32 v5, 0xffff, v2
.LBB866_660:
	s_or_b64 exec, exec, s[4:5]
	s_waitcnt lgkmcnt(0)
	v_lshlrev_b32_e32 v6, 2, v1
	v_or_b32_e32 v7, 0x80, v6
	ds_bpermute_b32 v5, v7, v5
	v_add_u32_e32 v3, 32, v3
	v_cmp_lt_u32_e32 vcc, v3, v4
	s_and_saveexec_b64 s[4:5], vcc
	s_cbranch_execz .LBB866_662
; %bb.661:
	v_mov_b32_e32 v4, 1
	v_lshlrev_b32_sdwa v2, v4, v2 dst_sel:DWORD dst_unused:UNUSED_PAD src0_sel:DWORD src1_sel:WORD_0
	v_mov_b32_e32 v3, 0
	v_lshl_add_u64 v[8:9], s[66:67], 0, v[2:3]
	s_waitcnt lgkmcnt(0)
	v_lshlrev_b32_sdwa v2, v4, v5 dst_sel:DWORD dst_unused:UNUSED_PAD src0_sel:DWORD src1_sel:WORD_0
	v_lshl_add_u64 v[2:3], v[8:9], 0, v[2:3]
	global_load_ushort v2, v[2:3], off
.LBB866_662:
	s_or_b64 exec, exec, s[4:5]
	v_cmp_eq_u32_e32 vcc, 0, v1
	s_and_saveexec_b64 s[4:5], vcc
	s_cbranch_execz .LBB866_664
; %bb.663:
	v_lshrrev_b32_e32 v3, 5, v0
	v_and_b32_e32 v3, 2, v3
	s_waitcnt vmcnt(0)
	ds_write_b16 v3, v2
.LBB866_664:
	s_or_b64 exec, exec, s[4:5]
	v_cmp_gt_u32_e32 vcc, 2, v0
	s_waitcnt lgkmcnt(0)
	s_barrier
	s_and_saveexec_b64 s[4:5], vcc
	s_cbranch_execz .LBB866_668
; %bb.665:
	s_waitcnt vmcnt(0)
	v_lshlrev_b32_e32 v2, 1, v1
	ds_read_u16 v2, v2
	v_or_b32_e32 v3, 4, v6
	s_add_i32 s6, s6, 63
	v_and_b32_e32 v1, 1, v1
	s_lshr_b32 s6, s6, 6
	s_waitcnt lgkmcnt(0)
	v_and_b32_e32 v4, 0xffff, v2
	ds_bpermute_b32 v3, v3, v4
	v_add_u32_e32 v1, 1, v1
	v_cmp_gt_u32_e32 vcc, s6, v1
	s_and_saveexec_b64 s[6:7], vcc
	s_cbranch_execz .LBB866_667
; %bb.666:
	v_lshlrev_b32_e32 v4, 1, v4
	v_mov_b32_e32 v5, 0
	v_mov_b32_e32 v1, 1
	v_lshl_add_u64 v[6:7], s[66:67], 0, v[4:5]
	s_waitcnt lgkmcnt(0)
	v_lshlrev_b32_sdwa v4, v1, v3 dst_sel:DWORD dst_unused:UNUSED_PAD src0_sel:DWORD src1_sel:WORD_0
	v_lshl_add_u64 v[2:3], v[6:7], 0, v[4:5]
	global_load_ushort v2, v[2:3], off
.LBB866_667:
	s_or_b64 exec, exec, s[6:7]
.LBB866_668:
	s_or_b64 exec, exec, s[4:5]
.LBB866_669:
	v_cmp_eq_u32_e32 vcc, 0, v0
	s_and_saveexec_b64 s[4:5], vcc
	s_xor_b64 s[4:5], exec, s[4:5]
	s_cbranch_execz .LBB866_671
; %bb.670:
	s_cmp_eq_u64 s[70:71], 0
	s_cselect_b64 s[6:7], -1, 0
	s_cmp_lg_u64 s[70:71], 0
	s_cselect_b64 s[8:9], -1, 0
	s_andn2_b64 s[10:11], s[72:73], exec
	s_and_b64 s[6:7], s[6:7], exec
	s_or_b64 s[72:73], s[10:11], s[6:7]
	s_andn2_b64 s[6:7], s[74:75], exec
	s_and_b64 s[8:9], s[8:9], exec
	s_or_b64 s[74:75], s[6:7], s[8:9]
.LBB866_671:
	s_or_b64 exec, exec, s[4:5]
	s_branch .LBB866_707
.LBB866_672:
	s_or_b64 exec, exec, s[10:11]
	s_and_saveexec_b64 s[8:9], s[6:7]
	s_cbranch_execz .LBB866_610
.LBB866_673:
	v_mov_b32_e32 v1, 1
	v_lshlrev_b32_sdwa v4, v1, v2 dst_sel:DWORD dst_unused:UNUSED_PAD src0_sel:DWORD src1_sel:WORD_0
	v_mov_b32_e32 v5, 0
	v_lshl_add_u64 v[6:7], s[66:67], 0, v[4:5]
	v_lshlrev_b32_sdwa v4, v1, v2 dst_sel:DWORD dst_unused:UNUSED_PAD src0_sel:DWORD src1_sel:WORD_1
	v_lshl_add_u64 v[4:5], v[6:7], 0, v[4:5]
	global_load_ushort v2, v[4:5], off
	s_or_b64 exec, exec, s[8:9]
	s_and_saveexec_b64 s[6:7], s[4:5]
	s_cbranch_execnz .LBB866_611
.LBB866_674:
	s_or_b64 exec, exec, s[6:7]
	s_and_saveexec_b64 s[4:5], vcc
	s_cbranch_execz .LBB866_676
.LBB866_675:
	v_mov_b32_e32 v1, 1
	s_waitcnt vmcnt(0)
	v_lshlrev_b32_sdwa v4, v1, v2 dst_sel:DWORD dst_unused:UNUSED_PAD src0_sel:DWORD src1_sel:WORD_0
	v_mov_b32_e32 v5, 0
	v_lshl_add_u64 v[6:7], s[66:67], 0, v[4:5]
	v_lshlrev_b32_sdwa v4, v1, v3 dst_sel:DWORD dst_unused:UNUSED_PAD src0_sel:DWORD src1_sel:WORD_1
	v_lshl_add_u64 v[2:3], v[6:7], 0, v[4:5]
	global_load_ushort v2, v[2:3], off
.LBB866_676:
	s_or_b64 exec, exec, s[4:5]
	v_mbcnt_lo_u32_b32 v1, -1, 0
	v_mbcnt_hi_u32_b32 v1, -1, v1
	v_and_b32_e32 v3, 63, v1
	v_cmp_ne_u32_e32 vcc, 63, v3
	s_waitcnt vmcnt(0)
	v_and_b32_e32 v5, 0xffff, v2
	s_min_u32 s6, s12, 0x80
	v_addc_co_u32_e32 v4, vcc, 0, v1, vcc
	v_lshlrev_b32_e32 v4, 2, v4
	ds_bpermute_b32 v6, v4, v5
	v_and_b32_e32 v4, 64, v0
	v_sub_u32_e64 v4, s6, v4 clamp
	v_add_u32_e32 v7, 1, v3
	v_cmp_lt_u32_e32 vcc, v7, v4
	s_and_saveexec_b64 s[4:5], vcc
	s_xor_b64 s[4:5], exec, s[4:5]
	s_cbranch_execz .LBB866_678
; %bb.677:
	v_mov_b32_e32 v5, 1
	v_lshlrev_b32_sdwa v8, v5, v2 dst_sel:DWORD dst_unused:UNUSED_PAD src0_sel:DWORD src1_sel:WORD_0
	v_mov_b32_e32 v9, 0
	v_lshl_add_u64 v[10:11], s[66:67], 0, v[8:9]
	s_waitcnt lgkmcnt(0)
	v_lshlrev_b32_sdwa v8, v5, v6 dst_sel:DWORD dst_unused:UNUSED_PAD src0_sel:DWORD src1_sel:WORD_0
	v_lshl_add_u64 v[6:7], v[10:11], 0, v[8:9]
	global_load_ushort v2, v[6:7], off
	s_waitcnt vmcnt(0)
	v_and_b32_e32 v5, 0xffff, v2
.LBB866_678:
	s_or_b64 exec, exec, s[4:5]
	v_cmp_gt_u32_e32 vcc, 62, v3
	v_add_u32_e32 v7, 2, v3
	s_waitcnt lgkmcnt(0)
	v_cndmask_b32_e64 v6, 0, 2, vcc
	v_add_lshl_u32 v6, v6, v1, 2
	ds_bpermute_b32 v6, v6, v5
	v_cmp_lt_u32_e32 vcc, v7, v4
	s_and_saveexec_b64 s[4:5], vcc
	s_cbranch_execz .LBB866_680
; %bb.679:
	v_mov_b32_e32 v5, 1
	v_lshlrev_b32_sdwa v8, v5, v2 dst_sel:DWORD dst_unused:UNUSED_PAD src0_sel:DWORD src1_sel:WORD_0
	v_mov_b32_e32 v9, 0
	v_lshl_add_u64 v[10:11], s[66:67], 0, v[8:9]
	s_waitcnt lgkmcnt(0)
	v_lshlrev_b32_sdwa v8, v5, v6 dst_sel:DWORD dst_unused:UNUSED_PAD src0_sel:DWORD src1_sel:WORD_0
	v_lshl_add_u64 v[6:7], v[10:11], 0, v[8:9]
	global_load_ushort v2, v[6:7], off
	s_waitcnt vmcnt(0)
	v_and_b32_e32 v5, 0xffff, v2
.LBB866_680:
	s_or_b64 exec, exec, s[4:5]
	v_cmp_gt_u32_e32 vcc, 60, v3
	v_add_u32_e32 v7, 4, v3
	s_waitcnt lgkmcnt(0)
	v_cndmask_b32_e64 v6, 0, 4, vcc
	v_add_lshl_u32 v6, v6, v1, 2
	ds_bpermute_b32 v6, v6, v5
	v_cmp_lt_u32_e32 vcc, v7, v4
	s_and_saveexec_b64 s[4:5], vcc
	;; [unrolled: 22-line block ×4, first 2 shown]
	s_cbranch_execz .LBB866_686
; %bb.685:
	v_mov_b32_e32 v5, 1
	v_lshlrev_b32_sdwa v8, v5, v2 dst_sel:DWORD dst_unused:UNUSED_PAD src0_sel:DWORD src1_sel:WORD_0
	v_mov_b32_e32 v9, 0
	v_lshl_add_u64 v[10:11], s[66:67], 0, v[8:9]
	s_waitcnt lgkmcnt(0)
	v_lshlrev_b32_sdwa v8, v5, v6 dst_sel:DWORD dst_unused:UNUSED_PAD src0_sel:DWORD src1_sel:WORD_0
	v_lshl_add_u64 v[6:7], v[10:11], 0, v[8:9]
	global_load_ushort v2, v[6:7], off
	s_waitcnt vmcnt(0)
	v_and_b32_e32 v5, 0xffff, v2
.LBB866_686:
	s_or_b64 exec, exec, s[4:5]
	s_waitcnt lgkmcnt(0)
	v_lshlrev_b32_e32 v6, 2, v1
	v_or_b32_e32 v7, 0x80, v6
	ds_bpermute_b32 v5, v7, v5
	v_add_u32_e32 v3, 32, v3
	v_cmp_lt_u32_e32 vcc, v3, v4
	s_and_saveexec_b64 s[4:5], vcc
	s_cbranch_execz .LBB866_688
; %bb.687:
	v_mov_b32_e32 v4, 1
	v_lshlrev_b32_sdwa v2, v4, v2 dst_sel:DWORD dst_unused:UNUSED_PAD src0_sel:DWORD src1_sel:WORD_0
	v_mov_b32_e32 v3, 0
	v_lshl_add_u64 v[8:9], s[66:67], 0, v[2:3]
	s_waitcnt lgkmcnt(0)
	v_lshlrev_b32_sdwa v2, v4, v5 dst_sel:DWORD dst_unused:UNUSED_PAD src0_sel:DWORD src1_sel:WORD_0
	v_lshl_add_u64 v[2:3], v[8:9], 0, v[2:3]
	global_load_ushort v2, v[2:3], off
.LBB866_688:
	s_or_b64 exec, exec, s[4:5]
	v_cmp_eq_u32_e32 vcc, 0, v1
	s_and_saveexec_b64 s[4:5], vcc
	s_cbranch_execz .LBB866_690
; %bb.689:
	v_lshrrev_b32_e32 v3, 5, v0
	v_and_b32_e32 v3, 2, v3
	s_waitcnt vmcnt(0)
	ds_write_b16 v3, v2
.LBB866_690:
	s_or_b64 exec, exec, s[4:5]
	v_cmp_gt_u32_e32 vcc, 2, v0
	s_waitcnt lgkmcnt(0)
	s_barrier
	s_and_saveexec_b64 s[4:5], vcc
	s_cbranch_execz .LBB866_694
; %bb.691:
	s_waitcnt vmcnt(0)
	v_lshlrev_b32_e32 v2, 1, v1
	ds_read_u16 v2, v2
	v_or_b32_e32 v3, 4, v6
	s_add_i32 s6, s6, 63
	v_and_b32_e32 v1, 1, v1
	s_lshr_b32 s6, s6, 6
	s_waitcnt lgkmcnt(0)
	v_and_b32_e32 v4, 0xffff, v2
	ds_bpermute_b32 v3, v3, v4
	v_add_u32_e32 v1, 1, v1
	v_cmp_gt_u32_e32 vcc, s6, v1
	s_and_saveexec_b64 s[6:7], vcc
	s_cbranch_execz .LBB866_693
; %bb.692:
	v_lshlrev_b32_e32 v4, 1, v4
	v_mov_b32_e32 v5, 0
	v_mov_b32_e32 v1, 1
	v_lshl_add_u64 v[6:7], s[66:67], 0, v[4:5]
	s_waitcnt lgkmcnt(0)
	v_lshlrev_b32_sdwa v4, v1, v3 dst_sel:DWORD dst_unused:UNUSED_PAD src0_sel:DWORD src1_sel:WORD_0
	v_lshl_add_u64 v[2:3], v[6:7], 0, v[4:5]
	global_load_ushort v2, v[2:3], off
.LBB866_693:
	s_or_b64 exec, exec, s[6:7]
.LBB866_694:
	s_or_b64 exec, exec, s[4:5]
.LBB866_695:
	v_cmp_eq_u32_e32 vcc, 0, v0
	s_and_saveexec_b64 s[4:5], vcc
	s_xor_b64 s[4:5], exec, s[4:5]
	s_cbranch_execz .LBB866_697
; %bb.696:
	s_cmp_eq_u64 s[70:71], 0
	s_cselect_b64 s[6:7], -1, 0
	s_cmp_lg_u64 s[70:71], 0
	s_cselect_b64 s[8:9], -1, 0
	s_andn2_b64 s[10:11], s[72:73], exec
	s_and_b64 s[6:7], s[6:7], exec
	s_or_b64 s[72:73], s[10:11], s[6:7]
	s_andn2_b64 s[6:7], s[74:75], exec
	s_and_b64 s[8:9], s[8:9], exec
	s_or_b64 s[74:75], s[6:7], s[8:9]
.LBB866_697:
	s_or_b64 exec, exec, s[4:5]
.LBB866_698:
	s_branch .LBB866_707
.LBB866_699:
	s_cmp_eq_u32 s80, 1
	s_cbranch_scc0 .LBB866_706
; %bb.700:
	s_mov_b32 s5, 0
	s_lshl_b32 s4, s2, 7
	s_mov_b32 s3, s5
	s_lshr_b64 s[6:7], s[70:71], 7
	s_cmp_lg_u64 s[6:7], s[2:3]
	v_mbcnt_lo_u32_b32 v1, -1, 0
	s_cbranch_scc0 .LBB866_710
; %bb.701:
	s_lshl_b64 s[6:7], s[4:5], 1
	s_add_u32 s6, s68, s6
	s_addc_u32 s7, s69, s7
	s_waitcnt vmcnt(0)
	v_lshlrev_b32_e32 v2, 1, v0
	global_load_ushort v6, v2, s[6:7]
	v_mov_b32_e32 v7, 1
	s_waitcnt lgkmcnt(0)
	v_mov_b32_e32 v3, 0
	s_waitcnt vmcnt(0)
	v_mov_b32_dpp v2, v6 quad_perm:[1,0,3,2] row_mask:0xf bank_mask:0xf bound_ctrl:1
	v_lshlrev_b32_sdwa v2, v7, v2 dst_sel:DWORD dst_unused:UNUSED_PAD src0_sel:DWORD src1_sel:WORD_0
	v_lshl_add_u64 v[4:5], s[66:67], 0, v[2:3]
	v_lshlrev_b32_e32 v2, 1, v6
	v_lshl_add_u64 v[4:5], v[4:5], 0, v[2:3]
	global_load_ushort v6, v[4:5], off
	s_waitcnt vmcnt(0)
	s_nop 0
	v_mov_b32_dpp v2, v6 quad_perm:[2,3,0,1] row_mask:0xf bank_mask:0xf bound_ctrl:1
	v_lshlrev_b32_sdwa v2, v7, v2 dst_sel:DWORD dst_unused:UNUSED_PAD src0_sel:DWORD src1_sel:WORD_0
	v_lshl_add_u64 v[4:5], s[66:67], 0, v[2:3]
	v_lshlrev_b32_e32 v2, 1, v6
	v_lshl_add_u64 v[4:5], v[4:5], 0, v[2:3]
	global_load_ushort v6, v[4:5], off
	s_waitcnt vmcnt(0)
	s_nop 0
	v_mov_b32_dpp v2, v6 row_ror:4 row_mask:0xf bank_mask:0xf bound_ctrl:1
	v_lshlrev_b32_sdwa v2, v7, v2 dst_sel:DWORD dst_unused:UNUSED_PAD src0_sel:DWORD src1_sel:WORD_0
	v_lshl_add_u64 v[4:5], s[66:67], 0, v[2:3]
	v_lshlrev_b32_e32 v2, 1, v6
	v_lshl_add_u64 v[4:5], v[4:5], 0, v[2:3]
	global_load_ushort v6, v[4:5], off
	s_waitcnt vmcnt(0)
	s_nop 0
	v_mov_b32_dpp v2, v6 row_ror:8 row_mask:0xf bank_mask:0xf bound_ctrl:1
	v_lshlrev_b32_sdwa v2, v7, v2 dst_sel:DWORD dst_unused:UNUSED_PAD src0_sel:DWORD src1_sel:WORD_0
	v_lshl_add_u64 v[4:5], s[66:67], 0, v[2:3]
	v_lshlrev_b32_e32 v2, 1, v6
	v_lshl_add_u64 v[4:5], v[4:5], 0, v[2:3]
	global_load_ushort v6, v[4:5], off
	s_waitcnt vmcnt(0)
	s_nop 0
	v_mov_b32_dpp v2, v6 row_bcast:15 row_mask:0xf bank_mask:0xf bound_ctrl:1
	v_lshlrev_b32_sdwa v2, v7, v2 dst_sel:DWORD dst_unused:UNUSED_PAD src0_sel:DWORD src1_sel:WORD_0
	v_lshl_add_u64 v[4:5], s[66:67], 0, v[2:3]
	v_lshlrev_b32_e32 v2, 1, v6
	v_lshl_add_u64 v[4:5], v[4:5], 0, v[2:3]
	global_load_ushort v6, v[4:5], off
	s_waitcnt vmcnt(0)
	s_nop 0
	v_mov_b32_dpp v2, v6 row_bcast:31 row_mask:0xf bank_mask:0xf bound_ctrl:1
	v_lshlrev_b32_sdwa v2, v7, v2 dst_sel:DWORD dst_unused:UNUSED_PAD src0_sel:DWORD src1_sel:WORD_0
	v_lshl_add_u64 v[4:5], s[66:67], 0, v[2:3]
	v_lshlrev_b32_e32 v2, 1, v6
	v_lshl_add_u64 v[2:3], v[4:5], 0, v[2:3]
	global_load_ushort v2, v[2:3], off
	v_mbcnt_hi_u32_b32 v4, -1, v1
	v_lshlrev_b32_e32 v3, 2, v4
	v_or_b32_e32 v5, 0xfc, v3
	v_cmp_eq_u32_e32 vcc, 0, v4
	s_waitcnt vmcnt(0)
	ds_bpermute_b32 v2, v5, v2
	s_and_saveexec_b64 s[6:7], vcc
	s_cbranch_execz .LBB866_703
; %bb.702:
	v_lshrrev_b32_e32 v5, 5, v0
	v_and_b32_e32 v5, 2, v5
	s_waitcnt lgkmcnt(0)
	ds_write_b16 v5, v2 offset:8
.LBB866_703:
	s_or_b64 exec, exec, s[6:7]
	v_cmp_gt_u32_e32 vcc, 64, v0
	s_waitcnt lgkmcnt(0)
	s_barrier
	s_and_saveexec_b64 s[6:7], vcc
	s_cbranch_execz .LBB866_705
; %bb.704:
	v_and_b32_e32 v2, 1, v4
	v_lshlrev_b32_e32 v2, 1, v2
	ds_read_u16 v2, v2 offset:8
	v_or_b32_e32 v3, 4, v3
	s_waitcnt lgkmcnt(0)
	ds_bpermute_b32 v6, v3, v2
	v_lshlrev_b32_e32 v2, 1, v2
	v_mov_b32_e32 v3, 0
	v_lshl_add_u64 v[4:5], s[66:67], 0, v[2:3]
	v_mov_b32_e32 v2, 1
	s_waitcnt lgkmcnt(0)
	v_lshlrev_b32_sdwa v2, v2, v6 dst_sel:DWORD dst_unused:UNUSED_PAD src0_sel:DWORD src1_sel:WORD_0
	v_lshl_add_u64 v[2:3], v[4:5], 0, v[2:3]
	global_load_ushort v2, v[2:3], off
.LBB866_705:
	s_or_b64 exec, exec, s[6:7]
	s_branch .LBB866_732
.LBB866_706:
                                        ; implicit-def: $sgpr2_sgpr3
                                        ; implicit-def: $vgpr2
.LBB866_707:
	v_mov_b32_e32 v0, s33
	s_and_saveexec_b64 s[4:5], s[74:75]
	s_cbranch_execz .LBB866_735
.LBB866_708:
	s_and_b32 s6, 0xffff, s33
	s_lshl_b32 s6, s6, 1
	s_add_u32 s6, s66, s6
	v_mov_b32_e32 v0, 1
	s_addc_u32 s7, s67, 0
	s_waitcnt vmcnt(0)
	v_lshlrev_b32_sdwa v0, v0, v2 dst_sel:DWORD dst_unused:UNUSED_PAD src0_sel:DWORD src1_sel:WORD_0
	global_load_ushort v0, v0, s[6:7]
	s_or_b64 s[72:73], s[72:73], exec
	s_or_b64 exec, exec, s[4:5]
	s_and_saveexec_b64 s[4:5], s[72:73]
	s_cbranch_execnz .LBB866_736
.LBB866_709:
	s_endpgm
.LBB866_710:
                                        ; implicit-def: $vgpr2
	s_cbranch_execz .LBB866_732
; %bb.711:
	s_sub_i32 s8, s70, s4
	v_cmp_gt_u32_e32 vcc, s8, v0
                                        ; implicit-def: $vgpr2
	s_and_saveexec_b64 s[6:7], vcc
	s_cbranch_execz .LBB866_713
; %bb.712:
	s_lshl_b64 s[4:5], s[4:5], 1
	s_add_u32 s4, s68, s4
	s_addc_u32 s5, s69, s5
	s_waitcnt vmcnt(0)
	v_lshlrev_b32_e32 v2, 1, v0
	global_load_ushort v2, v2, s[4:5]
.LBB866_713:
	s_or_b64 exec, exec, s[6:7]
	v_mbcnt_hi_u32_b32 v1, -1, v1
	s_waitcnt lgkmcnt(0)
	v_and_b32_e32 v3, 63, v1
	v_cmp_ne_u32_e32 vcc, 63, v3
	s_waitcnt vmcnt(0)
	v_and_b32_e32 v5, 0xffff, v2
	s_min_u32 s6, s8, 0x80
	v_addc_co_u32_e32 v4, vcc, 0, v1, vcc
	v_lshlrev_b32_e32 v4, 2, v4
	ds_bpermute_b32 v6, v4, v5
	v_and_b32_e32 v4, 64, v0
	v_sub_u32_e64 v4, s6, v4 clamp
	v_add_u32_e32 v7, 1, v3
	v_cmp_lt_u32_e32 vcc, v7, v4
	s_and_saveexec_b64 s[4:5], vcc
	s_cbranch_execz .LBB866_715
; %bb.714:
	v_mov_b32_e32 v5, 1
	v_lshlrev_b32_sdwa v8, v5, v2 dst_sel:DWORD dst_unused:UNUSED_PAD src0_sel:DWORD src1_sel:WORD_0
	v_mov_b32_e32 v9, 0
	v_lshl_add_u64 v[10:11], s[66:67], 0, v[8:9]
	s_waitcnt lgkmcnt(0)
	v_lshlrev_b32_sdwa v8, v5, v6 dst_sel:DWORD dst_unused:UNUSED_PAD src0_sel:DWORD src1_sel:WORD_0
	v_lshl_add_u64 v[6:7], v[10:11], 0, v[8:9]
	global_load_ushort v2, v[6:7], off
	s_waitcnt vmcnt(0)
	v_and_b32_e32 v5, 0xffff, v2
.LBB866_715:
	s_or_b64 exec, exec, s[4:5]
	v_cmp_gt_u32_e32 vcc, 62, v3
	v_add_u32_e32 v7, 2, v3
	s_waitcnt lgkmcnt(0)
	v_cndmask_b32_e64 v6, 0, 2, vcc
	v_add_lshl_u32 v6, v6, v1, 2
	ds_bpermute_b32 v6, v6, v5
	v_cmp_lt_u32_e32 vcc, v7, v4
	s_and_saveexec_b64 s[4:5], vcc
	s_cbranch_execz .LBB866_717
; %bb.716:
	v_mov_b32_e32 v5, 1
	v_lshlrev_b32_sdwa v8, v5, v2 dst_sel:DWORD dst_unused:UNUSED_PAD src0_sel:DWORD src1_sel:WORD_0
	v_mov_b32_e32 v9, 0
	v_lshl_add_u64 v[10:11], s[66:67], 0, v[8:9]
	s_waitcnt lgkmcnt(0)
	v_lshlrev_b32_sdwa v8, v5, v6 dst_sel:DWORD dst_unused:UNUSED_PAD src0_sel:DWORD src1_sel:WORD_0
	v_lshl_add_u64 v[6:7], v[10:11], 0, v[8:9]
	global_load_ushort v2, v[6:7], off
	s_waitcnt vmcnt(0)
	v_and_b32_e32 v5, 0xffff, v2
.LBB866_717:
	s_or_b64 exec, exec, s[4:5]
	v_cmp_gt_u32_e32 vcc, 60, v3
	v_add_u32_e32 v7, 4, v3
	s_waitcnt lgkmcnt(0)
	v_cndmask_b32_e64 v6, 0, 4, vcc
	v_add_lshl_u32 v6, v6, v1, 2
	ds_bpermute_b32 v6, v6, v5
	v_cmp_lt_u32_e32 vcc, v7, v4
	s_and_saveexec_b64 s[4:5], vcc
	s_cbranch_execz .LBB866_719
; %bb.718:
	v_mov_b32_e32 v5, 1
	v_lshlrev_b32_sdwa v8, v5, v2 dst_sel:DWORD dst_unused:UNUSED_PAD src0_sel:DWORD src1_sel:WORD_0
	v_mov_b32_e32 v9, 0
	v_lshl_add_u64 v[10:11], s[66:67], 0, v[8:9]
	s_waitcnt lgkmcnt(0)
	v_lshlrev_b32_sdwa v8, v5, v6 dst_sel:DWORD dst_unused:UNUSED_PAD src0_sel:DWORD src1_sel:WORD_0
	v_lshl_add_u64 v[6:7], v[10:11], 0, v[8:9]
	global_load_ushort v2, v[6:7], off
	s_waitcnt vmcnt(0)
	v_and_b32_e32 v5, 0xffff, v2
.LBB866_719:
	s_or_b64 exec, exec, s[4:5]
	v_cmp_gt_u32_e32 vcc, 56, v3
	v_add_u32_e32 v7, 8, v3
	s_waitcnt lgkmcnt(0)
	v_cndmask_b32_e64 v6, 0, 8, vcc
	v_add_lshl_u32 v6, v6, v1, 2
	ds_bpermute_b32 v6, v6, v5
	v_cmp_lt_u32_e32 vcc, v7, v4
	s_and_saveexec_b64 s[4:5], vcc
	s_cbranch_execz .LBB866_721
; %bb.720:
	v_mov_b32_e32 v5, 1
	v_lshlrev_b32_sdwa v8, v5, v2 dst_sel:DWORD dst_unused:UNUSED_PAD src0_sel:DWORD src1_sel:WORD_0
	v_mov_b32_e32 v9, 0
	v_lshl_add_u64 v[10:11], s[66:67], 0, v[8:9]
	s_waitcnt lgkmcnt(0)
	v_lshlrev_b32_sdwa v8, v5, v6 dst_sel:DWORD dst_unused:UNUSED_PAD src0_sel:DWORD src1_sel:WORD_0
	v_lshl_add_u64 v[6:7], v[10:11], 0, v[8:9]
	global_load_ushort v2, v[6:7], off
	s_waitcnt vmcnt(0)
	v_and_b32_e32 v5, 0xffff, v2
.LBB866_721:
	s_or_b64 exec, exec, s[4:5]
	v_cmp_gt_u32_e32 vcc, 48, v3
	v_add_u32_e32 v7, 16, v3
	s_waitcnt lgkmcnt(0)
	v_cndmask_b32_e64 v6, 0, 16, vcc
	v_add_lshl_u32 v6, v6, v1, 2
	ds_bpermute_b32 v6, v6, v5
	v_cmp_lt_u32_e32 vcc, v7, v4
	s_and_saveexec_b64 s[4:5], vcc
	s_cbranch_execz .LBB866_723
; %bb.722:
	v_mov_b32_e32 v5, 1
	v_lshlrev_b32_sdwa v8, v5, v2 dst_sel:DWORD dst_unused:UNUSED_PAD src0_sel:DWORD src1_sel:WORD_0
	v_mov_b32_e32 v9, 0
	v_lshl_add_u64 v[10:11], s[66:67], 0, v[8:9]
	s_waitcnt lgkmcnt(0)
	v_lshlrev_b32_sdwa v8, v5, v6 dst_sel:DWORD dst_unused:UNUSED_PAD src0_sel:DWORD src1_sel:WORD_0
	v_lshl_add_u64 v[6:7], v[10:11], 0, v[8:9]
	global_load_ushort v2, v[6:7], off
	s_waitcnt vmcnt(0)
	v_and_b32_e32 v5, 0xffff, v2
.LBB866_723:
	s_or_b64 exec, exec, s[4:5]
	s_waitcnt lgkmcnt(0)
	v_lshlrev_b32_e32 v6, 2, v1
	v_or_b32_e32 v7, 0x80, v6
	ds_bpermute_b32 v5, v7, v5
	v_add_u32_e32 v3, 32, v3
	v_cmp_lt_u32_e32 vcc, v3, v4
	s_and_saveexec_b64 s[4:5], vcc
	s_cbranch_execz .LBB866_725
; %bb.724:
	v_mov_b32_e32 v4, 1
	v_lshlrev_b32_sdwa v2, v4, v2 dst_sel:DWORD dst_unused:UNUSED_PAD src0_sel:DWORD src1_sel:WORD_0
	v_mov_b32_e32 v3, 0
	v_lshl_add_u64 v[8:9], s[66:67], 0, v[2:3]
	s_waitcnt lgkmcnt(0)
	v_lshlrev_b32_sdwa v2, v4, v5 dst_sel:DWORD dst_unused:UNUSED_PAD src0_sel:DWORD src1_sel:WORD_0
	v_lshl_add_u64 v[2:3], v[8:9], 0, v[2:3]
	global_load_ushort v2, v[2:3], off
.LBB866_725:
	s_or_b64 exec, exec, s[4:5]
	v_cmp_eq_u32_e32 vcc, 0, v1
	s_and_saveexec_b64 s[4:5], vcc
	s_cbranch_execz .LBB866_727
; %bb.726:
	v_lshrrev_b32_e32 v3, 5, v0
	v_and_b32_e32 v3, 2, v3
	s_waitcnt vmcnt(0)
	ds_write_b16 v3, v2
.LBB866_727:
	s_or_b64 exec, exec, s[4:5]
	v_cmp_gt_u32_e32 vcc, 2, v0
	s_waitcnt lgkmcnt(0)
	s_barrier
	s_and_saveexec_b64 s[4:5], vcc
	s_cbranch_execz .LBB866_731
; %bb.728:
	s_waitcnt vmcnt(0)
	v_lshlrev_b32_e32 v2, 1, v1
	ds_read_u16 v2, v2
	v_or_b32_e32 v3, 4, v6
	s_add_i32 s6, s6, 63
	v_and_b32_e32 v1, 1, v1
	s_lshr_b32 s6, s6, 6
	s_waitcnt lgkmcnt(0)
	v_and_b32_e32 v4, 0xffff, v2
	ds_bpermute_b32 v3, v3, v4
	v_add_u32_e32 v1, 1, v1
	v_cmp_gt_u32_e32 vcc, s6, v1
	s_and_saveexec_b64 s[6:7], vcc
	s_cbranch_execz .LBB866_730
; %bb.729:
	v_lshlrev_b32_e32 v4, 1, v4
	v_mov_b32_e32 v5, 0
	v_mov_b32_e32 v1, 1
	v_lshl_add_u64 v[6:7], s[66:67], 0, v[4:5]
	s_waitcnt lgkmcnt(0)
	v_lshlrev_b32_sdwa v4, v1, v3 dst_sel:DWORD dst_unused:UNUSED_PAD src0_sel:DWORD src1_sel:WORD_0
	v_lshl_add_u64 v[2:3], v[6:7], 0, v[4:5]
	global_load_ushort v2, v[2:3], off
.LBB866_730:
	s_or_b64 exec, exec, s[6:7]
.LBB866_731:
	s_or_b64 exec, exec, s[4:5]
.LBB866_732:
	v_cmp_eq_u32_e32 vcc, 0, v0
	s_and_saveexec_b64 s[4:5], vcc
	s_cbranch_execz .LBB866_734
; %bb.733:
	s_cmp_eq_u64 s[70:71], 0
	s_cselect_b64 s[6:7], -1, 0
	s_cmp_lg_u64 s[70:71], 0
	s_cselect_b64 s[8:9], -1, 0
	s_andn2_b64 s[10:11], s[72:73], exec
	s_and_b64 s[6:7], s[6:7], exec
	s_or_b64 s[72:73], s[10:11], s[6:7]
	s_andn2_b64 s[6:7], s[74:75], exec
	s_and_b64 s[8:9], s[8:9], exec
	s_or_b64 s[74:75], s[6:7], s[8:9]
.LBB866_734:
	s_or_b64 exec, exec, s[4:5]
	v_mov_b32_e32 v0, s33
	s_and_saveexec_b64 s[4:5], s[74:75]
	s_cbranch_execnz .LBB866_708
.LBB866_735:
	s_or_b64 exec, exec, s[4:5]
	s_and_saveexec_b64 s[4:5], s[72:73]
	s_cbranch_execz .LBB866_709
.LBB866_736:
	s_load_dwordx2 s[0:1], s[0:1], 0x18
	s_lshl_b64 s[2:3], s[2:3], 1
	v_mov_b32_e32 v1, 0
	s_waitcnt lgkmcnt(0)
	s_add_u32 s0, s0, s2
	s_addc_u32 s1, s1, s3
	s_waitcnt vmcnt(0)
	global_store_short v1, v0, s[0:1]
	s_endpgm
	.section	.rodata,"a",@progbits
	.p2align	6, 0x0
	.amdhsa_kernel _ZN7rocprim17ROCPRIM_400000_NS6detail17trampoline_kernelINS0_14default_configENS1_22reduce_config_selectorItEEZNS1_11reduce_implILb1ES3_N6thrust23THRUST_200600_302600_NS6detail15normal_iteratorINS8_10device_ptrItEEEEPtt9plus_mod3ItEEE10hipError_tPvRmT1_T2_T3_mT4_P12ihipStream_tbEUlT_E1_NS1_11comp_targetILNS1_3genE0ELNS1_11target_archE4294967295ELNS1_3gpuE0ELNS1_3repE0EEENS1_30default_config_static_selectorELNS0_4arch9wavefront6targetE1EEEvSK_
		.amdhsa_group_segment_fixed_size 32
		.amdhsa_private_segment_fixed_size 0
		.amdhsa_kernarg_size 48
		.amdhsa_user_sgpr_count 2
		.amdhsa_user_sgpr_dispatch_ptr 0
		.amdhsa_user_sgpr_queue_ptr 0
		.amdhsa_user_sgpr_kernarg_segment_ptr 1
		.amdhsa_user_sgpr_dispatch_id 0
		.amdhsa_user_sgpr_kernarg_preload_length 0
		.amdhsa_user_sgpr_kernarg_preload_offset 0
		.amdhsa_user_sgpr_private_segment_size 0
		.amdhsa_uses_dynamic_stack 0
		.amdhsa_enable_private_segment 0
		.amdhsa_system_sgpr_workgroup_id_x 1
		.amdhsa_system_sgpr_workgroup_id_y 0
		.amdhsa_system_sgpr_workgroup_id_z 0
		.amdhsa_system_sgpr_workgroup_info 0
		.amdhsa_system_vgpr_workitem_id 0
		.amdhsa_next_free_vgpr 39
		.amdhsa_next_free_sgpr 100
		.amdhsa_accum_offset 40
		.amdhsa_reserve_vcc 1
		.amdhsa_float_round_mode_32 0
		.amdhsa_float_round_mode_16_64 0
		.amdhsa_float_denorm_mode_32 3
		.amdhsa_float_denorm_mode_16_64 3
		.amdhsa_dx10_clamp 1
		.amdhsa_ieee_mode 1
		.amdhsa_fp16_overflow 0
		.amdhsa_tg_split 0
		.amdhsa_exception_fp_ieee_invalid_op 0
		.amdhsa_exception_fp_denorm_src 0
		.amdhsa_exception_fp_ieee_div_zero 0
		.amdhsa_exception_fp_ieee_overflow 0
		.amdhsa_exception_fp_ieee_underflow 0
		.amdhsa_exception_fp_ieee_inexact 0
		.amdhsa_exception_int_div_zero 0
	.end_amdhsa_kernel
	.section	.text._ZN7rocprim17ROCPRIM_400000_NS6detail17trampoline_kernelINS0_14default_configENS1_22reduce_config_selectorItEEZNS1_11reduce_implILb1ES3_N6thrust23THRUST_200600_302600_NS6detail15normal_iteratorINS8_10device_ptrItEEEEPtt9plus_mod3ItEEE10hipError_tPvRmT1_T2_T3_mT4_P12ihipStream_tbEUlT_E1_NS1_11comp_targetILNS1_3genE0ELNS1_11target_archE4294967295ELNS1_3gpuE0ELNS1_3repE0EEENS1_30default_config_static_selectorELNS0_4arch9wavefront6targetE1EEEvSK_,"axG",@progbits,_ZN7rocprim17ROCPRIM_400000_NS6detail17trampoline_kernelINS0_14default_configENS1_22reduce_config_selectorItEEZNS1_11reduce_implILb1ES3_N6thrust23THRUST_200600_302600_NS6detail15normal_iteratorINS8_10device_ptrItEEEEPtt9plus_mod3ItEEE10hipError_tPvRmT1_T2_T3_mT4_P12ihipStream_tbEUlT_E1_NS1_11comp_targetILNS1_3genE0ELNS1_11target_archE4294967295ELNS1_3gpuE0ELNS1_3repE0EEENS1_30default_config_static_selectorELNS0_4arch9wavefront6targetE1EEEvSK_,comdat
.Lfunc_end866:
	.size	_ZN7rocprim17ROCPRIM_400000_NS6detail17trampoline_kernelINS0_14default_configENS1_22reduce_config_selectorItEEZNS1_11reduce_implILb1ES3_N6thrust23THRUST_200600_302600_NS6detail15normal_iteratorINS8_10device_ptrItEEEEPtt9plus_mod3ItEEE10hipError_tPvRmT1_T2_T3_mT4_P12ihipStream_tbEUlT_E1_NS1_11comp_targetILNS1_3genE0ELNS1_11target_archE4294967295ELNS1_3gpuE0ELNS1_3repE0EEENS1_30default_config_static_selectorELNS0_4arch9wavefront6targetE1EEEvSK_, .Lfunc_end866-_ZN7rocprim17ROCPRIM_400000_NS6detail17trampoline_kernelINS0_14default_configENS1_22reduce_config_selectorItEEZNS1_11reduce_implILb1ES3_N6thrust23THRUST_200600_302600_NS6detail15normal_iteratorINS8_10device_ptrItEEEEPtt9plus_mod3ItEEE10hipError_tPvRmT1_T2_T3_mT4_P12ihipStream_tbEUlT_E1_NS1_11comp_targetILNS1_3genE0ELNS1_11target_archE4294967295ELNS1_3gpuE0ELNS1_3repE0EEENS1_30default_config_static_selectorELNS0_4arch9wavefront6targetE1EEEvSK_
                                        ; -- End function
	.set _ZN7rocprim17ROCPRIM_400000_NS6detail17trampoline_kernelINS0_14default_configENS1_22reduce_config_selectorItEEZNS1_11reduce_implILb1ES3_N6thrust23THRUST_200600_302600_NS6detail15normal_iteratorINS8_10device_ptrItEEEEPtt9plus_mod3ItEEE10hipError_tPvRmT1_T2_T3_mT4_P12ihipStream_tbEUlT_E1_NS1_11comp_targetILNS1_3genE0ELNS1_11target_archE4294967295ELNS1_3gpuE0ELNS1_3repE0EEENS1_30default_config_static_selectorELNS0_4arch9wavefront6targetE1EEEvSK_.num_vgpr, 39
	.set _ZN7rocprim17ROCPRIM_400000_NS6detail17trampoline_kernelINS0_14default_configENS1_22reduce_config_selectorItEEZNS1_11reduce_implILb1ES3_N6thrust23THRUST_200600_302600_NS6detail15normal_iteratorINS8_10device_ptrItEEEEPtt9plus_mod3ItEEE10hipError_tPvRmT1_T2_T3_mT4_P12ihipStream_tbEUlT_E1_NS1_11comp_targetILNS1_3genE0ELNS1_11target_archE4294967295ELNS1_3gpuE0ELNS1_3repE0EEENS1_30default_config_static_selectorELNS0_4arch9wavefront6targetE1EEEvSK_.num_agpr, 0
	.set _ZN7rocprim17ROCPRIM_400000_NS6detail17trampoline_kernelINS0_14default_configENS1_22reduce_config_selectorItEEZNS1_11reduce_implILb1ES3_N6thrust23THRUST_200600_302600_NS6detail15normal_iteratorINS8_10device_ptrItEEEEPtt9plus_mod3ItEEE10hipError_tPvRmT1_T2_T3_mT4_P12ihipStream_tbEUlT_E1_NS1_11comp_targetILNS1_3genE0ELNS1_11target_archE4294967295ELNS1_3gpuE0ELNS1_3repE0EEENS1_30default_config_static_selectorELNS0_4arch9wavefront6targetE1EEEvSK_.numbered_sgpr, 100
	.set _ZN7rocprim17ROCPRIM_400000_NS6detail17trampoline_kernelINS0_14default_configENS1_22reduce_config_selectorItEEZNS1_11reduce_implILb1ES3_N6thrust23THRUST_200600_302600_NS6detail15normal_iteratorINS8_10device_ptrItEEEEPtt9plus_mod3ItEEE10hipError_tPvRmT1_T2_T3_mT4_P12ihipStream_tbEUlT_E1_NS1_11comp_targetILNS1_3genE0ELNS1_11target_archE4294967295ELNS1_3gpuE0ELNS1_3repE0EEENS1_30default_config_static_selectorELNS0_4arch9wavefront6targetE1EEEvSK_.num_named_barrier, 0
	.set _ZN7rocprim17ROCPRIM_400000_NS6detail17trampoline_kernelINS0_14default_configENS1_22reduce_config_selectorItEEZNS1_11reduce_implILb1ES3_N6thrust23THRUST_200600_302600_NS6detail15normal_iteratorINS8_10device_ptrItEEEEPtt9plus_mod3ItEEE10hipError_tPvRmT1_T2_T3_mT4_P12ihipStream_tbEUlT_E1_NS1_11comp_targetILNS1_3genE0ELNS1_11target_archE4294967295ELNS1_3gpuE0ELNS1_3repE0EEENS1_30default_config_static_selectorELNS0_4arch9wavefront6targetE1EEEvSK_.private_seg_size, 0
	.set _ZN7rocprim17ROCPRIM_400000_NS6detail17trampoline_kernelINS0_14default_configENS1_22reduce_config_selectorItEEZNS1_11reduce_implILb1ES3_N6thrust23THRUST_200600_302600_NS6detail15normal_iteratorINS8_10device_ptrItEEEEPtt9plus_mod3ItEEE10hipError_tPvRmT1_T2_T3_mT4_P12ihipStream_tbEUlT_E1_NS1_11comp_targetILNS1_3genE0ELNS1_11target_archE4294967295ELNS1_3gpuE0ELNS1_3repE0EEENS1_30default_config_static_selectorELNS0_4arch9wavefront6targetE1EEEvSK_.uses_vcc, 1
	.set _ZN7rocprim17ROCPRIM_400000_NS6detail17trampoline_kernelINS0_14default_configENS1_22reduce_config_selectorItEEZNS1_11reduce_implILb1ES3_N6thrust23THRUST_200600_302600_NS6detail15normal_iteratorINS8_10device_ptrItEEEEPtt9plus_mod3ItEEE10hipError_tPvRmT1_T2_T3_mT4_P12ihipStream_tbEUlT_E1_NS1_11comp_targetILNS1_3genE0ELNS1_11target_archE4294967295ELNS1_3gpuE0ELNS1_3repE0EEENS1_30default_config_static_selectorELNS0_4arch9wavefront6targetE1EEEvSK_.uses_flat_scratch, 0
	.set _ZN7rocprim17ROCPRIM_400000_NS6detail17trampoline_kernelINS0_14default_configENS1_22reduce_config_selectorItEEZNS1_11reduce_implILb1ES3_N6thrust23THRUST_200600_302600_NS6detail15normal_iteratorINS8_10device_ptrItEEEEPtt9plus_mod3ItEEE10hipError_tPvRmT1_T2_T3_mT4_P12ihipStream_tbEUlT_E1_NS1_11comp_targetILNS1_3genE0ELNS1_11target_archE4294967295ELNS1_3gpuE0ELNS1_3repE0EEENS1_30default_config_static_selectorELNS0_4arch9wavefront6targetE1EEEvSK_.has_dyn_sized_stack, 0
	.set _ZN7rocprim17ROCPRIM_400000_NS6detail17trampoline_kernelINS0_14default_configENS1_22reduce_config_selectorItEEZNS1_11reduce_implILb1ES3_N6thrust23THRUST_200600_302600_NS6detail15normal_iteratorINS8_10device_ptrItEEEEPtt9plus_mod3ItEEE10hipError_tPvRmT1_T2_T3_mT4_P12ihipStream_tbEUlT_E1_NS1_11comp_targetILNS1_3genE0ELNS1_11target_archE4294967295ELNS1_3gpuE0ELNS1_3repE0EEENS1_30default_config_static_selectorELNS0_4arch9wavefront6targetE1EEEvSK_.has_recursion, 0
	.set _ZN7rocprim17ROCPRIM_400000_NS6detail17trampoline_kernelINS0_14default_configENS1_22reduce_config_selectorItEEZNS1_11reduce_implILb1ES3_N6thrust23THRUST_200600_302600_NS6detail15normal_iteratorINS8_10device_ptrItEEEEPtt9plus_mod3ItEEE10hipError_tPvRmT1_T2_T3_mT4_P12ihipStream_tbEUlT_E1_NS1_11comp_targetILNS1_3genE0ELNS1_11target_archE4294967295ELNS1_3gpuE0ELNS1_3repE0EEENS1_30default_config_static_selectorELNS0_4arch9wavefront6targetE1EEEvSK_.has_indirect_call, 0
	.section	.AMDGPU.csdata,"",@progbits
; Kernel info:
; codeLenInByte = 34708
; TotalNumSgprs: 106
; NumVgprs: 39
; NumAgprs: 0
; TotalNumVgprs: 39
; ScratchSize: 0
; MemoryBound: 0
; FloatMode: 240
; IeeeMode: 1
; LDSByteSize: 32 bytes/workgroup (compile time only)
; SGPRBlocks: 13
; VGPRBlocks: 4
; NumSGPRsForWavesPerEU: 106
; NumVGPRsForWavesPerEU: 39
; AccumOffset: 40
; Occupancy: 7
; WaveLimiterHint : 1
; COMPUTE_PGM_RSRC2:SCRATCH_EN: 0
; COMPUTE_PGM_RSRC2:USER_SGPR: 2
; COMPUTE_PGM_RSRC2:TRAP_HANDLER: 0
; COMPUTE_PGM_RSRC2:TGID_X_EN: 1
; COMPUTE_PGM_RSRC2:TGID_Y_EN: 0
; COMPUTE_PGM_RSRC2:TGID_Z_EN: 0
; COMPUTE_PGM_RSRC2:TIDIG_COMP_CNT: 0
; COMPUTE_PGM_RSRC3_GFX90A:ACCUM_OFFSET: 9
; COMPUTE_PGM_RSRC3_GFX90A:TG_SPLIT: 0
	.section	.text._ZN7rocprim17ROCPRIM_400000_NS6detail17trampoline_kernelINS0_14default_configENS1_22reduce_config_selectorItEEZNS1_11reduce_implILb1ES3_N6thrust23THRUST_200600_302600_NS6detail15normal_iteratorINS8_10device_ptrItEEEEPtt9plus_mod3ItEEE10hipError_tPvRmT1_T2_T3_mT4_P12ihipStream_tbEUlT_E1_NS1_11comp_targetILNS1_3genE5ELNS1_11target_archE942ELNS1_3gpuE9ELNS1_3repE0EEENS1_30default_config_static_selectorELNS0_4arch9wavefront6targetE1EEEvSK_,"axG",@progbits,_ZN7rocprim17ROCPRIM_400000_NS6detail17trampoline_kernelINS0_14default_configENS1_22reduce_config_selectorItEEZNS1_11reduce_implILb1ES3_N6thrust23THRUST_200600_302600_NS6detail15normal_iteratorINS8_10device_ptrItEEEEPtt9plus_mod3ItEEE10hipError_tPvRmT1_T2_T3_mT4_P12ihipStream_tbEUlT_E1_NS1_11comp_targetILNS1_3genE5ELNS1_11target_archE942ELNS1_3gpuE9ELNS1_3repE0EEENS1_30default_config_static_selectorELNS0_4arch9wavefront6targetE1EEEvSK_,comdat
	.protected	_ZN7rocprim17ROCPRIM_400000_NS6detail17trampoline_kernelINS0_14default_configENS1_22reduce_config_selectorItEEZNS1_11reduce_implILb1ES3_N6thrust23THRUST_200600_302600_NS6detail15normal_iteratorINS8_10device_ptrItEEEEPtt9plus_mod3ItEEE10hipError_tPvRmT1_T2_T3_mT4_P12ihipStream_tbEUlT_E1_NS1_11comp_targetILNS1_3genE5ELNS1_11target_archE942ELNS1_3gpuE9ELNS1_3repE0EEENS1_30default_config_static_selectorELNS0_4arch9wavefront6targetE1EEEvSK_ ; -- Begin function _ZN7rocprim17ROCPRIM_400000_NS6detail17trampoline_kernelINS0_14default_configENS1_22reduce_config_selectorItEEZNS1_11reduce_implILb1ES3_N6thrust23THRUST_200600_302600_NS6detail15normal_iteratorINS8_10device_ptrItEEEEPtt9plus_mod3ItEEE10hipError_tPvRmT1_T2_T3_mT4_P12ihipStream_tbEUlT_E1_NS1_11comp_targetILNS1_3genE5ELNS1_11target_archE942ELNS1_3gpuE9ELNS1_3repE0EEENS1_30default_config_static_selectorELNS0_4arch9wavefront6targetE1EEEvSK_
	.globl	_ZN7rocprim17ROCPRIM_400000_NS6detail17trampoline_kernelINS0_14default_configENS1_22reduce_config_selectorItEEZNS1_11reduce_implILb1ES3_N6thrust23THRUST_200600_302600_NS6detail15normal_iteratorINS8_10device_ptrItEEEEPtt9plus_mod3ItEEE10hipError_tPvRmT1_T2_T3_mT4_P12ihipStream_tbEUlT_E1_NS1_11comp_targetILNS1_3genE5ELNS1_11target_archE942ELNS1_3gpuE9ELNS1_3repE0EEENS1_30default_config_static_selectorELNS0_4arch9wavefront6targetE1EEEvSK_
	.p2align	8
	.type	_ZN7rocprim17ROCPRIM_400000_NS6detail17trampoline_kernelINS0_14default_configENS1_22reduce_config_selectorItEEZNS1_11reduce_implILb1ES3_N6thrust23THRUST_200600_302600_NS6detail15normal_iteratorINS8_10device_ptrItEEEEPtt9plus_mod3ItEEE10hipError_tPvRmT1_T2_T3_mT4_P12ihipStream_tbEUlT_E1_NS1_11comp_targetILNS1_3genE5ELNS1_11target_archE942ELNS1_3gpuE9ELNS1_3repE0EEENS1_30default_config_static_selectorELNS0_4arch9wavefront6targetE1EEEvSK_,@function
_ZN7rocprim17ROCPRIM_400000_NS6detail17trampoline_kernelINS0_14default_configENS1_22reduce_config_selectorItEEZNS1_11reduce_implILb1ES3_N6thrust23THRUST_200600_302600_NS6detail15normal_iteratorINS8_10device_ptrItEEEEPtt9plus_mod3ItEEE10hipError_tPvRmT1_T2_T3_mT4_P12ihipStream_tbEUlT_E1_NS1_11comp_targetILNS1_3genE5ELNS1_11target_archE942ELNS1_3gpuE9ELNS1_3repE0EEENS1_30default_config_static_selectorELNS0_4arch9wavefront6targetE1EEEvSK_: ; @_ZN7rocprim17ROCPRIM_400000_NS6detail17trampoline_kernelINS0_14default_configENS1_22reduce_config_selectorItEEZNS1_11reduce_implILb1ES3_N6thrust23THRUST_200600_302600_NS6detail15normal_iteratorINS8_10device_ptrItEEEEPtt9plus_mod3ItEEE10hipError_tPvRmT1_T2_T3_mT4_P12ihipStream_tbEUlT_E1_NS1_11comp_targetILNS1_3genE5ELNS1_11target_archE942ELNS1_3gpuE9ELNS1_3repE0EEENS1_30default_config_static_selectorELNS0_4arch9wavefront6targetE1EEEvSK_
; %bb.0:
	.section	.rodata,"a",@progbits
	.p2align	6, 0x0
	.amdhsa_kernel _ZN7rocprim17ROCPRIM_400000_NS6detail17trampoline_kernelINS0_14default_configENS1_22reduce_config_selectorItEEZNS1_11reduce_implILb1ES3_N6thrust23THRUST_200600_302600_NS6detail15normal_iteratorINS8_10device_ptrItEEEEPtt9plus_mod3ItEEE10hipError_tPvRmT1_T2_T3_mT4_P12ihipStream_tbEUlT_E1_NS1_11comp_targetILNS1_3genE5ELNS1_11target_archE942ELNS1_3gpuE9ELNS1_3repE0EEENS1_30default_config_static_selectorELNS0_4arch9wavefront6targetE1EEEvSK_
		.amdhsa_group_segment_fixed_size 0
		.amdhsa_private_segment_fixed_size 0
		.amdhsa_kernarg_size 48
		.amdhsa_user_sgpr_count 2
		.amdhsa_user_sgpr_dispatch_ptr 0
		.amdhsa_user_sgpr_queue_ptr 0
		.amdhsa_user_sgpr_kernarg_segment_ptr 1
		.amdhsa_user_sgpr_dispatch_id 0
		.amdhsa_user_sgpr_kernarg_preload_length 0
		.amdhsa_user_sgpr_kernarg_preload_offset 0
		.amdhsa_user_sgpr_private_segment_size 0
		.amdhsa_uses_dynamic_stack 0
		.amdhsa_enable_private_segment 0
		.amdhsa_system_sgpr_workgroup_id_x 1
		.amdhsa_system_sgpr_workgroup_id_y 0
		.amdhsa_system_sgpr_workgroup_id_z 0
		.amdhsa_system_sgpr_workgroup_info 0
		.amdhsa_system_vgpr_workitem_id 0
		.amdhsa_next_free_vgpr 1
		.amdhsa_next_free_sgpr 0
		.amdhsa_accum_offset 4
		.amdhsa_reserve_vcc 0
		.amdhsa_float_round_mode_32 0
		.amdhsa_float_round_mode_16_64 0
		.amdhsa_float_denorm_mode_32 3
		.amdhsa_float_denorm_mode_16_64 3
		.amdhsa_dx10_clamp 1
		.amdhsa_ieee_mode 1
		.amdhsa_fp16_overflow 0
		.amdhsa_tg_split 0
		.amdhsa_exception_fp_ieee_invalid_op 0
		.amdhsa_exception_fp_denorm_src 0
		.amdhsa_exception_fp_ieee_div_zero 0
		.amdhsa_exception_fp_ieee_overflow 0
		.amdhsa_exception_fp_ieee_underflow 0
		.amdhsa_exception_fp_ieee_inexact 0
		.amdhsa_exception_int_div_zero 0
	.end_amdhsa_kernel
	.section	.text._ZN7rocprim17ROCPRIM_400000_NS6detail17trampoline_kernelINS0_14default_configENS1_22reduce_config_selectorItEEZNS1_11reduce_implILb1ES3_N6thrust23THRUST_200600_302600_NS6detail15normal_iteratorINS8_10device_ptrItEEEEPtt9plus_mod3ItEEE10hipError_tPvRmT1_T2_T3_mT4_P12ihipStream_tbEUlT_E1_NS1_11comp_targetILNS1_3genE5ELNS1_11target_archE942ELNS1_3gpuE9ELNS1_3repE0EEENS1_30default_config_static_selectorELNS0_4arch9wavefront6targetE1EEEvSK_,"axG",@progbits,_ZN7rocprim17ROCPRIM_400000_NS6detail17trampoline_kernelINS0_14default_configENS1_22reduce_config_selectorItEEZNS1_11reduce_implILb1ES3_N6thrust23THRUST_200600_302600_NS6detail15normal_iteratorINS8_10device_ptrItEEEEPtt9plus_mod3ItEEE10hipError_tPvRmT1_T2_T3_mT4_P12ihipStream_tbEUlT_E1_NS1_11comp_targetILNS1_3genE5ELNS1_11target_archE942ELNS1_3gpuE9ELNS1_3repE0EEENS1_30default_config_static_selectorELNS0_4arch9wavefront6targetE1EEEvSK_,comdat
.Lfunc_end867:
	.size	_ZN7rocprim17ROCPRIM_400000_NS6detail17trampoline_kernelINS0_14default_configENS1_22reduce_config_selectorItEEZNS1_11reduce_implILb1ES3_N6thrust23THRUST_200600_302600_NS6detail15normal_iteratorINS8_10device_ptrItEEEEPtt9plus_mod3ItEEE10hipError_tPvRmT1_T2_T3_mT4_P12ihipStream_tbEUlT_E1_NS1_11comp_targetILNS1_3genE5ELNS1_11target_archE942ELNS1_3gpuE9ELNS1_3repE0EEENS1_30default_config_static_selectorELNS0_4arch9wavefront6targetE1EEEvSK_, .Lfunc_end867-_ZN7rocprim17ROCPRIM_400000_NS6detail17trampoline_kernelINS0_14default_configENS1_22reduce_config_selectorItEEZNS1_11reduce_implILb1ES3_N6thrust23THRUST_200600_302600_NS6detail15normal_iteratorINS8_10device_ptrItEEEEPtt9plus_mod3ItEEE10hipError_tPvRmT1_T2_T3_mT4_P12ihipStream_tbEUlT_E1_NS1_11comp_targetILNS1_3genE5ELNS1_11target_archE942ELNS1_3gpuE9ELNS1_3repE0EEENS1_30default_config_static_selectorELNS0_4arch9wavefront6targetE1EEEvSK_
                                        ; -- End function
	.set _ZN7rocprim17ROCPRIM_400000_NS6detail17trampoline_kernelINS0_14default_configENS1_22reduce_config_selectorItEEZNS1_11reduce_implILb1ES3_N6thrust23THRUST_200600_302600_NS6detail15normal_iteratorINS8_10device_ptrItEEEEPtt9plus_mod3ItEEE10hipError_tPvRmT1_T2_T3_mT4_P12ihipStream_tbEUlT_E1_NS1_11comp_targetILNS1_3genE5ELNS1_11target_archE942ELNS1_3gpuE9ELNS1_3repE0EEENS1_30default_config_static_selectorELNS0_4arch9wavefront6targetE1EEEvSK_.num_vgpr, 0
	.set _ZN7rocprim17ROCPRIM_400000_NS6detail17trampoline_kernelINS0_14default_configENS1_22reduce_config_selectorItEEZNS1_11reduce_implILb1ES3_N6thrust23THRUST_200600_302600_NS6detail15normal_iteratorINS8_10device_ptrItEEEEPtt9plus_mod3ItEEE10hipError_tPvRmT1_T2_T3_mT4_P12ihipStream_tbEUlT_E1_NS1_11comp_targetILNS1_3genE5ELNS1_11target_archE942ELNS1_3gpuE9ELNS1_3repE0EEENS1_30default_config_static_selectorELNS0_4arch9wavefront6targetE1EEEvSK_.num_agpr, 0
	.set _ZN7rocprim17ROCPRIM_400000_NS6detail17trampoline_kernelINS0_14default_configENS1_22reduce_config_selectorItEEZNS1_11reduce_implILb1ES3_N6thrust23THRUST_200600_302600_NS6detail15normal_iteratorINS8_10device_ptrItEEEEPtt9plus_mod3ItEEE10hipError_tPvRmT1_T2_T3_mT4_P12ihipStream_tbEUlT_E1_NS1_11comp_targetILNS1_3genE5ELNS1_11target_archE942ELNS1_3gpuE9ELNS1_3repE0EEENS1_30default_config_static_selectorELNS0_4arch9wavefront6targetE1EEEvSK_.numbered_sgpr, 0
	.set _ZN7rocprim17ROCPRIM_400000_NS6detail17trampoline_kernelINS0_14default_configENS1_22reduce_config_selectorItEEZNS1_11reduce_implILb1ES3_N6thrust23THRUST_200600_302600_NS6detail15normal_iteratorINS8_10device_ptrItEEEEPtt9plus_mod3ItEEE10hipError_tPvRmT1_T2_T3_mT4_P12ihipStream_tbEUlT_E1_NS1_11comp_targetILNS1_3genE5ELNS1_11target_archE942ELNS1_3gpuE9ELNS1_3repE0EEENS1_30default_config_static_selectorELNS0_4arch9wavefront6targetE1EEEvSK_.num_named_barrier, 0
	.set _ZN7rocprim17ROCPRIM_400000_NS6detail17trampoline_kernelINS0_14default_configENS1_22reduce_config_selectorItEEZNS1_11reduce_implILb1ES3_N6thrust23THRUST_200600_302600_NS6detail15normal_iteratorINS8_10device_ptrItEEEEPtt9plus_mod3ItEEE10hipError_tPvRmT1_T2_T3_mT4_P12ihipStream_tbEUlT_E1_NS1_11comp_targetILNS1_3genE5ELNS1_11target_archE942ELNS1_3gpuE9ELNS1_3repE0EEENS1_30default_config_static_selectorELNS0_4arch9wavefront6targetE1EEEvSK_.private_seg_size, 0
	.set _ZN7rocprim17ROCPRIM_400000_NS6detail17trampoline_kernelINS0_14default_configENS1_22reduce_config_selectorItEEZNS1_11reduce_implILb1ES3_N6thrust23THRUST_200600_302600_NS6detail15normal_iteratorINS8_10device_ptrItEEEEPtt9plus_mod3ItEEE10hipError_tPvRmT1_T2_T3_mT4_P12ihipStream_tbEUlT_E1_NS1_11comp_targetILNS1_3genE5ELNS1_11target_archE942ELNS1_3gpuE9ELNS1_3repE0EEENS1_30default_config_static_selectorELNS0_4arch9wavefront6targetE1EEEvSK_.uses_vcc, 0
	.set _ZN7rocprim17ROCPRIM_400000_NS6detail17trampoline_kernelINS0_14default_configENS1_22reduce_config_selectorItEEZNS1_11reduce_implILb1ES3_N6thrust23THRUST_200600_302600_NS6detail15normal_iteratorINS8_10device_ptrItEEEEPtt9plus_mod3ItEEE10hipError_tPvRmT1_T2_T3_mT4_P12ihipStream_tbEUlT_E1_NS1_11comp_targetILNS1_3genE5ELNS1_11target_archE942ELNS1_3gpuE9ELNS1_3repE0EEENS1_30default_config_static_selectorELNS0_4arch9wavefront6targetE1EEEvSK_.uses_flat_scratch, 0
	.set _ZN7rocprim17ROCPRIM_400000_NS6detail17trampoline_kernelINS0_14default_configENS1_22reduce_config_selectorItEEZNS1_11reduce_implILb1ES3_N6thrust23THRUST_200600_302600_NS6detail15normal_iteratorINS8_10device_ptrItEEEEPtt9plus_mod3ItEEE10hipError_tPvRmT1_T2_T3_mT4_P12ihipStream_tbEUlT_E1_NS1_11comp_targetILNS1_3genE5ELNS1_11target_archE942ELNS1_3gpuE9ELNS1_3repE0EEENS1_30default_config_static_selectorELNS0_4arch9wavefront6targetE1EEEvSK_.has_dyn_sized_stack, 0
	.set _ZN7rocprim17ROCPRIM_400000_NS6detail17trampoline_kernelINS0_14default_configENS1_22reduce_config_selectorItEEZNS1_11reduce_implILb1ES3_N6thrust23THRUST_200600_302600_NS6detail15normal_iteratorINS8_10device_ptrItEEEEPtt9plus_mod3ItEEE10hipError_tPvRmT1_T2_T3_mT4_P12ihipStream_tbEUlT_E1_NS1_11comp_targetILNS1_3genE5ELNS1_11target_archE942ELNS1_3gpuE9ELNS1_3repE0EEENS1_30default_config_static_selectorELNS0_4arch9wavefront6targetE1EEEvSK_.has_recursion, 0
	.set _ZN7rocprim17ROCPRIM_400000_NS6detail17trampoline_kernelINS0_14default_configENS1_22reduce_config_selectorItEEZNS1_11reduce_implILb1ES3_N6thrust23THRUST_200600_302600_NS6detail15normal_iteratorINS8_10device_ptrItEEEEPtt9plus_mod3ItEEE10hipError_tPvRmT1_T2_T3_mT4_P12ihipStream_tbEUlT_E1_NS1_11comp_targetILNS1_3genE5ELNS1_11target_archE942ELNS1_3gpuE9ELNS1_3repE0EEENS1_30default_config_static_selectorELNS0_4arch9wavefront6targetE1EEEvSK_.has_indirect_call, 0
	.section	.AMDGPU.csdata,"",@progbits
; Kernel info:
; codeLenInByte = 0
; TotalNumSgprs: 6
; NumVgprs: 0
; NumAgprs: 0
; TotalNumVgprs: 0
; ScratchSize: 0
; MemoryBound: 0
; FloatMode: 240
; IeeeMode: 1
; LDSByteSize: 0 bytes/workgroup (compile time only)
; SGPRBlocks: 0
; VGPRBlocks: 0
; NumSGPRsForWavesPerEU: 6
; NumVGPRsForWavesPerEU: 1
; AccumOffset: 4
; Occupancy: 8
; WaveLimiterHint : 0
; COMPUTE_PGM_RSRC2:SCRATCH_EN: 0
; COMPUTE_PGM_RSRC2:USER_SGPR: 2
; COMPUTE_PGM_RSRC2:TRAP_HANDLER: 0
; COMPUTE_PGM_RSRC2:TGID_X_EN: 1
; COMPUTE_PGM_RSRC2:TGID_Y_EN: 0
; COMPUTE_PGM_RSRC2:TGID_Z_EN: 0
; COMPUTE_PGM_RSRC2:TIDIG_COMP_CNT: 0
; COMPUTE_PGM_RSRC3_GFX90A:ACCUM_OFFSET: 0
; COMPUTE_PGM_RSRC3_GFX90A:TG_SPLIT: 0
	.section	.text._ZN7rocprim17ROCPRIM_400000_NS6detail17trampoline_kernelINS0_14default_configENS1_22reduce_config_selectorItEEZNS1_11reduce_implILb1ES3_N6thrust23THRUST_200600_302600_NS6detail15normal_iteratorINS8_10device_ptrItEEEEPtt9plus_mod3ItEEE10hipError_tPvRmT1_T2_T3_mT4_P12ihipStream_tbEUlT_E1_NS1_11comp_targetILNS1_3genE4ELNS1_11target_archE910ELNS1_3gpuE8ELNS1_3repE0EEENS1_30default_config_static_selectorELNS0_4arch9wavefront6targetE1EEEvSK_,"axG",@progbits,_ZN7rocprim17ROCPRIM_400000_NS6detail17trampoline_kernelINS0_14default_configENS1_22reduce_config_selectorItEEZNS1_11reduce_implILb1ES3_N6thrust23THRUST_200600_302600_NS6detail15normal_iteratorINS8_10device_ptrItEEEEPtt9plus_mod3ItEEE10hipError_tPvRmT1_T2_T3_mT4_P12ihipStream_tbEUlT_E1_NS1_11comp_targetILNS1_3genE4ELNS1_11target_archE910ELNS1_3gpuE8ELNS1_3repE0EEENS1_30default_config_static_selectorELNS0_4arch9wavefront6targetE1EEEvSK_,comdat
	.protected	_ZN7rocprim17ROCPRIM_400000_NS6detail17trampoline_kernelINS0_14default_configENS1_22reduce_config_selectorItEEZNS1_11reduce_implILb1ES3_N6thrust23THRUST_200600_302600_NS6detail15normal_iteratorINS8_10device_ptrItEEEEPtt9plus_mod3ItEEE10hipError_tPvRmT1_T2_T3_mT4_P12ihipStream_tbEUlT_E1_NS1_11comp_targetILNS1_3genE4ELNS1_11target_archE910ELNS1_3gpuE8ELNS1_3repE0EEENS1_30default_config_static_selectorELNS0_4arch9wavefront6targetE1EEEvSK_ ; -- Begin function _ZN7rocprim17ROCPRIM_400000_NS6detail17trampoline_kernelINS0_14default_configENS1_22reduce_config_selectorItEEZNS1_11reduce_implILb1ES3_N6thrust23THRUST_200600_302600_NS6detail15normal_iteratorINS8_10device_ptrItEEEEPtt9plus_mod3ItEEE10hipError_tPvRmT1_T2_T3_mT4_P12ihipStream_tbEUlT_E1_NS1_11comp_targetILNS1_3genE4ELNS1_11target_archE910ELNS1_3gpuE8ELNS1_3repE0EEENS1_30default_config_static_selectorELNS0_4arch9wavefront6targetE1EEEvSK_
	.globl	_ZN7rocprim17ROCPRIM_400000_NS6detail17trampoline_kernelINS0_14default_configENS1_22reduce_config_selectorItEEZNS1_11reduce_implILb1ES3_N6thrust23THRUST_200600_302600_NS6detail15normal_iteratorINS8_10device_ptrItEEEEPtt9plus_mod3ItEEE10hipError_tPvRmT1_T2_T3_mT4_P12ihipStream_tbEUlT_E1_NS1_11comp_targetILNS1_3genE4ELNS1_11target_archE910ELNS1_3gpuE8ELNS1_3repE0EEENS1_30default_config_static_selectorELNS0_4arch9wavefront6targetE1EEEvSK_
	.p2align	8
	.type	_ZN7rocprim17ROCPRIM_400000_NS6detail17trampoline_kernelINS0_14default_configENS1_22reduce_config_selectorItEEZNS1_11reduce_implILb1ES3_N6thrust23THRUST_200600_302600_NS6detail15normal_iteratorINS8_10device_ptrItEEEEPtt9plus_mod3ItEEE10hipError_tPvRmT1_T2_T3_mT4_P12ihipStream_tbEUlT_E1_NS1_11comp_targetILNS1_3genE4ELNS1_11target_archE910ELNS1_3gpuE8ELNS1_3repE0EEENS1_30default_config_static_selectorELNS0_4arch9wavefront6targetE1EEEvSK_,@function
_ZN7rocprim17ROCPRIM_400000_NS6detail17trampoline_kernelINS0_14default_configENS1_22reduce_config_selectorItEEZNS1_11reduce_implILb1ES3_N6thrust23THRUST_200600_302600_NS6detail15normal_iteratorINS8_10device_ptrItEEEEPtt9plus_mod3ItEEE10hipError_tPvRmT1_T2_T3_mT4_P12ihipStream_tbEUlT_E1_NS1_11comp_targetILNS1_3genE4ELNS1_11target_archE910ELNS1_3gpuE8ELNS1_3repE0EEENS1_30default_config_static_selectorELNS0_4arch9wavefront6targetE1EEEvSK_: ; @_ZN7rocprim17ROCPRIM_400000_NS6detail17trampoline_kernelINS0_14default_configENS1_22reduce_config_selectorItEEZNS1_11reduce_implILb1ES3_N6thrust23THRUST_200600_302600_NS6detail15normal_iteratorINS8_10device_ptrItEEEEPtt9plus_mod3ItEEE10hipError_tPvRmT1_T2_T3_mT4_P12ihipStream_tbEUlT_E1_NS1_11comp_targetILNS1_3genE4ELNS1_11target_archE910ELNS1_3gpuE8ELNS1_3repE0EEENS1_30default_config_static_selectorELNS0_4arch9wavefront6targetE1EEEvSK_
; %bb.0:
	.section	.rodata,"a",@progbits
	.p2align	6, 0x0
	.amdhsa_kernel _ZN7rocprim17ROCPRIM_400000_NS6detail17trampoline_kernelINS0_14default_configENS1_22reduce_config_selectorItEEZNS1_11reduce_implILb1ES3_N6thrust23THRUST_200600_302600_NS6detail15normal_iteratorINS8_10device_ptrItEEEEPtt9plus_mod3ItEEE10hipError_tPvRmT1_T2_T3_mT4_P12ihipStream_tbEUlT_E1_NS1_11comp_targetILNS1_3genE4ELNS1_11target_archE910ELNS1_3gpuE8ELNS1_3repE0EEENS1_30default_config_static_selectorELNS0_4arch9wavefront6targetE1EEEvSK_
		.amdhsa_group_segment_fixed_size 0
		.amdhsa_private_segment_fixed_size 0
		.amdhsa_kernarg_size 48
		.amdhsa_user_sgpr_count 2
		.amdhsa_user_sgpr_dispatch_ptr 0
		.amdhsa_user_sgpr_queue_ptr 0
		.amdhsa_user_sgpr_kernarg_segment_ptr 1
		.amdhsa_user_sgpr_dispatch_id 0
		.amdhsa_user_sgpr_kernarg_preload_length 0
		.amdhsa_user_sgpr_kernarg_preload_offset 0
		.amdhsa_user_sgpr_private_segment_size 0
		.amdhsa_uses_dynamic_stack 0
		.amdhsa_enable_private_segment 0
		.amdhsa_system_sgpr_workgroup_id_x 1
		.amdhsa_system_sgpr_workgroup_id_y 0
		.amdhsa_system_sgpr_workgroup_id_z 0
		.amdhsa_system_sgpr_workgroup_info 0
		.amdhsa_system_vgpr_workitem_id 0
		.amdhsa_next_free_vgpr 1
		.amdhsa_next_free_sgpr 0
		.amdhsa_accum_offset 4
		.amdhsa_reserve_vcc 0
		.amdhsa_float_round_mode_32 0
		.amdhsa_float_round_mode_16_64 0
		.amdhsa_float_denorm_mode_32 3
		.amdhsa_float_denorm_mode_16_64 3
		.amdhsa_dx10_clamp 1
		.amdhsa_ieee_mode 1
		.amdhsa_fp16_overflow 0
		.amdhsa_tg_split 0
		.amdhsa_exception_fp_ieee_invalid_op 0
		.amdhsa_exception_fp_denorm_src 0
		.amdhsa_exception_fp_ieee_div_zero 0
		.amdhsa_exception_fp_ieee_overflow 0
		.amdhsa_exception_fp_ieee_underflow 0
		.amdhsa_exception_fp_ieee_inexact 0
		.amdhsa_exception_int_div_zero 0
	.end_amdhsa_kernel
	.section	.text._ZN7rocprim17ROCPRIM_400000_NS6detail17trampoline_kernelINS0_14default_configENS1_22reduce_config_selectorItEEZNS1_11reduce_implILb1ES3_N6thrust23THRUST_200600_302600_NS6detail15normal_iteratorINS8_10device_ptrItEEEEPtt9plus_mod3ItEEE10hipError_tPvRmT1_T2_T3_mT4_P12ihipStream_tbEUlT_E1_NS1_11comp_targetILNS1_3genE4ELNS1_11target_archE910ELNS1_3gpuE8ELNS1_3repE0EEENS1_30default_config_static_selectorELNS0_4arch9wavefront6targetE1EEEvSK_,"axG",@progbits,_ZN7rocprim17ROCPRIM_400000_NS6detail17trampoline_kernelINS0_14default_configENS1_22reduce_config_selectorItEEZNS1_11reduce_implILb1ES3_N6thrust23THRUST_200600_302600_NS6detail15normal_iteratorINS8_10device_ptrItEEEEPtt9plus_mod3ItEEE10hipError_tPvRmT1_T2_T3_mT4_P12ihipStream_tbEUlT_E1_NS1_11comp_targetILNS1_3genE4ELNS1_11target_archE910ELNS1_3gpuE8ELNS1_3repE0EEENS1_30default_config_static_selectorELNS0_4arch9wavefront6targetE1EEEvSK_,comdat
.Lfunc_end868:
	.size	_ZN7rocprim17ROCPRIM_400000_NS6detail17trampoline_kernelINS0_14default_configENS1_22reduce_config_selectorItEEZNS1_11reduce_implILb1ES3_N6thrust23THRUST_200600_302600_NS6detail15normal_iteratorINS8_10device_ptrItEEEEPtt9plus_mod3ItEEE10hipError_tPvRmT1_T2_T3_mT4_P12ihipStream_tbEUlT_E1_NS1_11comp_targetILNS1_3genE4ELNS1_11target_archE910ELNS1_3gpuE8ELNS1_3repE0EEENS1_30default_config_static_selectorELNS0_4arch9wavefront6targetE1EEEvSK_, .Lfunc_end868-_ZN7rocprim17ROCPRIM_400000_NS6detail17trampoline_kernelINS0_14default_configENS1_22reduce_config_selectorItEEZNS1_11reduce_implILb1ES3_N6thrust23THRUST_200600_302600_NS6detail15normal_iteratorINS8_10device_ptrItEEEEPtt9plus_mod3ItEEE10hipError_tPvRmT1_T2_T3_mT4_P12ihipStream_tbEUlT_E1_NS1_11comp_targetILNS1_3genE4ELNS1_11target_archE910ELNS1_3gpuE8ELNS1_3repE0EEENS1_30default_config_static_selectorELNS0_4arch9wavefront6targetE1EEEvSK_
                                        ; -- End function
	.set _ZN7rocprim17ROCPRIM_400000_NS6detail17trampoline_kernelINS0_14default_configENS1_22reduce_config_selectorItEEZNS1_11reduce_implILb1ES3_N6thrust23THRUST_200600_302600_NS6detail15normal_iteratorINS8_10device_ptrItEEEEPtt9plus_mod3ItEEE10hipError_tPvRmT1_T2_T3_mT4_P12ihipStream_tbEUlT_E1_NS1_11comp_targetILNS1_3genE4ELNS1_11target_archE910ELNS1_3gpuE8ELNS1_3repE0EEENS1_30default_config_static_selectorELNS0_4arch9wavefront6targetE1EEEvSK_.num_vgpr, 0
	.set _ZN7rocprim17ROCPRIM_400000_NS6detail17trampoline_kernelINS0_14default_configENS1_22reduce_config_selectorItEEZNS1_11reduce_implILb1ES3_N6thrust23THRUST_200600_302600_NS6detail15normal_iteratorINS8_10device_ptrItEEEEPtt9plus_mod3ItEEE10hipError_tPvRmT1_T2_T3_mT4_P12ihipStream_tbEUlT_E1_NS1_11comp_targetILNS1_3genE4ELNS1_11target_archE910ELNS1_3gpuE8ELNS1_3repE0EEENS1_30default_config_static_selectorELNS0_4arch9wavefront6targetE1EEEvSK_.num_agpr, 0
	.set _ZN7rocprim17ROCPRIM_400000_NS6detail17trampoline_kernelINS0_14default_configENS1_22reduce_config_selectorItEEZNS1_11reduce_implILb1ES3_N6thrust23THRUST_200600_302600_NS6detail15normal_iteratorINS8_10device_ptrItEEEEPtt9plus_mod3ItEEE10hipError_tPvRmT1_T2_T3_mT4_P12ihipStream_tbEUlT_E1_NS1_11comp_targetILNS1_3genE4ELNS1_11target_archE910ELNS1_3gpuE8ELNS1_3repE0EEENS1_30default_config_static_selectorELNS0_4arch9wavefront6targetE1EEEvSK_.numbered_sgpr, 0
	.set _ZN7rocprim17ROCPRIM_400000_NS6detail17trampoline_kernelINS0_14default_configENS1_22reduce_config_selectorItEEZNS1_11reduce_implILb1ES3_N6thrust23THRUST_200600_302600_NS6detail15normal_iteratorINS8_10device_ptrItEEEEPtt9plus_mod3ItEEE10hipError_tPvRmT1_T2_T3_mT4_P12ihipStream_tbEUlT_E1_NS1_11comp_targetILNS1_3genE4ELNS1_11target_archE910ELNS1_3gpuE8ELNS1_3repE0EEENS1_30default_config_static_selectorELNS0_4arch9wavefront6targetE1EEEvSK_.num_named_barrier, 0
	.set _ZN7rocprim17ROCPRIM_400000_NS6detail17trampoline_kernelINS0_14default_configENS1_22reduce_config_selectorItEEZNS1_11reduce_implILb1ES3_N6thrust23THRUST_200600_302600_NS6detail15normal_iteratorINS8_10device_ptrItEEEEPtt9plus_mod3ItEEE10hipError_tPvRmT1_T2_T3_mT4_P12ihipStream_tbEUlT_E1_NS1_11comp_targetILNS1_3genE4ELNS1_11target_archE910ELNS1_3gpuE8ELNS1_3repE0EEENS1_30default_config_static_selectorELNS0_4arch9wavefront6targetE1EEEvSK_.private_seg_size, 0
	.set _ZN7rocprim17ROCPRIM_400000_NS6detail17trampoline_kernelINS0_14default_configENS1_22reduce_config_selectorItEEZNS1_11reduce_implILb1ES3_N6thrust23THRUST_200600_302600_NS6detail15normal_iteratorINS8_10device_ptrItEEEEPtt9plus_mod3ItEEE10hipError_tPvRmT1_T2_T3_mT4_P12ihipStream_tbEUlT_E1_NS1_11comp_targetILNS1_3genE4ELNS1_11target_archE910ELNS1_3gpuE8ELNS1_3repE0EEENS1_30default_config_static_selectorELNS0_4arch9wavefront6targetE1EEEvSK_.uses_vcc, 0
	.set _ZN7rocprim17ROCPRIM_400000_NS6detail17trampoline_kernelINS0_14default_configENS1_22reduce_config_selectorItEEZNS1_11reduce_implILb1ES3_N6thrust23THRUST_200600_302600_NS6detail15normal_iteratorINS8_10device_ptrItEEEEPtt9plus_mod3ItEEE10hipError_tPvRmT1_T2_T3_mT4_P12ihipStream_tbEUlT_E1_NS1_11comp_targetILNS1_3genE4ELNS1_11target_archE910ELNS1_3gpuE8ELNS1_3repE0EEENS1_30default_config_static_selectorELNS0_4arch9wavefront6targetE1EEEvSK_.uses_flat_scratch, 0
	.set _ZN7rocprim17ROCPRIM_400000_NS6detail17trampoline_kernelINS0_14default_configENS1_22reduce_config_selectorItEEZNS1_11reduce_implILb1ES3_N6thrust23THRUST_200600_302600_NS6detail15normal_iteratorINS8_10device_ptrItEEEEPtt9plus_mod3ItEEE10hipError_tPvRmT1_T2_T3_mT4_P12ihipStream_tbEUlT_E1_NS1_11comp_targetILNS1_3genE4ELNS1_11target_archE910ELNS1_3gpuE8ELNS1_3repE0EEENS1_30default_config_static_selectorELNS0_4arch9wavefront6targetE1EEEvSK_.has_dyn_sized_stack, 0
	.set _ZN7rocprim17ROCPRIM_400000_NS6detail17trampoline_kernelINS0_14default_configENS1_22reduce_config_selectorItEEZNS1_11reduce_implILb1ES3_N6thrust23THRUST_200600_302600_NS6detail15normal_iteratorINS8_10device_ptrItEEEEPtt9plus_mod3ItEEE10hipError_tPvRmT1_T2_T3_mT4_P12ihipStream_tbEUlT_E1_NS1_11comp_targetILNS1_3genE4ELNS1_11target_archE910ELNS1_3gpuE8ELNS1_3repE0EEENS1_30default_config_static_selectorELNS0_4arch9wavefront6targetE1EEEvSK_.has_recursion, 0
	.set _ZN7rocprim17ROCPRIM_400000_NS6detail17trampoline_kernelINS0_14default_configENS1_22reduce_config_selectorItEEZNS1_11reduce_implILb1ES3_N6thrust23THRUST_200600_302600_NS6detail15normal_iteratorINS8_10device_ptrItEEEEPtt9plus_mod3ItEEE10hipError_tPvRmT1_T2_T3_mT4_P12ihipStream_tbEUlT_E1_NS1_11comp_targetILNS1_3genE4ELNS1_11target_archE910ELNS1_3gpuE8ELNS1_3repE0EEENS1_30default_config_static_selectorELNS0_4arch9wavefront6targetE1EEEvSK_.has_indirect_call, 0
	.section	.AMDGPU.csdata,"",@progbits
; Kernel info:
; codeLenInByte = 0
; TotalNumSgprs: 6
; NumVgprs: 0
; NumAgprs: 0
; TotalNumVgprs: 0
; ScratchSize: 0
; MemoryBound: 0
; FloatMode: 240
; IeeeMode: 1
; LDSByteSize: 0 bytes/workgroup (compile time only)
; SGPRBlocks: 0
; VGPRBlocks: 0
; NumSGPRsForWavesPerEU: 6
; NumVGPRsForWavesPerEU: 1
; AccumOffset: 4
; Occupancy: 8
; WaveLimiterHint : 0
; COMPUTE_PGM_RSRC2:SCRATCH_EN: 0
; COMPUTE_PGM_RSRC2:USER_SGPR: 2
; COMPUTE_PGM_RSRC2:TRAP_HANDLER: 0
; COMPUTE_PGM_RSRC2:TGID_X_EN: 1
; COMPUTE_PGM_RSRC2:TGID_Y_EN: 0
; COMPUTE_PGM_RSRC2:TGID_Z_EN: 0
; COMPUTE_PGM_RSRC2:TIDIG_COMP_CNT: 0
; COMPUTE_PGM_RSRC3_GFX90A:ACCUM_OFFSET: 0
; COMPUTE_PGM_RSRC3_GFX90A:TG_SPLIT: 0
	.section	.text._ZN7rocprim17ROCPRIM_400000_NS6detail17trampoline_kernelINS0_14default_configENS1_22reduce_config_selectorItEEZNS1_11reduce_implILb1ES3_N6thrust23THRUST_200600_302600_NS6detail15normal_iteratorINS8_10device_ptrItEEEEPtt9plus_mod3ItEEE10hipError_tPvRmT1_T2_T3_mT4_P12ihipStream_tbEUlT_E1_NS1_11comp_targetILNS1_3genE3ELNS1_11target_archE908ELNS1_3gpuE7ELNS1_3repE0EEENS1_30default_config_static_selectorELNS0_4arch9wavefront6targetE1EEEvSK_,"axG",@progbits,_ZN7rocprim17ROCPRIM_400000_NS6detail17trampoline_kernelINS0_14default_configENS1_22reduce_config_selectorItEEZNS1_11reduce_implILb1ES3_N6thrust23THRUST_200600_302600_NS6detail15normal_iteratorINS8_10device_ptrItEEEEPtt9plus_mod3ItEEE10hipError_tPvRmT1_T2_T3_mT4_P12ihipStream_tbEUlT_E1_NS1_11comp_targetILNS1_3genE3ELNS1_11target_archE908ELNS1_3gpuE7ELNS1_3repE0EEENS1_30default_config_static_selectorELNS0_4arch9wavefront6targetE1EEEvSK_,comdat
	.protected	_ZN7rocprim17ROCPRIM_400000_NS6detail17trampoline_kernelINS0_14default_configENS1_22reduce_config_selectorItEEZNS1_11reduce_implILb1ES3_N6thrust23THRUST_200600_302600_NS6detail15normal_iteratorINS8_10device_ptrItEEEEPtt9plus_mod3ItEEE10hipError_tPvRmT1_T2_T3_mT4_P12ihipStream_tbEUlT_E1_NS1_11comp_targetILNS1_3genE3ELNS1_11target_archE908ELNS1_3gpuE7ELNS1_3repE0EEENS1_30default_config_static_selectorELNS0_4arch9wavefront6targetE1EEEvSK_ ; -- Begin function _ZN7rocprim17ROCPRIM_400000_NS6detail17trampoline_kernelINS0_14default_configENS1_22reduce_config_selectorItEEZNS1_11reduce_implILb1ES3_N6thrust23THRUST_200600_302600_NS6detail15normal_iteratorINS8_10device_ptrItEEEEPtt9plus_mod3ItEEE10hipError_tPvRmT1_T2_T3_mT4_P12ihipStream_tbEUlT_E1_NS1_11comp_targetILNS1_3genE3ELNS1_11target_archE908ELNS1_3gpuE7ELNS1_3repE0EEENS1_30default_config_static_selectorELNS0_4arch9wavefront6targetE1EEEvSK_
	.globl	_ZN7rocprim17ROCPRIM_400000_NS6detail17trampoline_kernelINS0_14default_configENS1_22reduce_config_selectorItEEZNS1_11reduce_implILb1ES3_N6thrust23THRUST_200600_302600_NS6detail15normal_iteratorINS8_10device_ptrItEEEEPtt9plus_mod3ItEEE10hipError_tPvRmT1_T2_T3_mT4_P12ihipStream_tbEUlT_E1_NS1_11comp_targetILNS1_3genE3ELNS1_11target_archE908ELNS1_3gpuE7ELNS1_3repE0EEENS1_30default_config_static_selectorELNS0_4arch9wavefront6targetE1EEEvSK_
	.p2align	8
	.type	_ZN7rocprim17ROCPRIM_400000_NS6detail17trampoline_kernelINS0_14default_configENS1_22reduce_config_selectorItEEZNS1_11reduce_implILb1ES3_N6thrust23THRUST_200600_302600_NS6detail15normal_iteratorINS8_10device_ptrItEEEEPtt9plus_mod3ItEEE10hipError_tPvRmT1_T2_T3_mT4_P12ihipStream_tbEUlT_E1_NS1_11comp_targetILNS1_3genE3ELNS1_11target_archE908ELNS1_3gpuE7ELNS1_3repE0EEENS1_30default_config_static_selectorELNS0_4arch9wavefront6targetE1EEEvSK_,@function
_ZN7rocprim17ROCPRIM_400000_NS6detail17trampoline_kernelINS0_14default_configENS1_22reduce_config_selectorItEEZNS1_11reduce_implILb1ES3_N6thrust23THRUST_200600_302600_NS6detail15normal_iteratorINS8_10device_ptrItEEEEPtt9plus_mod3ItEEE10hipError_tPvRmT1_T2_T3_mT4_P12ihipStream_tbEUlT_E1_NS1_11comp_targetILNS1_3genE3ELNS1_11target_archE908ELNS1_3gpuE7ELNS1_3repE0EEENS1_30default_config_static_selectorELNS0_4arch9wavefront6targetE1EEEvSK_: ; @_ZN7rocprim17ROCPRIM_400000_NS6detail17trampoline_kernelINS0_14default_configENS1_22reduce_config_selectorItEEZNS1_11reduce_implILb1ES3_N6thrust23THRUST_200600_302600_NS6detail15normal_iteratorINS8_10device_ptrItEEEEPtt9plus_mod3ItEEE10hipError_tPvRmT1_T2_T3_mT4_P12ihipStream_tbEUlT_E1_NS1_11comp_targetILNS1_3genE3ELNS1_11target_archE908ELNS1_3gpuE7ELNS1_3repE0EEENS1_30default_config_static_selectorELNS0_4arch9wavefront6targetE1EEEvSK_
; %bb.0:
	.section	.rodata,"a",@progbits
	.p2align	6, 0x0
	.amdhsa_kernel _ZN7rocprim17ROCPRIM_400000_NS6detail17trampoline_kernelINS0_14default_configENS1_22reduce_config_selectorItEEZNS1_11reduce_implILb1ES3_N6thrust23THRUST_200600_302600_NS6detail15normal_iteratorINS8_10device_ptrItEEEEPtt9plus_mod3ItEEE10hipError_tPvRmT1_T2_T3_mT4_P12ihipStream_tbEUlT_E1_NS1_11comp_targetILNS1_3genE3ELNS1_11target_archE908ELNS1_3gpuE7ELNS1_3repE0EEENS1_30default_config_static_selectorELNS0_4arch9wavefront6targetE1EEEvSK_
		.amdhsa_group_segment_fixed_size 0
		.amdhsa_private_segment_fixed_size 0
		.amdhsa_kernarg_size 48
		.amdhsa_user_sgpr_count 2
		.amdhsa_user_sgpr_dispatch_ptr 0
		.amdhsa_user_sgpr_queue_ptr 0
		.amdhsa_user_sgpr_kernarg_segment_ptr 1
		.amdhsa_user_sgpr_dispatch_id 0
		.amdhsa_user_sgpr_kernarg_preload_length 0
		.amdhsa_user_sgpr_kernarg_preload_offset 0
		.amdhsa_user_sgpr_private_segment_size 0
		.amdhsa_uses_dynamic_stack 0
		.amdhsa_enable_private_segment 0
		.amdhsa_system_sgpr_workgroup_id_x 1
		.amdhsa_system_sgpr_workgroup_id_y 0
		.amdhsa_system_sgpr_workgroup_id_z 0
		.amdhsa_system_sgpr_workgroup_info 0
		.amdhsa_system_vgpr_workitem_id 0
		.amdhsa_next_free_vgpr 1
		.amdhsa_next_free_sgpr 0
		.amdhsa_accum_offset 4
		.amdhsa_reserve_vcc 0
		.amdhsa_float_round_mode_32 0
		.amdhsa_float_round_mode_16_64 0
		.amdhsa_float_denorm_mode_32 3
		.amdhsa_float_denorm_mode_16_64 3
		.amdhsa_dx10_clamp 1
		.amdhsa_ieee_mode 1
		.amdhsa_fp16_overflow 0
		.amdhsa_tg_split 0
		.amdhsa_exception_fp_ieee_invalid_op 0
		.amdhsa_exception_fp_denorm_src 0
		.amdhsa_exception_fp_ieee_div_zero 0
		.amdhsa_exception_fp_ieee_overflow 0
		.amdhsa_exception_fp_ieee_underflow 0
		.amdhsa_exception_fp_ieee_inexact 0
		.amdhsa_exception_int_div_zero 0
	.end_amdhsa_kernel
	.section	.text._ZN7rocprim17ROCPRIM_400000_NS6detail17trampoline_kernelINS0_14default_configENS1_22reduce_config_selectorItEEZNS1_11reduce_implILb1ES3_N6thrust23THRUST_200600_302600_NS6detail15normal_iteratorINS8_10device_ptrItEEEEPtt9plus_mod3ItEEE10hipError_tPvRmT1_T2_T3_mT4_P12ihipStream_tbEUlT_E1_NS1_11comp_targetILNS1_3genE3ELNS1_11target_archE908ELNS1_3gpuE7ELNS1_3repE0EEENS1_30default_config_static_selectorELNS0_4arch9wavefront6targetE1EEEvSK_,"axG",@progbits,_ZN7rocprim17ROCPRIM_400000_NS6detail17trampoline_kernelINS0_14default_configENS1_22reduce_config_selectorItEEZNS1_11reduce_implILb1ES3_N6thrust23THRUST_200600_302600_NS6detail15normal_iteratorINS8_10device_ptrItEEEEPtt9plus_mod3ItEEE10hipError_tPvRmT1_T2_T3_mT4_P12ihipStream_tbEUlT_E1_NS1_11comp_targetILNS1_3genE3ELNS1_11target_archE908ELNS1_3gpuE7ELNS1_3repE0EEENS1_30default_config_static_selectorELNS0_4arch9wavefront6targetE1EEEvSK_,comdat
.Lfunc_end869:
	.size	_ZN7rocprim17ROCPRIM_400000_NS6detail17trampoline_kernelINS0_14default_configENS1_22reduce_config_selectorItEEZNS1_11reduce_implILb1ES3_N6thrust23THRUST_200600_302600_NS6detail15normal_iteratorINS8_10device_ptrItEEEEPtt9plus_mod3ItEEE10hipError_tPvRmT1_T2_T3_mT4_P12ihipStream_tbEUlT_E1_NS1_11comp_targetILNS1_3genE3ELNS1_11target_archE908ELNS1_3gpuE7ELNS1_3repE0EEENS1_30default_config_static_selectorELNS0_4arch9wavefront6targetE1EEEvSK_, .Lfunc_end869-_ZN7rocprim17ROCPRIM_400000_NS6detail17trampoline_kernelINS0_14default_configENS1_22reduce_config_selectorItEEZNS1_11reduce_implILb1ES3_N6thrust23THRUST_200600_302600_NS6detail15normal_iteratorINS8_10device_ptrItEEEEPtt9plus_mod3ItEEE10hipError_tPvRmT1_T2_T3_mT4_P12ihipStream_tbEUlT_E1_NS1_11comp_targetILNS1_3genE3ELNS1_11target_archE908ELNS1_3gpuE7ELNS1_3repE0EEENS1_30default_config_static_selectorELNS0_4arch9wavefront6targetE1EEEvSK_
                                        ; -- End function
	.set _ZN7rocprim17ROCPRIM_400000_NS6detail17trampoline_kernelINS0_14default_configENS1_22reduce_config_selectorItEEZNS1_11reduce_implILb1ES3_N6thrust23THRUST_200600_302600_NS6detail15normal_iteratorINS8_10device_ptrItEEEEPtt9plus_mod3ItEEE10hipError_tPvRmT1_T2_T3_mT4_P12ihipStream_tbEUlT_E1_NS1_11comp_targetILNS1_3genE3ELNS1_11target_archE908ELNS1_3gpuE7ELNS1_3repE0EEENS1_30default_config_static_selectorELNS0_4arch9wavefront6targetE1EEEvSK_.num_vgpr, 0
	.set _ZN7rocprim17ROCPRIM_400000_NS6detail17trampoline_kernelINS0_14default_configENS1_22reduce_config_selectorItEEZNS1_11reduce_implILb1ES3_N6thrust23THRUST_200600_302600_NS6detail15normal_iteratorINS8_10device_ptrItEEEEPtt9plus_mod3ItEEE10hipError_tPvRmT1_T2_T3_mT4_P12ihipStream_tbEUlT_E1_NS1_11comp_targetILNS1_3genE3ELNS1_11target_archE908ELNS1_3gpuE7ELNS1_3repE0EEENS1_30default_config_static_selectorELNS0_4arch9wavefront6targetE1EEEvSK_.num_agpr, 0
	.set _ZN7rocprim17ROCPRIM_400000_NS6detail17trampoline_kernelINS0_14default_configENS1_22reduce_config_selectorItEEZNS1_11reduce_implILb1ES3_N6thrust23THRUST_200600_302600_NS6detail15normal_iteratorINS8_10device_ptrItEEEEPtt9plus_mod3ItEEE10hipError_tPvRmT1_T2_T3_mT4_P12ihipStream_tbEUlT_E1_NS1_11comp_targetILNS1_3genE3ELNS1_11target_archE908ELNS1_3gpuE7ELNS1_3repE0EEENS1_30default_config_static_selectorELNS0_4arch9wavefront6targetE1EEEvSK_.numbered_sgpr, 0
	.set _ZN7rocprim17ROCPRIM_400000_NS6detail17trampoline_kernelINS0_14default_configENS1_22reduce_config_selectorItEEZNS1_11reduce_implILb1ES3_N6thrust23THRUST_200600_302600_NS6detail15normal_iteratorINS8_10device_ptrItEEEEPtt9plus_mod3ItEEE10hipError_tPvRmT1_T2_T3_mT4_P12ihipStream_tbEUlT_E1_NS1_11comp_targetILNS1_3genE3ELNS1_11target_archE908ELNS1_3gpuE7ELNS1_3repE0EEENS1_30default_config_static_selectorELNS0_4arch9wavefront6targetE1EEEvSK_.num_named_barrier, 0
	.set _ZN7rocprim17ROCPRIM_400000_NS6detail17trampoline_kernelINS0_14default_configENS1_22reduce_config_selectorItEEZNS1_11reduce_implILb1ES3_N6thrust23THRUST_200600_302600_NS6detail15normal_iteratorINS8_10device_ptrItEEEEPtt9plus_mod3ItEEE10hipError_tPvRmT1_T2_T3_mT4_P12ihipStream_tbEUlT_E1_NS1_11comp_targetILNS1_3genE3ELNS1_11target_archE908ELNS1_3gpuE7ELNS1_3repE0EEENS1_30default_config_static_selectorELNS0_4arch9wavefront6targetE1EEEvSK_.private_seg_size, 0
	.set _ZN7rocprim17ROCPRIM_400000_NS6detail17trampoline_kernelINS0_14default_configENS1_22reduce_config_selectorItEEZNS1_11reduce_implILb1ES3_N6thrust23THRUST_200600_302600_NS6detail15normal_iteratorINS8_10device_ptrItEEEEPtt9plus_mod3ItEEE10hipError_tPvRmT1_T2_T3_mT4_P12ihipStream_tbEUlT_E1_NS1_11comp_targetILNS1_3genE3ELNS1_11target_archE908ELNS1_3gpuE7ELNS1_3repE0EEENS1_30default_config_static_selectorELNS0_4arch9wavefront6targetE1EEEvSK_.uses_vcc, 0
	.set _ZN7rocprim17ROCPRIM_400000_NS6detail17trampoline_kernelINS0_14default_configENS1_22reduce_config_selectorItEEZNS1_11reduce_implILb1ES3_N6thrust23THRUST_200600_302600_NS6detail15normal_iteratorINS8_10device_ptrItEEEEPtt9plus_mod3ItEEE10hipError_tPvRmT1_T2_T3_mT4_P12ihipStream_tbEUlT_E1_NS1_11comp_targetILNS1_3genE3ELNS1_11target_archE908ELNS1_3gpuE7ELNS1_3repE0EEENS1_30default_config_static_selectorELNS0_4arch9wavefront6targetE1EEEvSK_.uses_flat_scratch, 0
	.set _ZN7rocprim17ROCPRIM_400000_NS6detail17trampoline_kernelINS0_14default_configENS1_22reduce_config_selectorItEEZNS1_11reduce_implILb1ES3_N6thrust23THRUST_200600_302600_NS6detail15normal_iteratorINS8_10device_ptrItEEEEPtt9plus_mod3ItEEE10hipError_tPvRmT1_T2_T3_mT4_P12ihipStream_tbEUlT_E1_NS1_11comp_targetILNS1_3genE3ELNS1_11target_archE908ELNS1_3gpuE7ELNS1_3repE0EEENS1_30default_config_static_selectorELNS0_4arch9wavefront6targetE1EEEvSK_.has_dyn_sized_stack, 0
	.set _ZN7rocprim17ROCPRIM_400000_NS6detail17trampoline_kernelINS0_14default_configENS1_22reduce_config_selectorItEEZNS1_11reduce_implILb1ES3_N6thrust23THRUST_200600_302600_NS6detail15normal_iteratorINS8_10device_ptrItEEEEPtt9plus_mod3ItEEE10hipError_tPvRmT1_T2_T3_mT4_P12ihipStream_tbEUlT_E1_NS1_11comp_targetILNS1_3genE3ELNS1_11target_archE908ELNS1_3gpuE7ELNS1_3repE0EEENS1_30default_config_static_selectorELNS0_4arch9wavefront6targetE1EEEvSK_.has_recursion, 0
	.set _ZN7rocprim17ROCPRIM_400000_NS6detail17trampoline_kernelINS0_14default_configENS1_22reduce_config_selectorItEEZNS1_11reduce_implILb1ES3_N6thrust23THRUST_200600_302600_NS6detail15normal_iteratorINS8_10device_ptrItEEEEPtt9plus_mod3ItEEE10hipError_tPvRmT1_T2_T3_mT4_P12ihipStream_tbEUlT_E1_NS1_11comp_targetILNS1_3genE3ELNS1_11target_archE908ELNS1_3gpuE7ELNS1_3repE0EEENS1_30default_config_static_selectorELNS0_4arch9wavefront6targetE1EEEvSK_.has_indirect_call, 0
	.section	.AMDGPU.csdata,"",@progbits
; Kernel info:
; codeLenInByte = 0
; TotalNumSgprs: 6
; NumVgprs: 0
; NumAgprs: 0
; TotalNumVgprs: 0
; ScratchSize: 0
; MemoryBound: 0
; FloatMode: 240
; IeeeMode: 1
; LDSByteSize: 0 bytes/workgroup (compile time only)
; SGPRBlocks: 0
; VGPRBlocks: 0
; NumSGPRsForWavesPerEU: 6
; NumVGPRsForWavesPerEU: 1
; AccumOffset: 4
; Occupancy: 8
; WaveLimiterHint : 0
; COMPUTE_PGM_RSRC2:SCRATCH_EN: 0
; COMPUTE_PGM_RSRC2:USER_SGPR: 2
; COMPUTE_PGM_RSRC2:TRAP_HANDLER: 0
; COMPUTE_PGM_RSRC2:TGID_X_EN: 1
; COMPUTE_PGM_RSRC2:TGID_Y_EN: 0
; COMPUTE_PGM_RSRC2:TGID_Z_EN: 0
; COMPUTE_PGM_RSRC2:TIDIG_COMP_CNT: 0
; COMPUTE_PGM_RSRC3_GFX90A:ACCUM_OFFSET: 0
; COMPUTE_PGM_RSRC3_GFX90A:TG_SPLIT: 0
	.section	.text._ZN7rocprim17ROCPRIM_400000_NS6detail17trampoline_kernelINS0_14default_configENS1_22reduce_config_selectorItEEZNS1_11reduce_implILb1ES3_N6thrust23THRUST_200600_302600_NS6detail15normal_iteratorINS8_10device_ptrItEEEEPtt9plus_mod3ItEEE10hipError_tPvRmT1_T2_T3_mT4_P12ihipStream_tbEUlT_E1_NS1_11comp_targetILNS1_3genE2ELNS1_11target_archE906ELNS1_3gpuE6ELNS1_3repE0EEENS1_30default_config_static_selectorELNS0_4arch9wavefront6targetE1EEEvSK_,"axG",@progbits,_ZN7rocprim17ROCPRIM_400000_NS6detail17trampoline_kernelINS0_14default_configENS1_22reduce_config_selectorItEEZNS1_11reduce_implILb1ES3_N6thrust23THRUST_200600_302600_NS6detail15normal_iteratorINS8_10device_ptrItEEEEPtt9plus_mod3ItEEE10hipError_tPvRmT1_T2_T3_mT4_P12ihipStream_tbEUlT_E1_NS1_11comp_targetILNS1_3genE2ELNS1_11target_archE906ELNS1_3gpuE6ELNS1_3repE0EEENS1_30default_config_static_selectorELNS0_4arch9wavefront6targetE1EEEvSK_,comdat
	.protected	_ZN7rocprim17ROCPRIM_400000_NS6detail17trampoline_kernelINS0_14default_configENS1_22reduce_config_selectorItEEZNS1_11reduce_implILb1ES3_N6thrust23THRUST_200600_302600_NS6detail15normal_iteratorINS8_10device_ptrItEEEEPtt9plus_mod3ItEEE10hipError_tPvRmT1_T2_T3_mT4_P12ihipStream_tbEUlT_E1_NS1_11comp_targetILNS1_3genE2ELNS1_11target_archE906ELNS1_3gpuE6ELNS1_3repE0EEENS1_30default_config_static_selectorELNS0_4arch9wavefront6targetE1EEEvSK_ ; -- Begin function _ZN7rocprim17ROCPRIM_400000_NS6detail17trampoline_kernelINS0_14default_configENS1_22reduce_config_selectorItEEZNS1_11reduce_implILb1ES3_N6thrust23THRUST_200600_302600_NS6detail15normal_iteratorINS8_10device_ptrItEEEEPtt9plus_mod3ItEEE10hipError_tPvRmT1_T2_T3_mT4_P12ihipStream_tbEUlT_E1_NS1_11comp_targetILNS1_3genE2ELNS1_11target_archE906ELNS1_3gpuE6ELNS1_3repE0EEENS1_30default_config_static_selectorELNS0_4arch9wavefront6targetE1EEEvSK_
	.globl	_ZN7rocprim17ROCPRIM_400000_NS6detail17trampoline_kernelINS0_14default_configENS1_22reduce_config_selectorItEEZNS1_11reduce_implILb1ES3_N6thrust23THRUST_200600_302600_NS6detail15normal_iteratorINS8_10device_ptrItEEEEPtt9plus_mod3ItEEE10hipError_tPvRmT1_T2_T3_mT4_P12ihipStream_tbEUlT_E1_NS1_11comp_targetILNS1_3genE2ELNS1_11target_archE906ELNS1_3gpuE6ELNS1_3repE0EEENS1_30default_config_static_selectorELNS0_4arch9wavefront6targetE1EEEvSK_
	.p2align	8
	.type	_ZN7rocprim17ROCPRIM_400000_NS6detail17trampoline_kernelINS0_14default_configENS1_22reduce_config_selectorItEEZNS1_11reduce_implILb1ES3_N6thrust23THRUST_200600_302600_NS6detail15normal_iteratorINS8_10device_ptrItEEEEPtt9plus_mod3ItEEE10hipError_tPvRmT1_T2_T3_mT4_P12ihipStream_tbEUlT_E1_NS1_11comp_targetILNS1_3genE2ELNS1_11target_archE906ELNS1_3gpuE6ELNS1_3repE0EEENS1_30default_config_static_selectorELNS0_4arch9wavefront6targetE1EEEvSK_,@function
_ZN7rocprim17ROCPRIM_400000_NS6detail17trampoline_kernelINS0_14default_configENS1_22reduce_config_selectorItEEZNS1_11reduce_implILb1ES3_N6thrust23THRUST_200600_302600_NS6detail15normal_iteratorINS8_10device_ptrItEEEEPtt9plus_mod3ItEEE10hipError_tPvRmT1_T2_T3_mT4_P12ihipStream_tbEUlT_E1_NS1_11comp_targetILNS1_3genE2ELNS1_11target_archE906ELNS1_3gpuE6ELNS1_3repE0EEENS1_30default_config_static_selectorELNS0_4arch9wavefront6targetE1EEEvSK_: ; @_ZN7rocprim17ROCPRIM_400000_NS6detail17trampoline_kernelINS0_14default_configENS1_22reduce_config_selectorItEEZNS1_11reduce_implILb1ES3_N6thrust23THRUST_200600_302600_NS6detail15normal_iteratorINS8_10device_ptrItEEEEPtt9plus_mod3ItEEE10hipError_tPvRmT1_T2_T3_mT4_P12ihipStream_tbEUlT_E1_NS1_11comp_targetILNS1_3genE2ELNS1_11target_archE906ELNS1_3gpuE6ELNS1_3repE0EEENS1_30default_config_static_selectorELNS0_4arch9wavefront6targetE1EEEvSK_
; %bb.0:
	.section	.rodata,"a",@progbits
	.p2align	6, 0x0
	.amdhsa_kernel _ZN7rocprim17ROCPRIM_400000_NS6detail17trampoline_kernelINS0_14default_configENS1_22reduce_config_selectorItEEZNS1_11reduce_implILb1ES3_N6thrust23THRUST_200600_302600_NS6detail15normal_iteratorINS8_10device_ptrItEEEEPtt9plus_mod3ItEEE10hipError_tPvRmT1_T2_T3_mT4_P12ihipStream_tbEUlT_E1_NS1_11comp_targetILNS1_3genE2ELNS1_11target_archE906ELNS1_3gpuE6ELNS1_3repE0EEENS1_30default_config_static_selectorELNS0_4arch9wavefront6targetE1EEEvSK_
		.amdhsa_group_segment_fixed_size 0
		.amdhsa_private_segment_fixed_size 0
		.amdhsa_kernarg_size 48
		.amdhsa_user_sgpr_count 2
		.amdhsa_user_sgpr_dispatch_ptr 0
		.amdhsa_user_sgpr_queue_ptr 0
		.amdhsa_user_sgpr_kernarg_segment_ptr 1
		.amdhsa_user_sgpr_dispatch_id 0
		.amdhsa_user_sgpr_kernarg_preload_length 0
		.amdhsa_user_sgpr_kernarg_preload_offset 0
		.amdhsa_user_sgpr_private_segment_size 0
		.amdhsa_uses_dynamic_stack 0
		.amdhsa_enable_private_segment 0
		.amdhsa_system_sgpr_workgroup_id_x 1
		.amdhsa_system_sgpr_workgroup_id_y 0
		.amdhsa_system_sgpr_workgroup_id_z 0
		.amdhsa_system_sgpr_workgroup_info 0
		.amdhsa_system_vgpr_workitem_id 0
		.amdhsa_next_free_vgpr 1
		.amdhsa_next_free_sgpr 0
		.amdhsa_accum_offset 4
		.amdhsa_reserve_vcc 0
		.amdhsa_float_round_mode_32 0
		.amdhsa_float_round_mode_16_64 0
		.amdhsa_float_denorm_mode_32 3
		.amdhsa_float_denorm_mode_16_64 3
		.amdhsa_dx10_clamp 1
		.amdhsa_ieee_mode 1
		.amdhsa_fp16_overflow 0
		.amdhsa_tg_split 0
		.amdhsa_exception_fp_ieee_invalid_op 0
		.amdhsa_exception_fp_denorm_src 0
		.amdhsa_exception_fp_ieee_div_zero 0
		.amdhsa_exception_fp_ieee_overflow 0
		.amdhsa_exception_fp_ieee_underflow 0
		.amdhsa_exception_fp_ieee_inexact 0
		.amdhsa_exception_int_div_zero 0
	.end_amdhsa_kernel
	.section	.text._ZN7rocprim17ROCPRIM_400000_NS6detail17trampoline_kernelINS0_14default_configENS1_22reduce_config_selectorItEEZNS1_11reduce_implILb1ES3_N6thrust23THRUST_200600_302600_NS6detail15normal_iteratorINS8_10device_ptrItEEEEPtt9plus_mod3ItEEE10hipError_tPvRmT1_T2_T3_mT4_P12ihipStream_tbEUlT_E1_NS1_11comp_targetILNS1_3genE2ELNS1_11target_archE906ELNS1_3gpuE6ELNS1_3repE0EEENS1_30default_config_static_selectorELNS0_4arch9wavefront6targetE1EEEvSK_,"axG",@progbits,_ZN7rocprim17ROCPRIM_400000_NS6detail17trampoline_kernelINS0_14default_configENS1_22reduce_config_selectorItEEZNS1_11reduce_implILb1ES3_N6thrust23THRUST_200600_302600_NS6detail15normal_iteratorINS8_10device_ptrItEEEEPtt9plus_mod3ItEEE10hipError_tPvRmT1_T2_T3_mT4_P12ihipStream_tbEUlT_E1_NS1_11comp_targetILNS1_3genE2ELNS1_11target_archE906ELNS1_3gpuE6ELNS1_3repE0EEENS1_30default_config_static_selectorELNS0_4arch9wavefront6targetE1EEEvSK_,comdat
.Lfunc_end870:
	.size	_ZN7rocprim17ROCPRIM_400000_NS6detail17trampoline_kernelINS0_14default_configENS1_22reduce_config_selectorItEEZNS1_11reduce_implILb1ES3_N6thrust23THRUST_200600_302600_NS6detail15normal_iteratorINS8_10device_ptrItEEEEPtt9plus_mod3ItEEE10hipError_tPvRmT1_T2_T3_mT4_P12ihipStream_tbEUlT_E1_NS1_11comp_targetILNS1_3genE2ELNS1_11target_archE906ELNS1_3gpuE6ELNS1_3repE0EEENS1_30default_config_static_selectorELNS0_4arch9wavefront6targetE1EEEvSK_, .Lfunc_end870-_ZN7rocprim17ROCPRIM_400000_NS6detail17trampoline_kernelINS0_14default_configENS1_22reduce_config_selectorItEEZNS1_11reduce_implILb1ES3_N6thrust23THRUST_200600_302600_NS6detail15normal_iteratorINS8_10device_ptrItEEEEPtt9plus_mod3ItEEE10hipError_tPvRmT1_T2_T3_mT4_P12ihipStream_tbEUlT_E1_NS1_11comp_targetILNS1_3genE2ELNS1_11target_archE906ELNS1_3gpuE6ELNS1_3repE0EEENS1_30default_config_static_selectorELNS0_4arch9wavefront6targetE1EEEvSK_
                                        ; -- End function
	.set _ZN7rocprim17ROCPRIM_400000_NS6detail17trampoline_kernelINS0_14default_configENS1_22reduce_config_selectorItEEZNS1_11reduce_implILb1ES3_N6thrust23THRUST_200600_302600_NS6detail15normal_iteratorINS8_10device_ptrItEEEEPtt9plus_mod3ItEEE10hipError_tPvRmT1_T2_T3_mT4_P12ihipStream_tbEUlT_E1_NS1_11comp_targetILNS1_3genE2ELNS1_11target_archE906ELNS1_3gpuE6ELNS1_3repE0EEENS1_30default_config_static_selectorELNS0_4arch9wavefront6targetE1EEEvSK_.num_vgpr, 0
	.set _ZN7rocprim17ROCPRIM_400000_NS6detail17trampoline_kernelINS0_14default_configENS1_22reduce_config_selectorItEEZNS1_11reduce_implILb1ES3_N6thrust23THRUST_200600_302600_NS6detail15normal_iteratorINS8_10device_ptrItEEEEPtt9plus_mod3ItEEE10hipError_tPvRmT1_T2_T3_mT4_P12ihipStream_tbEUlT_E1_NS1_11comp_targetILNS1_3genE2ELNS1_11target_archE906ELNS1_3gpuE6ELNS1_3repE0EEENS1_30default_config_static_selectorELNS0_4arch9wavefront6targetE1EEEvSK_.num_agpr, 0
	.set _ZN7rocprim17ROCPRIM_400000_NS6detail17trampoline_kernelINS0_14default_configENS1_22reduce_config_selectorItEEZNS1_11reduce_implILb1ES3_N6thrust23THRUST_200600_302600_NS6detail15normal_iteratorINS8_10device_ptrItEEEEPtt9plus_mod3ItEEE10hipError_tPvRmT1_T2_T3_mT4_P12ihipStream_tbEUlT_E1_NS1_11comp_targetILNS1_3genE2ELNS1_11target_archE906ELNS1_3gpuE6ELNS1_3repE0EEENS1_30default_config_static_selectorELNS0_4arch9wavefront6targetE1EEEvSK_.numbered_sgpr, 0
	.set _ZN7rocprim17ROCPRIM_400000_NS6detail17trampoline_kernelINS0_14default_configENS1_22reduce_config_selectorItEEZNS1_11reduce_implILb1ES3_N6thrust23THRUST_200600_302600_NS6detail15normal_iteratorINS8_10device_ptrItEEEEPtt9plus_mod3ItEEE10hipError_tPvRmT1_T2_T3_mT4_P12ihipStream_tbEUlT_E1_NS1_11comp_targetILNS1_3genE2ELNS1_11target_archE906ELNS1_3gpuE6ELNS1_3repE0EEENS1_30default_config_static_selectorELNS0_4arch9wavefront6targetE1EEEvSK_.num_named_barrier, 0
	.set _ZN7rocprim17ROCPRIM_400000_NS6detail17trampoline_kernelINS0_14default_configENS1_22reduce_config_selectorItEEZNS1_11reduce_implILb1ES3_N6thrust23THRUST_200600_302600_NS6detail15normal_iteratorINS8_10device_ptrItEEEEPtt9plus_mod3ItEEE10hipError_tPvRmT1_T2_T3_mT4_P12ihipStream_tbEUlT_E1_NS1_11comp_targetILNS1_3genE2ELNS1_11target_archE906ELNS1_3gpuE6ELNS1_3repE0EEENS1_30default_config_static_selectorELNS0_4arch9wavefront6targetE1EEEvSK_.private_seg_size, 0
	.set _ZN7rocprim17ROCPRIM_400000_NS6detail17trampoline_kernelINS0_14default_configENS1_22reduce_config_selectorItEEZNS1_11reduce_implILb1ES3_N6thrust23THRUST_200600_302600_NS6detail15normal_iteratorINS8_10device_ptrItEEEEPtt9plus_mod3ItEEE10hipError_tPvRmT1_T2_T3_mT4_P12ihipStream_tbEUlT_E1_NS1_11comp_targetILNS1_3genE2ELNS1_11target_archE906ELNS1_3gpuE6ELNS1_3repE0EEENS1_30default_config_static_selectorELNS0_4arch9wavefront6targetE1EEEvSK_.uses_vcc, 0
	.set _ZN7rocprim17ROCPRIM_400000_NS6detail17trampoline_kernelINS0_14default_configENS1_22reduce_config_selectorItEEZNS1_11reduce_implILb1ES3_N6thrust23THRUST_200600_302600_NS6detail15normal_iteratorINS8_10device_ptrItEEEEPtt9plus_mod3ItEEE10hipError_tPvRmT1_T2_T3_mT4_P12ihipStream_tbEUlT_E1_NS1_11comp_targetILNS1_3genE2ELNS1_11target_archE906ELNS1_3gpuE6ELNS1_3repE0EEENS1_30default_config_static_selectorELNS0_4arch9wavefront6targetE1EEEvSK_.uses_flat_scratch, 0
	.set _ZN7rocprim17ROCPRIM_400000_NS6detail17trampoline_kernelINS0_14default_configENS1_22reduce_config_selectorItEEZNS1_11reduce_implILb1ES3_N6thrust23THRUST_200600_302600_NS6detail15normal_iteratorINS8_10device_ptrItEEEEPtt9plus_mod3ItEEE10hipError_tPvRmT1_T2_T3_mT4_P12ihipStream_tbEUlT_E1_NS1_11comp_targetILNS1_3genE2ELNS1_11target_archE906ELNS1_3gpuE6ELNS1_3repE0EEENS1_30default_config_static_selectorELNS0_4arch9wavefront6targetE1EEEvSK_.has_dyn_sized_stack, 0
	.set _ZN7rocprim17ROCPRIM_400000_NS6detail17trampoline_kernelINS0_14default_configENS1_22reduce_config_selectorItEEZNS1_11reduce_implILb1ES3_N6thrust23THRUST_200600_302600_NS6detail15normal_iteratorINS8_10device_ptrItEEEEPtt9plus_mod3ItEEE10hipError_tPvRmT1_T2_T3_mT4_P12ihipStream_tbEUlT_E1_NS1_11comp_targetILNS1_3genE2ELNS1_11target_archE906ELNS1_3gpuE6ELNS1_3repE0EEENS1_30default_config_static_selectorELNS0_4arch9wavefront6targetE1EEEvSK_.has_recursion, 0
	.set _ZN7rocprim17ROCPRIM_400000_NS6detail17trampoline_kernelINS0_14default_configENS1_22reduce_config_selectorItEEZNS1_11reduce_implILb1ES3_N6thrust23THRUST_200600_302600_NS6detail15normal_iteratorINS8_10device_ptrItEEEEPtt9plus_mod3ItEEE10hipError_tPvRmT1_T2_T3_mT4_P12ihipStream_tbEUlT_E1_NS1_11comp_targetILNS1_3genE2ELNS1_11target_archE906ELNS1_3gpuE6ELNS1_3repE0EEENS1_30default_config_static_selectorELNS0_4arch9wavefront6targetE1EEEvSK_.has_indirect_call, 0
	.section	.AMDGPU.csdata,"",@progbits
; Kernel info:
; codeLenInByte = 0
; TotalNumSgprs: 6
; NumVgprs: 0
; NumAgprs: 0
; TotalNumVgprs: 0
; ScratchSize: 0
; MemoryBound: 0
; FloatMode: 240
; IeeeMode: 1
; LDSByteSize: 0 bytes/workgroup (compile time only)
; SGPRBlocks: 0
; VGPRBlocks: 0
; NumSGPRsForWavesPerEU: 6
; NumVGPRsForWavesPerEU: 1
; AccumOffset: 4
; Occupancy: 8
; WaveLimiterHint : 0
; COMPUTE_PGM_RSRC2:SCRATCH_EN: 0
; COMPUTE_PGM_RSRC2:USER_SGPR: 2
; COMPUTE_PGM_RSRC2:TRAP_HANDLER: 0
; COMPUTE_PGM_RSRC2:TGID_X_EN: 1
; COMPUTE_PGM_RSRC2:TGID_Y_EN: 0
; COMPUTE_PGM_RSRC2:TGID_Z_EN: 0
; COMPUTE_PGM_RSRC2:TIDIG_COMP_CNT: 0
; COMPUTE_PGM_RSRC3_GFX90A:ACCUM_OFFSET: 0
; COMPUTE_PGM_RSRC3_GFX90A:TG_SPLIT: 0
	.section	.text._ZN7rocprim17ROCPRIM_400000_NS6detail17trampoline_kernelINS0_14default_configENS1_22reduce_config_selectorItEEZNS1_11reduce_implILb1ES3_N6thrust23THRUST_200600_302600_NS6detail15normal_iteratorINS8_10device_ptrItEEEEPtt9plus_mod3ItEEE10hipError_tPvRmT1_T2_T3_mT4_P12ihipStream_tbEUlT_E1_NS1_11comp_targetILNS1_3genE10ELNS1_11target_archE1201ELNS1_3gpuE5ELNS1_3repE0EEENS1_30default_config_static_selectorELNS0_4arch9wavefront6targetE1EEEvSK_,"axG",@progbits,_ZN7rocprim17ROCPRIM_400000_NS6detail17trampoline_kernelINS0_14default_configENS1_22reduce_config_selectorItEEZNS1_11reduce_implILb1ES3_N6thrust23THRUST_200600_302600_NS6detail15normal_iteratorINS8_10device_ptrItEEEEPtt9plus_mod3ItEEE10hipError_tPvRmT1_T2_T3_mT4_P12ihipStream_tbEUlT_E1_NS1_11comp_targetILNS1_3genE10ELNS1_11target_archE1201ELNS1_3gpuE5ELNS1_3repE0EEENS1_30default_config_static_selectorELNS0_4arch9wavefront6targetE1EEEvSK_,comdat
	.protected	_ZN7rocprim17ROCPRIM_400000_NS6detail17trampoline_kernelINS0_14default_configENS1_22reduce_config_selectorItEEZNS1_11reduce_implILb1ES3_N6thrust23THRUST_200600_302600_NS6detail15normal_iteratorINS8_10device_ptrItEEEEPtt9plus_mod3ItEEE10hipError_tPvRmT1_T2_T3_mT4_P12ihipStream_tbEUlT_E1_NS1_11comp_targetILNS1_3genE10ELNS1_11target_archE1201ELNS1_3gpuE5ELNS1_3repE0EEENS1_30default_config_static_selectorELNS0_4arch9wavefront6targetE1EEEvSK_ ; -- Begin function _ZN7rocprim17ROCPRIM_400000_NS6detail17trampoline_kernelINS0_14default_configENS1_22reduce_config_selectorItEEZNS1_11reduce_implILb1ES3_N6thrust23THRUST_200600_302600_NS6detail15normal_iteratorINS8_10device_ptrItEEEEPtt9plus_mod3ItEEE10hipError_tPvRmT1_T2_T3_mT4_P12ihipStream_tbEUlT_E1_NS1_11comp_targetILNS1_3genE10ELNS1_11target_archE1201ELNS1_3gpuE5ELNS1_3repE0EEENS1_30default_config_static_selectorELNS0_4arch9wavefront6targetE1EEEvSK_
	.globl	_ZN7rocprim17ROCPRIM_400000_NS6detail17trampoline_kernelINS0_14default_configENS1_22reduce_config_selectorItEEZNS1_11reduce_implILb1ES3_N6thrust23THRUST_200600_302600_NS6detail15normal_iteratorINS8_10device_ptrItEEEEPtt9plus_mod3ItEEE10hipError_tPvRmT1_T2_T3_mT4_P12ihipStream_tbEUlT_E1_NS1_11comp_targetILNS1_3genE10ELNS1_11target_archE1201ELNS1_3gpuE5ELNS1_3repE0EEENS1_30default_config_static_selectorELNS0_4arch9wavefront6targetE1EEEvSK_
	.p2align	8
	.type	_ZN7rocprim17ROCPRIM_400000_NS6detail17trampoline_kernelINS0_14default_configENS1_22reduce_config_selectorItEEZNS1_11reduce_implILb1ES3_N6thrust23THRUST_200600_302600_NS6detail15normal_iteratorINS8_10device_ptrItEEEEPtt9plus_mod3ItEEE10hipError_tPvRmT1_T2_T3_mT4_P12ihipStream_tbEUlT_E1_NS1_11comp_targetILNS1_3genE10ELNS1_11target_archE1201ELNS1_3gpuE5ELNS1_3repE0EEENS1_30default_config_static_selectorELNS0_4arch9wavefront6targetE1EEEvSK_,@function
_ZN7rocprim17ROCPRIM_400000_NS6detail17trampoline_kernelINS0_14default_configENS1_22reduce_config_selectorItEEZNS1_11reduce_implILb1ES3_N6thrust23THRUST_200600_302600_NS6detail15normal_iteratorINS8_10device_ptrItEEEEPtt9plus_mod3ItEEE10hipError_tPvRmT1_T2_T3_mT4_P12ihipStream_tbEUlT_E1_NS1_11comp_targetILNS1_3genE10ELNS1_11target_archE1201ELNS1_3gpuE5ELNS1_3repE0EEENS1_30default_config_static_selectorELNS0_4arch9wavefront6targetE1EEEvSK_: ; @_ZN7rocprim17ROCPRIM_400000_NS6detail17trampoline_kernelINS0_14default_configENS1_22reduce_config_selectorItEEZNS1_11reduce_implILb1ES3_N6thrust23THRUST_200600_302600_NS6detail15normal_iteratorINS8_10device_ptrItEEEEPtt9plus_mod3ItEEE10hipError_tPvRmT1_T2_T3_mT4_P12ihipStream_tbEUlT_E1_NS1_11comp_targetILNS1_3genE10ELNS1_11target_archE1201ELNS1_3gpuE5ELNS1_3repE0EEENS1_30default_config_static_selectorELNS0_4arch9wavefront6targetE1EEEvSK_
; %bb.0:
	.section	.rodata,"a",@progbits
	.p2align	6, 0x0
	.amdhsa_kernel _ZN7rocprim17ROCPRIM_400000_NS6detail17trampoline_kernelINS0_14default_configENS1_22reduce_config_selectorItEEZNS1_11reduce_implILb1ES3_N6thrust23THRUST_200600_302600_NS6detail15normal_iteratorINS8_10device_ptrItEEEEPtt9plus_mod3ItEEE10hipError_tPvRmT1_T2_T3_mT4_P12ihipStream_tbEUlT_E1_NS1_11comp_targetILNS1_3genE10ELNS1_11target_archE1201ELNS1_3gpuE5ELNS1_3repE0EEENS1_30default_config_static_selectorELNS0_4arch9wavefront6targetE1EEEvSK_
		.amdhsa_group_segment_fixed_size 0
		.amdhsa_private_segment_fixed_size 0
		.amdhsa_kernarg_size 48
		.amdhsa_user_sgpr_count 2
		.amdhsa_user_sgpr_dispatch_ptr 0
		.amdhsa_user_sgpr_queue_ptr 0
		.amdhsa_user_sgpr_kernarg_segment_ptr 1
		.amdhsa_user_sgpr_dispatch_id 0
		.amdhsa_user_sgpr_kernarg_preload_length 0
		.amdhsa_user_sgpr_kernarg_preload_offset 0
		.amdhsa_user_sgpr_private_segment_size 0
		.amdhsa_uses_dynamic_stack 0
		.amdhsa_enable_private_segment 0
		.amdhsa_system_sgpr_workgroup_id_x 1
		.amdhsa_system_sgpr_workgroup_id_y 0
		.amdhsa_system_sgpr_workgroup_id_z 0
		.amdhsa_system_sgpr_workgroup_info 0
		.amdhsa_system_vgpr_workitem_id 0
		.amdhsa_next_free_vgpr 1
		.amdhsa_next_free_sgpr 0
		.amdhsa_accum_offset 4
		.amdhsa_reserve_vcc 0
		.amdhsa_float_round_mode_32 0
		.amdhsa_float_round_mode_16_64 0
		.amdhsa_float_denorm_mode_32 3
		.amdhsa_float_denorm_mode_16_64 3
		.amdhsa_dx10_clamp 1
		.amdhsa_ieee_mode 1
		.amdhsa_fp16_overflow 0
		.amdhsa_tg_split 0
		.amdhsa_exception_fp_ieee_invalid_op 0
		.amdhsa_exception_fp_denorm_src 0
		.amdhsa_exception_fp_ieee_div_zero 0
		.amdhsa_exception_fp_ieee_overflow 0
		.amdhsa_exception_fp_ieee_underflow 0
		.amdhsa_exception_fp_ieee_inexact 0
		.amdhsa_exception_int_div_zero 0
	.end_amdhsa_kernel
	.section	.text._ZN7rocprim17ROCPRIM_400000_NS6detail17trampoline_kernelINS0_14default_configENS1_22reduce_config_selectorItEEZNS1_11reduce_implILb1ES3_N6thrust23THRUST_200600_302600_NS6detail15normal_iteratorINS8_10device_ptrItEEEEPtt9plus_mod3ItEEE10hipError_tPvRmT1_T2_T3_mT4_P12ihipStream_tbEUlT_E1_NS1_11comp_targetILNS1_3genE10ELNS1_11target_archE1201ELNS1_3gpuE5ELNS1_3repE0EEENS1_30default_config_static_selectorELNS0_4arch9wavefront6targetE1EEEvSK_,"axG",@progbits,_ZN7rocprim17ROCPRIM_400000_NS6detail17trampoline_kernelINS0_14default_configENS1_22reduce_config_selectorItEEZNS1_11reduce_implILb1ES3_N6thrust23THRUST_200600_302600_NS6detail15normal_iteratorINS8_10device_ptrItEEEEPtt9plus_mod3ItEEE10hipError_tPvRmT1_T2_T3_mT4_P12ihipStream_tbEUlT_E1_NS1_11comp_targetILNS1_3genE10ELNS1_11target_archE1201ELNS1_3gpuE5ELNS1_3repE0EEENS1_30default_config_static_selectorELNS0_4arch9wavefront6targetE1EEEvSK_,comdat
.Lfunc_end871:
	.size	_ZN7rocprim17ROCPRIM_400000_NS6detail17trampoline_kernelINS0_14default_configENS1_22reduce_config_selectorItEEZNS1_11reduce_implILb1ES3_N6thrust23THRUST_200600_302600_NS6detail15normal_iteratorINS8_10device_ptrItEEEEPtt9plus_mod3ItEEE10hipError_tPvRmT1_T2_T3_mT4_P12ihipStream_tbEUlT_E1_NS1_11comp_targetILNS1_3genE10ELNS1_11target_archE1201ELNS1_3gpuE5ELNS1_3repE0EEENS1_30default_config_static_selectorELNS0_4arch9wavefront6targetE1EEEvSK_, .Lfunc_end871-_ZN7rocprim17ROCPRIM_400000_NS6detail17trampoline_kernelINS0_14default_configENS1_22reduce_config_selectorItEEZNS1_11reduce_implILb1ES3_N6thrust23THRUST_200600_302600_NS6detail15normal_iteratorINS8_10device_ptrItEEEEPtt9plus_mod3ItEEE10hipError_tPvRmT1_T2_T3_mT4_P12ihipStream_tbEUlT_E1_NS1_11comp_targetILNS1_3genE10ELNS1_11target_archE1201ELNS1_3gpuE5ELNS1_3repE0EEENS1_30default_config_static_selectorELNS0_4arch9wavefront6targetE1EEEvSK_
                                        ; -- End function
	.set _ZN7rocprim17ROCPRIM_400000_NS6detail17trampoline_kernelINS0_14default_configENS1_22reduce_config_selectorItEEZNS1_11reduce_implILb1ES3_N6thrust23THRUST_200600_302600_NS6detail15normal_iteratorINS8_10device_ptrItEEEEPtt9plus_mod3ItEEE10hipError_tPvRmT1_T2_T3_mT4_P12ihipStream_tbEUlT_E1_NS1_11comp_targetILNS1_3genE10ELNS1_11target_archE1201ELNS1_3gpuE5ELNS1_3repE0EEENS1_30default_config_static_selectorELNS0_4arch9wavefront6targetE1EEEvSK_.num_vgpr, 0
	.set _ZN7rocprim17ROCPRIM_400000_NS6detail17trampoline_kernelINS0_14default_configENS1_22reduce_config_selectorItEEZNS1_11reduce_implILb1ES3_N6thrust23THRUST_200600_302600_NS6detail15normal_iteratorINS8_10device_ptrItEEEEPtt9plus_mod3ItEEE10hipError_tPvRmT1_T2_T3_mT4_P12ihipStream_tbEUlT_E1_NS1_11comp_targetILNS1_3genE10ELNS1_11target_archE1201ELNS1_3gpuE5ELNS1_3repE0EEENS1_30default_config_static_selectorELNS0_4arch9wavefront6targetE1EEEvSK_.num_agpr, 0
	.set _ZN7rocprim17ROCPRIM_400000_NS6detail17trampoline_kernelINS0_14default_configENS1_22reduce_config_selectorItEEZNS1_11reduce_implILb1ES3_N6thrust23THRUST_200600_302600_NS6detail15normal_iteratorINS8_10device_ptrItEEEEPtt9plus_mod3ItEEE10hipError_tPvRmT1_T2_T3_mT4_P12ihipStream_tbEUlT_E1_NS1_11comp_targetILNS1_3genE10ELNS1_11target_archE1201ELNS1_3gpuE5ELNS1_3repE0EEENS1_30default_config_static_selectorELNS0_4arch9wavefront6targetE1EEEvSK_.numbered_sgpr, 0
	.set _ZN7rocprim17ROCPRIM_400000_NS6detail17trampoline_kernelINS0_14default_configENS1_22reduce_config_selectorItEEZNS1_11reduce_implILb1ES3_N6thrust23THRUST_200600_302600_NS6detail15normal_iteratorINS8_10device_ptrItEEEEPtt9plus_mod3ItEEE10hipError_tPvRmT1_T2_T3_mT4_P12ihipStream_tbEUlT_E1_NS1_11comp_targetILNS1_3genE10ELNS1_11target_archE1201ELNS1_3gpuE5ELNS1_3repE0EEENS1_30default_config_static_selectorELNS0_4arch9wavefront6targetE1EEEvSK_.num_named_barrier, 0
	.set _ZN7rocprim17ROCPRIM_400000_NS6detail17trampoline_kernelINS0_14default_configENS1_22reduce_config_selectorItEEZNS1_11reduce_implILb1ES3_N6thrust23THRUST_200600_302600_NS6detail15normal_iteratorINS8_10device_ptrItEEEEPtt9plus_mod3ItEEE10hipError_tPvRmT1_T2_T3_mT4_P12ihipStream_tbEUlT_E1_NS1_11comp_targetILNS1_3genE10ELNS1_11target_archE1201ELNS1_3gpuE5ELNS1_3repE0EEENS1_30default_config_static_selectorELNS0_4arch9wavefront6targetE1EEEvSK_.private_seg_size, 0
	.set _ZN7rocprim17ROCPRIM_400000_NS6detail17trampoline_kernelINS0_14default_configENS1_22reduce_config_selectorItEEZNS1_11reduce_implILb1ES3_N6thrust23THRUST_200600_302600_NS6detail15normal_iteratorINS8_10device_ptrItEEEEPtt9plus_mod3ItEEE10hipError_tPvRmT1_T2_T3_mT4_P12ihipStream_tbEUlT_E1_NS1_11comp_targetILNS1_3genE10ELNS1_11target_archE1201ELNS1_3gpuE5ELNS1_3repE0EEENS1_30default_config_static_selectorELNS0_4arch9wavefront6targetE1EEEvSK_.uses_vcc, 0
	.set _ZN7rocprim17ROCPRIM_400000_NS6detail17trampoline_kernelINS0_14default_configENS1_22reduce_config_selectorItEEZNS1_11reduce_implILb1ES3_N6thrust23THRUST_200600_302600_NS6detail15normal_iteratorINS8_10device_ptrItEEEEPtt9plus_mod3ItEEE10hipError_tPvRmT1_T2_T3_mT4_P12ihipStream_tbEUlT_E1_NS1_11comp_targetILNS1_3genE10ELNS1_11target_archE1201ELNS1_3gpuE5ELNS1_3repE0EEENS1_30default_config_static_selectorELNS0_4arch9wavefront6targetE1EEEvSK_.uses_flat_scratch, 0
	.set _ZN7rocprim17ROCPRIM_400000_NS6detail17trampoline_kernelINS0_14default_configENS1_22reduce_config_selectorItEEZNS1_11reduce_implILb1ES3_N6thrust23THRUST_200600_302600_NS6detail15normal_iteratorINS8_10device_ptrItEEEEPtt9plus_mod3ItEEE10hipError_tPvRmT1_T2_T3_mT4_P12ihipStream_tbEUlT_E1_NS1_11comp_targetILNS1_3genE10ELNS1_11target_archE1201ELNS1_3gpuE5ELNS1_3repE0EEENS1_30default_config_static_selectorELNS0_4arch9wavefront6targetE1EEEvSK_.has_dyn_sized_stack, 0
	.set _ZN7rocprim17ROCPRIM_400000_NS6detail17trampoline_kernelINS0_14default_configENS1_22reduce_config_selectorItEEZNS1_11reduce_implILb1ES3_N6thrust23THRUST_200600_302600_NS6detail15normal_iteratorINS8_10device_ptrItEEEEPtt9plus_mod3ItEEE10hipError_tPvRmT1_T2_T3_mT4_P12ihipStream_tbEUlT_E1_NS1_11comp_targetILNS1_3genE10ELNS1_11target_archE1201ELNS1_3gpuE5ELNS1_3repE0EEENS1_30default_config_static_selectorELNS0_4arch9wavefront6targetE1EEEvSK_.has_recursion, 0
	.set _ZN7rocprim17ROCPRIM_400000_NS6detail17trampoline_kernelINS0_14default_configENS1_22reduce_config_selectorItEEZNS1_11reduce_implILb1ES3_N6thrust23THRUST_200600_302600_NS6detail15normal_iteratorINS8_10device_ptrItEEEEPtt9plus_mod3ItEEE10hipError_tPvRmT1_T2_T3_mT4_P12ihipStream_tbEUlT_E1_NS1_11comp_targetILNS1_3genE10ELNS1_11target_archE1201ELNS1_3gpuE5ELNS1_3repE0EEENS1_30default_config_static_selectorELNS0_4arch9wavefront6targetE1EEEvSK_.has_indirect_call, 0
	.section	.AMDGPU.csdata,"",@progbits
; Kernel info:
; codeLenInByte = 0
; TotalNumSgprs: 6
; NumVgprs: 0
; NumAgprs: 0
; TotalNumVgprs: 0
; ScratchSize: 0
; MemoryBound: 0
; FloatMode: 240
; IeeeMode: 1
; LDSByteSize: 0 bytes/workgroup (compile time only)
; SGPRBlocks: 0
; VGPRBlocks: 0
; NumSGPRsForWavesPerEU: 6
; NumVGPRsForWavesPerEU: 1
; AccumOffset: 4
; Occupancy: 8
; WaveLimiterHint : 0
; COMPUTE_PGM_RSRC2:SCRATCH_EN: 0
; COMPUTE_PGM_RSRC2:USER_SGPR: 2
; COMPUTE_PGM_RSRC2:TRAP_HANDLER: 0
; COMPUTE_PGM_RSRC2:TGID_X_EN: 1
; COMPUTE_PGM_RSRC2:TGID_Y_EN: 0
; COMPUTE_PGM_RSRC2:TGID_Z_EN: 0
; COMPUTE_PGM_RSRC2:TIDIG_COMP_CNT: 0
; COMPUTE_PGM_RSRC3_GFX90A:ACCUM_OFFSET: 0
; COMPUTE_PGM_RSRC3_GFX90A:TG_SPLIT: 0
	.section	.text._ZN7rocprim17ROCPRIM_400000_NS6detail17trampoline_kernelINS0_14default_configENS1_22reduce_config_selectorItEEZNS1_11reduce_implILb1ES3_N6thrust23THRUST_200600_302600_NS6detail15normal_iteratorINS8_10device_ptrItEEEEPtt9plus_mod3ItEEE10hipError_tPvRmT1_T2_T3_mT4_P12ihipStream_tbEUlT_E1_NS1_11comp_targetILNS1_3genE10ELNS1_11target_archE1200ELNS1_3gpuE4ELNS1_3repE0EEENS1_30default_config_static_selectorELNS0_4arch9wavefront6targetE1EEEvSK_,"axG",@progbits,_ZN7rocprim17ROCPRIM_400000_NS6detail17trampoline_kernelINS0_14default_configENS1_22reduce_config_selectorItEEZNS1_11reduce_implILb1ES3_N6thrust23THRUST_200600_302600_NS6detail15normal_iteratorINS8_10device_ptrItEEEEPtt9plus_mod3ItEEE10hipError_tPvRmT1_T2_T3_mT4_P12ihipStream_tbEUlT_E1_NS1_11comp_targetILNS1_3genE10ELNS1_11target_archE1200ELNS1_3gpuE4ELNS1_3repE0EEENS1_30default_config_static_selectorELNS0_4arch9wavefront6targetE1EEEvSK_,comdat
	.protected	_ZN7rocprim17ROCPRIM_400000_NS6detail17trampoline_kernelINS0_14default_configENS1_22reduce_config_selectorItEEZNS1_11reduce_implILb1ES3_N6thrust23THRUST_200600_302600_NS6detail15normal_iteratorINS8_10device_ptrItEEEEPtt9plus_mod3ItEEE10hipError_tPvRmT1_T2_T3_mT4_P12ihipStream_tbEUlT_E1_NS1_11comp_targetILNS1_3genE10ELNS1_11target_archE1200ELNS1_3gpuE4ELNS1_3repE0EEENS1_30default_config_static_selectorELNS0_4arch9wavefront6targetE1EEEvSK_ ; -- Begin function _ZN7rocprim17ROCPRIM_400000_NS6detail17trampoline_kernelINS0_14default_configENS1_22reduce_config_selectorItEEZNS1_11reduce_implILb1ES3_N6thrust23THRUST_200600_302600_NS6detail15normal_iteratorINS8_10device_ptrItEEEEPtt9plus_mod3ItEEE10hipError_tPvRmT1_T2_T3_mT4_P12ihipStream_tbEUlT_E1_NS1_11comp_targetILNS1_3genE10ELNS1_11target_archE1200ELNS1_3gpuE4ELNS1_3repE0EEENS1_30default_config_static_selectorELNS0_4arch9wavefront6targetE1EEEvSK_
	.globl	_ZN7rocprim17ROCPRIM_400000_NS6detail17trampoline_kernelINS0_14default_configENS1_22reduce_config_selectorItEEZNS1_11reduce_implILb1ES3_N6thrust23THRUST_200600_302600_NS6detail15normal_iteratorINS8_10device_ptrItEEEEPtt9plus_mod3ItEEE10hipError_tPvRmT1_T2_T3_mT4_P12ihipStream_tbEUlT_E1_NS1_11comp_targetILNS1_3genE10ELNS1_11target_archE1200ELNS1_3gpuE4ELNS1_3repE0EEENS1_30default_config_static_selectorELNS0_4arch9wavefront6targetE1EEEvSK_
	.p2align	8
	.type	_ZN7rocprim17ROCPRIM_400000_NS6detail17trampoline_kernelINS0_14default_configENS1_22reduce_config_selectorItEEZNS1_11reduce_implILb1ES3_N6thrust23THRUST_200600_302600_NS6detail15normal_iteratorINS8_10device_ptrItEEEEPtt9plus_mod3ItEEE10hipError_tPvRmT1_T2_T3_mT4_P12ihipStream_tbEUlT_E1_NS1_11comp_targetILNS1_3genE10ELNS1_11target_archE1200ELNS1_3gpuE4ELNS1_3repE0EEENS1_30default_config_static_selectorELNS0_4arch9wavefront6targetE1EEEvSK_,@function
_ZN7rocprim17ROCPRIM_400000_NS6detail17trampoline_kernelINS0_14default_configENS1_22reduce_config_selectorItEEZNS1_11reduce_implILb1ES3_N6thrust23THRUST_200600_302600_NS6detail15normal_iteratorINS8_10device_ptrItEEEEPtt9plus_mod3ItEEE10hipError_tPvRmT1_T2_T3_mT4_P12ihipStream_tbEUlT_E1_NS1_11comp_targetILNS1_3genE10ELNS1_11target_archE1200ELNS1_3gpuE4ELNS1_3repE0EEENS1_30default_config_static_selectorELNS0_4arch9wavefront6targetE1EEEvSK_: ; @_ZN7rocprim17ROCPRIM_400000_NS6detail17trampoline_kernelINS0_14default_configENS1_22reduce_config_selectorItEEZNS1_11reduce_implILb1ES3_N6thrust23THRUST_200600_302600_NS6detail15normal_iteratorINS8_10device_ptrItEEEEPtt9plus_mod3ItEEE10hipError_tPvRmT1_T2_T3_mT4_P12ihipStream_tbEUlT_E1_NS1_11comp_targetILNS1_3genE10ELNS1_11target_archE1200ELNS1_3gpuE4ELNS1_3repE0EEENS1_30default_config_static_selectorELNS0_4arch9wavefront6targetE1EEEvSK_
; %bb.0:
	.section	.rodata,"a",@progbits
	.p2align	6, 0x0
	.amdhsa_kernel _ZN7rocprim17ROCPRIM_400000_NS6detail17trampoline_kernelINS0_14default_configENS1_22reduce_config_selectorItEEZNS1_11reduce_implILb1ES3_N6thrust23THRUST_200600_302600_NS6detail15normal_iteratorINS8_10device_ptrItEEEEPtt9plus_mod3ItEEE10hipError_tPvRmT1_T2_T3_mT4_P12ihipStream_tbEUlT_E1_NS1_11comp_targetILNS1_3genE10ELNS1_11target_archE1200ELNS1_3gpuE4ELNS1_3repE0EEENS1_30default_config_static_selectorELNS0_4arch9wavefront6targetE1EEEvSK_
		.amdhsa_group_segment_fixed_size 0
		.amdhsa_private_segment_fixed_size 0
		.amdhsa_kernarg_size 48
		.amdhsa_user_sgpr_count 2
		.amdhsa_user_sgpr_dispatch_ptr 0
		.amdhsa_user_sgpr_queue_ptr 0
		.amdhsa_user_sgpr_kernarg_segment_ptr 1
		.amdhsa_user_sgpr_dispatch_id 0
		.amdhsa_user_sgpr_kernarg_preload_length 0
		.amdhsa_user_sgpr_kernarg_preload_offset 0
		.amdhsa_user_sgpr_private_segment_size 0
		.amdhsa_uses_dynamic_stack 0
		.amdhsa_enable_private_segment 0
		.amdhsa_system_sgpr_workgroup_id_x 1
		.amdhsa_system_sgpr_workgroup_id_y 0
		.amdhsa_system_sgpr_workgroup_id_z 0
		.amdhsa_system_sgpr_workgroup_info 0
		.amdhsa_system_vgpr_workitem_id 0
		.amdhsa_next_free_vgpr 1
		.amdhsa_next_free_sgpr 0
		.amdhsa_accum_offset 4
		.amdhsa_reserve_vcc 0
		.amdhsa_float_round_mode_32 0
		.amdhsa_float_round_mode_16_64 0
		.amdhsa_float_denorm_mode_32 3
		.amdhsa_float_denorm_mode_16_64 3
		.amdhsa_dx10_clamp 1
		.amdhsa_ieee_mode 1
		.amdhsa_fp16_overflow 0
		.amdhsa_tg_split 0
		.amdhsa_exception_fp_ieee_invalid_op 0
		.amdhsa_exception_fp_denorm_src 0
		.amdhsa_exception_fp_ieee_div_zero 0
		.amdhsa_exception_fp_ieee_overflow 0
		.amdhsa_exception_fp_ieee_underflow 0
		.amdhsa_exception_fp_ieee_inexact 0
		.amdhsa_exception_int_div_zero 0
	.end_amdhsa_kernel
	.section	.text._ZN7rocprim17ROCPRIM_400000_NS6detail17trampoline_kernelINS0_14default_configENS1_22reduce_config_selectorItEEZNS1_11reduce_implILb1ES3_N6thrust23THRUST_200600_302600_NS6detail15normal_iteratorINS8_10device_ptrItEEEEPtt9plus_mod3ItEEE10hipError_tPvRmT1_T2_T3_mT4_P12ihipStream_tbEUlT_E1_NS1_11comp_targetILNS1_3genE10ELNS1_11target_archE1200ELNS1_3gpuE4ELNS1_3repE0EEENS1_30default_config_static_selectorELNS0_4arch9wavefront6targetE1EEEvSK_,"axG",@progbits,_ZN7rocprim17ROCPRIM_400000_NS6detail17trampoline_kernelINS0_14default_configENS1_22reduce_config_selectorItEEZNS1_11reduce_implILb1ES3_N6thrust23THRUST_200600_302600_NS6detail15normal_iteratorINS8_10device_ptrItEEEEPtt9plus_mod3ItEEE10hipError_tPvRmT1_T2_T3_mT4_P12ihipStream_tbEUlT_E1_NS1_11comp_targetILNS1_3genE10ELNS1_11target_archE1200ELNS1_3gpuE4ELNS1_3repE0EEENS1_30default_config_static_selectorELNS0_4arch9wavefront6targetE1EEEvSK_,comdat
.Lfunc_end872:
	.size	_ZN7rocprim17ROCPRIM_400000_NS6detail17trampoline_kernelINS0_14default_configENS1_22reduce_config_selectorItEEZNS1_11reduce_implILb1ES3_N6thrust23THRUST_200600_302600_NS6detail15normal_iteratorINS8_10device_ptrItEEEEPtt9plus_mod3ItEEE10hipError_tPvRmT1_T2_T3_mT4_P12ihipStream_tbEUlT_E1_NS1_11comp_targetILNS1_3genE10ELNS1_11target_archE1200ELNS1_3gpuE4ELNS1_3repE0EEENS1_30default_config_static_selectorELNS0_4arch9wavefront6targetE1EEEvSK_, .Lfunc_end872-_ZN7rocprim17ROCPRIM_400000_NS6detail17trampoline_kernelINS0_14default_configENS1_22reduce_config_selectorItEEZNS1_11reduce_implILb1ES3_N6thrust23THRUST_200600_302600_NS6detail15normal_iteratorINS8_10device_ptrItEEEEPtt9plus_mod3ItEEE10hipError_tPvRmT1_T2_T3_mT4_P12ihipStream_tbEUlT_E1_NS1_11comp_targetILNS1_3genE10ELNS1_11target_archE1200ELNS1_3gpuE4ELNS1_3repE0EEENS1_30default_config_static_selectorELNS0_4arch9wavefront6targetE1EEEvSK_
                                        ; -- End function
	.set _ZN7rocprim17ROCPRIM_400000_NS6detail17trampoline_kernelINS0_14default_configENS1_22reduce_config_selectorItEEZNS1_11reduce_implILb1ES3_N6thrust23THRUST_200600_302600_NS6detail15normal_iteratorINS8_10device_ptrItEEEEPtt9plus_mod3ItEEE10hipError_tPvRmT1_T2_T3_mT4_P12ihipStream_tbEUlT_E1_NS1_11comp_targetILNS1_3genE10ELNS1_11target_archE1200ELNS1_3gpuE4ELNS1_3repE0EEENS1_30default_config_static_selectorELNS0_4arch9wavefront6targetE1EEEvSK_.num_vgpr, 0
	.set _ZN7rocprim17ROCPRIM_400000_NS6detail17trampoline_kernelINS0_14default_configENS1_22reduce_config_selectorItEEZNS1_11reduce_implILb1ES3_N6thrust23THRUST_200600_302600_NS6detail15normal_iteratorINS8_10device_ptrItEEEEPtt9plus_mod3ItEEE10hipError_tPvRmT1_T2_T3_mT4_P12ihipStream_tbEUlT_E1_NS1_11comp_targetILNS1_3genE10ELNS1_11target_archE1200ELNS1_3gpuE4ELNS1_3repE0EEENS1_30default_config_static_selectorELNS0_4arch9wavefront6targetE1EEEvSK_.num_agpr, 0
	.set _ZN7rocprim17ROCPRIM_400000_NS6detail17trampoline_kernelINS0_14default_configENS1_22reduce_config_selectorItEEZNS1_11reduce_implILb1ES3_N6thrust23THRUST_200600_302600_NS6detail15normal_iteratorINS8_10device_ptrItEEEEPtt9plus_mod3ItEEE10hipError_tPvRmT1_T2_T3_mT4_P12ihipStream_tbEUlT_E1_NS1_11comp_targetILNS1_3genE10ELNS1_11target_archE1200ELNS1_3gpuE4ELNS1_3repE0EEENS1_30default_config_static_selectorELNS0_4arch9wavefront6targetE1EEEvSK_.numbered_sgpr, 0
	.set _ZN7rocprim17ROCPRIM_400000_NS6detail17trampoline_kernelINS0_14default_configENS1_22reduce_config_selectorItEEZNS1_11reduce_implILb1ES3_N6thrust23THRUST_200600_302600_NS6detail15normal_iteratorINS8_10device_ptrItEEEEPtt9plus_mod3ItEEE10hipError_tPvRmT1_T2_T3_mT4_P12ihipStream_tbEUlT_E1_NS1_11comp_targetILNS1_3genE10ELNS1_11target_archE1200ELNS1_3gpuE4ELNS1_3repE0EEENS1_30default_config_static_selectorELNS0_4arch9wavefront6targetE1EEEvSK_.num_named_barrier, 0
	.set _ZN7rocprim17ROCPRIM_400000_NS6detail17trampoline_kernelINS0_14default_configENS1_22reduce_config_selectorItEEZNS1_11reduce_implILb1ES3_N6thrust23THRUST_200600_302600_NS6detail15normal_iteratorINS8_10device_ptrItEEEEPtt9plus_mod3ItEEE10hipError_tPvRmT1_T2_T3_mT4_P12ihipStream_tbEUlT_E1_NS1_11comp_targetILNS1_3genE10ELNS1_11target_archE1200ELNS1_3gpuE4ELNS1_3repE0EEENS1_30default_config_static_selectorELNS0_4arch9wavefront6targetE1EEEvSK_.private_seg_size, 0
	.set _ZN7rocprim17ROCPRIM_400000_NS6detail17trampoline_kernelINS0_14default_configENS1_22reduce_config_selectorItEEZNS1_11reduce_implILb1ES3_N6thrust23THRUST_200600_302600_NS6detail15normal_iteratorINS8_10device_ptrItEEEEPtt9plus_mod3ItEEE10hipError_tPvRmT1_T2_T3_mT4_P12ihipStream_tbEUlT_E1_NS1_11comp_targetILNS1_3genE10ELNS1_11target_archE1200ELNS1_3gpuE4ELNS1_3repE0EEENS1_30default_config_static_selectorELNS0_4arch9wavefront6targetE1EEEvSK_.uses_vcc, 0
	.set _ZN7rocprim17ROCPRIM_400000_NS6detail17trampoline_kernelINS0_14default_configENS1_22reduce_config_selectorItEEZNS1_11reduce_implILb1ES3_N6thrust23THRUST_200600_302600_NS6detail15normal_iteratorINS8_10device_ptrItEEEEPtt9plus_mod3ItEEE10hipError_tPvRmT1_T2_T3_mT4_P12ihipStream_tbEUlT_E1_NS1_11comp_targetILNS1_3genE10ELNS1_11target_archE1200ELNS1_3gpuE4ELNS1_3repE0EEENS1_30default_config_static_selectorELNS0_4arch9wavefront6targetE1EEEvSK_.uses_flat_scratch, 0
	.set _ZN7rocprim17ROCPRIM_400000_NS6detail17trampoline_kernelINS0_14default_configENS1_22reduce_config_selectorItEEZNS1_11reduce_implILb1ES3_N6thrust23THRUST_200600_302600_NS6detail15normal_iteratorINS8_10device_ptrItEEEEPtt9plus_mod3ItEEE10hipError_tPvRmT1_T2_T3_mT4_P12ihipStream_tbEUlT_E1_NS1_11comp_targetILNS1_3genE10ELNS1_11target_archE1200ELNS1_3gpuE4ELNS1_3repE0EEENS1_30default_config_static_selectorELNS0_4arch9wavefront6targetE1EEEvSK_.has_dyn_sized_stack, 0
	.set _ZN7rocprim17ROCPRIM_400000_NS6detail17trampoline_kernelINS0_14default_configENS1_22reduce_config_selectorItEEZNS1_11reduce_implILb1ES3_N6thrust23THRUST_200600_302600_NS6detail15normal_iteratorINS8_10device_ptrItEEEEPtt9plus_mod3ItEEE10hipError_tPvRmT1_T2_T3_mT4_P12ihipStream_tbEUlT_E1_NS1_11comp_targetILNS1_3genE10ELNS1_11target_archE1200ELNS1_3gpuE4ELNS1_3repE0EEENS1_30default_config_static_selectorELNS0_4arch9wavefront6targetE1EEEvSK_.has_recursion, 0
	.set _ZN7rocprim17ROCPRIM_400000_NS6detail17trampoline_kernelINS0_14default_configENS1_22reduce_config_selectorItEEZNS1_11reduce_implILb1ES3_N6thrust23THRUST_200600_302600_NS6detail15normal_iteratorINS8_10device_ptrItEEEEPtt9plus_mod3ItEEE10hipError_tPvRmT1_T2_T3_mT4_P12ihipStream_tbEUlT_E1_NS1_11comp_targetILNS1_3genE10ELNS1_11target_archE1200ELNS1_3gpuE4ELNS1_3repE0EEENS1_30default_config_static_selectorELNS0_4arch9wavefront6targetE1EEEvSK_.has_indirect_call, 0
	.section	.AMDGPU.csdata,"",@progbits
; Kernel info:
; codeLenInByte = 0
; TotalNumSgprs: 6
; NumVgprs: 0
; NumAgprs: 0
; TotalNumVgprs: 0
; ScratchSize: 0
; MemoryBound: 0
; FloatMode: 240
; IeeeMode: 1
; LDSByteSize: 0 bytes/workgroup (compile time only)
; SGPRBlocks: 0
; VGPRBlocks: 0
; NumSGPRsForWavesPerEU: 6
; NumVGPRsForWavesPerEU: 1
; AccumOffset: 4
; Occupancy: 8
; WaveLimiterHint : 0
; COMPUTE_PGM_RSRC2:SCRATCH_EN: 0
; COMPUTE_PGM_RSRC2:USER_SGPR: 2
; COMPUTE_PGM_RSRC2:TRAP_HANDLER: 0
; COMPUTE_PGM_RSRC2:TGID_X_EN: 1
; COMPUTE_PGM_RSRC2:TGID_Y_EN: 0
; COMPUTE_PGM_RSRC2:TGID_Z_EN: 0
; COMPUTE_PGM_RSRC2:TIDIG_COMP_CNT: 0
; COMPUTE_PGM_RSRC3_GFX90A:ACCUM_OFFSET: 0
; COMPUTE_PGM_RSRC3_GFX90A:TG_SPLIT: 0
	.section	.text._ZN7rocprim17ROCPRIM_400000_NS6detail17trampoline_kernelINS0_14default_configENS1_22reduce_config_selectorItEEZNS1_11reduce_implILb1ES3_N6thrust23THRUST_200600_302600_NS6detail15normal_iteratorINS8_10device_ptrItEEEEPtt9plus_mod3ItEEE10hipError_tPvRmT1_T2_T3_mT4_P12ihipStream_tbEUlT_E1_NS1_11comp_targetILNS1_3genE9ELNS1_11target_archE1100ELNS1_3gpuE3ELNS1_3repE0EEENS1_30default_config_static_selectorELNS0_4arch9wavefront6targetE1EEEvSK_,"axG",@progbits,_ZN7rocprim17ROCPRIM_400000_NS6detail17trampoline_kernelINS0_14default_configENS1_22reduce_config_selectorItEEZNS1_11reduce_implILb1ES3_N6thrust23THRUST_200600_302600_NS6detail15normal_iteratorINS8_10device_ptrItEEEEPtt9plus_mod3ItEEE10hipError_tPvRmT1_T2_T3_mT4_P12ihipStream_tbEUlT_E1_NS1_11comp_targetILNS1_3genE9ELNS1_11target_archE1100ELNS1_3gpuE3ELNS1_3repE0EEENS1_30default_config_static_selectorELNS0_4arch9wavefront6targetE1EEEvSK_,comdat
	.protected	_ZN7rocprim17ROCPRIM_400000_NS6detail17trampoline_kernelINS0_14default_configENS1_22reduce_config_selectorItEEZNS1_11reduce_implILb1ES3_N6thrust23THRUST_200600_302600_NS6detail15normal_iteratorINS8_10device_ptrItEEEEPtt9plus_mod3ItEEE10hipError_tPvRmT1_T2_T3_mT4_P12ihipStream_tbEUlT_E1_NS1_11comp_targetILNS1_3genE9ELNS1_11target_archE1100ELNS1_3gpuE3ELNS1_3repE0EEENS1_30default_config_static_selectorELNS0_4arch9wavefront6targetE1EEEvSK_ ; -- Begin function _ZN7rocprim17ROCPRIM_400000_NS6detail17trampoline_kernelINS0_14default_configENS1_22reduce_config_selectorItEEZNS1_11reduce_implILb1ES3_N6thrust23THRUST_200600_302600_NS6detail15normal_iteratorINS8_10device_ptrItEEEEPtt9plus_mod3ItEEE10hipError_tPvRmT1_T2_T3_mT4_P12ihipStream_tbEUlT_E1_NS1_11comp_targetILNS1_3genE9ELNS1_11target_archE1100ELNS1_3gpuE3ELNS1_3repE0EEENS1_30default_config_static_selectorELNS0_4arch9wavefront6targetE1EEEvSK_
	.globl	_ZN7rocprim17ROCPRIM_400000_NS6detail17trampoline_kernelINS0_14default_configENS1_22reduce_config_selectorItEEZNS1_11reduce_implILb1ES3_N6thrust23THRUST_200600_302600_NS6detail15normal_iteratorINS8_10device_ptrItEEEEPtt9plus_mod3ItEEE10hipError_tPvRmT1_T2_T3_mT4_P12ihipStream_tbEUlT_E1_NS1_11comp_targetILNS1_3genE9ELNS1_11target_archE1100ELNS1_3gpuE3ELNS1_3repE0EEENS1_30default_config_static_selectorELNS0_4arch9wavefront6targetE1EEEvSK_
	.p2align	8
	.type	_ZN7rocprim17ROCPRIM_400000_NS6detail17trampoline_kernelINS0_14default_configENS1_22reduce_config_selectorItEEZNS1_11reduce_implILb1ES3_N6thrust23THRUST_200600_302600_NS6detail15normal_iteratorINS8_10device_ptrItEEEEPtt9plus_mod3ItEEE10hipError_tPvRmT1_T2_T3_mT4_P12ihipStream_tbEUlT_E1_NS1_11comp_targetILNS1_3genE9ELNS1_11target_archE1100ELNS1_3gpuE3ELNS1_3repE0EEENS1_30default_config_static_selectorELNS0_4arch9wavefront6targetE1EEEvSK_,@function
_ZN7rocprim17ROCPRIM_400000_NS6detail17trampoline_kernelINS0_14default_configENS1_22reduce_config_selectorItEEZNS1_11reduce_implILb1ES3_N6thrust23THRUST_200600_302600_NS6detail15normal_iteratorINS8_10device_ptrItEEEEPtt9plus_mod3ItEEE10hipError_tPvRmT1_T2_T3_mT4_P12ihipStream_tbEUlT_E1_NS1_11comp_targetILNS1_3genE9ELNS1_11target_archE1100ELNS1_3gpuE3ELNS1_3repE0EEENS1_30default_config_static_selectorELNS0_4arch9wavefront6targetE1EEEvSK_: ; @_ZN7rocprim17ROCPRIM_400000_NS6detail17trampoline_kernelINS0_14default_configENS1_22reduce_config_selectorItEEZNS1_11reduce_implILb1ES3_N6thrust23THRUST_200600_302600_NS6detail15normal_iteratorINS8_10device_ptrItEEEEPtt9plus_mod3ItEEE10hipError_tPvRmT1_T2_T3_mT4_P12ihipStream_tbEUlT_E1_NS1_11comp_targetILNS1_3genE9ELNS1_11target_archE1100ELNS1_3gpuE3ELNS1_3repE0EEENS1_30default_config_static_selectorELNS0_4arch9wavefront6targetE1EEEvSK_
; %bb.0:
	.section	.rodata,"a",@progbits
	.p2align	6, 0x0
	.amdhsa_kernel _ZN7rocprim17ROCPRIM_400000_NS6detail17trampoline_kernelINS0_14default_configENS1_22reduce_config_selectorItEEZNS1_11reduce_implILb1ES3_N6thrust23THRUST_200600_302600_NS6detail15normal_iteratorINS8_10device_ptrItEEEEPtt9plus_mod3ItEEE10hipError_tPvRmT1_T2_T3_mT4_P12ihipStream_tbEUlT_E1_NS1_11comp_targetILNS1_3genE9ELNS1_11target_archE1100ELNS1_3gpuE3ELNS1_3repE0EEENS1_30default_config_static_selectorELNS0_4arch9wavefront6targetE1EEEvSK_
		.amdhsa_group_segment_fixed_size 0
		.amdhsa_private_segment_fixed_size 0
		.amdhsa_kernarg_size 48
		.amdhsa_user_sgpr_count 2
		.amdhsa_user_sgpr_dispatch_ptr 0
		.amdhsa_user_sgpr_queue_ptr 0
		.amdhsa_user_sgpr_kernarg_segment_ptr 1
		.amdhsa_user_sgpr_dispatch_id 0
		.amdhsa_user_sgpr_kernarg_preload_length 0
		.amdhsa_user_sgpr_kernarg_preload_offset 0
		.amdhsa_user_sgpr_private_segment_size 0
		.amdhsa_uses_dynamic_stack 0
		.amdhsa_enable_private_segment 0
		.amdhsa_system_sgpr_workgroup_id_x 1
		.amdhsa_system_sgpr_workgroup_id_y 0
		.amdhsa_system_sgpr_workgroup_id_z 0
		.amdhsa_system_sgpr_workgroup_info 0
		.amdhsa_system_vgpr_workitem_id 0
		.amdhsa_next_free_vgpr 1
		.amdhsa_next_free_sgpr 0
		.amdhsa_accum_offset 4
		.amdhsa_reserve_vcc 0
		.amdhsa_float_round_mode_32 0
		.amdhsa_float_round_mode_16_64 0
		.amdhsa_float_denorm_mode_32 3
		.amdhsa_float_denorm_mode_16_64 3
		.amdhsa_dx10_clamp 1
		.amdhsa_ieee_mode 1
		.amdhsa_fp16_overflow 0
		.amdhsa_tg_split 0
		.amdhsa_exception_fp_ieee_invalid_op 0
		.amdhsa_exception_fp_denorm_src 0
		.amdhsa_exception_fp_ieee_div_zero 0
		.amdhsa_exception_fp_ieee_overflow 0
		.amdhsa_exception_fp_ieee_underflow 0
		.amdhsa_exception_fp_ieee_inexact 0
		.amdhsa_exception_int_div_zero 0
	.end_amdhsa_kernel
	.section	.text._ZN7rocprim17ROCPRIM_400000_NS6detail17trampoline_kernelINS0_14default_configENS1_22reduce_config_selectorItEEZNS1_11reduce_implILb1ES3_N6thrust23THRUST_200600_302600_NS6detail15normal_iteratorINS8_10device_ptrItEEEEPtt9plus_mod3ItEEE10hipError_tPvRmT1_T2_T3_mT4_P12ihipStream_tbEUlT_E1_NS1_11comp_targetILNS1_3genE9ELNS1_11target_archE1100ELNS1_3gpuE3ELNS1_3repE0EEENS1_30default_config_static_selectorELNS0_4arch9wavefront6targetE1EEEvSK_,"axG",@progbits,_ZN7rocprim17ROCPRIM_400000_NS6detail17trampoline_kernelINS0_14default_configENS1_22reduce_config_selectorItEEZNS1_11reduce_implILb1ES3_N6thrust23THRUST_200600_302600_NS6detail15normal_iteratorINS8_10device_ptrItEEEEPtt9plus_mod3ItEEE10hipError_tPvRmT1_T2_T3_mT4_P12ihipStream_tbEUlT_E1_NS1_11comp_targetILNS1_3genE9ELNS1_11target_archE1100ELNS1_3gpuE3ELNS1_3repE0EEENS1_30default_config_static_selectorELNS0_4arch9wavefront6targetE1EEEvSK_,comdat
.Lfunc_end873:
	.size	_ZN7rocprim17ROCPRIM_400000_NS6detail17trampoline_kernelINS0_14default_configENS1_22reduce_config_selectorItEEZNS1_11reduce_implILb1ES3_N6thrust23THRUST_200600_302600_NS6detail15normal_iteratorINS8_10device_ptrItEEEEPtt9plus_mod3ItEEE10hipError_tPvRmT1_T2_T3_mT4_P12ihipStream_tbEUlT_E1_NS1_11comp_targetILNS1_3genE9ELNS1_11target_archE1100ELNS1_3gpuE3ELNS1_3repE0EEENS1_30default_config_static_selectorELNS0_4arch9wavefront6targetE1EEEvSK_, .Lfunc_end873-_ZN7rocprim17ROCPRIM_400000_NS6detail17trampoline_kernelINS0_14default_configENS1_22reduce_config_selectorItEEZNS1_11reduce_implILb1ES3_N6thrust23THRUST_200600_302600_NS6detail15normal_iteratorINS8_10device_ptrItEEEEPtt9plus_mod3ItEEE10hipError_tPvRmT1_T2_T3_mT4_P12ihipStream_tbEUlT_E1_NS1_11comp_targetILNS1_3genE9ELNS1_11target_archE1100ELNS1_3gpuE3ELNS1_3repE0EEENS1_30default_config_static_selectorELNS0_4arch9wavefront6targetE1EEEvSK_
                                        ; -- End function
	.set _ZN7rocprim17ROCPRIM_400000_NS6detail17trampoline_kernelINS0_14default_configENS1_22reduce_config_selectorItEEZNS1_11reduce_implILb1ES3_N6thrust23THRUST_200600_302600_NS6detail15normal_iteratorINS8_10device_ptrItEEEEPtt9plus_mod3ItEEE10hipError_tPvRmT1_T2_T3_mT4_P12ihipStream_tbEUlT_E1_NS1_11comp_targetILNS1_3genE9ELNS1_11target_archE1100ELNS1_3gpuE3ELNS1_3repE0EEENS1_30default_config_static_selectorELNS0_4arch9wavefront6targetE1EEEvSK_.num_vgpr, 0
	.set _ZN7rocprim17ROCPRIM_400000_NS6detail17trampoline_kernelINS0_14default_configENS1_22reduce_config_selectorItEEZNS1_11reduce_implILb1ES3_N6thrust23THRUST_200600_302600_NS6detail15normal_iteratorINS8_10device_ptrItEEEEPtt9plus_mod3ItEEE10hipError_tPvRmT1_T2_T3_mT4_P12ihipStream_tbEUlT_E1_NS1_11comp_targetILNS1_3genE9ELNS1_11target_archE1100ELNS1_3gpuE3ELNS1_3repE0EEENS1_30default_config_static_selectorELNS0_4arch9wavefront6targetE1EEEvSK_.num_agpr, 0
	.set _ZN7rocprim17ROCPRIM_400000_NS6detail17trampoline_kernelINS0_14default_configENS1_22reduce_config_selectorItEEZNS1_11reduce_implILb1ES3_N6thrust23THRUST_200600_302600_NS6detail15normal_iteratorINS8_10device_ptrItEEEEPtt9plus_mod3ItEEE10hipError_tPvRmT1_T2_T3_mT4_P12ihipStream_tbEUlT_E1_NS1_11comp_targetILNS1_3genE9ELNS1_11target_archE1100ELNS1_3gpuE3ELNS1_3repE0EEENS1_30default_config_static_selectorELNS0_4arch9wavefront6targetE1EEEvSK_.numbered_sgpr, 0
	.set _ZN7rocprim17ROCPRIM_400000_NS6detail17trampoline_kernelINS0_14default_configENS1_22reduce_config_selectorItEEZNS1_11reduce_implILb1ES3_N6thrust23THRUST_200600_302600_NS6detail15normal_iteratorINS8_10device_ptrItEEEEPtt9plus_mod3ItEEE10hipError_tPvRmT1_T2_T3_mT4_P12ihipStream_tbEUlT_E1_NS1_11comp_targetILNS1_3genE9ELNS1_11target_archE1100ELNS1_3gpuE3ELNS1_3repE0EEENS1_30default_config_static_selectorELNS0_4arch9wavefront6targetE1EEEvSK_.num_named_barrier, 0
	.set _ZN7rocprim17ROCPRIM_400000_NS6detail17trampoline_kernelINS0_14default_configENS1_22reduce_config_selectorItEEZNS1_11reduce_implILb1ES3_N6thrust23THRUST_200600_302600_NS6detail15normal_iteratorINS8_10device_ptrItEEEEPtt9plus_mod3ItEEE10hipError_tPvRmT1_T2_T3_mT4_P12ihipStream_tbEUlT_E1_NS1_11comp_targetILNS1_3genE9ELNS1_11target_archE1100ELNS1_3gpuE3ELNS1_3repE0EEENS1_30default_config_static_selectorELNS0_4arch9wavefront6targetE1EEEvSK_.private_seg_size, 0
	.set _ZN7rocprim17ROCPRIM_400000_NS6detail17trampoline_kernelINS0_14default_configENS1_22reduce_config_selectorItEEZNS1_11reduce_implILb1ES3_N6thrust23THRUST_200600_302600_NS6detail15normal_iteratorINS8_10device_ptrItEEEEPtt9plus_mod3ItEEE10hipError_tPvRmT1_T2_T3_mT4_P12ihipStream_tbEUlT_E1_NS1_11comp_targetILNS1_3genE9ELNS1_11target_archE1100ELNS1_3gpuE3ELNS1_3repE0EEENS1_30default_config_static_selectorELNS0_4arch9wavefront6targetE1EEEvSK_.uses_vcc, 0
	.set _ZN7rocprim17ROCPRIM_400000_NS6detail17trampoline_kernelINS0_14default_configENS1_22reduce_config_selectorItEEZNS1_11reduce_implILb1ES3_N6thrust23THRUST_200600_302600_NS6detail15normal_iteratorINS8_10device_ptrItEEEEPtt9plus_mod3ItEEE10hipError_tPvRmT1_T2_T3_mT4_P12ihipStream_tbEUlT_E1_NS1_11comp_targetILNS1_3genE9ELNS1_11target_archE1100ELNS1_3gpuE3ELNS1_3repE0EEENS1_30default_config_static_selectorELNS0_4arch9wavefront6targetE1EEEvSK_.uses_flat_scratch, 0
	.set _ZN7rocprim17ROCPRIM_400000_NS6detail17trampoline_kernelINS0_14default_configENS1_22reduce_config_selectorItEEZNS1_11reduce_implILb1ES3_N6thrust23THRUST_200600_302600_NS6detail15normal_iteratorINS8_10device_ptrItEEEEPtt9plus_mod3ItEEE10hipError_tPvRmT1_T2_T3_mT4_P12ihipStream_tbEUlT_E1_NS1_11comp_targetILNS1_3genE9ELNS1_11target_archE1100ELNS1_3gpuE3ELNS1_3repE0EEENS1_30default_config_static_selectorELNS0_4arch9wavefront6targetE1EEEvSK_.has_dyn_sized_stack, 0
	.set _ZN7rocprim17ROCPRIM_400000_NS6detail17trampoline_kernelINS0_14default_configENS1_22reduce_config_selectorItEEZNS1_11reduce_implILb1ES3_N6thrust23THRUST_200600_302600_NS6detail15normal_iteratorINS8_10device_ptrItEEEEPtt9plus_mod3ItEEE10hipError_tPvRmT1_T2_T3_mT4_P12ihipStream_tbEUlT_E1_NS1_11comp_targetILNS1_3genE9ELNS1_11target_archE1100ELNS1_3gpuE3ELNS1_3repE0EEENS1_30default_config_static_selectorELNS0_4arch9wavefront6targetE1EEEvSK_.has_recursion, 0
	.set _ZN7rocprim17ROCPRIM_400000_NS6detail17trampoline_kernelINS0_14default_configENS1_22reduce_config_selectorItEEZNS1_11reduce_implILb1ES3_N6thrust23THRUST_200600_302600_NS6detail15normal_iteratorINS8_10device_ptrItEEEEPtt9plus_mod3ItEEE10hipError_tPvRmT1_T2_T3_mT4_P12ihipStream_tbEUlT_E1_NS1_11comp_targetILNS1_3genE9ELNS1_11target_archE1100ELNS1_3gpuE3ELNS1_3repE0EEENS1_30default_config_static_selectorELNS0_4arch9wavefront6targetE1EEEvSK_.has_indirect_call, 0
	.section	.AMDGPU.csdata,"",@progbits
; Kernel info:
; codeLenInByte = 0
; TotalNumSgprs: 6
; NumVgprs: 0
; NumAgprs: 0
; TotalNumVgprs: 0
; ScratchSize: 0
; MemoryBound: 0
; FloatMode: 240
; IeeeMode: 1
; LDSByteSize: 0 bytes/workgroup (compile time only)
; SGPRBlocks: 0
; VGPRBlocks: 0
; NumSGPRsForWavesPerEU: 6
; NumVGPRsForWavesPerEU: 1
; AccumOffset: 4
; Occupancy: 8
; WaveLimiterHint : 0
; COMPUTE_PGM_RSRC2:SCRATCH_EN: 0
; COMPUTE_PGM_RSRC2:USER_SGPR: 2
; COMPUTE_PGM_RSRC2:TRAP_HANDLER: 0
; COMPUTE_PGM_RSRC2:TGID_X_EN: 1
; COMPUTE_PGM_RSRC2:TGID_Y_EN: 0
; COMPUTE_PGM_RSRC2:TGID_Z_EN: 0
; COMPUTE_PGM_RSRC2:TIDIG_COMP_CNT: 0
; COMPUTE_PGM_RSRC3_GFX90A:ACCUM_OFFSET: 0
; COMPUTE_PGM_RSRC3_GFX90A:TG_SPLIT: 0
	.section	.text._ZN7rocprim17ROCPRIM_400000_NS6detail17trampoline_kernelINS0_14default_configENS1_22reduce_config_selectorItEEZNS1_11reduce_implILb1ES3_N6thrust23THRUST_200600_302600_NS6detail15normal_iteratorINS8_10device_ptrItEEEEPtt9plus_mod3ItEEE10hipError_tPvRmT1_T2_T3_mT4_P12ihipStream_tbEUlT_E1_NS1_11comp_targetILNS1_3genE8ELNS1_11target_archE1030ELNS1_3gpuE2ELNS1_3repE0EEENS1_30default_config_static_selectorELNS0_4arch9wavefront6targetE1EEEvSK_,"axG",@progbits,_ZN7rocprim17ROCPRIM_400000_NS6detail17trampoline_kernelINS0_14default_configENS1_22reduce_config_selectorItEEZNS1_11reduce_implILb1ES3_N6thrust23THRUST_200600_302600_NS6detail15normal_iteratorINS8_10device_ptrItEEEEPtt9plus_mod3ItEEE10hipError_tPvRmT1_T2_T3_mT4_P12ihipStream_tbEUlT_E1_NS1_11comp_targetILNS1_3genE8ELNS1_11target_archE1030ELNS1_3gpuE2ELNS1_3repE0EEENS1_30default_config_static_selectorELNS0_4arch9wavefront6targetE1EEEvSK_,comdat
	.protected	_ZN7rocprim17ROCPRIM_400000_NS6detail17trampoline_kernelINS0_14default_configENS1_22reduce_config_selectorItEEZNS1_11reduce_implILb1ES3_N6thrust23THRUST_200600_302600_NS6detail15normal_iteratorINS8_10device_ptrItEEEEPtt9plus_mod3ItEEE10hipError_tPvRmT1_T2_T3_mT4_P12ihipStream_tbEUlT_E1_NS1_11comp_targetILNS1_3genE8ELNS1_11target_archE1030ELNS1_3gpuE2ELNS1_3repE0EEENS1_30default_config_static_selectorELNS0_4arch9wavefront6targetE1EEEvSK_ ; -- Begin function _ZN7rocprim17ROCPRIM_400000_NS6detail17trampoline_kernelINS0_14default_configENS1_22reduce_config_selectorItEEZNS1_11reduce_implILb1ES3_N6thrust23THRUST_200600_302600_NS6detail15normal_iteratorINS8_10device_ptrItEEEEPtt9plus_mod3ItEEE10hipError_tPvRmT1_T2_T3_mT4_P12ihipStream_tbEUlT_E1_NS1_11comp_targetILNS1_3genE8ELNS1_11target_archE1030ELNS1_3gpuE2ELNS1_3repE0EEENS1_30default_config_static_selectorELNS0_4arch9wavefront6targetE1EEEvSK_
	.globl	_ZN7rocprim17ROCPRIM_400000_NS6detail17trampoline_kernelINS0_14default_configENS1_22reduce_config_selectorItEEZNS1_11reduce_implILb1ES3_N6thrust23THRUST_200600_302600_NS6detail15normal_iteratorINS8_10device_ptrItEEEEPtt9plus_mod3ItEEE10hipError_tPvRmT1_T2_T3_mT4_P12ihipStream_tbEUlT_E1_NS1_11comp_targetILNS1_3genE8ELNS1_11target_archE1030ELNS1_3gpuE2ELNS1_3repE0EEENS1_30default_config_static_selectorELNS0_4arch9wavefront6targetE1EEEvSK_
	.p2align	8
	.type	_ZN7rocprim17ROCPRIM_400000_NS6detail17trampoline_kernelINS0_14default_configENS1_22reduce_config_selectorItEEZNS1_11reduce_implILb1ES3_N6thrust23THRUST_200600_302600_NS6detail15normal_iteratorINS8_10device_ptrItEEEEPtt9plus_mod3ItEEE10hipError_tPvRmT1_T2_T3_mT4_P12ihipStream_tbEUlT_E1_NS1_11comp_targetILNS1_3genE8ELNS1_11target_archE1030ELNS1_3gpuE2ELNS1_3repE0EEENS1_30default_config_static_selectorELNS0_4arch9wavefront6targetE1EEEvSK_,@function
_ZN7rocprim17ROCPRIM_400000_NS6detail17trampoline_kernelINS0_14default_configENS1_22reduce_config_selectorItEEZNS1_11reduce_implILb1ES3_N6thrust23THRUST_200600_302600_NS6detail15normal_iteratorINS8_10device_ptrItEEEEPtt9plus_mod3ItEEE10hipError_tPvRmT1_T2_T3_mT4_P12ihipStream_tbEUlT_E1_NS1_11comp_targetILNS1_3genE8ELNS1_11target_archE1030ELNS1_3gpuE2ELNS1_3repE0EEENS1_30default_config_static_selectorELNS0_4arch9wavefront6targetE1EEEvSK_: ; @_ZN7rocprim17ROCPRIM_400000_NS6detail17trampoline_kernelINS0_14default_configENS1_22reduce_config_selectorItEEZNS1_11reduce_implILb1ES3_N6thrust23THRUST_200600_302600_NS6detail15normal_iteratorINS8_10device_ptrItEEEEPtt9plus_mod3ItEEE10hipError_tPvRmT1_T2_T3_mT4_P12ihipStream_tbEUlT_E1_NS1_11comp_targetILNS1_3genE8ELNS1_11target_archE1030ELNS1_3gpuE2ELNS1_3repE0EEENS1_30default_config_static_selectorELNS0_4arch9wavefront6targetE1EEEvSK_
; %bb.0:
	.section	.rodata,"a",@progbits
	.p2align	6, 0x0
	.amdhsa_kernel _ZN7rocprim17ROCPRIM_400000_NS6detail17trampoline_kernelINS0_14default_configENS1_22reduce_config_selectorItEEZNS1_11reduce_implILb1ES3_N6thrust23THRUST_200600_302600_NS6detail15normal_iteratorINS8_10device_ptrItEEEEPtt9plus_mod3ItEEE10hipError_tPvRmT1_T2_T3_mT4_P12ihipStream_tbEUlT_E1_NS1_11comp_targetILNS1_3genE8ELNS1_11target_archE1030ELNS1_3gpuE2ELNS1_3repE0EEENS1_30default_config_static_selectorELNS0_4arch9wavefront6targetE1EEEvSK_
		.amdhsa_group_segment_fixed_size 0
		.amdhsa_private_segment_fixed_size 0
		.amdhsa_kernarg_size 48
		.amdhsa_user_sgpr_count 2
		.amdhsa_user_sgpr_dispatch_ptr 0
		.amdhsa_user_sgpr_queue_ptr 0
		.amdhsa_user_sgpr_kernarg_segment_ptr 1
		.amdhsa_user_sgpr_dispatch_id 0
		.amdhsa_user_sgpr_kernarg_preload_length 0
		.amdhsa_user_sgpr_kernarg_preload_offset 0
		.amdhsa_user_sgpr_private_segment_size 0
		.amdhsa_uses_dynamic_stack 0
		.amdhsa_enable_private_segment 0
		.amdhsa_system_sgpr_workgroup_id_x 1
		.amdhsa_system_sgpr_workgroup_id_y 0
		.amdhsa_system_sgpr_workgroup_id_z 0
		.amdhsa_system_sgpr_workgroup_info 0
		.amdhsa_system_vgpr_workitem_id 0
		.amdhsa_next_free_vgpr 1
		.amdhsa_next_free_sgpr 0
		.amdhsa_accum_offset 4
		.amdhsa_reserve_vcc 0
		.amdhsa_float_round_mode_32 0
		.amdhsa_float_round_mode_16_64 0
		.amdhsa_float_denorm_mode_32 3
		.amdhsa_float_denorm_mode_16_64 3
		.amdhsa_dx10_clamp 1
		.amdhsa_ieee_mode 1
		.amdhsa_fp16_overflow 0
		.amdhsa_tg_split 0
		.amdhsa_exception_fp_ieee_invalid_op 0
		.amdhsa_exception_fp_denorm_src 0
		.amdhsa_exception_fp_ieee_div_zero 0
		.amdhsa_exception_fp_ieee_overflow 0
		.amdhsa_exception_fp_ieee_underflow 0
		.amdhsa_exception_fp_ieee_inexact 0
		.amdhsa_exception_int_div_zero 0
	.end_amdhsa_kernel
	.section	.text._ZN7rocprim17ROCPRIM_400000_NS6detail17trampoline_kernelINS0_14default_configENS1_22reduce_config_selectorItEEZNS1_11reduce_implILb1ES3_N6thrust23THRUST_200600_302600_NS6detail15normal_iteratorINS8_10device_ptrItEEEEPtt9plus_mod3ItEEE10hipError_tPvRmT1_T2_T3_mT4_P12ihipStream_tbEUlT_E1_NS1_11comp_targetILNS1_3genE8ELNS1_11target_archE1030ELNS1_3gpuE2ELNS1_3repE0EEENS1_30default_config_static_selectorELNS0_4arch9wavefront6targetE1EEEvSK_,"axG",@progbits,_ZN7rocprim17ROCPRIM_400000_NS6detail17trampoline_kernelINS0_14default_configENS1_22reduce_config_selectorItEEZNS1_11reduce_implILb1ES3_N6thrust23THRUST_200600_302600_NS6detail15normal_iteratorINS8_10device_ptrItEEEEPtt9plus_mod3ItEEE10hipError_tPvRmT1_T2_T3_mT4_P12ihipStream_tbEUlT_E1_NS1_11comp_targetILNS1_3genE8ELNS1_11target_archE1030ELNS1_3gpuE2ELNS1_3repE0EEENS1_30default_config_static_selectorELNS0_4arch9wavefront6targetE1EEEvSK_,comdat
.Lfunc_end874:
	.size	_ZN7rocprim17ROCPRIM_400000_NS6detail17trampoline_kernelINS0_14default_configENS1_22reduce_config_selectorItEEZNS1_11reduce_implILb1ES3_N6thrust23THRUST_200600_302600_NS6detail15normal_iteratorINS8_10device_ptrItEEEEPtt9plus_mod3ItEEE10hipError_tPvRmT1_T2_T3_mT4_P12ihipStream_tbEUlT_E1_NS1_11comp_targetILNS1_3genE8ELNS1_11target_archE1030ELNS1_3gpuE2ELNS1_3repE0EEENS1_30default_config_static_selectorELNS0_4arch9wavefront6targetE1EEEvSK_, .Lfunc_end874-_ZN7rocprim17ROCPRIM_400000_NS6detail17trampoline_kernelINS0_14default_configENS1_22reduce_config_selectorItEEZNS1_11reduce_implILb1ES3_N6thrust23THRUST_200600_302600_NS6detail15normal_iteratorINS8_10device_ptrItEEEEPtt9plus_mod3ItEEE10hipError_tPvRmT1_T2_T3_mT4_P12ihipStream_tbEUlT_E1_NS1_11comp_targetILNS1_3genE8ELNS1_11target_archE1030ELNS1_3gpuE2ELNS1_3repE0EEENS1_30default_config_static_selectorELNS0_4arch9wavefront6targetE1EEEvSK_
                                        ; -- End function
	.set _ZN7rocprim17ROCPRIM_400000_NS6detail17trampoline_kernelINS0_14default_configENS1_22reduce_config_selectorItEEZNS1_11reduce_implILb1ES3_N6thrust23THRUST_200600_302600_NS6detail15normal_iteratorINS8_10device_ptrItEEEEPtt9plus_mod3ItEEE10hipError_tPvRmT1_T2_T3_mT4_P12ihipStream_tbEUlT_E1_NS1_11comp_targetILNS1_3genE8ELNS1_11target_archE1030ELNS1_3gpuE2ELNS1_3repE0EEENS1_30default_config_static_selectorELNS0_4arch9wavefront6targetE1EEEvSK_.num_vgpr, 0
	.set _ZN7rocprim17ROCPRIM_400000_NS6detail17trampoline_kernelINS0_14default_configENS1_22reduce_config_selectorItEEZNS1_11reduce_implILb1ES3_N6thrust23THRUST_200600_302600_NS6detail15normal_iteratorINS8_10device_ptrItEEEEPtt9plus_mod3ItEEE10hipError_tPvRmT1_T2_T3_mT4_P12ihipStream_tbEUlT_E1_NS1_11comp_targetILNS1_3genE8ELNS1_11target_archE1030ELNS1_3gpuE2ELNS1_3repE0EEENS1_30default_config_static_selectorELNS0_4arch9wavefront6targetE1EEEvSK_.num_agpr, 0
	.set _ZN7rocprim17ROCPRIM_400000_NS6detail17trampoline_kernelINS0_14default_configENS1_22reduce_config_selectorItEEZNS1_11reduce_implILb1ES3_N6thrust23THRUST_200600_302600_NS6detail15normal_iteratorINS8_10device_ptrItEEEEPtt9plus_mod3ItEEE10hipError_tPvRmT1_T2_T3_mT4_P12ihipStream_tbEUlT_E1_NS1_11comp_targetILNS1_3genE8ELNS1_11target_archE1030ELNS1_3gpuE2ELNS1_3repE0EEENS1_30default_config_static_selectorELNS0_4arch9wavefront6targetE1EEEvSK_.numbered_sgpr, 0
	.set _ZN7rocprim17ROCPRIM_400000_NS6detail17trampoline_kernelINS0_14default_configENS1_22reduce_config_selectorItEEZNS1_11reduce_implILb1ES3_N6thrust23THRUST_200600_302600_NS6detail15normal_iteratorINS8_10device_ptrItEEEEPtt9plus_mod3ItEEE10hipError_tPvRmT1_T2_T3_mT4_P12ihipStream_tbEUlT_E1_NS1_11comp_targetILNS1_3genE8ELNS1_11target_archE1030ELNS1_3gpuE2ELNS1_3repE0EEENS1_30default_config_static_selectorELNS0_4arch9wavefront6targetE1EEEvSK_.num_named_barrier, 0
	.set _ZN7rocprim17ROCPRIM_400000_NS6detail17trampoline_kernelINS0_14default_configENS1_22reduce_config_selectorItEEZNS1_11reduce_implILb1ES3_N6thrust23THRUST_200600_302600_NS6detail15normal_iteratorINS8_10device_ptrItEEEEPtt9plus_mod3ItEEE10hipError_tPvRmT1_T2_T3_mT4_P12ihipStream_tbEUlT_E1_NS1_11comp_targetILNS1_3genE8ELNS1_11target_archE1030ELNS1_3gpuE2ELNS1_3repE0EEENS1_30default_config_static_selectorELNS0_4arch9wavefront6targetE1EEEvSK_.private_seg_size, 0
	.set _ZN7rocprim17ROCPRIM_400000_NS6detail17trampoline_kernelINS0_14default_configENS1_22reduce_config_selectorItEEZNS1_11reduce_implILb1ES3_N6thrust23THRUST_200600_302600_NS6detail15normal_iteratorINS8_10device_ptrItEEEEPtt9plus_mod3ItEEE10hipError_tPvRmT1_T2_T3_mT4_P12ihipStream_tbEUlT_E1_NS1_11comp_targetILNS1_3genE8ELNS1_11target_archE1030ELNS1_3gpuE2ELNS1_3repE0EEENS1_30default_config_static_selectorELNS0_4arch9wavefront6targetE1EEEvSK_.uses_vcc, 0
	.set _ZN7rocprim17ROCPRIM_400000_NS6detail17trampoline_kernelINS0_14default_configENS1_22reduce_config_selectorItEEZNS1_11reduce_implILb1ES3_N6thrust23THRUST_200600_302600_NS6detail15normal_iteratorINS8_10device_ptrItEEEEPtt9plus_mod3ItEEE10hipError_tPvRmT1_T2_T3_mT4_P12ihipStream_tbEUlT_E1_NS1_11comp_targetILNS1_3genE8ELNS1_11target_archE1030ELNS1_3gpuE2ELNS1_3repE0EEENS1_30default_config_static_selectorELNS0_4arch9wavefront6targetE1EEEvSK_.uses_flat_scratch, 0
	.set _ZN7rocprim17ROCPRIM_400000_NS6detail17trampoline_kernelINS0_14default_configENS1_22reduce_config_selectorItEEZNS1_11reduce_implILb1ES3_N6thrust23THRUST_200600_302600_NS6detail15normal_iteratorINS8_10device_ptrItEEEEPtt9plus_mod3ItEEE10hipError_tPvRmT1_T2_T3_mT4_P12ihipStream_tbEUlT_E1_NS1_11comp_targetILNS1_3genE8ELNS1_11target_archE1030ELNS1_3gpuE2ELNS1_3repE0EEENS1_30default_config_static_selectorELNS0_4arch9wavefront6targetE1EEEvSK_.has_dyn_sized_stack, 0
	.set _ZN7rocprim17ROCPRIM_400000_NS6detail17trampoline_kernelINS0_14default_configENS1_22reduce_config_selectorItEEZNS1_11reduce_implILb1ES3_N6thrust23THRUST_200600_302600_NS6detail15normal_iteratorINS8_10device_ptrItEEEEPtt9plus_mod3ItEEE10hipError_tPvRmT1_T2_T3_mT4_P12ihipStream_tbEUlT_E1_NS1_11comp_targetILNS1_3genE8ELNS1_11target_archE1030ELNS1_3gpuE2ELNS1_3repE0EEENS1_30default_config_static_selectorELNS0_4arch9wavefront6targetE1EEEvSK_.has_recursion, 0
	.set _ZN7rocprim17ROCPRIM_400000_NS6detail17trampoline_kernelINS0_14default_configENS1_22reduce_config_selectorItEEZNS1_11reduce_implILb1ES3_N6thrust23THRUST_200600_302600_NS6detail15normal_iteratorINS8_10device_ptrItEEEEPtt9plus_mod3ItEEE10hipError_tPvRmT1_T2_T3_mT4_P12ihipStream_tbEUlT_E1_NS1_11comp_targetILNS1_3genE8ELNS1_11target_archE1030ELNS1_3gpuE2ELNS1_3repE0EEENS1_30default_config_static_selectorELNS0_4arch9wavefront6targetE1EEEvSK_.has_indirect_call, 0
	.section	.AMDGPU.csdata,"",@progbits
; Kernel info:
; codeLenInByte = 0
; TotalNumSgprs: 6
; NumVgprs: 0
; NumAgprs: 0
; TotalNumVgprs: 0
; ScratchSize: 0
; MemoryBound: 0
; FloatMode: 240
; IeeeMode: 1
; LDSByteSize: 0 bytes/workgroup (compile time only)
; SGPRBlocks: 0
; VGPRBlocks: 0
; NumSGPRsForWavesPerEU: 6
; NumVGPRsForWavesPerEU: 1
; AccumOffset: 4
; Occupancy: 8
; WaveLimiterHint : 0
; COMPUTE_PGM_RSRC2:SCRATCH_EN: 0
; COMPUTE_PGM_RSRC2:USER_SGPR: 2
; COMPUTE_PGM_RSRC2:TRAP_HANDLER: 0
; COMPUTE_PGM_RSRC2:TGID_X_EN: 1
; COMPUTE_PGM_RSRC2:TGID_Y_EN: 0
; COMPUTE_PGM_RSRC2:TGID_Z_EN: 0
; COMPUTE_PGM_RSRC2:TIDIG_COMP_CNT: 0
; COMPUTE_PGM_RSRC3_GFX90A:ACCUM_OFFSET: 0
; COMPUTE_PGM_RSRC3_GFX90A:TG_SPLIT: 0
	.section	.text._ZN7rocprim17ROCPRIM_400000_NS6detail17trampoline_kernelINS0_14default_configENS1_22reduce_config_selectorIxEEZNS1_11reduce_implILb1ES3_PxS7_x9plus_mod3IxEEE10hipError_tPvRmT1_T2_T3_mT4_P12ihipStream_tbEUlT_E0_NS1_11comp_targetILNS1_3genE0ELNS1_11target_archE4294967295ELNS1_3gpuE0ELNS1_3repE0EEENS1_30default_config_static_selectorELNS0_4arch9wavefront6targetE1EEEvSD_,"axG",@progbits,_ZN7rocprim17ROCPRIM_400000_NS6detail17trampoline_kernelINS0_14default_configENS1_22reduce_config_selectorIxEEZNS1_11reduce_implILb1ES3_PxS7_x9plus_mod3IxEEE10hipError_tPvRmT1_T2_T3_mT4_P12ihipStream_tbEUlT_E0_NS1_11comp_targetILNS1_3genE0ELNS1_11target_archE4294967295ELNS1_3gpuE0ELNS1_3repE0EEENS1_30default_config_static_selectorELNS0_4arch9wavefront6targetE1EEEvSD_,comdat
	.protected	_ZN7rocprim17ROCPRIM_400000_NS6detail17trampoline_kernelINS0_14default_configENS1_22reduce_config_selectorIxEEZNS1_11reduce_implILb1ES3_PxS7_x9plus_mod3IxEEE10hipError_tPvRmT1_T2_T3_mT4_P12ihipStream_tbEUlT_E0_NS1_11comp_targetILNS1_3genE0ELNS1_11target_archE4294967295ELNS1_3gpuE0ELNS1_3repE0EEENS1_30default_config_static_selectorELNS0_4arch9wavefront6targetE1EEEvSD_ ; -- Begin function _ZN7rocprim17ROCPRIM_400000_NS6detail17trampoline_kernelINS0_14default_configENS1_22reduce_config_selectorIxEEZNS1_11reduce_implILb1ES3_PxS7_x9plus_mod3IxEEE10hipError_tPvRmT1_T2_T3_mT4_P12ihipStream_tbEUlT_E0_NS1_11comp_targetILNS1_3genE0ELNS1_11target_archE4294967295ELNS1_3gpuE0ELNS1_3repE0EEENS1_30default_config_static_selectorELNS0_4arch9wavefront6targetE1EEEvSD_
	.globl	_ZN7rocprim17ROCPRIM_400000_NS6detail17trampoline_kernelINS0_14default_configENS1_22reduce_config_selectorIxEEZNS1_11reduce_implILb1ES3_PxS7_x9plus_mod3IxEEE10hipError_tPvRmT1_T2_T3_mT4_P12ihipStream_tbEUlT_E0_NS1_11comp_targetILNS1_3genE0ELNS1_11target_archE4294967295ELNS1_3gpuE0ELNS1_3repE0EEENS1_30default_config_static_selectorELNS0_4arch9wavefront6targetE1EEEvSD_
	.p2align	8
	.type	_ZN7rocprim17ROCPRIM_400000_NS6detail17trampoline_kernelINS0_14default_configENS1_22reduce_config_selectorIxEEZNS1_11reduce_implILb1ES3_PxS7_x9plus_mod3IxEEE10hipError_tPvRmT1_T2_T3_mT4_P12ihipStream_tbEUlT_E0_NS1_11comp_targetILNS1_3genE0ELNS1_11target_archE4294967295ELNS1_3gpuE0ELNS1_3repE0EEENS1_30default_config_static_selectorELNS0_4arch9wavefront6targetE1EEEvSD_,@function
_ZN7rocprim17ROCPRIM_400000_NS6detail17trampoline_kernelINS0_14default_configENS1_22reduce_config_selectorIxEEZNS1_11reduce_implILb1ES3_PxS7_x9plus_mod3IxEEE10hipError_tPvRmT1_T2_T3_mT4_P12ihipStream_tbEUlT_E0_NS1_11comp_targetILNS1_3genE0ELNS1_11target_archE4294967295ELNS1_3gpuE0ELNS1_3repE0EEENS1_30default_config_static_selectorELNS0_4arch9wavefront6targetE1EEEvSD_: ; @_ZN7rocprim17ROCPRIM_400000_NS6detail17trampoline_kernelINS0_14default_configENS1_22reduce_config_selectorIxEEZNS1_11reduce_implILb1ES3_PxS7_x9plus_mod3IxEEE10hipError_tPvRmT1_T2_T3_mT4_P12ihipStream_tbEUlT_E0_NS1_11comp_targetILNS1_3genE0ELNS1_11target_archE4294967295ELNS1_3gpuE0ELNS1_3repE0EEENS1_30default_config_static_selectorELNS0_4arch9wavefront6targetE1EEEvSD_
; %bb.0:
	s_load_dwordx16 s[36:51], s[0:1], 0x0
	s_mov_b32 s1, 0
	s_mov_b32 s3, s1
	v_lshlrev_b32_e32 v34, 3, v0
	v_mbcnt_lo_u32_b32 v1, -1, 0
	s_waitcnt lgkmcnt(0)
	s_lshl_b64 s[4:5], s[38:39], 3
	s_add_u32 s8, s36, s4
	s_addc_u32 s9, s37, s5
	s_lshl_b32 s0, s2, 12
	s_lshr_b64 s[4:5], s[40:41], 12
	s_lshl_b64 s[6:7], s[0:1], 3
	s_add_u32 s34, s8, s6
	s_addc_u32 s35, s9, s7
	s_cmp_lg_u64 s[4:5], s[2:3]
	s_cbranch_scc0 .LBB875_6
; %bb.1:
	global_load_dword v5, v34, s[34:35]
	global_load_dword v8, v34, s[34:35] offset:2048
	v_mov_b32_e32 v35, 0
	v_lshl_add_u64 v[2:3], s[34:35], 0, v[34:35]
	v_mov_b32_e32 v4, v35
	v_add_co_u32_e32 v6, vcc, 0x1000, v2
	s_waitcnt vmcnt(0)
	v_add_u32_e32 v5, v8, v5
	v_ashrrev_i64 v[4:5], 29, v[4:5]
	v_addc_co_u32_e32 v7, vcc, 0, v3, vcc
	v_lshl_add_u64 v[4:5], s[50:51], 0, v[4:5]
	global_load_dword v14, v[6:7], off
	v_add_co_u32_e32 v8, vcc, 0x2000, v2
	global_load_dword v5, v[4:5], off
	s_nop 0
	v_addc_co_u32_e32 v9, vcc, 0, v3, vcc
	v_mov_b32_e32 v4, v35
	v_add_co_u32_e32 v10, vcc, 0x3000, v2
	s_waitcnt vmcnt(0)
	v_add_u32_e32 v5, v5, v14
	v_addc_co_u32_e32 v11, vcc, 0, v3, vcc
	v_ashrrev_i64 v[4:5], 29, v[4:5]
	v_add_co_u32_e32 v12, vcc, 0x4000, v2
	v_lshl_add_u64 v[4:5], s[50:51], 0, v[4:5]
	s_nop 0
	v_addc_co_u32_e32 v13, vcc, 0, v3, vcc
	global_load_dword v15, v[6:7], off offset:2048
	global_load_dword v16, v[8:9], off
	global_load_dword v17, v[8:9], off offset:2048
	global_load_dword v18, v[10:11], off
	;; [unrolled: 2-line block ×3, first 2 shown]
	global_load_dword v21, v[12:13], off offset:2048
	v_add_co_u32_e32 v6, vcc, 0x5000, v2
	global_load_dword v5, v[4:5], off
	v_mov_b32_e32 v4, v35
	v_addc_co_u32_e32 v7, vcc, 0, v3, vcc
	global_load_dword v10, v[6:7], off
	v_add_co_u32_e32 v8, vcc, 0x6000, v2
	s_waitcnt vmcnt(1)
	v_add_u32_e32 v5, v5, v15
	v_ashrrev_i64 v[4:5], 29, v[4:5]
	v_lshl_add_u64 v[4:5], s[50:51], 0, v[4:5]
	global_load_dword v5, v[4:5], off
	v_mov_b32_e32 v4, v35
	v_addc_co_u32_e32 v9, vcc, 0, v3, vcc
	v_add_co_u32_e32 v2, vcc, 0x7000, v2
	s_waitcnt vmcnt(0)
	v_add_u32_e32 v5, v5, v16
	v_ashrrev_i64 v[4:5], 29, v[4:5]
	v_lshl_add_u64 v[4:5], s[50:51], 0, v[4:5]
	global_load_dword v5, v[4:5], off
	v_mov_b32_e32 v4, v35
	v_addc_co_u32_e32 v3, vcc, 0, v3, vcc
	s_waitcnt vmcnt(0)
	v_add_u32_e32 v5, v5, v17
	v_ashrrev_i64 v[4:5], 29, v[4:5]
	v_lshl_add_u64 v[4:5], s[50:51], 0, v[4:5]
	global_load_dword v5, v[4:5], off
	v_mov_b32_e32 v4, v35
	s_waitcnt vmcnt(0)
	v_add_u32_e32 v5, v5, v18
	v_ashrrev_i64 v[4:5], 29, v[4:5]
	v_lshl_add_u64 v[4:5], s[50:51], 0, v[4:5]
	global_load_dword v5, v[4:5], off
	v_mov_b32_e32 v4, v35
	;; [unrolled: 6-line block ×5, first 2 shown]
	global_load_dword v11, v[6:7], off offset:2048
	global_load_dword v12, v[8:9], off
	global_load_dword v13, v[8:9], off offset:2048
	global_load_dword v14, v[2:3], off
	global_load_dword v15, v[2:3], off offset:2048
	v_mbcnt_hi_u32_b32 v6, -1, v1
	v_cmp_eq_u32_e32 vcc, 0, v6
	s_waitcnt vmcnt(5)
	v_add_u32_e32 v5, v5, v10
	v_ashrrev_i64 v[2:3], 29, v[4:5]
	v_lshl_add_u64 v[2:3], s[50:51], 0, v[2:3]
	global_load_dword v3, v[2:3], off
	v_mov_b32_e32 v2, v35
	v_lshlrev_b32_e32 v5, 2, v6
	v_or_b32_e32 v4, 0xfc, v5
	s_waitcnt vmcnt(0)
	v_add_u32_e32 v3, v3, v11
	v_ashrrev_i64 v[2:3], 29, v[2:3]
	v_lshl_add_u64 v[2:3], s[50:51], 0, v[2:3]
	global_load_dword v3, v[2:3], off
	v_mov_b32_e32 v2, v35
	s_waitcnt vmcnt(0)
	v_add_u32_e32 v3, v3, v12
	v_ashrrev_i64 v[2:3], 29, v[2:3]
	v_lshl_add_u64 v[2:3], s[50:51], 0, v[2:3]
	global_load_dword v3, v[2:3], off
	v_mov_b32_e32 v2, v35
	;; [unrolled: 6-line block ×5, first 2 shown]
	s_waitcnt vmcnt(0)
	v_add_u32_dpp v3, v3, v3 quad_perm:[1,0,3,2] row_mask:0xf bank_mask:0xf bound_ctrl:1
	v_ashrrev_i64 v[2:3], 29, v[2:3]
	v_lshl_add_u64 v[2:3], s[50:51], 0, v[2:3]
	global_load_dword v3, v[2:3], off
	v_mov_b32_e32 v2, v35
	s_waitcnt vmcnt(0)
	v_add_u32_dpp v3, v3, v3 quad_perm:[2,3,0,1] row_mask:0xf bank_mask:0xf bound_ctrl:1
	v_ashrrev_i64 v[2:3], 29, v[2:3]
	v_lshl_add_u64 v[2:3], s[50:51], 0, v[2:3]
	global_load_dword v3, v[2:3], off
	v_mov_b32_e32 v2, v35
	s_waitcnt vmcnt(0)
	v_add_u32_dpp v3, v3, v3 row_ror:4 row_mask:0xf bank_mask:0xf bound_ctrl:1
	v_ashrrev_i64 v[2:3], 29, v[2:3]
	v_lshl_add_u64 v[2:3], s[50:51], 0, v[2:3]
	global_load_dword v3, v[2:3], off
	v_mov_b32_e32 v2, v35
	s_waitcnt vmcnt(0)
	v_add_u32_dpp v3, v3, v3 row_ror:8 row_mask:0xf bank_mask:0xf bound_ctrl:1
	v_ashrrev_i64 v[2:3], 29, v[2:3]
	v_lshl_add_u64 v[2:3], s[50:51], 0, v[2:3]
	global_load_dword v3, v[2:3], off
	v_mov_b32_e32 v2, v35
	s_waitcnt vmcnt(0)
	v_add_u32_dpp v3, v3, v3 row_bcast:15 row_mask:0xf bank_mask:0xf bound_ctrl:1
	v_ashrrev_i64 v[2:3], 29, v[2:3]
	v_lshl_add_u64 v[2:3], s[50:51], 0, v[2:3]
	global_load_dword v3, v[2:3], off
	v_mov_b32_e32 v2, v35
	s_waitcnt vmcnt(0)
	v_add_u32_dpp v3, v3, v3 row_bcast:31 row_mask:0xf bank_mask:0xf bound_ctrl:1
	v_ashrrev_i64 v[2:3], 29, v[2:3]
	v_lshl_add_u64 v[2:3], s[50:51], 0, v[2:3]
	global_load_dwordx2 v[2:3], v[2:3], off
	s_waitcnt vmcnt(0)
	ds_bpermute_b32 v2, v4, v2
	ds_bpermute_b32 v3, v4, v3
	s_and_saveexec_b64 s[4:5], vcc
	s_cbranch_execz .LBB875_3
; %bb.2:
	v_lshrrev_b32_e32 v4, 3, v0
	v_and_b32_e32 v4, 24, v4
	s_waitcnt lgkmcnt(0)
	ds_write_b64 v4, v[2:3] offset:32
.LBB875_3:
	s_or_b64 exec, exec, s[4:5]
	v_cmp_gt_u32_e32 vcc, 64, v0
	s_mov_b64 s[4:5], 0
	s_mov_b64 s[30:31], 0
	s_waitcnt lgkmcnt(0)
	s_barrier
                                        ; implicit-def: $vgpr4
	s_and_saveexec_b64 s[6:7], vcc
	s_xor_b64 s[6:7], exec, s[6:7]
	s_cbranch_execz .LBB875_5
; %bb.4:
	v_and_b32_e32 v2, 3, v6
	v_lshlrev_b32_e32 v3, 3, v2
	ds_read_b32 v3, v3 offset:32
	v_cmp_ne_u32_e32 vcc, 3, v2
	v_or_b32_e32 v4, 8, v5
	s_mov_b64 s[30:31], exec
	v_addc_co_u32_e32 v2, vcc, 0, v6, vcc
	v_lshlrev_b32_e32 v2, 2, v2
	s_waitcnt lgkmcnt(0)
	ds_bpermute_b32 v2, v2, v3
	s_waitcnt lgkmcnt(0)
	v_add_u32_e32 v3, v3, v2
	v_mov_b32_e32 v2, 0
	v_ashrrev_i64 v[2:3], 29, v[2:3]
	v_lshl_add_u64 v[2:3], s[50:51], 0, v[2:3]
	global_load_dwordx2 v[2:3], v[2:3], off
	s_waitcnt vmcnt(0)
	ds_bpermute_b32 v4, v4, v2
.LBB875_5:
	s_or_b64 exec, exec, s[6:7]
	s_and_b64 vcc, exec, s[4:5]
	s_cbranch_vccnz .LBB875_7
	s_branch .LBB875_73
.LBB875_6:
	s_mov_b64 s[30:31], 0
                                        ; implicit-def: $vgpr4
                                        ; implicit-def: $vgpr2_vgpr3
	s_cbranch_execz .LBB875_73
.LBB875_7:
	s_sub_i32 s33, s40, s0
	v_mov_b32_e32 v2, 0
	v_cmp_gt_u32_e32 vcc, s33, v0
	v_mov_b32_e32 v3, v2
	s_waitcnt lgkmcnt(0)
	v_mov_b32_e32 v4, v2
	v_mov_b32_e32 v6, v2
	;; [unrolled: 1-line block ×15, first 2 shown]
	s_and_saveexec_b64 s[0:1], vcc
	s_cbranch_execz .LBB875_9
; %bb.8:
	global_load_dwordx2 v[36:37], v34, s[34:35]
	v_mov_b32_e32 v38, v2
	v_mov_b32_e32 v40, v2
	;; [unrolled: 1-line block ×15, first 2 shown]
	s_waitcnt vmcnt(0)
	v_mov_b64_e32 v[2:3], v[36:37]
	v_mov_b64_e32 v[4:5], v[38:39]
	;; [unrolled: 1-line block ×16, first 2 shown]
.LBB875_9:
	s_or_b64 exec, exec, s[0:1]
	v_or_b32_e32 v5, 0x100, v0
	v_cmp_gt_u32_e32 vcc, s33, v5
	s_and_saveexec_b64 s[0:1], vcc
	s_cbranch_execz .LBB875_11
; %bb.10:
	global_load_dwordx2 v[4:5], v34, s[34:35] offset:2048
.LBB875_11:
	s_or_b64 exec, exec, s[0:1]
	s_waitcnt vmcnt(0)
	v_or_b32_e32 v5, 0x200, v0
	v_cmp_gt_u32_e64 s[0:1], s33, v5
	s_and_saveexec_b64 s[4:5], s[0:1]
	s_cbranch_execz .LBB875_13
; %bb.12:
	v_lshlrev_b32_e32 v5, 3, v5
	global_load_dwordx2 v[6:7], v5, s[34:35]
.LBB875_13:
	s_or_b64 exec, exec, s[4:5]
	v_or_b32_e32 v5, 0x300, v0
	v_cmp_gt_u32_e64 s[4:5], s33, v5
	s_and_saveexec_b64 s[6:7], s[4:5]
	s_cbranch_execz .LBB875_15
; %bb.14:
	v_lshlrev_b32_e32 v5, 3, v5
	global_load_dwordx2 v[8:9], v5, s[34:35]
.LBB875_15:
	s_or_b64 exec, exec, s[6:7]
	v_or_b32_e32 v5, 0x400, v0
	v_cmp_gt_u32_e64 s[6:7], s33, v5
	s_and_saveexec_b64 s[8:9], s[6:7]
	s_cbranch_execz .LBB875_17
; %bb.16:
	v_lshlrev_b32_e32 v5, 3, v5
	global_load_dwordx2 v[10:11], v5, s[34:35]
.LBB875_17:
	s_or_b64 exec, exec, s[8:9]
	v_or_b32_e32 v5, 0x500, v0
	v_cmp_gt_u32_e64 s[8:9], s33, v5
	s_and_saveexec_b64 s[10:11], s[8:9]
	s_cbranch_execz .LBB875_19
; %bb.18:
	v_lshlrev_b32_e32 v5, 3, v5
	global_load_dwordx2 v[12:13], v5, s[34:35]
.LBB875_19:
	s_or_b64 exec, exec, s[10:11]
	v_or_b32_e32 v5, 0x600, v0
	v_cmp_gt_u32_e64 s[10:11], s33, v5
	s_and_saveexec_b64 s[12:13], s[10:11]
	s_cbranch_execz .LBB875_21
; %bb.20:
	v_lshlrev_b32_e32 v5, 3, v5
	global_load_dwordx2 v[14:15], v5, s[34:35]
.LBB875_21:
	s_or_b64 exec, exec, s[12:13]
	v_or_b32_e32 v5, 0x700, v0
	v_cmp_gt_u32_e64 s[12:13], s33, v5
	s_and_saveexec_b64 s[14:15], s[12:13]
	s_cbranch_execz .LBB875_23
; %bb.22:
	v_lshlrev_b32_e32 v5, 3, v5
	global_load_dwordx2 v[16:17], v5, s[34:35]
.LBB875_23:
	s_or_b64 exec, exec, s[14:15]
	v_or_b32_e32 v5, 0x800, v0
	v_cmp_gt_u32_e64 s[14:15], s33, v5
	s_and_saveexec_b64 s[16:17], s[14:15]
	s_cbranch_execz .LBB875_25
; %bb.24:
	v_lshlrev_b32_e32 v5, 3, v5
	global_load_dwordx2 v[18:19], v5, s[34:35]
.LBB875_25:
	s_or_b64 exec, exec, s[16:17]
	v_or_b32_e32 v5, 0x900, v0
	v_cmp_gt_u32_e64 s[16:17], s33, v5
	s_and_saveexec_b64 s[18:19], s[16:17]
	s_cbranch_execz .LBB875_27
; %bb.26:
	v_lshlrev_b32_e32 v5, 3, v5
	global_load_dwordx2 v[20:21], v5, s[34:35]
.LBB875_27:
	s_or_b64 exec, exec, s[18:19]
	v_or_b32_e32 v5, 0xa00, v0
	v_cmp_gt_u32_e64 s[18:19], s33, v5
	s_and_saveexec_b64 s[20:21], s[18:19]
	s_cbranch_execz .LBB875_29
; %bb.28:
	v_lshlrev_b32_e32 v5, 3, v5
	global_load_dwordx2 v[22:23], v5, s[34:35]
.LBB875_29:
	s_or_b64 exec, exec, s[20:21]
	v_or_b32_e32 v5, 0xb00, v0
	v_cmp_gt_u32_e64 s[20:21], s33, v5
	s_and_saveexec_b64 s[22:23], s[20:21]
	s_cbranch_execz .LBB875_31
; %bb.30:
	v_lshlrev_b32_e32 v5, 3, v5
	global_load_dwordx2 v[24:25], v5, s[34:35]
.LBB875_31:
	s_or_b64 exec, exec, s[22:23]
	v_or_b32_e32 v5, 0xc00, v0
	v_cmp_gt_u32_e64 s[22:23], s33, v5
	s_and_saveexec_b64 s[24:25], s[22:23]
	s_cbranch_execz .LBB875_33
; %bb.32:
	v_lshlrev_b32_e32 v5, 3, v5
	global_load_dwordx2 v[26:27], v5, s[34:35]
.LBB875_33:
	s_or_b64 exec, exec, s[24:25]
	v_or_b32_e32 v5, 0xd00, v0
	v_cmp_gt_u32_e64 s[24:25], s33, v5
	s_and_saveexec_b64 s[26:27], s[24:25]
	s_cbranch_execz .LBB875_35
; %bb.34:
	v_lshlrev_b32_e32 v5, 3, v5
	global_load_dwordx2 v[28:29], v5, s[34:35]
.LBB875_35:
	s_or_b64 exec, exec, s[26:27]
	v_or_b32_e32 v5, 0xe00, v0
	v_cmp_gt_u32_e64 s[26:27], s33, v5
	s_and_saveexec_b64 s[28:29], s[26:27]
	s_cbranch_execz .LBB875_37
; %bb.36:
	v_lshlrev_b32_e32 v5, 3, v5
	global_load_dwordx2 v[30:31], v5, s[34:35]
.LBB875_37:
	s_or_b64 exec, exec, s[28:29]
	v_or_b32_e32 v5, 0xf00, v0
	v_cmp_gt_u32_e64 s[28:29], s33, v5
	s_and_saveexec_b64 s[36:37], s[28:29]
	s_cbranch_execnz .LBB875_78
; %bb.38:
	s_or_b64 exec, exec, s[36:37]
	s_and_saveexec_b64 s[34:35], vcc
	s_cbranch_execnz .LBB875_79
.LBB875_39:
	s_or_b64 exec, exec, s[34:35]
	s_and_saveexec_b64 s[34:35], s[0:1]
	s_cbranch_execnz .LBB875_80
.LBB875_40:
	s_or_b64 exec, exec, s[34:35]
	s_and_saveexec_b64 s[0:1], s[4:5]
	s_cbranch_execnz .LBB875_81
.LBB875_41:
	s_or_b64 exec, exec, s[0:1]
	s_and_saveexec_b64 s[0:1], s[6:7]
	s_cbranch_execnz .LBB875_82
.LBB875_42:
	s_or_b64 exec, exec, s[0:1]
	s_and_saveexec_b64 s[0:1], s[8:9]
	s_cbranch_execnz .LBB875_83
.LBB875_43:
	s_or_b64 exec, exec, s[0:1]
	s_and_saveexec_b64 s[0:1], s[10:11]
	s_cbranch_execnz .LBB875_84
.LBB875_44:
	s_or_b64 exec, exec, s[0:1]
	s_and_saveexec_b64 s[0:1], s[12:13]
	s_cbranch_execnz .LBB875_85
.LBB875_45:
	s_or_b64 exec, exec, s[0:1]
	s_and_saveexec_b64 s[0:1], s[14:15]
	s_cbranch_execnz .LBB875_86
.LBB875_46:
	s_or_b64 exec, exec, s[0:1]
	s_and_saveexec_b64 s[0:1], s[16:17]
	s_cbranch_execnz .LBB875_87
.LBB875_47:
	s_or_b64 exec, exec, s[0:1]
	s_and_saveexec_b64 s[0:1], s[18:19]
	s_cbranch_execnz .LBB875_88
.LBB875_48:
	s_or_b64 exec, exec, s[0:1]
	s_and_saveexec_b64 s[0:1], s[20:21]
	s_cbranch_execnz .LBB875_89
.LBB875_49:
	s_or_b64 exec, exec, s[0:1]
	s_and_saveexec_b64 s[0:1], s[22:23]
	s_cbranch_execnz .LBB875_90
.LBB875_50:
	s_or_b64 exec, exec, s[0:1]
	s_and_saveexec_b64 s[0:1], s[24:25]
	s_cbranch_execnz .LBB875_91
.LBB875_51:
	s_or_b64 exec, exec, s[0:1]
	s_and_saveexec_b64 s[0:1], s[26:27]
	s_cbranch_execnz .LBB875_92
.LBB875_52:
	s_or_b64 exec, exec, s[0:1]
	s_and_saveexec_b64 s[0:1], s[28:29]
	s_cbranch_execz .LBB875_54
.LBB875_53:
	s_waitcnt vmcnt(0)
	v_add_u32_e32 v3, v2, v32
	v_mov_b32_e32 v2, 0
	v_ashrrev_i64 v[2:3], 29, v[2:3]
	v_lshl_add_u64 v[2:3], s[50:51], 0, v[2:3]
	global_load_dwordx2 v[2:3], v[2:3], off
.LBB875_54:
	s_or_b64 exec, exec, s[0:1]
	v_mbcnt_hi_u32_b32 v1, -1, v1
	v_and_b32_e32 v4, 63, v1
	v_cmp_ne_u32_e32 vcc, 63, v4
	s_min_u32 s4, s33, 0x100
	s_waitcnt vmcnt(0)
	v_add_u32_e32 v7, 1, v4
	v_addc_co_u32_e32 v5, vcc, 0, v1, vcc
	v_lshlrev_b32_e32 v5, 2, v5
	ds_bpermute_b32 v6, v5, v2
	v_and_b32_e32 v5, 0xc0, v0
	v_sub_u32_e64 v5, s4, v5 clamp
	v_cmp_lt_u32_e32 vcc, v7, v5
	s_and_saveexec_b64 s[0:1], vcc
	s_xor_b64 s[0:1], exec, s[0:1]
	s_cbranch_execz .LBB875_56
; %bb.55:
	s_waitcnt lgkmcnt(0)
	v_add_u32_e32 v3, v2, v6
	v_mov_b32_e32 v2, 0
	v_ashrrev_i64 v[2:3], 29, v[2:3]
	v_lshl_add_u64 v[2:3], s[50:51], 0, v[2:3]
	global_load_dwordx2 v[2:3], v[2:3], off
.LBB875_56:
	s_or_b64 exec, exec, s[0:1]
	v_cmp_gt_u32_e32 vcc, 62, v4
	v_add_u32_e32 v7, 2, v4
	s_waitcnt lgkmcnt(0)
	v_cndmask_b32_e64 v6, 0, 2, vcc
	v_add_lshl_u32 v6, v6, v1, 2
	s_waitcnt vmcnt(0)
	ds_bpermute_b32 v6, v6, v2
	v_cmp_lt_u32_e32 vcc, v7, v5
	s_and_saveexec_b64 s[0:1], vcc
	s_cbranch_execz .LBB875_58
; %bb.57:
	s_waitcnt lgkmcnt(0)
	v_add_u32_e32 v3, v2, v6
	v_mov_b32_e32 v2, 0
	v_ashrrev_i64 v[2:3], 29, v[2:3]
	v_lshl_add_u64 v[2:3], s[50:51], 0, v[2:3]
	global_load_dwordx2 v[2:3], v[2:3], off
.LBB875_58:
	s_or_b64 exec, exec, s[0:1]
	v_cmp_gt_u32_e32 vcc, 60, v4
	v_add_u32_e32 v7, 4, v4
	s_waitcnt lgkmcnt(0)
	v_cndmask_b32_e64 v6, 0, 4, vcc
	v_add_lshl_u32 v6, v6, v1, 2
	s_waitcnt vmcnt(0)
	ds_bpermute_b32 v6, v6, v2
	v_cmp_lt_u32_e32 vcc, v7, v5
	s_and_saveexec_b64 s[0:1], vcc
	;; [unrolled: 19-line block ×4, first 2 shown]
	s_cbranch_execz .LBB875_64
; %bb.63:
	s_waitcnt lgkmcnt(0)
	v_add_u32_e32 v3, v2, v6
	v_mov_b32_e32 v2, 0
	v_ashrrev_i64 v[2:3], 29, v[2:3]
	v_lshl_add_u64 v[2:3], s[50:51], 0, v[2:3]
	global_load_dwordx2 v[2:3], v[2:3], off
.LBB875_64:
	s_or_b64 exec, exec, s[0:1]
	s_waitcnt lgkmcnt(0)
	v_lshlrev_b32_e32 v6, 2, v1
	v_or_b32_e32 v7, 0x80, v6
	s_waitcnt vmcnt(0)
	ds_bpermute_b32 v7, v7, v2
	v_add_u32_e32 v4, 32, v4
	v_cmp_lt_u32_e32 vcc, v4, v5
	s_and_saveexec_b64 s[0:1], vcc
	s_cbranch_execz .LBB875_66
; %bb.65:
	s_waitcnt lgkmcnt(0)
	v_add_u32_e32 v3, v2, v7
	v_mov_b32_e32 v2, 0
	v_ashrrev_i64 v[2:3], 29, v[2:3]
	v_lshl_add_u64 v[2:3], s[50:51], 0, v[2:3]
	global_load_dwordx2 v[2:3], v[2:3], off
.LBB875_66:
	s_or_b64 exec, exec, s[0:1]
	v_cmp_eq_u32_e32 vcc, 0, v1
	s_and_saveexec_b64 s[0:1], vcc
	s_cbranch_execz .LBB875_68
; %bb.67:
	v_lshrrev_b32_e32 v4, 3, v0
	v_and_b32_e32 v4, 24, v4
	s_waitcnt vmcnt(0)
	ds_write_b64 v4, v[2:3]
.LBB875_68:
	s_or_b64 exec, exec, s[0:1]
	v_cmp_gt_u32_e32 vcc, 4, v0
	s_waitcnt lgkmcnt(0)
	s_barrier
                                        ; implicit-def: $vgpr4
	s_and_saveexec_b64 s[0:1], vcc
	s_cbranch_execz .LBB875_72
; %bb.69:
	s_waitcnt vmcnt(0)
	v_lshlrev_b32_e32 v2, 3, v1
	ds_read_b64 v[2:3], v2
	v_and_b32_e32 v4, 3, v1
	v_cmp_ne_u32_e32 vcc, 3, v4
	s_add_i32 s4, s4, 63
	s_lshr_b32 s6, s4, 6
	v_addc_co_u32_e32 v1, vcc, 0, v1, vcc
	v_lshlrev_b32_e32 v1, 2, v1
	s_waitcnt lgkmcnt(0)
	ds_bpermute_b32 v1, v1, v2
	v_add_u32_e32 v5, 1, v4
	v_cmp_gt_u32_e32 vcc, s6, v5
	s_and_saveexec_b64 s[4:5], vcc
	s_cbranch_execz .LBB875_71
; %bb.70:
	s_waitcnt lgkmcnt(0)
	v_add_u32_e32 v3, v2, v1
	v_mov_b32_e32 v2, 0
	v_ashrrev_i64 v[2:3], 29, v[2:3]
	v_lshl_add_u64 v[2:3], s[50:51], 0, v[2:3]
	global_load_dwordx2 v[2:3], v[2:3], off
.LBB875_71:
	s_or_b64 exec, exec, s[4:5]
	s_waitcnt lgkmcnt(0)
	v_add_u32_e32 v1, 2, v4
	v_or_b32_e32 v4, 8, v6
	s_waitcnt vmcnt(0)
	ds_bpermute_b32 v4, v4, v2
	v_cmp_gt_u32_e32 vcc, s6, v1
	s_andn2_b64 s[4:5], s[30:31], exec
	s_and_b64 s[6:7], vcc, exec
	s_or_b64 s[30:31], s[4:5], s[6:7]
.LBB875_72:
	s_or_b64 exec, exec, s[0:1]
.LBB875_73:
	s_and_saveexec_b64 s[0:1], s[30:31]
	s_cbranch_execnz .LBB875_76
; %bb.74:
	s_or_b64 exec, exec, s[0:1]
	v_cmp_eq_u32_e32 vcc, 0, v0
	s_and_saveexec_b64 s[0:1], vcc
	s_cbranch_execnz .LBB875_77
.LBB875_75:
	s_endpgm
.LBB875_76:
	s_waitcnt vmcnt(0) lgkmcnt(0)
	v_add_u32_e32 v3, v2, v4
	v_mov_b32_e32 v2, 0
	v_ashrrev_i64 v[2:3], 29, v[2:3]
	v_lshl_add_u64 v[2:3], s[50:51], 0, v[2:3]
	global_load_dwordx2 v[2:3], v[2:3], off
	s_or_b64 exec, exec, s[0:1]
	v_cmp_eq_u32_e32 vcc, 0, v0
	s_and_saveexec_b64 s[0:1], vcc
	s_cbranch_execz .LBB875_75
.LBB875_77:
	s_mul_i32 s0, s46, s45
	s_mul_hi_u32 s1, s46, s44
	s_add_i32 s0, s1, s0
	s_mul_i32 s1, s47, s44
	s_add_i32 s1, s0, s1
	s_mul_i32 s0, s46, s44
	s_lshl_b64 s[0:1], s[0:1], 3
	s_add_u32 s4, s42, s0
	s_addc_u32 s5, s43, s1
	s_cmp_eq_u64 s[40:41], 0
	v_mov_b32_e32 v0, s49
	s_cselect_b64 vcc, -1, 0
	s_lshl_b64 s[0:1], s[2:3], 3
	s_waitcnt vmcnt(0)
	v_cndmask_b32_e32 v1, v3, v0, vcc
	v_mov_b32_e32 v0, s48
	s_add_u32 s0, s4, s0
	v_cndmask_b32_e32 v0, v2, v0, vcc
	s_addc_u32 s1, s5, s1
	v_mov_b32_e32 v2, 0
	global_store_dwordx2 v2, v[0:1], s[0:1]
	s_endpgm
.LBB875_78:
	v_lshlrev_b32_e32 v5, 3, v5
	global_load_dwordx2 v[32:33], v5, s[34:35]
	s_or_b64 exec, exec, s[36:37]
	s_and_saveexec_b64 s[34:35], vcc
	s_cbranch_execz .LBB875_39
.LBB875_79:
	v_add_u32_e32 v3, v4, v2
	v_mov_b32_e32 v2, 0
	v_ashrrev_i64 v[2:3], 29, v[2:3]
	v_lshl_add_u64 v[2:3], s[50:51], 0, v[2:3]
	global_load_dwordx2 v[2:3], v[2:3], off
	s_or_b64 exec, exec, s[34:35]
	s_and_saveexec_b64 s[34:35], s[0:1]
	s_cbranch_execz .LBB875_40
.LBB875_80:
	s_waitcnt vmcnt(0)
	v_add_u32_e32 v3, v2, v6
	v_mov_b32_e32 v2, 0
	v_ashrrev_i64 v[2:3], 29, v[2:3]
	v_lshl_add_u64 v[2:3], s[50:51], 0, v[2:3]
	global_load_dwordx2 v[2:3], v[2:3], off
	s_or_b64 exec, exec, s[34:35]
	s_and_saveexec_b64 s[0:1], s[4:5]
	s_cbranch_execz .LBB875_41
.LBB875_81:
	s_waitcnt vmcnt(0)
	v_add_u32_e32 v3, v2, v8
	v_mov_b32_e32 v2, 0
	v_ashrrev_i64 v[2:3], 29, v[2:3]
	v_lshl_add_u64 v[2:3], s[50:51], 0, v[2:3]
	global_load_dwordx2 v[2:3], v[2:3], off
	s_or_b64 exec, exec, s[0:1]
	s_and_saveexec_b64 s[0:1], s[6:7]
	s_cbranch_execz .LBB875_42
.LBB875_82:
	s_waitcnt vmcnt(0)
	v_add_u32_e32 v3, v2, v10
	v_mov_b32_e32 v2, 0
	v_ashrrev_i64 v[2:3], 29, v[2:3]
	v_lshl_add_u64 v[2:3], s[50:51], 0, v[2:3]
	global_load_dwordx2 v[2:3], v[2:3], off
	s_or_b64 exec, exec, s[0:1]
	s_and_saveexec_b64 s[0:1], s[8:9]
	s_cbranch_execz .LBB875_43
.LBB875_83:
	s_waitcnt vmcnt(0)
	v_add_u32_e32 v3, v2, v12
	v_mov_b32_e32 v2, 0
	v_ashrrev_i64 v[2:3], 29, v[2:3]
	v_lshl_add_u64 v[2:3], s[50:51], 0, v[2:3]
	global_load_dwordx2 v[2:3], v[2:3], off
	s_or_b64 exec, exec, s[0:1]
	s_and_saveexec_b64 s[0:1], s[10:11]
	s_cbranch_execz .LBB875_44
.LBB875_84:
	s_waitcnt vmcnt(0)
	v_add_u32_e32 v3, v2, v14
	v_mov_b32_e32 v2, 0
	v_ashrrev_i64 v[2:3], 29, v[2:3]
	v_lshl_add_u64 v[2:3], s[50:51], 0, v[2:3]
	global_load_dwordx2 v[2:3], v[2:3], off
	s_or_b64 exec, exec, s[0:1]
	s_and_saveexec_b64 s[0:1], s[12:13]
	s_cbranch_execz .LBB875_45
.LBB875_85:
	s_waitcnt vmcnt(0)
	v_add_u32_e32 v3, v2, v16
	v_mov_b32_e32 v2, 0
	v_ashrrev_i64 v[2:3], 29, v[2:3]
	v_lshl_add_u64 v[2:3], s[50:51], 0, v[2:3]
	global_load_dwordx2 v[2:3], v[2:3], off
	s_or_b64 exec, exec, s[0:1]
	s_and_saveexec_b64 s[0:1], s[14:15]
	s_cbranch_execz .LBB875_46
.LBB875_86:
	s_waitcnt vmcnt(0)
	v_add_u32_e32 v3, v2, v18
	v_mov_b32_e32 v2, 0
	v_ashrrev_i64 v[2:3], 29, v[2:3]
	v_lshl_add_u64 v[2:3], s[50:51], 0, v[2:3]
	global_load_dwordx2 v[2:3], v[2:3], off
	s_or_b64 exec, exec, s[0:1]
	s_and_saveexec_b64 s[0:1], s[16:17]
	s_cbranch_execz .LBB875_47
.LBB875_87:
	s_waitcnt vmcnt(0)
	v_add_u32_e32 v3, v2, v20
	v_mov_b32_e32 v2, 0
	v_ashrrev_i64 v[2:3], 29, v[2:3]
	v_lshl_add_u64 v[2:3], s[50:51], 0, v[2:3]
	global_load_dwordx2 v[2:3], v[2:3], off
	s_or_b64 exec, exec, s[0:1]
	s_and_saveexec_b64 s[0:1], s[18:19]
	s_cbranch_execz .LBB875_48
.LBB875_88:
	s_waitcnt vmcnt(0)
	v_add_u32_e32 v3, v2, v22
	v_mov_b32_e32 v2, 0
	v_ashrrev_i64 v[2:3], 29, v[2:3]
	v_lshl_add_u64 v[2:3], s[50:51], 0, v[2:3]
	global_load_dwordx2 v[2:3], v[2:3], off
	s_or_b64 exec, exec, s[0:1]
	s_and_saveexec_b64 s[0:1], s[20:21]
	s_cbranch_execz .LBB875_49
.LBB875_89:
	s_waitcnt vmcnt(0)
	v_add_u32_e32 v3, v2, v24
	v_mov_b32_e32 v2, 0
	v_ashrrev_i64 v[2:3], 29, v[2:3]
	v_lshl_add_u64 v[2:3], s[50:51], 0, v[2:3]
	global_load_dwordx2 v[2:3], v[2:3], off
	s_or_b64 exec, exec, s[0:1]
	s_and_saveexec_b64 s[0:1], s[22:23]
	s_cbranch_execz .LBB875_50
.LBB875_90:
	s_waitcnt vmcnt(0)
	v_add_u32_e32 v3, v2, v26
	v_mov_b32_e32 v2, 0
	v_ashrrev_i64 v[2:3], 29, v[2:3]
	v_lshl_add_u64 v[2:3], s[50:51], 0, v[2:3]
	global_load_dwordx2 v[2:3], v[2:3], off
	s_or_b64 exec, exec, s[0:1]
	s_and_saveexec_b64 s[0:1], s[24:25]
	s_cbranch_execz .LBB875_51
.LBB875_91:
	s_waitcnt vmcnt(0)
	v_add_u32_e32 v3, v2, v28
	v_mov_b32_e32 v2, 0
	v_ashrrev_i64 v[2:3], 29, v[2:3]
	v_lshl_add_u64 v[2:3], s[50:51], 0, v[2:3]
	global_load_dwordx2 v[2:3], v[2:3], off
	s_or_b64 exec, exec, s[0:1]
	s_and_saveexec_b64 s[0:1], s[26:27]
	s_cbranch_execz .LBB875_52
.LBB875_92:
	s_waitcnt vmcnt(0)
	v_add_u32_e32 v3, v2, v30
	v_mov_b32_e32 v2, 0
	v_ashrrev_i64 v[2:3], 29, v[2:3]
	v_lshl_add_u64 v[2:3], s[50:51], 0, v[2:3]
	global_load_dwordx2 v[2:3], v[2:3], off
	s_or_b64 exec, exec, s[0:1]
	s_and_saveexec_b64 s[0:1], s[28:29]
	s_cbranch_execnz .LBB875_53
	s_branch .LBB875_54
	.section	.rodata,"a",@progbits
	.p2align	6, 0x0
	.amdhsa_kernel _ZN7rocprim17ROCPRIM_400000_NS6detail17trampoline_kernelINS0_14default_configENS1_22reduce_config_selectorIxEEZNS1_11reduce_implILb1ES3_PxS7_x9plus_mod3IxEEE10hipError_tPvRmT1_T2_T3_mT4_P12ihipStream_tbEUlT_E0_NS1_11comp_targetILNS1_3genE0ELNS1_11target_archE4294967295ELNS1_3gpuE0ELNS1_3repE0EEENS1_30default_config_static_selectorELNS0_4arch9wavefront6targetE1EEEvSD_
		.amdhsa_group_segment_fixed_size 64
		.amdhsa_private_segment_fixed_size 0
		.amdhsa_kernarg_size 64
		.amdhsa_user_sgpr_count 2
		.amdhsa_user_sgpr_dispatch_ptr 0
		.amdhsa_user_sgpr_queue_ptr 0
		.amdhsa_user_sgpr_kernarg_segment_ptr 1
		.amdhsa_user_sgpr_dispatch_id 0
		.amdhsa_user_sgpr_kernarg_preload_length 0
		.amdhsa_user_sgpr_kernarg_preload_offset 0
		.amdhsa_user_sgpr_private_segment_size 0
		.amdhsa_uses_dynamic_stack 0
		.amdhsa_enable_private_segment 0
		.amdhsa_system_sgpr_workgroup_id_x 1
		.amdhsa_system_sgpr_workgroup_id_y 0
		.amdhsa_system_sgpr_workgroup_id_z 0
		.amdhsa_system_sgpr_workgroup_info 0
		.amdhsa_system_vgpr_workitem_id 0
		.amdhsa_next_free_vgpr 68
		.amdhsa_next_free_sgpr 52
		.amdhsa_accum_offset 68
		.amdhsa_reserve_vcc 1
		.amdhsa_float_round_mode_32 0
		.amdhsa_float_round_mode_16_64 0
		.amdhsa_float_denorm_mode_32 3
		.amdhsa_float_denorm_mode_16_64 3
		.amdhsa_dx10_clamp 1
		.amdhsa_ieee_mode 1
		.amdhsa_fp16_overflow 0
		.amdhsa_tg_split 0
		.amdhsa_exception_fp_ieee_invalid_op 0
		.amdhsa_exception_fp_denorm_src 0
		.amdhsa_exception_fp_ieee_div_zero 0
		.amdhsa_exception_fp_ieee_overflow 0
		.amdhsa_exception_fp_ieee_underflow 0
		.amdhsa_exception_fp_ieee_inexact 0
		.amdhsa_exception_int_div_zero 0
	.end_amdhsa_kernel
	.section	.text._ZN7rocprim17ROCPRIM_400000_NS6detail17trampoline_kernelINS0_14default_configENS1_22reduce_config_selectorIxEEZNS1_11reduce_implILb1ES3_PxS7_x9plus_mod3IxEEE10hipError_tPvRmT1_T2_T3_mT4_P12ihipStream_tbEUlT_E0_NS1_11comp_targetILNS1_3genE0ELNS1_11target_archE4294967295ELNS1_3gpuE0ELNS1_3repE0EEENS1_30default_config_static_selectorELNS0_4arch9wavefront6targetE1EEEvSD_,"axG",@progbits,_ZN7rocprim17ROCPRIM_400000_NS6detail17trampoline_kernelINS0_14default_configENS1_22reduce_config_selectorIxEEZNS1_11reduce_implILb1ES3_PxS7_x9plus_mod3IxEEE10hipError_tPvRmT1_T2_T3_mT4_P12ihipStream_tbEUlT_E0_NS1_11comp_targetILNS1_3genE0ELNS1_11target_archE4294967295ELNS1_3gpuE0ELNS1_3repE0EEENS1_30default_config_static_selectorELNS0_4arch9wavefront6targetE1EEEvSD_,comdat
.Lfunc_end875:
	.size	_ZN7rocprim17ROCPRIM_400000_NS6detail17trampoline_kernelINS0_14default_configENS1_22reduce_config_selectorIxEEZNS1_11reduce_implILb1ES3_PxS7_x9plus_mod3IxEEE10hipError_tPvRmT1_T2_T3_mT4_P12ihipStream_tbEUlT_E0_NS1_11comp_targetILNS1_3genE0ELNS1_11target_archE4294967295ELNS1_3gpuE0ELNS1_3repE0EEENS1_30default_config_static_selectorELNS0_4arch9wavefront6targetE1EEEvSD_, .Lfunc_end875-_ZN7rocprim17ROCPRIM_400000_NS6detail17trampoline_kernelINS0_14default_configENS1_22reduce_config_selectorIxEEZNS1_11reduce_implILb1ES3_PxS7_x9plus_mod3IxEEE10hipError_tPvRmT1_T2_T3_mT4_P12ihipStream_tbEUlT_E0_NS1_11comp_targetILNS1_3genE0ELNS1_11target_archE4294967295ELNS1_3gpuE0ELNS1_3repE0EEENS1_30default_config_static_selectorELNS0_4arch9wavefront6targetE1EEEvSD_
                                        ; -- End function
	.set _ZN7rocprim17ROCPRIM_400000_NS6detail17trampoline_kernelINS0_14default_configENS1_22reduce_config_selectorIxEEZNS1_11reduce_implILb1ES3_PxS7_x9plus_mod3IxEEE10hipError_tPvRmT1_T2_T3_mT4_P12ihipStream_tbEUlT_E0_NS1_11comp_targetILNS1_3genE0ELNS1_11target_archE4294967295ELNS1_3gpuE0ELNS1_3repE0EEENS1_30default_config_static_selectorELNS0_4arch9wavefront6targetE1EEEvSD_.num_vgpr, 68
	.set _ZN7rocprim17ROCPRIM_400000_NS6detail17trampoline_kernelINS0_14default_configENS1_22reduce_config_selectorIxEEZNS1_11reduce_implILb1ES3_PxS7_x9plus_mod3IxEEE10hipError_tPvRmT1_T2_T3_mT4_P12ihipStream_tbEUlT_E0_NS1_11comp_targetILNS1_3genE0ELNS1_11target_archE4294967295ELNS1_3gpuE0ELNS1_3repE0EEENS1_30default_config_static_selectorELNS0_4arch9wavefront6targetE1EEEvSD_.num_agpr, 0
	.set _ZN7rocprim17ROCPRIM_400000_NS6detail17trampoline_kernelINS0_14default_configENS1_22reduce_config_selectorIxEEZNS1_11reduce_implILb1ES3_PxS7_x9plus_mod3IxEEE10hipError_tPvRmT1_T2_T3_mT4_P12ihipStream_tbEUlT_E0_NS1_11comp_targetILNS1_3genE0ELNS1_11target_archE4294967295ELNS1_3gpuE0ELNS1_3repE0EEENS1_30default_config_static_selectorELNS0_4arch9wavefront6targetE1EEEvSD_.numbered_sgpr, 52
	.set _ZN7rocprim17ROCPRIM_400000_NS6detail17trampoline_kernelINS0_14default_configENS1_22reduce_config_selectorIxEEZNS1_11reduce_implILb1ES3_PxS7_x9plus_mod3IxEEE10hipError_tPvRmT1_T2_T3_mT4_P12ihipStream_tbEUlT_E0_NS1_11comp_targetILNS1_3genE0ELNS1_11target_archE4294967295ELNS1_3gpuE0ELNS1_3repE0EEENS1_30default_config_static_selectorELNS0_4arch9wavefront6targetE1EEEvSD_.num_named_barrier, 0
	.set _ZN7rocprim17ROCPRIM_400000_NS6detail17trampoline_kernelINS0_14default_configENS1_22reduce_config_selectorIxEEZNS1_11reduce_implILb1ES3_PxS7_x9plus_mod3IxEEE10hipError_tPvRmT1_T2_T3_mT4_P12ihipStream_tbEUlT_E0_NS1_11comp_targetILNS1_3genE0ELNS1_11target_archE4294967295ELNS1_3gpuE0ELNS1_3repE0EEENS1_30default_config_static_selectorELNS0_4arch9wavefront6targetE1EEEvSD_.private_seg_size, 0
	.set _ZN7rocprim17ROCPRIM_400000_NS6detail17trampoline_kernelINS0_14default_configENS1_22reduce_config_selectorIxEEZNS1_11reduce_implILb1ES3_PxS7_x9plus_mod3IxEEE10hipError_tPvRmT1_T2_T3_mT4_P12ihipStream_tbEUlT_E0_NS1_11comp_targetILNS1_3genE0ELNS1_11target_archE4294967295ELNS1_3gpuE0ELNS1_3repE0EEENS1_30default_config_static_selectorELNS0_4arch9wavefront6targetE1EEEvSD_.uses_vcc, 1
	.set _ZN7rocprim17ROCPRIM_400000_NS6detail17trampoline_kernelINS0_14default_configENS1_22reduce_config_selectorIxEEZNS1_11reduce_implILb1ES3_PxS7_x9plus_mod3IxEEE10hipError_tPvRmT1_T2_T3_mT4_P12ihipStream_tbEUlT_E0_NS1_11comp_targetILNS1_3genE0ELNS1_11target_archE4294967295ELNS1_3gpuE0ELNS1_3repE0EEENS1_30default_config_static_selectorELNS0_4arch9wavefront6targetE1EEEvSD_.uses_flat_scratch, 0
	.set _ZN7rocprim17ROCPRIM_400000_NS6detail17trampoline_kernelINS0_14default_configENS1_22reduce_config_selectorIxEEZNS1_11reduce_implILb1ES3_PxS7_x9plus_mod3IxEEE10hipError_tPvRmT1_T2_T3_mT4_P12ihipStream_tbEUlT_E0_NS1_11comp_targetILNS1_3genE0ELNS1_11target_archE4294967295ELNS1_3gpuE0ELNS1_3repE0EEENS1_30default_config_static_selectorELNS0_4arch9wavefront6targetE1EEEvSD_.has_dyn_sized_stack, 0
	.set _ZN7rocprim17ROCPRIM_400000_NS6detail17trampoline_kernelINS0_14default_configENS1_22reduce_config_selectorIxEEZNS1_11reduce_implILb1ES3_PxS7_x9plus_mod3IxEEE10hipError_tPvRmT1_T2_T3_mT4_P12ihipStream_tbEUlT_E0_NS1_11comp_targetILNS1_3genE0ELNS1_11target_archE4294967295ELNS1_3gpuE0ELNS1_3repE0EEENS1_30default_config_static_selectorELNS0_4arch9wavefront6targetE1EEEvSD_.has_recursion, 0
	.set _ZN7rocprim17ROCPRIM_400000_NS6detail17trampoline_kernelINS0_14default_configENS1_22reduce_config_selectorIxEEZNS1_11reduce_implILb1ES3_PxS7_x9plus_mod3IxEEE10hipError_tPvRmT1_T2_T3_mT4_P12ihipStream_tbEUlT_E0_NS1_11comp_targetILNS1_3genE0ELNS1_11target_archE4294967295ELNS1_3gpuE0ELNS1_3repE0EEENS1_30default_config_static_selectorELNS0_4arch9wavefront6targetE1EEEvSD_.has_indirect_call, 0
	.section	.AMDGPU.csdata,"",@progbits
; Kernel info:
; codeLenInByte = 3988
; TotalNumSgprs: 58
; NumVgprs: 68
; NumAgprs: 0
; TotalNumVgprs: 68
; ScratchSize: 0
; MemoryBound: 0
; FloatMode: 240
; IeeeMode: 1
; LDSByteSize: 64 bytes/workgroup (compile time only)
; SGPRBlocks: 7
; VGPRBlocks: 8
; NumSGPRsForWavesPerEU: 58
; NumVGPRsForWavesPerEU: 68
; AccumOffset: 68
; Occupancy: 7
; WaveLimiterHint : 1
; COMPUTE_PGM_RSRC2:SCRATCH_EN: 0
; COMPUTE_PGM_RSRC2:USER_SGPR: 2
; COMPUTE_PGM_RSRC2:TRAP_HANDLER: 0
; COMPUTE_PGM_RSRC2:TGID_X_EN: 1
; COMPUTE_PGM_RSRC2:TGID_Y_EN: 0
; COMPUTE_PGM_RSRC2:TGID_Z_EN: 0
; COMPUTE_PGM_RSRC2:TIDIG_COMP_CNT: 0
; COMPUTE_PGM_RSRC3_GFX90A:ACCUM_OFFSET: 16
; COMPUTE_PGM_RSRC3_GFX90A:TG_SPLIT: 0
	.section	.text._ZN7rocprim17ROCPRIM_400000_NS6detail17trampoline_kernelINS0_14default_configENS1_22reduce_config_selectorIxEEZNS1_11reduce_implILb1ES3_PxS7_x9plus_mod3IxEEE10hipError_tPvRmT1_T2_T3_mT4_P12ihipStream_tbEUlT_E0_NS1_11comp_targetILNS1_3genE5ELNS1_11target_archE942ELNS1_3gpuE9ELNS1_3repE0EEENS1_30default_config_static_selectorELNS0_4arch9wavefront6targetE1EEEvSD_,"axG",@progbits,_ZN7rocprim17ROCPRIM_400000_NS6detail17trampoline_kernelINS0_14default_configENS1_22reduce_config_selectorIxEEZNS1_11reduce_implILb1ES3_PxS7_x9plus_mod3IxEEE10hipError_tPvRmT1_T2_T3_mT4_P12ihipStream_tbEUlT_E0_NS1_11comp_targetILNS1_3genE5ELNS1_11target_archE942ELNS1_3gpuE9ELNS1_3repE0EEENS1_30default_config_static_selectorELNS0_4arch9wavefront6targetE1EEEvSD_,comdat
	.protected	_ZN7rocprim17ROCPRIM_400000_NS6detail17trampoline_kernelINS0_14default_configENS1_22reduce_config_selectorIxEEZNS1_11reduce_implILb1ES3_PxS7_x9plus_mod3IxEEE10hipError_tPvRmT1_T2_T3_mT4_P12ihipStream_tbEUlT_E0_NS1_11comp_targetILNS1_3genE5ELNS1_11target_archE942ELNS1_3gpuE9ELNS1_3repE0EEENS1_30default_config_static_selectorELNS0_4arch9wavefront6targetE1EEEvSD_ ; -- Begin function _ZN7rocprim17ROCPRIM_400000_NS6detail17trampoline_kernelINS0_14default_configENS1_22reduce_config_selectorIxEEZNS1_11reduce_implILb1ES3_PxS7_x9plus_mod3IxEEE10hipError_tPvRmT1_T2_T3_mT4_P12ihipStream_tbEUlT_E0_NS1_11comp_targetILNS1_3genE5ELNS1_11target_archE942ELNS1_3gpuE9ELNS1_3repE0EEENS1_30default_config_static_selectorELNS0_4arch9wavefront6targetE1EEEvSD_
	.globl	_ZN7rocprim17ROCPRIM_400000_NS6detail17trampoline_kernelINS0_14default_configENS1_22reduce_config_selectorIxEEZNS1_11reduce_implILb1ES3_PxS7_x9plus_mod3IxEEE10hipError_tPvRmT1_T2_T3_mT4_P12ihipStream_tbEUlT_E0_NS1_11comp_targetILNS1_3genE5ELNS1_11target_archE942ELNS1_3gpuE9ELNS1_3repE0EEENS1_30default_config_static_selectorELNS0_4arch9wavefront6targetE1EEEvSD_
	.p2align	8
	.type	_ZN7rocprim17ROCPRIM_400000_NS6detail17trampoline_kernelINS0_14default_configENS1_22reduce_config_selectorIxEEZNS1_11reduce_implILb1ES3_PxS7_x9plus_mod3IxEEE10hipError_tPvRmT1_T2_T3_mT4_P12ihipStream_tbEUlT_E0_NS1_11comp_targetILNS1_3genE5ELNS1_11target_archE942ELNS1_3gpuE9ELNS1_3repE0EEENS1_30default_config_static_selectorELNS0_4arch9wavefront6targetE1EEEvSD_,@function
_ZN7rocprim17ROCPRIM_400000_NS6detail17trampoline_kernelINS0_14default_configENS1_22reduce_config_selectorIxEEZNS1_11reduce_implILb1ES3_PxS7_x9plus_mod3IxEEE10hipError_tPvRmT1_T2_T3_mT4_P12ihipStream_tbEUlT_E0_NS1_11comp_targetILNS1_3genE5ELNS1_11target_archE942ELNS1_3gpuE9ELNS1_3repE0EEENS1_30default_config_static_selectorELNS0_4arch9wavefront6targetE1EEEvSD_: ; @_ZN7rocprim17ROCPRIM_400000_NS6detail17trampoline_kernelINS0_14default_configENS1_22reduce_config_selectorIxEEZNS1_11reduce_implILb1ES3_PxS7_x9plus_mod3IxEEE10hipError_tPvRmT1_T2_T3_mT4_P12ihipStream_tbEUlT_E0_NS1_11comp_targetILNS1_3genE5ELNS1_11target_archE942ELNS1_3gpuE9ELNS1_3repE0EEENS1_30default_config_static_selectorELNS0_4arch9wavefront6targetE1EEEvSD_
; %bb.0:
	.section	.rodata,"a",@progbits
	.p2align	6, 0x0
	.amdhsa_kernel _ZN7rocprim17ROCPRIM_400000_NS6detail17trampoline_kernelINS0_14default_configENS1_22reduce_config_selectorIxEEZNS1_11reduce_implILb1ES3_PxS7_x9plus_mod3IxEEE10hipError_tPvRmT1_T2_T3_mT4_P12ihipStream_tbEUlT_E0_NS1_11comp_targetILNS1_3genE5ELNS1_11target_archE942ELNS1_3gpuE9ELNS1_3repE0EEENS1_30default_config_static_selectorELNS0_4arch9wavefront6targetE1EEEvSD_
		.amdhsa_group_segment_fixed_size 0
		.amdhsa_private_segment_fixed_size 0
		.amdhsa_kernarg_size 64
		.amdhsa_user_sgpr_count 2
		.amdhsa_user_sgpr_dispatch_ptr 0
		.amdhsa_user_sgpr_queue_ptr 0
		.amdhsa_user_sgpr_kernarg_segment_ptr 1
		.amdhsa_user_sgpr_dispatch_id 0
		.amdhsa_user_sgpr_kernarg_preload_length 0
		.amdhsa_user_sgpr_kernarg_preload_offset 0
		.amdhsa_user_sgpr_private_segment_size 0
		.amdhsa_uses_dynamic_stack 0
		.amdhsa_enable_private_segment 0
		.amdhsa_system_sgpr_workgroup_id_x 1
		.amdhsa_system_sgpr_workgroup_id_y 0
		.amdhsa_system_sgpr_workgroup_id_z 0
		.amdhsa_system_sgpr_workgroup_info 0
		.amdhsa_system_vgpr_workitem_id 0
		.amdhsa_next_free_vgpr 1
		.amdhsa_next_free_sgpr 0
		.amdhsa_accum_offset 4
		.amdhsa_reserve_vcc 0
		.amdhsa_float_round_mode_32 0
		.amdhsa_float_round_mode_16_64 0
		.amdhsa_float_denorm_mode_32 3
		.amdhsa_float_denorm_mode_16_64 3
		.amdhsa_dx10_clamp 1
		.amdhsa_ieee_mode 1
		.amdhsa_fp16_overflow 0
		.amdhsa_tg_split 0
		.amdhsa_exception_fp_ieee_invalid_op 0
		.amdhsa_exception_fp_denorm_src 0
		.amdhsa_exception_fp_ieee_div_zero 0
		.amdhsa_exception_fp_ieee_overflow 0
		.amdhsa_exception_fp_ieee_underflow 0
		.amdhsa_exception_fp_ieee_inexact 0
		.amdhsa_exception_int_div_zero 0
	.end_amdhsa_kernel
	.section	.text._ZN7rocprim17ROCPRIM_400000_NS6detail17trampoline_kernelINS0_14default_configENS1_22reduce_config_selectorIxEEZNS1_11reduce_implILb1ES3_PxS7_x9plus_mod3IxEEE10hipError_tPvRmT1_T2_T3_mT4_P12ihipStream_tbEUlT_E0_NS1_11comp_targetILNS1_3genE5ELNS1_11target_archE942ELNS1_3gpuE9ELNS1_3repE0EEENS1_30default_config_static_selectorELNS0_4arch9wavefront6targetE1EEEvSD_,"axG",@progbits,_ZN7rocprim17ROCPRIM_400000_NS6detail17trampoline_kernelINS0_14default_configENS1_22reduce_config_selectorIxEEZNS1_11reduce_implILb1ES3_PxS7_x9plus_mod3IxEEE10hipError_tPvRmT1_T2_T3_mT4_P12ihipStream_tbEUlT_E0_NS1_11comp_targetILNS1_3genE5ELNS1_11target_archE942ELNS1_3gpuE9ELNS1_3repE0EEENS1_30default_config_static_selectorELNS0_4arch9wavefront6targetE1EEEvSD_,comdat
.Lfunc_end876:
	.size	_ZN7rocprim17ROCPRIM_400000_NS6detail17trampoline_kernelINS0_14default_configENS1_22reduce_config_selectorIxEEZNS1_11reduce_implILb1ES3_PxS7_x9plus_mod3IxEEE10hipError_tPvRmT1_T2_T3_mT4_P12ihipStream_tbEUlT_E0_NS1_11comp_targetILNS1_3genE5ELNS1_11target_archE942ELNS1_3gpuE9ELNS1_3repE0EEENS1_30default_config_static_selectorELNS0_4arch9wavefront6targetE1EEEvSD_, .Lfunc_end876-_ZN7rocprim17ROCPRIM_400000_NS6detail17trampoline_kernelINS0_14default_configENS1_22reduce_config_selectorIxEEZNS1_11reduce_implILb1ES3_PxS7_x9plus_mod3IxEEE10hipError_tPvRmT1_T2_T3_mT4_P12ihipStream_tbEUlT_E0_NS1_11comp_targetILNS1_3genE5ELNS1_11target_archE942ELNS1_3gpuE9ELNS1_3repE0EEENS1_30default_config_static_selectorELNS0_4arch9wavefront6targetE1EEEvSD_
                                        ; -- End function
	.set _ZN7rocprim17ROCPRIM_400000_NS6detail17trampoline_kernelINS0_14default_configENS1_22reduce_config_selectorIxEEZNS1_11reduce_implILb1ES3_PxS7_x9plus_mod3IxEEE10hipError_tPvRmT1_T2_T3_mT4_P12ihipStream_tbEUlT_E0_NS1_11comp_targetILNS1_3genE5ELNS1_11target_archE942ELNS1_3gpuE9ELNS1_3repE0EEENS1_30default_config_static_selectorELNS0_4arch9wavefront6targetE1EEEvSD_.num_vgpr, 0
	.set _ZN7rocprim17ROCPRIM_400000_NS6detail17trampoline_kernelINS0_14default_configENS1_22reduce_config_selectorIxEEZNS1_11reduce_implILb1ES3_PxS7_x9plus_mod3IxEEE10hipError_tPvRmT1_T2_T3_mT4_P12ihipStream_tbEUlT_E0_NS1_11comp_targetILNS1_3genE5ELNS1_11target_archE942ELNS1_3gpuE9ELNS1_3repE0EEENS1_30default_config_static_selectorELNS0_4arch9wavefront6targetE1EEEvSD_.num_agpr, 0
	.set _ZN7rocprim17ROCPRIM_400000_NS6detail17trampoline_kernelINS0_14default_configENS1_22reduce_config_selectorIxEEZNS1_11reduce_implILb1ES3_PxS7_x9plus_mod3IxEEE10hipError_tPvRmT1_T2_T3_mT4_P12ihipStream_tbEUlT_E0_NS1_11comp_targetILNS1_3genE5ELNS1_11target_archE942ELNS1_3gpuE9ELNS1_3repE0EEENS1_30default_config_static_selectorELNS0_4arch9wavefront6targetE1EEEvSD_.numbered_sgpr, 0
	.set _ZN7rocprim17ROCPRIM_400000_NS6detail17trampoline_kernelINS0_14default_configENS1_22reduce_config_selectorIxEEZNS1_11reduce_implILb1ES3_PxS7_x9plus_mod3IxEEE10hipError_tPvRmT1_T2_T3_mT4_P12ihipStream_tbEUlT_E0_NS1_11comp_targetILNS1_3genE5ELNS1_11target_archE942ELNS1_3gpuE9ELNS1_3repE0EEENS1_30default_config_static_selectorELNS0_4arch9wavefront6targetE1EEEvSD_.num_named_barrier, 0
	.set _ZN7rocprim17ROCPRIM_400000_NS6detail17trampoline_kernelINS0_14default_configENS1_22reduce_config_selectorIxEEZNS1_11reduce_implILb1ES3_PxS7_x9plus_mod3IxEEE10hipError_tPvRmT1_T2_T3_mT4_P12ihipStream_tbEUlT_E0_NS1_11comp_targetILNS1_3genE5ELNS1_11target_archE942ELNS1_3gpuE9ELNS1_3repE0EEENS1_30default_config_static_selectorELNS0_4arch9wavefront6targetE1EEEvSD_.private_seg_size, 0
	.set _ZN7rocprim17ROCPRIM_400000_NS6detail17trampoline_kernelINS0_14default_configENS1_22reduce_config_selectorIxEEZNS1_11reduce_implILb1ES3_PxS7_x9plus_mod3IxEEE10hipError_tPvRmT1_T2_T3_mT4_P12ihipStream_tbEUlT_E0_NS1_11comp_targetILNS1_3genE5ELNS1_11target_archE942ELNS1_3gpuE9ELNS1_3repE0EEENS1_30default_config_static_selectorELNS0_4arch9wavefront6targetE1EEEvSD_.uses_vcc, 0
	.set _ZN7rocprim17ROCPRIM_400000_NS6detail17trampoline_kernelINS0_14default_configENS1_22reduce_config_selectorIxEEZNS1_11reduce_implILb1ES3_PxS7_x9plus_mod3IxEEE10hipError_tPvRmT1_T2_T3_mT4_P12ihipStream_tbEUlT_E0_NS1_11comp_targetILNS1_3genE5ELNS1_11target_archE942ELNS1_3gpuE9ELNS1_3repE0EEENS1_30default_config_static_selectorELNS0_4arch9wavefront6targetE1EEEvSD_.uses_flat_scratch, 0
	.set _ZN7rocprim17ROCPRIM_400000_NS6detail17trampoline_kernelINS0_14default_configENS1_22reduce_config_selectorIxEEZNS1_11reduce_implILb1ES3_PxS7_x9plus_mod3IxEEE10hipError_tPvRmT1_T2_T3_mT4_P12ihipStream_tbEUlT_E0_NS1_11comp_targetILNS1_3genE5ELNS1_11target_archE942ELNS1_3gpuE9ELNS1_3repE0EEENS1_30default_config_static_selectorELNS0_4arch9wavefront6targetE1EEEvSD_.has_dyn_sized_stack, 0
	.set _ZN7rocprim17ROCPRIM_400000_NS6detail17trampoline_kernelINS0_14default_configENS1_22reduce_config_selectorIxEEZNS1_11reduce_implILb1ES3_PxS7_x9plus_mod3IxEEE10hipError_tPvRmT1_T2_T3_mT4_P12ihipStream_tbEUlT_E0_NS1_11comp_targetILNS1_3genE5ELNS1_11target_archE942ELNS1_3gpuE9ELNS1_3repE0EEENS1_30default_config_static_selectorELNS0_4arch9wavefront6targetE1EEEvSD_.has_recursion, 0
	.set _ZN7rocprim17ROCPRIM_400000_NS6detail17trampoline_kernelINS0_14default_configENS1_22reduce_config_selectorIxEEZNS1_11reduce_implILb1ES3_PxS7_x9plus_mod3IxEEE10hipError_tPvRmT1_T2_T3_mT4_P12ihipStream_tbEUlT_E0_NS1_11comp_targetILNS1_3genE5ELNS1_11target_archE942ELNS1_3gpuE9ELNS1_3repE0EEENS1_30default_config_static_selectorELNS0_4arch9wavefront6targetE1EEEvSD_.has_indirect_call, 0
	.section	.AMDGPU.csdata,"",@progbits
; Kernel info:
; codeLenInByte = 0
; TotalNumSgprs: 6
; NumVgprs: 0
; NumAgprs: 0
; TotalNumVgprs: 0
; ScratchSize: 0
; MemoryBound: 0
; FloatMode: 240
; IeeeMode: 1
; LDSByteSize: 0 bytes/workgroup (compile time only)
; SGPRBlocks: 0
; VGPRBlocks: 0
; NumSGPRsForWavesPerEU: 6
; NumVGPRsForWavesPerEU: 1
; AccumOffset: 4
; Occupancy: 8
; WaveLimiterHint : 0
; COMPUTE_PGM_RSRC2:SCRATCH_EN: 0
; COMPUTE_PGM_RSRC2:USER_SGPR: 2
; COMPUTE_PGM_RSRC2:TRAP_HANDLER: 0
; COMPUTE_PGM_RSRC2:TGID_X_EN: 1
; COMPUTE_PGM_RSRC2:TGID_Y_EN: 0
; COMPUTE_PGM_RSRC2:TGID_Z_EN: 0
; COMPUTE_PGM_RSRC2:TIDIG_COMP_CNT: 0
; COMPUTE_PGM_RSRC3_GFX90A:ACCUM_OFFSET: 0
; COMPUTE_PGM_RSRC3_GFX90A:TG_SPLIT: 0
	.section	.text._ZN7rocprim17ROCPRIM_400000_NS6detail17trampoline_kernelINS0_14default_configENS1_22reduce_config_selectorIxEEZNS1_11reduce_implILb1ES3_PxS7_x9plus_mod3IxEEE10hipError_tPvRmT1_T2_T3_mT4_P12ihipStream_tbEUlT_E0_NS1_11comp_targetILNS1_3genE4ELNS1_11target_archE910ELNS1_3gpuE8ELNS1_3repE0EEENS1_30default_config_static_selectorELNS0_4arch9wavefront6targetE1EEEvSD_,"axG",@progbits,_ZN7rocprim17ROCPRIM_400000_NS6detail17trampoline_kernelINS0_14default_configENS1_22reduce_config_selectorIxEEZNS1_11reduce_implILb1ES3_PxS7_x9plus_mod3IxEEE10hipError_tPvRmT1_T2_T3_mT4_P12ihipStream_tbEUlT_E0_NS1_11comp_targetILNS1_3genE4ELNS1_11target_archE910ELNS1_3gpuE8ELNS1_3repE0EEENS1_30default_config_static_selectorELNS0_4arch9wavefront6targetE1EEEvSD_,comdat
	.protected	_ZN7rocprim17ROCPRIM_400000_NS6detail17trampoline_kernelINS0_14default_configENS1_22reduce_config_selectorIxEEZNS1_11reduce_implILb1ES3_PxS7_x9plus_mod3IxEEE10hipError_tPvRmT1_T2_T3_mT4_P12ihipStream_tbEUlT_E0_NS1_11comp_targetILNS1_3genE4ELNS1_11target_archE910ELNS1_3gpuE8ELNS1_3repE0EEENS1_30default_config_static_selectorELNS0_4arch9wavefront6targetE1EEEvSD_ ; -- Begin function _ZN7rocprim17ROCPRIM_400000_NS6detail17trampoline_kernelINS0_14default_configENS1_22reduce_config_selectorIxEEZNS1_11reduce_implILb1ES3_PxS7_x9plus_mod3IxEEE10hipError_tPvRmT1_T2_T3_mT4_P12ihipStream_tbEUlT_E0_NS1_11comp_targetILNS1_3genE4ELNS1_11target_archE910ELNS1_3gpuE8ELNS1_3repE0EEENS1_30default_config_static_selectorELNS0_4arch9wavefront6targetE1EEEvSD_
	.globl	_ZN7rocprim17ROCPRIM_400000_NS6detail17trampoline_kernelINS0_14default_configENS1_22reduce_config_selectorIxEEZNS1_11reduce_implILb1ES3_PxS7_x9plus_mod3IxEEE10hipError_tPvRmT1_T2_T3_mT4_P12ihipStream_tbEUlT_E0_NS1_11comp_targetILNS1_3genE4ELNS1_11target_archE910ELNS1_3gpuE8ELNS1_3repE0EEENS1_30default_config_static_selectorELNS0_4arch9wavefront6targetE1EEEvSD_
	.p2align	8
	.type	_ZN7rocprim17ROCPRIM_400000_NS6detail17trampoline_kernelINS0_14default_configENS1_22reduce_config_selectorIxEEZNS1_11reduce_implILb1ES3_PxS7_x9plus_mod3IxEEE10hipError_tPvRmT1_T2_T3_mT4_P12ihipStream_tbEUlT_E0_NS1_11comp_targetILNS1_3genE4ELNS1_11target_archE910ELNS1_3gpuE8ELNS1_3repE0EEENS1_30default_config_static_selectorELNS0_4arch9wavefront6targetE1EEEvSD_,@function
_ZN7rocprim17ROCPRIM_400000_NS6detail17trampoline_kernelINS0_14default_configENS1_22reduce_config_selectorIxEEZNS1_11reduce_implILb1ES3_PxS7_x9plus_mod3IxEEE10hipError_tPvRmT1_T2_T3_mT4_P12ihipStream_tbEUlT_E0_NS1_11comp_targetILNS1_3genE4ELNS1_11target_archE910ELNS1_3gpuE8ELNS1_3repE0EEENS1_30default_config_static_selectorELNS0_4arch9wavefront6targetE1EEEvSD_: ; @_ZN7rocprim17ROCPRIM_400000_NS6detail17trampoline_kernelINS0_14default_configENS1_22reduce_config_selectorIxEEZNS1_11reduce_implILb1ES3_PxS7_x9plus_mod3IxEEE10hipError_tPvRmT1_T2_T3_mT4_P12ihipStream_tbEUlT_E0_NS1_11comp_targetILNS1_3genE4ELNS1_11target_archE910ELNS1_3gpuE8ELNS1_3repE0EEENS1_30default_config_static_selectorELNS0_4arch9wavefront6targetE1EEEvSD_
; %bb.0:
	.section	.rodata,"a",@progbits
	.p2align	6, 0x0
	.amdhsa_kernel _ZN7rocprim17ROCPRIM_400000_NS6detail17trampoline_kernelINS0_14default_configENS1_22reduce_config_selectorIxEEZNS1_11reduce_implILb1ES3_PxS7_x9plus_mod3IxEEE10hipError_tPvRmT1_T2_T3_mT4_P12ihipStream_tbEUlT_E0_NS1_11comp_targetILNS1_3genE4ELNS1_11target_archE910ELNS1_3gpuE8ELNS1_3repE0EEENS1_30default_config_static_selectorELNS0_4arch9wavefront6targetE1EEEvSD_
		.amdhsa_group_segment_fixed_size 0
		.amdhsa_private_segment_fixed_size 0
		.amdhsa_kernarg_size 64
		.amdhsa_user_sgpr_count 2
		.amdhsa_user_sgpr_dispatch_ptr 0
		.amdhsa_user_sgpr_queue_ptr 0
		.amdhsa_user_sgpr_kernarg_segment_ptr 1
		.amdhsa_user_sgpr_dispatch_id 0
		.amdhsa_user_sgpr_kernarg_preload_length 0
		.amdhsa_user_sgpr_kernarg_preload_offset 0
		.amdhsa_user_sgpr_private_segment_size 0
		.amdhsa_uses_dynamic_stack 0
		.amdhsa_enable_private_segment 0
		.amdhsa_system_sgpr_workgroup_id_x 1
		.amdhsa_system_sgpr_workgroup_id_y 0
		.amdhsa_system_sgpr_workgroup_id_z 0
		.amdhsa_system_sgpr_workgroup_info 0
		.amdhsa_system_vgpr_workitem_id 0
		.amdhsa_next_free_vgpr 1
		.amdhsa_next_free_sgpr 0
		.amdhsa_accum_offset 4
		.amdhsa_reserve_vcc 0
		.amdhsa_float_round_mode_32 0
		.amdhsa_float_round_mode_16_64 0
		.amdhsa_float_denorm_mode_32 3
		.amdhsa_float_denorm_mode_16_64 3
		.amdhsa_dx10_clamp 1
		.amdhsa_ieee_mode 1
		.amdhsa_fp16_overflow 0
		.amdhsa_tg_split 0
		.amdhsa_exception_fp_ieee_invalid_op 0
		.amdhsa_exception_fp_denorm_src 0
		.amdhsa_exception_fp_ieee_div_zero 0
		.amdhsa_exception_fp_ieee_overflow 0
		.amdhsa_exception_fp_ieee_underflow 0
		.amdhsa_exception_fp_ieee_inexact 0
		.amdhsa_exception_int_div_zero 0
	.end_amdhsa_kernel
	.section	.text._ZN7rocprim17ROCPRIM_400000_NS6detail17trampoline_kernelINS0_14default_configENS1_22reduce_config_selectorIxEEZNS1_11reduce_implILb1ES3_PxS7_x9plus_mod3IxEEE10hipError_tPvRmT1_T2_T3_mT4_P12ihipStream_tbEUlT_E0_NS1_11comp_targetILNS1_3genE4ELNS1_11target_archE910ELNS1_3gpuE8ELNS1_3repE0EEENS1_30default_config_static_selectorELNS0_4arch9wavefront6targetE1EEEvSD_,"axG",@progbits,_ZN7rocprim17ROCPRIM_400000_NS6detail17trampoline_kernelINS0_14default_configENS1_22reduce_config_selectorIxEEZNS1_11reduce_implILb1ES3_PxS7_x9plus_mod3IxEEE10hipError_tPvRmT1_T2_T3_mT4_P12ihipStream_tbEUlT_E0_NS1_11comp_targetILNS1_3genE4ELNS1_11target_archE910ELNS1_3gpuE8ELNS1_3repE0EEENS1_30default_config_static_selectorELNS0_4arch9wavefront6targetE1EEEvSD_,comdat
.Lfunc_end877:
	.size	_ZN7rocprim17ROCPRIM_400000_NS6detail17trampoline_kernelINS0_14default_configENS1_22reduce_config_selectorIxEEZNS1_11reduce_implILb1ES3_PxS7_x9plus_mod3IxEEE10hipError_tPvRmT1_T2_T3_mT4_P12ihipStream_tbEUlT_E0_NS1_11comp_targetILNS1_3genE4ELNS1_11target_archE910ELNS1_3gpuE8ELNS1_3repE0EEENS1_30default_config_static_selectorELNS0_4arch9wavefront6targetE1EEEvSD_, .Lfunc_end877-_ZN7rocprim17ROCPRIM_400000_NS6detail17trampoline_kernelINS0_14default_configENS1_22reduce_config_selectorIxEEZNS1_11reduce_implILb1ES3_PxS7_x9plus_mod3IxEEE10hipError_tPvRmT1_T2_T3_mT4_P12ihipStream_tbEUlT_E0_NS1_11comp_targetILNS1_3genE4ELNS1_11target_archE910ELNS1_3gpuE8ELNS1_3repE0EEENS1_30default_config_static_selectorELNS0_4arch9wavefront6targetE1EEEvSD_
                                        ; -- End function
	.set _ZN7rocprim17ROCPRIM_400000_NS6detail17trampoline_kernelINS0_14default_configENS1_22reduce_config_selectorIxEEZNS1_11reduce_implILb1ES3_PxS7_x9plus_mod3IxEEE10hipError_tPvRmT1_T2_T3_mT4_P12ihipStream_tbEUlT_E0_NS1_11comp_targetILNS1_3genE4ELNS1_11target_archE910ELNS1_3gpuE8ELNS1_3repE0EEENS1_30default_config_static_selectorELNS0_4arch9wavefront6targetE1EEEvSD_.num_vgpr, 0
	.set _ZN7rocprim17ROCPRIM_400000_NS6detail17trampoline_kernelINS0_14default_configENS1_22reduce_config_selectorIxEEZNS1_11reduce_implILb1ES3_PxS7_x9plus_mod3IxEEE10hipError_tPvRmT1_T2_T3_mT4_P12ihipStream_tbEUlT_E0_NS1_11comp_targetILNS1_3genE4ELNS1_11target_archE910ELNS1_3gpuE8ELNS1_3repE0EEENS1_30default_config_static_selectorELNS0_4arch9wavefront6targetE1EEEvSD_.num_agpr, 0
	.set _ZN7rocprim17ROCPRIM_400000_NS6detail17trampoline_kernelINS0_14default_configENS1_22reduce_config_selectorIxEEZNS1_11reduce_implILb1ES3_PxS7_x9plus_mod3IxEEE10hipError_tPvRmT1_T2_T3_mT4_P12ihipStream_tbEUlT_E0_NS1_11comp_targetILNS1_3genE4ELNS1_11target_archE910ELNS1_3gpuE8ELNS1_3repE0EEENS1_30default_config_static_selectorELNS0_4arch9wavefront6targetE1EEEvSD_.numbered_sgpr, 0
	.set _ZN7rocprim17ROCPRIM_400000_NS6detail17trampoline_kernelINS0_14default_configENS1_22reduce_config_selectorIxEEZNS1_11reduce_implILb1ES3_PxS7_x9plus_mod3IxEEE10hipError_tPvRmT1_T2_T3_mT4_P12ihipStream_tbEUlT_E0_NS1_11comp_targetILNS1_3genE4ELNS1_11target_archE910ELNS1_3gpuE8ELNS1_3repE0EEENS1_30default_config_static_selectorELNS0_4arch9wavefront6targetE1EEEvSD_.num_named_barrier, 0
	.set _ZN7rocprim17ROCPRIM_400000_NS6detail17trampoline_kernelINS0_14default_configENS1_22reduce_config_selectorIxEEZNS1_11reduce_implILb1ES3_PxS7_x9plus_mod3IxEEE10hipError_tPvRmT1_T2_T3_mT4_P12ihipStream_tbEUlT_E0_NS1_11comp_targetILNS1_3genE4ELNS1_11target_archE910ELNS1_3gpuE8ELNS1_3repE0EEENS1_30default_config_static_selectorELNS0_4arch9wavefront6targetE1EEEvSD_.private_seg_size, 0
	.set _ZN7rocprim17ROCPRIM_400000_NS6detail17trampoline_kernelINS0_14default_configENS1_22reduce_config_selectorIxEEZNS1_11reduce_implILb1ES3_PxS7_x9plus_mod3IxEEE10hipError_tPvRmT1_T2_T3_mT4_P12ihipStream_tbEUlT_E0_NS1_11comp_targetILNS1_3genE4ELNS1_11target_archE910ELNS1_3gpuE8ELNS1_3repE0EEENS1_30default_config_static_selectorELNS0_4arch9wavefront6targetE1EEEvSD_.uses_vcc, 0
	.set _ZN7rocprim17ROCPRIM_400000_NS6detail17trampoline_kernelINS0_14default_configENS1_22reduce_config_selectorIxEEZNS1_11reduce_implILb1ES3_PxS7_x9plus_mod3IxEEE10hipError_tPvRmT1_T2_T3_mT4_P12ihipStream_tbEUlT_E0_NS1_11comp_targetILNS1_3genE4ELNS1_11target_archE910ELNS1_3gpuE8ELNS1_3repE0EEENS1_30default_config_static_selectorELNS0_4arch9wavefront6targetE1EEEvSD_.uses_flat_scratch, 0
	.set _ZN7rocprim17ROCPRIM_400000_NS6detail17trampoline_kernelINS0_14default_configENS1_22reduce_config_selectorIxEEZNS1_11reduce_implILb1ES3_PxS7_x9plus_mod3IxEEE10hipError_tPvRmT1_T2_T3_mT4_P12ihipStream_tbEUlT_E0_NS1_11comp_targetILNS1_3genE4ELNS1_11target_archE910ELNS1_3gpuE8ELNS1_3repE0EEENS1_30default_config_static_selectorELNS0_4arch9wavefront6targetE1EEEvSD_.has_dyn_sized_stack, 0
	.set _ZN7rocprim17ROCPRIM_400000_NS6detail17trampoline_kernelINS0_14default_configENS1_22reduce_config_selectorIxEEZNS1_11reduce_implILb1ES3_PxS7_x9plus_mod3IxEEE10hipError_tPvRmT1_T2_T3_mT4_P12ihipStream_tbEUlT_E0_NS1_11comp_targetILNS1_3genE4ELNS1_11target_archE910ELNS1_3gpuE8ELNS1_3repE0EEENS1_30default_config_static_selectorELNS0_4arch9wavefront6targetE1EEEvSD_.has_recursion, 0
	.set _ZN7rocprim17ROCPRIM_400000_NS6detail17trampoline_kernelINS0_14default_configENS1_22reduce_config_selectorIxEEZNS1_11reduce_implILb1ES3_PxS7_x9plus_mod3IxEEE10hipError_tPvRmT1_T2_T3_mT4_P12ihipStream_tbEUlT_E0_NS1_11comp_targetILNS1_3genE4ELNS1_11target_archE910ELNS1_3gpuE8ELNS1_3repE0EEENS1_30default_config_static_selectorELNS0_4arch9wavefront6targetE1EEEvSD_.has_indirect_call, 0
	.section	.AMDGPU.csdata,"",@progbits
; Kernel info:
; codeLenInByte = 0
; TotalNumSgprs: 6
; NumVgprs: 0
; NumAgprs: 0
; TotalNumVgprs: 0
; ScratchSize: 0
; MemoryBound: 0
; FloatMode: 240
; IeeeMode: 1
; LDSByteSize: 0 bytes/workgroup (compile time only)
; SGPRBlocks: 0
; VGPRBlocks: 0
; NumSGPRsForWavesPerEU: 6
; NumVGPRsForWavesPerEU: 1
; AccumOffset: 4
; Occupancy: 8
; WaveLimiterHint : 0
; COMPUTE_PGM_RSRC2:SCRATCH_EN: 0
; COMPUTE_PGM_RSRC2:USER_SGPR: 2
; COMPUTE_PGM_RSRC2:TRAP_HANDLER: 0
; COMPUTE_PGM_RSRC2:TGID_X_EN: 1
; COMPUTE_PGM_RSRC2:TGID_Y_EN: 0
; COMPUTE_PGM_RSRC2:TGID_Z_EN: 0
; COMPUTE_PGM_RSRC2:TIDIG_COMP_CNT: 0
; COMPUTE_PGM_RSRC3_GFX90A:ACCUM_OFFSET: 0
; COMPUTE_PGM_RSRC3_GFX90A:TG_SPLIT: 0
	.section	.text._ZN7rocprim17ROCPRIM_400000_NS6detail17trampoline_kernelINS0_14default_configENS1_22reduce_config_selectorIxEEZNS1_11reduce_implILb1ES3_PxS7_x9plus_mod3IxEEE10hipError_tPvRmT1_T2_T3_mT4_P12ihipStream_tbEUlT_E0_NS1_11comp_targetILNS1_3genE3ELNS1_11target_archE908ELNS1_3gpuE7ELNS1_3repE0EEENS1_30default_config_static_selectorELNS0_4arch9wavefront6targetE1EEEvSD_,"axG",@progbits,_ZN7rocprim17ROCPRIM_400000_NS6detail17trampoline_kernelINS0_14default_configENS1_22reduce_config_selectorIxEEZNS1_11reduce_implILb1ES3_PxS7_x9plus_mod3IxEEE10hipError_tPvRmT1_T2_T3_mT4_P12ihipStream_tbEUlT_E0_NS1_11comp_targetILNS1_3genE3ELNS1_11target_archE908ELNS1_3gpuE7ELNS1_3repE0EEENS1_30default_config_static_selectorELNS0_4arch9wavefront6targetE1EEEvSD_,comdat
	.protected	_ZN7rocprim17ROCPRIM_400000_NS6detail17trampoline_kernelINS0_14default_configENS1_22reduce_config_selectorIxEEZNS1_11reduce_implILb1ES3_PxS7_x9plus_mod3IxEEE10hipError_tPvRmT1_T2_T3_mT4_P12ihipStream_tbEUlT_E0_NS1_11comp_targetILNS1_3genE3ELNS1_11target_archE908ELNS1_3gpuE7ELNS1_3repE0EEENS1_30default_config_static_selectorELNS0_4arch9wavefront6targetE1EEEvSD_ ; -- Begin function _ZN7rocprim17ROCPRIM_400000_NS6detail17trampoline_kernelINS0_14default_configENS1_22reduce_config_selectorIxEEZNS1_11reduce_implILb1ES3_PxS7_x9plus_mod3IxEEE10hipError_tPvRmT1_T2_T3_mT4_P12ihipStream_tbEUlT_E0_NS1_11comp_targetILNS1_3genE3ELNS1_11target_archE908ELNS1_3gpuE7ELNS1_3repE0EEENS1_30default_config_static_selectorELNS0_4arch9wavefront6targetE1EEEvSD_
	.globl	_ZN7rocprim17ROCPRIM_400000_NS6detail17trampoline_kernelINS0_14default_configENS1_22reduce_config_selectorIxEEZNS1_11reduce_implILb1ES3_PxS7_x9plus_mod3IxEEE10hipError_tPvRmT1_T2_T3_mT4_P12ihipStream_tbEUlT_E0_NS1_11comp_targetILNS1_3genE3ELNS1_11target_archE908ELNS1_3gpuE7ELNS1_3repE0EEENS1_30default_config_static_selectorELNS0_4arch9wavefront6targetE1EEEvSD_
	.p2align	8
	.type	_ZN7rocprim17ROCPRIM_400000_NS6detail17trampoline_kernelINS0_14default_configENS1_22reduce_config_selectorIxEEZNS1_11reduce_implILb1ES3_PxS7_x9plus_mod3IxEEE10hipError_tPvRmT1_T2_T3_mT4_P12ihipStream_tbEUlT_E0_NS1_11comp_targetILNS1_3genE3ELNS1_11target_archE908ELNS1_3gpuE7ELNS1_3repE0EEENS1_30default_config_static_selectorELNS0_4arch9wavefront6targetE1EEEvSD_,@function
_ZN7rocprim17ROCPRIM_400000_NS6detail17trampoline_kernelINS0_14default_configENS1_22reduce_config_selectorIxEEZNS1_11reduce_implILb1ES3_PxS7_x9plus_mod3IxEEE10hipError_tPvRmT1_T2_T3_mT4_P12ihipStream_tbEUlT_E0_NS1_11comp_targetILNS1_3genE3ELNS1_11target_archE908ELNS1_3gpuE7ELNS1_3repE0EEENS1_30default_config_static_selectorELNS0_4arch9wavefront6targetE1EEEvSD_: ; @_ZN7rocprim17ROCPRIM_400000_NS6detail17trampoline_kernelINS0_14default_configENS1_22reduce_config_selectorIxEEZNS1_11reduce_implILb1ES3_PxS7_x9plus_mod3IxEEE10hipError_tPvRmT1_T2_T3_mT4_P12ihipStream_tbEUlT_E0_NS1_11comp_targetILNS1_3genE3ELNS1_11target_archE908ELNS1_3gpuE7ELNS1_3repE0EEENS1_30default_config_static_selectorELNS0_4arch9wavefront6targetE1EEEvSD_
; %bb.0:
	.section	.rodata,"a",@progbits
	.p2align	6, 0x0
	.amdhsa_kernel _ZN7rocprim17ROCPRIM_400000_NS6detail17trampoline_kernelINS0_14default_configENS1_22reduce_config_selectorIxEEZNS1_11reduce_implILb1ES3_PxS7_x9plus_mod3IxEEE10hipError_tPvRmT1_T2_T3_mT4_P12ihipStream_tbEUlT_E0_NS1_11comp_targetILNS1_3genE3ELNS1_11target_archE908ELNS1_3gpuE7ELNS1_3repE0EEENS1_30default_config_static_selectorELNS0_4arch9wavefront6targetE1EEEvSD_
		.amdhsa_group_segment_fixed_size 0
		.amdhsa_private_segment_fixed_size 0
		.amdhsa_kernarg_size 64
		.amdhsa_user_sgpr_count 2
		.amdhsa_user_sgpr_dispatch_ptr 0
		.amdhsa_user_sgpr_queue_ptr 0
		.amdhsa_user_sgpr_kernarg_segment_ptr 1
		.amdhsa_user_sgpr_dispatch_id 0
		.amdhsa_user_sgpr_kernarg_preload_length 0
		.amdhsa_user_sgpr_kernarg_preload_offset 0
		.amdhsa_user_sgpr_private_segment_size 0
		.amdhsa_uses_dynamic_stack 0
		.amdhsa_enable_private_segment 0
		.amdhsa_system_sgpr_workgroup_id_x 1
		.amdhsa_system_sgpr_workgroup_id_y 0
		.amdhsa_system_sgpr_workgroup_id_z 0
		.amdhsa_system_sgpr_workgroup_info 0
		.amdhsa_system_vgpr_workitem_id 0
		.amdhsa_next_free_vgpr 1
		.amdhsa_next_free_sgpr 0
		.amdhsa_accum_offset 4
		.amdhsa_reserve_vcc 0
		.amdhsa_float_round_mode_32 0
		.amdhsa_float_round_mode_16_64 0
		.amdhsa_float_denorm_mode_32 3
		.amdhsa_float_denorm_mode_16_64 3
		.amdhsa_dx10_clamp 1
		.amdhsa_ieee_mode 1
		.amdhsa_fp16_overflow 0
		.amdhsa_tg_split 0
		.amdhsa_exception_fp_ieee_invalid_op 0
		.amdhsa_exception_fp_denorm_src 0
		.amdhsa_exception_fp_ieee_div_zero 0
		.amdhsa_exception_fp_ieee_overflow 0
		.amdhsa_exception_fp_ieee_underflow 0
		.amdhsa_exception_fp_ieee_inexact 0
		.amdhsa_exception_int_div_zero 0
	.end_amdhsa_kernel
	.section	.text._ZN7rocprim17ROCPRIM_400000_NS6detail17trampoline_kernelINS0_14default_configENS1_22reduce_config_selectorIxEEZNS1_11reduce_implILb1ES3_PxS7_x9plus_mod3IxEEE10hipError_tPvRmT1_T2_T3_mT4_P12ihipStream_tbEUlT_E0_NS1_11comp_targetILNS1_3genE3ELNS1_11target_archE908ELNS1_3gpuE7ELNS1_3repE0EEENS1_30default_config_static_selectorELNS0_4arch9wavefront6targetE1EEEvSD_,"axG",@progbits,_ZN7rocprim17ROCPRIM_400000_NS6detail17trampoline_kernelINS0_14default_configENS1_22reduce_config_selectorIxEEZNS1_11reduce_implILb1ES3_PxS7_x9plus_mod3IxEEE10hipError_tPvRmT1_T2_T3_mT4_P12ihipStream_tbEUlT_E0_NS1_11comp_targetILNS1_3genE3ELNS1_11target_archE908ELNS1_3gpuE7ELNS1_3repE0EEENS1_30default_config_static_selectorELNS0_4arch9wavefront6targetE1EEEvSD_,comdat
.Lfunc_end878:
	.size	_ZN7rocprim17ROCPRIM_400000_NS6detail17trampoline_kernelINS0_14default_configENS1_22reduce_config_selectorIxEEZNS1_11reduce_implILb1ES3_PxS7_x9plus_mod3IxEEE10hipError_tPvRmT1_T2_T3_mT4_P12ihipStream_tbEUlT_E0_NS1_11comp_targetILNS1_3genE3ELNS1_11target_archE908ELNS1_3gpuE7ELNS1_3repE0EEENS1_30default_config_static_selectorELNS0_4arch9wavefront6targetE1EEEvSD_, .Lfunc_end878-_ZN7rocprim17ROCPRIM_400000_NS6detail17trampoline_kernelINS0_14default_configENS1_22reduce_config_selectorIxEEZNS1_11reduce_implILb1ES3_PxS7_x9plus_mod3IxEEE10hipError_tPvRmT1_T2_T3_mT4_P12ihipStream_tbEUlT_E0_NS1_11comp_targetILNS1_3genE3ELNS1_11target_archE908ELNS1_3gpuE7ELNS1_3repE0EEENS1_30default_config_static_selectorELNS0_4arch9wavefront6targetE1EEEvSD_
                                        ; -- End function
	.set _ZN7rocprim17ROCPRIM_400000_NS6detail17trampoline_kernelINS0_14default_configENS1_22reduce_config_selectorIxEEZNS1_11reduce_implILb1ES3_PxS7_x9plus_mod3IxEEE10hipError_tPvRmT1_T2_T3_mT4_P12ihipStream_tbEUlT_E0_NS1_11comp_targetILNS1_3genE3ELNS1_11target_archE908ELNS1_3gpuE7ELNS1_3repE0EEENS1_30default_config_static_selectorELNS0_4arch9wavefront6targetE1EEEvSD_.num_vgpr, 0
	.set _ZN7rocprim17ROCPRIM_400000_NS6detail17trampoline_kernelINS0_14default_configENS1_22reduce_config_selectorIxEEZNS1_11reduce_implILb1ES3_PxS7_x9plus_mod3IxEEE10hipError_tPvRmT1_T2_T3_mT4_P12ihipStream_tbEUlT_E0_NS1_11comp_targetILNS1_3genE3ELNS1_11target_archE908ELNS1_3gpuE7ELNS1_3repE0EEENS1_30default_config_static_selectorELNS0_4arch9wavefront6targetE1EEEvSD_.num_agpr, 0
	.set _ZN7rocprim17ROCPRIM_400000_NS6detail17trampoline_kernelINS0_14default_configENS1_22reduce_config_selectorIxEEZNS1_11reduce_implILb1ES3_PxS7_x9plus_mod3IxEEE10hipError_tPvRmT1_T2_T3_mT4_P12ihipStream_tbEUlT_E0_NS1_11comp_targetILNS1_3genE3ELNS1_11target_archE908ELNS1_3gpuE7ELNS1_3repE0EEENS1_30default_config_static_selectorELNS0_4arch9wavefront6targetE1EEEvSD_.numbered_sgpr, 0
	.set _ZN7rocprim17ROCPRIM_400000_NS6detail17trampoline_kernelINS0_14default_configENS1_22reduce_config_selectorIxEEZNS1_11reduce_implILb1ES3_PxS7_x9plus_mod3IxEEE10hipError_tPvRmT1_T2_T3_mT4_P12ihipStream_tbEUlT_E0_NS1_11comp_targetILNS1_3genE3ELNS1_11target_archE908ELNS1_3gpuE7ELNS1_3repE0EEENS1_30default_config_static_selectorELNS0_4arch9wavefront6targetE1EEEvSD_.num_named_barrier, 0
	.set _ZN7rocprim17ROCPRIM_400000_NS6detail17trampoline_kernelINS0_14default_configENS1_22reduce_config_selectorIxEEZNS1_11reduce_implILb1ES3_PxS7_x9plus_mod3IxEEE10hipError_tPvRmT1_T2_T3_mT4_P12ihipStream_tbEUlT_E0_NS1_11comp_targetILNS1_3genE3ELNS1_11target_archE908ELNS1_3gpuE7ELNS1_3repE0EEENS1_30default_config_static_selectorELNS0_4arch9wavefront6targetE1EEEvSD_.private_seg_size, 0
	.set _ZN7rocprim17ROCPRIM_400000_NS6detail17trampoline_kernelINS0_14default_configENS1_22reduce_config_selectorIxEEZNS1_11reduce_implILb1ES3_PxS7_x9plus_mod3IxEEE10hipError_tPvRmT1_T2_T3_mT4_P12ihipStream_tbEUlT_E0_NS1_11comp_targetILNS1_3genE3ELNS1_11target_archE908ELNS1_3gpuE7ELNS1_3repE0EEENS1_30default_config_static_selectorELNS0_4arch9wavefront6targetE1EEEvSD_.uses_vcc, 0
	.set _ZN7rocprim17ROCPRIM_400000_NS6detail17trampoline_kernelINS0_14default_configENS1_22reduce_config_selectorIxEEZNS1_11reduce_implILb1ES3_PxS7_x9plus_mod3IxEEE10hipError_tPvRmT1_T2_T3_mT4_P12ihipStream_tbEUlT_E0_NS1_11comp_targetILNS1_3genE3ELNS1_11target_archE908ELNS1_3gpuE7ELNS1_3repE0EEENS1_30default_config_static_selectorELNS0_4arch9wavefront6targetE1EEEvSD_.uses_flat_scratch, 0
	.set _ZN7rocprim17ROCPRIM_400000_NS6detail17trampoline_kernelINS0_14default_configENS1_22reduce_config_selectorIxEEZNS1_11reduce_implILb1ES3_PxS7_x9plus_mod3IxEEE10hipError_tPvRmT1_T2_T3_mT4_P12ihipStream_tbEUlT_E0_NS1_11comp_targetILNS1_3genE3ELNS1_11target_archE908ELNS1_3gpuE7ELNS1_3repE0EEENS1_30default_config_static_selectorELNS0_4arch9wavefront6targetE1EEEvSD_.has_dyn_sized_stack, 0
	.set _ZN7rocprim17ROCPRIM_400000_NS6detail17trampoline_kernelINS0_14default_configENS1_22reduce_config_selectorIxEEZNS1_11reduce_implILb1ES3_PxS7_x9plus_mod3IxEEE10hipError_tPvRmT1_T2_T3_mT4_P12ihipStream_tbEUlT_E0_NS1_11comp_targetILNS1_3genE3ELNS1_11target_archE908ELNS1_3gpuE7ELNS1_3repE0EEENS1_30default_config_static_selectorELNS0_4arch9wavefront6targetE1EEEvSD_.has_recursion, 0
	.set _ZN7rocprim17ROCPRIM_400000_NS6detail17trampoline_kernelINS0_14default_configENS1_22reduce_config_selectorIxEEZNS1_11reduce_implILb1ES3_PxS7_x9plus_mod3IxEEE10hipError_tPvRmT1_T2_T3_mT4_P12ihipStream_tbEUlT_E0_NS1_11comp_targetILNS1_3genE3ELNS1_11target_archE908ELNS1_3gpuE7ELNS1_3repE0EEENS1_30default_config_static_selectorELNS0_4arch9wavefront6targetE1EEEvSD_.has_indirect_call, 0
	.section	.AMDGPU.csdata,"",@progbits
; Kernel info:
; codeLenInByte = 0
; TotalNumSgprs: 6
; NumVgprs: 0
; NumAgprs: 0
; TotalNumVgprs: 0
; ScratchSize: 0
; MemoryBound: 0
; FloatMode: 240
; IeeeMode: 1
; LDSByteSize: 0 bytes/workgroup (compile time only)
; SGPRBlocks: 0
; VGPRBlocks: 0
; NumSGPRsForWavesPerEU: 6
; NumVGPRsForWavesPerEU: 1
; AccumOffset: 4
; Occupancy: 8
; WaveLimiterHint : 0
; COMPUTE_PGM_RSRC2:SCRATCH_EN: 0
; COMPUTE_PGM_RSRC2:USER_SGPR: 2
; COMPUTE_PGM_RSRC2:TRAP_HANDLER: 0
; COMPUTE_PGM_RSRC2:TGID_X_EN: 1
; COMPUTE_PGM_RSRC2:TGID_Y_EN: 0
; COMPUTE_PGM_RSRC2:TGID_Z_EN: 0
; COMPUTE_PGM_RSRC2:TIDIG_COMP_CNT: 0
; COMPUTE_PGM_RSRC3_GFX90A:ACCUM_OFFSET: 0
; COMPUTE_PGM_RSRC3_GFX90A:TG_SPLIT: 0
	.section	.text._ZN7rocprim17ROCPRIM_400000_NS6detail17trampoline_kernelINS0_14default_configENS1_22reduce_config_selectorIxEEZNS1_11reduce_implILb1ES3_PxS7_x9plus_mod3IxEEE10hipError_tPvRmT1_T2_T3_mT4_P12ihipStream_tbEUlT_E0_NS1_11comp_targetILNS1_3genE2ELNS1_11target_archE906ELNS1_3gpuE6ELNS1_3repE0EEENS1_30default_config_static_selectorELNS0_4arch9wavefront6targetE1EEEvSD_,"axG",@progbits,_ZN7rocprim17ROCPRIM_400000_NS6detail17trampoline_kernelINS0_14default_configENS1_22reduce_config_selectorIxEEZNS1_11reduce_implILb1ES3_PxS7_x9plus_mod3IxEEE10hipError_tPvRmT1_T2_T3_mT4_P12ihipStream_tbEUlT_E0_NS1_11comp_targetILNS1_3genE2ELNS1_11target_archE906ELNS1_3gpuE6ELNS1_3repE0EEENS1_30default_config_static_selectorELNS0_4arch9wavefront6targetE1EEEvSD_,comdat
	.protected	_ZN7rocprim17ROCPRIM_400000_NS6detail17trampoline_kernelINS0_14default_configENS1_22reduce_config_selectorIxEEZNS1_11reduce_implILb1ES3_PxS7_x9plus_mod3IxEEE10hipError_tPvRmT1_T2_T3_mT4_P12ihipStream_tbEUlT_E0_NS1_11comp_targetILNS1_3genE2ELNS1_11target_archE906ELNS1_3gpuE6ELNS1_3repE0EEENS1_30default_config_static_selectorELNS0_4arch9wavefront6targetE1EEEvSD_ ; -- Begin function _ZN7rocprim17ROCPRIM_400000_NS6detail17trampoline_kernelINS0_14default_configENS1_22reduce_config_selectorIxEEZNS1_11reduce_implILb1ES3_PxS7_x9plus_mod3IxEEE10hipError_tPvRmT1_T2_T3_mT4_P12ihipStream_tbEUlT_E0_NS1_11comp_targetILNS1_3genE2ELNS1_11target_archE906ELNS1_3gpuE6ELNS1_3repE0EEENS1_30default_config_static_selectorELNS0_4arch9wavefront6targetE1EEEvSD_
	.globl	_ZN7rocprim17ROCPRIM_400000_NS6detail17trampoline_kernelINS0_14default_configENS1_22reduce_config_selectorIxEEZNS1_11reduce_implILb1ES3_PxS7_x9plus_mod3IxEEE10hipError_tPvRmT1_T2_T3_mT4_P12ihipStream_tbEUlT_E0_NS1_11comp_targetILNS1_3genE2ELNS1_11target_archE906ELNS1_3gpuE6ELNS1_3repE0EEENS1_30default_config_static_selectorELNS0_4arch9wavefront6targetE1EEEvSD_
	.p2align	8
	.type	_ZN7rocprim17ROCPRIM_400000_NS6detail17trampoline_kernelINS0_14default_configENS1_22reduce_config_selectorIxEEZNS1_11reduce_implILb1ES3_PxS7_x9plus_mod3IxEEE10hipError_tPvRmT1_T2_T3_mT4_P12ihipStream_tbEUlT_E0_NS1_11comp_targetILNS1_3genE2ELNS1_11target_archE906ELNS1_3gpuE6ELNS1_3repE0EEENS1_30default_config_static_selectorELNS0_4arch9wavefront6targetE1EEEvSD_,@function
_ZN7rocprim17ROCPRIM_400000_NS6detail17trampoline_kernelINS0_14default_configENS1_22reduce_config_selectorIxEEZNS1_11reduce_implILb1ES3_PxS7_x9plus_mod3IxEEE10hipError_tPvRmT1_T2_T3_mT4_P12ihipStream_tbEUlT_E0_NS1_11comp_targetILNS1_3genE2ELNS1_11target_archE906ELNS1_3gpuE6ELNS1_3repE0EEENS1_30default_config_static_selectorELNS0_4arch9wavefront6targetE1EEEvSD_: ; @_ZN7rocprim17ROCPRIM_400000_NS6detail17trampoline_kernelINS0_14default_configENS1_22reduce_config_selectorIxEEZNS1_11reduce_implILb1ES3_PxS7_x9plus_mod3IxEEE10hipError_tPvRmT1_T2_T3_mT4_P12ihipStream_tbEUlT_E0_NS1_11comp_targetILNS1_3genE2ELNS1_11target_archE906ELNS1_3gpuE6ELNS1_3repE0EEENS1_30default_config_static_selectorELNS0_4arch9wavefront6targetE1EEEvSD_
; %bb.0:
	.section	.rodata,"a",@progbits
	.p2align	6, 0x0
	.amdhsa_kernel _ZN7rocprim17ROCPRIM_400000_NS6detail17trampoline_kernelINS0_14default_configENS1_22reduce_config_selectorIxEEZNS1_11reduce_implILb1ES3_PxS7_x9plus_mod3IxEEE10hipError_tPvRmT1_T2_T3_mT4_P12ihipStream_tbEUlT_E0_NS1_11comp_targetILNS1_3genE2ELNS1_11target_archE906ELNS1_3gpuE6ELNS1_3repE0EEENS1_30default_config_static_selectorELNS0_4arch9wavefront6targetE1EEEvSD_
		.amdhsa_group_segment_fixed_size 0
		.amdhsa_private_segment_fixed_size 0
		.amdhsa_kernarg_size 64
		.amdhsa_user_sgpr_count 2
		.amdhsa_user_sgpr_dispatch_ptr 0
		.amdhsa_user_sgpr_queue_ptr 0
		.amdhsa_user_sgpr_kernarg_segment_ptr 1
		.amdhsa_user_sgpr_dispatch_id 0
		.amdhsa_user_sgpr_kernarg_preload_length 0
		.amdhsa_user_sgpr_kernarg_preload_offset 0
		.amdhsa_user_sgpr_private_segment_size 0
		.amdhsa_uses_dynamic_stack 0
		.amdhsa_enable_private_segment 0
		.amdhsa_system_sgpr_workgroup_id_x 1
		.amdhsa_system_sgpr_workgroup_id_y 0
		.amdhsa_system_sgpr_workgroup_id_z 0
		.amdhsa_system_sgpr_workgroup_info 0
		.amdhsa_system_vgpr_workitem_id 0
		.amdhsa_next_free_vgpr 1
		.amdhsa_next_free_sgpr 0
		.amdhsa_accum_offset 4
		.amdhsa_reserve_vcc 0
		.amdhsa_float_round_mode_32 0
		.amdhsa_float_round_mode_16_64 0
		.amdhsa_float_denorm_mode_32 3
		.amdhsa_float_denorm_mode_16_64 3
		.amdhsa_dx10_clamp 1
		.amdhsa_ieee_mode 1
		.amdhsa_fp16_overflow 0
		.amdhsa_tg_split 0
		.amdhsa_exception_fp_ieee_invalid_op 0
		.amdhsa_exception_fp_denorm_src 0
		.amdhsa_exception_fp_ieee_div_zero 0
		.amdhsa_exception_fp_ieee_overflow 0
		.amdhsa_exception_fp_ieee_underflow 0
		.amdhsa_exception_fp_ieee_inexact 0
		.amdhsa_exception_int_div_zero 0
	.end_amdhsa_kernel
	.section	.text._ZN7rocprim17ROCPRIM_400000_NS6detail17trampoline_kernelINS0_14default_configENS1_22reduce_config_selectorIxEEZNS1_11reduce_implILb1ES3_PxS7_x9plus_mod3IxEEE10hipError_tPvRmT1_T2_T3_mT4_P12ihipStream_tbEUlT_E0_NS1_11comp_targetILNS1_3genE2ELNS1_11target_archE906ELNS1_3gpuE6ELNS1_3repE0EEENS1_30default_config_static_selectorELNS0_4arch9wavefront6targetE1EEEvSD_,"axG",@progbits,_ZN7rocprim17ROCPRIM_400000_NS6detail17trampoline_kernelINS0_14default_configENS1_22reduce_config_selectorIxEEZNS1_11reduce_implILb1ES3_PxS7_x9plus_mod3IxEEE10hipError_tPvRmT1_T2_T3_mT4_P12ihipStream_tbEUlT_E0_NS1_11comp_targetILNS1_3genE2ELNS1_11target_archE906ELNS1_3gpuE6ELNS1_3repE0EEENS1_30default_config_static_selectorELNS0_4arch9wavefront6targetE1EEEvSD_,comdat
.Lfunc_end879:
	.size	_ZN7rocprim17ROCPRIM_400000_NS6detail17trampoline_kernelINS0_14default_configENS1_22reduce_config_selectorIxEEZNS1_11reduce_implILb1ES3_PxS7_x9plus_mod3IxEEE10hipError_tPvRmT1_T2_T3_mT4_P12ihipStream_tbEUlT_E0_NS1_11comp_targetILNS1_3genE2ELNS1_11target_archE906ELNS1_3gpuE6ELNS1_3repE0EEENS1_30default_config_static_selectorELNS0_4arch9wavefront6targetE1EEEvSD_, .Lfunc_end879-_ZN7rocprim17ROCPRIM_400000_NS6detail17trampoline_kernelINS0_14default_configENS1_22reduce_config_selectorIxEEZNS1_11reduce_implILb1ES3_PxS7_x9plus_mod3IxEEE10hipError_tPvRmT1_T2_T3_mT4_P12ihipStream_tbEUlT_E0_NS1_11comp_targetILNS1_3genE2ELNS1_11target_archE906ELNS1_3gpuE6ELNS1_3repE0EEENS1_30default_config_static_selectorELNS0_4arch9wavefront6targetE1EEEvSD_
                                        ; -- End function
	.set _ZN7rocprim17ROCPRIM_400000_NS6detail17trampoline_kernelINS0_14default_configENS1_22reduce_config_selectorIxEEZNS1_11reduce_implILb1ES3_PxS7_x9plus_mod3IxEEE10hipError_tPvRmT1_T2_T3_mT4_P12ihipStream_tbEUlT_E0_NS1_11comp_targetILNS1_3genE2ELNS1_11target_archE906ELNS1_3gpuE6ELNS1_3repE0EEENS1_30default_config_static_selectorELNS0_4arch9wavefront6targetE1EEEvSD_.num_vgpr, 0
	.set _ZN7rocprim17ROCPRIM_400000_NS6detail17trampoline_kernelINS0_14default_configENS1_22reduce_config_selectorIxEEZNS1_11reduce_implILb1ES3_PxS7_x9plus_mod3IxEEE10hipError_tPvRmT1_T2_T3_mT4_P12ihipStream_tbEUlT_E0_NS1_11comp_targetILNS1_3genE2ELNS1_11target_archE906ELNS1_3gpuE6ELNS1_3repE0EEENS1_30default_config_static_selectorELNS0_4arch9wavefront6targetE1EEEvSD_.num_agpr, 0
	.set _ZN7rocprim17ROCPRIM_400000_NS6detail17trampoline_kernelINS0_14default_configENS1_22reduce_config_selectorIxEEZNS1_11reduce_implILb1ES3_PxS7_x9plus_mod3IxEEE10hipError_tPvRmT1_T2_T3_mT4_P12ihipStream_tbEUlT_E0_NS1_11comp_targetILNS1_3genE2ELNS1_11target_archE906ELNS1_3gpuE6ELNS1_3repE0EEENS1_30default_config_static_selectorELNS0_4arch9wavefront6targetE1EEEvSD_.numbered_sgpr, 0
	.set _ZN7rocprim17ROCPRIM_400000_NS6detail17trampoline_kernelINS0_14default_configENS1_22reduce_config_selectorIxEEZNS1_11reduce_implILb1ES3_PxS7_x9plus_mod3IxEEE10hipError_tPvRmT1_T2_T3_mT4_P12ihipStream_tbEUlT_E0_NS1_11comp_targetILNS1_3genE2ELNS1_11target_archE906ELNS1_3gpuE6ELNS1_3repE0EEENS1_30default_config_static_selectorELNS0_4arch9wavefront6targetE1EEEvSD_.num_named_barrier, 0
	.set _ZN7rocprim17ROCPRIM_400000_NS6detail17trampoline_kernelINS0_14default_configENS1_22reduce_config_selectorIxEEZNS1_11reduce_implILb1ES3_PxS7_x9plus_mod3IxEEE10hipError_tPvRmT1_T2_T3_mT4_P12ihipStream_tbEUlT_E0_NS1_11comp_targetILNS1_3genE2ELNS1_11target_archE906ELNS1_3gpuE6ELNS1_3repE0EEENS1_30default_config_static_selectorELNS0_4arch9wavefront6targetE1EEEvSD_.private_seg_size, 0
	.set _ZN7rocprim17ROCPRIM_400000_NS6detail17trampoline_kernelINS0_14default_configENS1_22reduce_config_selectorIxEEZNS1_11reduce_implILb1ES3_PxS7_x9plus_mod3IxEEE10hipError_tPvRmT1_T2_T3_mT4_P12ihipStream_tbEUlT_E0_NS1_11comp_targetILNS1_3genE2ELNS1_11target_archE906ELNS1_3gpuE6ELNS1_3repE0EEENS1_30default_config_static_selectorELNS0_4arch9wavefront6targetE1EEEvSD_.uses_vcc, 0
	.set _ZN7rocprim17ROCPRIM_400000_NS6detail17trampoline_kernelINS0_14default_configENS1_22reduce_config_selectorIxEEZNS1_11reduce_implILb1ES3_PxS7_x9plus_mod3IxEEE10hipError_tPvRmT1_T2_T3_mT4_P12ihipStream_tbEUlT_E0_NS1_11comp_targetILNS1_3genE2ELNS1_11target_archE906ELNS1_3gpuE6ELNS1_3repE0EEENS1_30default_config_static_selectorELNS0_4arch9wavefront6targetE1EEEvSD_.uses_flat_scratch, 0
	.set _ZN7rocprim17ROCPRIM_400000_NS6detail17trampoline_kernelINS0_14default_configENS1_22reduce_config_selectorIxEEZNS1_11reduce_implILb1ES3_PxS7_x9plus_mod3IxEEE10hipError_tPvRmT1_T2_T3_mT4_P12ihipStream_tbEUlT_E0_NS1_11comp_targetILNS1_3genE2ELNS1_11target_archE906ELNS1_3gpuE6ELNS1_3repE0EEENS1_30default_config_static_selectorELNS0_4arch9wavefront6targetE1EEEvSD_.has_dyn_sized_stack, 0
	.set _ZN7rocprim17ROCPRIM_400000_NS6detail17trampoline_kernelINS0_14default_configENS1_22reduce_config_selectorIxEEZNS1_11reduce_implILb1ES3_PxS7_x9plus_mod3IxEEE10hipError_tPvRmT1_T2_T3_mT4_P12ihipStream_tbEUlT_E0_NS1_11comp_targetILNS1_3genE2ELNS1_11target_archE906ELNS1_3gpuE6ELNS1_3repE0EEENS1_30default_config_static_selectorELNS0_4arch9wavefront6targetE1EEEvSD_.has_recursion, 0
	.set _ZN7rocprim17ROCPRIM_400000_NS6detail17trampoline_kernelINS0_14default_configENS1_22reduce_config_selectorIxEEZNS1_11reduce_implILb1ES3_PxS7_x9plus_mod3IxEEE10hipError_tPvRmT1_T2_T3_mT4_P12ihipStream_tbEUlT_E0_NS1_11comp_targetILNS1_3genE2ELNS1_11target_archE906ELNS1_3gpuE6ELNS1_3repE0EEENS1_30default_config_static_selectorELNS0_4arch9wavefront6targetE1EEEvSD_.has_indirect_call, 0
	.section	.AMDGPU.csdata,"",@progbits
; Kernel info:
; codeLenInByte = 0
; TotalNumSgprs: 6
; NumVgprs: 0
; NumAgprs: 0
; TotalNumVgprs: 0
; ScratchSize: 0
; MemoryBound: 0
; FloatMode: 240
; IeeeMode: 1
; LDSByteSize: 0 bytes/workgroup (compile time only)
; SGPRBlocks: 0
; VGPRBlocks: 0
; NumSGPRsForWavesPerEU: 6
; NumVGPRsForWavesPerEU: 1
; AccumOffset: 4
; Occupancy: 8
; WaveLimiterHint : 0
; COMPUTE_PGM_RSRC2:SCRATCH_EN: 0
; COMPUTE_PGM_RSRC2:USER_SGPR: 2
; COMPUTE_PGM_RSRC2:TRAP_HANDLER: 0
; COMPUTE_PGM_RSRC2:TGID_X_EN: 1
; COMPUTE_PGM_RSRC2:TGID_Y_EN: 0
; COMPUTE_PGM_RSRC2:TGID_Z_EN: 0
; COMPUTE_PGM_RSRC2:TIDIG_COMP_CNT: 0
; COMPUTE_PGM_RSRC3_GFX90A:ACCUM_OFFSET: 0
; COMPUTE_PGM_RSRC3_GFX90A:TG_SPLIT: 0
	.section	.text._ZN7rocprim17ROCPRIM_400000_NS6detail17trampoline_kernelINS0_14default_configENS1_22reduce_config_selectorIxEEZNS1_11reduce_implILb1ES3_PxS7_x9plus_mod3IxEEE10hipError_tPvRmT1_T2_T3_mT4_P12ihipStream_tbEUlT_E0_NS1_11comp_targetILNS1_3genE10ELNS1_11target_archE1201ELNS1_3gpuE5ELNS1_3repE0EEENS1_30default_config_static_selectorELNS0_4arch9wavefront6targetE1EEEvSD_,"axG",@progbits,_ZN7rocprim17ROCPRIM_400000_NS6detail17trampoline_kernelINS0_14default_configENS1_22reduce_config_selectorIxEEZNS1_11reduce_implILb1ES3_PxS7_x9plus_mod3IxEEE10hipError_tPvRmT1_T2_T3_mT4_P12ihipStream_tbEUlT_E0_NS1_11comp_targetILNS1_3genE10ELNS1_11target_archE1201ELNS1_3gpuE5ELNS1_3repE0EEENS1_30default_config_static_selectorELNS0_4arch9wavefront6targetE1EEEvSD_,comdat
	.protected	_ZN7rocprim17ROCPRIM_400000_NS6detail17trampoline_kernelINS0_14default_configENS1_22reduce_config_selectorIxEEZNS1_11reduce_implILb1ES3_PxS7_x9plus_mod3IxEEE10hipError_tPvRmT1_T2_T3_mT4_P12ihipStream_tbEUlT_E0_NS1_11comp_targetILNS1_3genE10ELNS1_11target_archE1201ELNS1_3gpuE5ELNS1_3repE0EEENS1_30default_config_static_selectorELNS0_4arch9wavefront6targetE1EEEvSD_ ; -- Begin function _ZN7rocprim17ROCPRIM_400000_NS6detail17trampoline_kernelINS0_14default_configENS1_22reduce_config_selectorIxEEZNS1_11reduce_implILb1ES3_PxS7_x9plus_mod3IxEEE10hipError_tPvRmT1_T2_T3_mT4_P12ihipStream_tbEUlT_E0_NS1_11comp_targetILNS1_3genE10ELNS1_11target_archE1201ELNS1_3gpuE5ELNS1_3repE0EEENS1_30default_config_static_selectorELNS0_4arch9wavefront6targetE1EEEvSD_
	.globl	_ZN7rocprim17ROCPRIM_400000_NS6detail17trampoline_kernelINS0_14default_configENS1_22reduce_config_selectorIxEEZNS1_11reduce_implILb1ES3_PxS7_x9plus_mod3IxEEE10hipError_tPvRmT1_T2_T3_mT4_P12ihipStream_tbEUlT_E0_NS1_11comp_targetILNS1_3genE10ELNS1_11target_archE1201ELNS1_3gpuE5ELNS1_3repE0EEENS1_30default_config_static_selectorELNS0_4arch9wavefront6targetE1EEEvSD_
	.p2align	8
	.type	_ZN7rocprim17ROCPRIM_400000_NS6detail17trampoline_kernelINS0_14default_configENS1_22reduce_config_selectorIxEEZNS1_11reduce_implILb1ES3_PxS7_x9plus_mod3IxEEE10hipError_tPvRmT1_T2_T3_mT4_P12ihipStream_tbEUlT_E0_NS1_11comp_targetILNS1_3genE10ELNS1_11target_archE1201ELNS1_3gpuE5ELNS1_3repE0EEENS1_30default_config_static_selectorELNS0_4arch9wavefront6targetE1EEEvSD_,@function
_ZN7rocprim17ROCPRIM_400000_NS6detail17trampoline_kernelINS0_14default_configENS1_22reduce_config_selectorIxEEZNS1_11reduce_implILb1ES3_PxS7_x9plus_mod3IxEEE10hipError_tPvRmT1_T2_T3_mT4_P12ihipStream_tbEUlT_E0_NS1_11comp_targetILNS1_3genE10ELNS1_11target_archE1201ELNS1_3gpuE5ELNS1_3repE0EEENS1_30default_config_static_selectorELNS0_4arch9wavefront6targetE1EEEvSD_: ; @_ZN7rocprim17ROCPRIM_400000_NS6detail17trampoline_kernelINS0_14default_configENS1_22reduce_config_selectorIxEEZNS1_11reduce_implILb1ES3_PxS7_x9plus_mod3IxEEE10hipError_tPvRmT1_T2_T3_mT4_P12ihipStream_tbEUlT_E0_NS1_11comp_targetILNS1_3genE10ELNS1_11target_archE1201ELNS1_3gpuE5ELNS1_3repE0EEENS1_30default_config_static_selectorELNS0_4arch9wavefront6targetE1EEEvSD_
; %bb.0:
	.section	.rodata,"a",@progbits
	.p2align	6, 0x0
	.amdhsa_kernel _ZN7rocprim17ROCPRIM_400000_NS6detail17trampoline_kernelINS0_14default_configENS1_22reduce_config_selectorIxEEZNS1_11reduce_implILb1ES3_PxS7_x9plus_mod3IxEEE10hipError_tPvRmT1_T2_T3_mT4_P12ihipStream_tbEUlT_E0_NS1_11comp_targetILNS1_3genE10ELNS1_11target_archE1201ELNS1_3gpuE5ELNS1_3repE0EEENS1_30default_config_static_selectorELNS0_4arch9wavefront6targetE1EEEvSD_
		.amdhsa_group_segment_fixed_size 0
		.amdhsa_private_segment_fixed_size 0
		.amdhsa_kernarg_size 64
		.amdhsa_user_sgpr_count 2
		.amdhsa_user_sgpr_dispatch_ptr 0
		.amdhsa_user_sgpr_queue_ptr 0
		.amdhsa_user_sgpr_kernarg_segment_ptr 1
		.amdhsa_user_sgpr_dispatch_id 0
		.amdhsa_user_sgpr_kernarg_preload_length 0
		.amdhsa_user_sgpr_kernarg_preload_offset 0
		.amdhsa_user_sgpr_private_segment_size 0
		.amdhsa_uses_dynamic_stack 0
		.amdhsa_enable_private_segment 0
		.amdhsa_system_sgpr_workgroup_id_x 1
		.amdhsa_system_sgpr_workgroup_id_y 0
		.amdhsa_system_sgpr_workgroup_id_z 0
		.amdhsa_system_sgpr_workgroup_info 0
		.amdhsa_system_vgpr_workitem_id 0
		.amdhsa_next_free_vgpr 1
		.amdhsa_next_free_sgpr 0
		.amdhsa_accum_offset 4
		.amdhsa_reserve_vcc 0
		.amdhsa_float_round_mode_32 0
		.amdhsa_float_round_mode_16_64 0
		.amdhsa_float_denorm_mode_32 3
		.amdhsa_float_denorm_mode_16_64 3
		.amdhsa_dx10_clamp 1
		.amdhsa_ieee_mode 1
		.amdhsa_fp16_overflow 0
		.amdhsa_tg_split 0
		.amdhsa_exception_fp_ieee_invalid_op 0
		.amdhsa_exception_fp_denorm_src 0
		.amdhsa_exception_fp_ieee_div_zero 0
		.amdhsa_exception_fp_ieee_overflow 0
		.amdhsa_exception_fp_ieee_underflow 0
		.amdhsa_exception_fp_ieee_inexact 0
		.amdhsa_exception_int_div_zero 0
	.end_amdhsa_kernel
	.section	.text._ZN7rocprim17ROCPRIM_400000_NS6detail17trampoline_kernelINS0_14default_configENS1_22reduce_config_selectorIxEEZNS1_11reduce_implILb1ES3_PxS7_x9plus_mod3IxEEE10hipError_tPvRmT1_T2_T3_mT4_P12ihipStream_tbEUlT_E0_NS1_11comp_targetILNS1_3genE10ELNS1_11target_archE1201ELNS1_3gpuE5ELNS1_3repE0EEENS1_30default_config_static_selectorELNS0_4arch9wavefront6targetE1EEEvSD_,"axG",@progbits,_ZN7rocprim17ROCPRIM_400000_NS6detail17trampoline_kernelINS0_14default_configENS1_22reduce_config_selectorIxEEZNS1_11reduce_implILb1ES3_PxS7_x9plus_mod3IxEEE10hipError_tPvRmT1_T2_T3_mT4_P12ihipStream_tbEUlT_E0_NS1_11comp_targetILNS1_3genE10ELNS1_11target_archE1201ELNS1_3gpuE5ELNS1_3repE0EEENS1_30default_config_static_selectorELNS0_4arch9wavefront6targetE1EEEvSD_,comdat
.Lfunc_end880:
	.size	_ZN7rocprim17ROCPRIM_400000_NS6detail17trampoline_kernelINS0_14default_configENS1_22reduce_config_selectorIxEEZNS1_11reduce_implILb1ES3_PxS7_x9plus_mod3IxEEE10hipError_tPvRmT1_T2_T3_mT4_P12ihipStream_tbEUlT_E0_NS1_11comp_targetILNS1_3genE10ELNS1_11target_archE1201ELNS1_3gpuE5ELNS1_3repE0EEENS1_30default_config_static_selectorELNS0_4arch9wavefront6targetE1EEEvSD_, .Lfunc_end880-_ZN7rocprim17ROCPRIM_400000_NS6detail17trampoline_kernelINS0_14default_configENS1_22reduce_config_selectorIxEEZNS1_11reduce_implILb1ES3_PxS7_x9plus_mod3IxEEE10hipError_tPvRmT1_T2_T3_mT4_P12ihipStream_tbEUlT_E0_NS1_11comp_targetILNS1_3genE10ELNS1_11target_archE1201ELNS1_3gpuE5ELNS1_3repE0EEENS1_30default_config_static_selectorELNS0_4arch9wavefront6targetE1EEEvSD_
                                        ; -- End function
	.set _ZN7rocprim17ROCPRIM_400000_NS6detail17trampoline_kernelINS0_14default_configENS1_22reduce_config_selectorIxEEZNS1_11reduce_implILb1ES3_PxS7_x9plus_mod3IxEEE10hipError_tPvRmT1_T2_T3_mT4_P12ihipStream_tbEUlT_E0_NS1_11comp_targetILNS1_3genE10ELNS1_11target_archE1201ELNS1_3gpuE5ELNS1_3repE0EEENS1_30default_config_static_selectorELNS0_4arch9wavefront6targetE1EEEvSD_.num_vgpr, 0
	.set _ZN7rocprim17ROCPRIM_400000_NS6detail17trampoline_kernelINS0_14default_configENS1_22reduce_config_selectorIxEEZNS1_11reduce_implILb1ES3_PxS7_x9plus_mod3IxEEE10hipError_tPvRmT1_T2_T3_mT4_P12ihipStream_tbEUlT_E0_NS1_11comp_targetILNS1_3genE10ELNS1_11target_archE1201ELNS1_3gpuE5ELNS1_3repE0EEENS1_30default_config_static_selectorELNS0_4arch9wavefront6targetE1EEEvSD_.num_agpr, 0
	.set _ZN7rocprim17ROCPRIM_400000_NS6detail17trampoline_kernelINS0_14default_configENS1_22reduce_config_selectorIxEEZNS1_11reduce_implILb1ES3_PxS7_x9plus_mod3IxEEE10hipError_tPvRmT1_T2_T3_mT4_P12ihipStream_tbEUlT_E0_NS1_11comp_targetILNS1_3genE10ELNS1_11target_archE1201ELNS1_3gpuE5ELNS1_3repE0EEENS1_30default_config_static_selectorELNS0_4arch9wavefront6targetE1EEEvSD_.numbered_sgpr, 0
	.set _ZN7rocprim17ROCPRIM_400000_NS6detail17trampoline_kernelINS0_14default_configENS1_22reduce_config_selectorIxEEZNS1_11reduce_implILb1ES3_PxS7_x9plus_mod3IxEEE10hipError_tPvRmT1_T2_T3_mT4_P12ihipStream_tbEUlT_E0_NS1_11comp_targetILNS1_3genE10ELNS1_11target_archE1201ELNS1_3gpuE5ELNS1_3repE0EEENS1_30default_config_static_selectorELNS0_4arch9wavefront6targetE1EEEvSD_.num_named_barrier, 0
	.set _ZN7rocprim17ROCPRIM_400000_NS6detail17trampoline_kernelINS0_14default_configENS1_22reduce_config_selectorIxEEZNS1_11reduce_implILb1ES3_PxS7_x9plus_mod3IxEEE10hipError_tPvRmT1_T2_T3_mT4_P12ihipStream_tbEUlT_E0_NS1_11comp_targetILNS1_3genE10ELNS1_11target_archE1201ELNS1_3gpuE5ELNS1_3repE0EEENS1_30default_config_static_selectorELNS0_4arch9wavefront6targetE1EEEvSD_.private_seg_size, 0
	.set _ZN7rocprim17ROCPRIM_400000_NS6detail17trampoline_kernelINS0_14default_configENS1_22reduce_config_selectorIxEEZNS1_11reduce_implILb1ES3_PxS7_x9plus_mod3IxEEE10hipError_tPvRmT1_T2_T3_mT4_P12ihipStream_tbEUlT_E0_NS1_11comp_targetILNS1_3genE10ELNS1_11target_archE1201ELNS1_3gpuE5ELNS1_3repE0EEENS1_30default_config_static_selectorELNS0_4arch9wavefront6targetE1EEEvSD_.uses_vcc, 0
	.set _ZN7rocprim17ROCPRIM_400000_NS6detail17trampoline_kernelINS0_14default_configENS1_22reduce_config_selectorIxEEZNS1_11reduce_implILb1ES3_PxS7_x9plus_mod3IxEEE10hipError_tPvRmT1_T2_T3_mT4_P12ihipStream_tbEUlT_E0_NS1_11comp_targetILNS1_3genE10ELNS1_11target_archE1201ELNS1_3gpuE5ELNS1_3repE0EEENS1_30default_config_static_selectorELNS0_4arch9wavefront6targetE1EEEvSD_.uses_flat_scratch, 0
	.set _ZN7rocprim17ROCPRIM_400000_NS6detail17trampoline_kernelINS0_14default_configENS1_22reduce_config_selectorIxEEZNS1_11reduce_implILb1ES3_PxS7_x9plus_mod3IxEEE10hipError_tPvRmT1_T2_T3_mT4_P12ihipStream_tbEUlT_E0_NS1_11comp_targetILNS1_3genE10ELNS1_11target_archE1201ELNS1_3gpuE5ELNS1_3repE0EEENS1_30default_config_static_selectorELNS0_4arch9wavefront6targetE1EEEvSD_.has_dyn_sized_stack, 0
	.set _ZN7rocprim17ROCPRIM_400000_NS6detail17trampoline_kernelINS0_14default_configENS1_22reduce_config_selectorIxEEZNS1_11reduce_implILb1ES3_PxS7_x9plus_mod3IxEEE10hipError_tPvRmT1_T2_T3_mT4_P12ihipStream_tbEUlT_E0_NS1_11comp_targetILNS1_3genE10ELNS1_11target_archE1201ELNS1_3gpuE5ELNS1_3repE0EEENS1_30default_config_static_selectorELNS0_4arch9wavefront6targetE1EEEvSD_.has_recursion, 0
	.set _ZN7rocprim17ROCPRIM_400000_NS6detail17trampoline_kernelINS0_14default_configENS1_22reduce_config_selectorIxEEZNS1_11reduce_implILb1ES3_PxS7_x9plus_mod3IxEEE10hipError_tPvRmT1_T2_T3_mT4_P12ihipStream_tbEUlT_E0_NS1_11comp_targetILNS1_3genE10ELNS1_11target_archE1201ELNS1_3gpuE5ELNS1_3repE0EEENS1_30default_config_static_selectorELNS0_4arch9wavefront6targetE1EEEvSD_.has_indirect_call, 0
	.section	.AMDGPU.csdata,"",@progbits
; Kernel info:
; codeLenInByte = 0
; TotalNumSgprs: 6
; NumVgprs: 0
; NumAgprs: 0
; TotalNumVgprs: 0
; ScratchSize: 0
; MemoryBound: 0
; FloatMode: 240
; IeeeMode: 1
; LDSByteSize: 0 bytes/workgroup (compile time only)
; SGPRBlocks: 0
; VGPRBlocks: 0
; NumSGPRsForWavesPerEU: 6
; NumVGPRsForWavesPerEU: 1
; AccumOffset: 4
; Occupancy: 8
; WaveLimiterHint : 0
; COMPUTE_PGM_RSRC2:SCRATCH_EN: 0
; COMPUTE_PGM_RSRC2:USER_SGPR: 2
; COMPUTE_PGM_RSRC2:TRAP_HANDLER: 0
; COMPUTE_PGM_RSRC2:TGID_X_EN: 1
; COMPUTE_PGM_RSRC2:TGID_Y_EN: 0
; COMPUTE_PGM_RSRC2:TGID_Z_EN: 0
; COMPUTE_PGM_RSRC2:TIDIG_COMP_CNT: 0
; COMPUTE_PGM_RSRC3_GFX90A:ACCUM_OFFSET: 0
; COMPUTE_PGM_RSRC3_GFX90A:TG_SPLIT: 0
	.section	.text._ZN7rocprim17ROCPRIM_400000_NS6detail17trampoline_kernelINS0_14default_configENS1_22reduce_config_selectorIxEEZNS1_11reduce_implILb1ES3_PxS7_x9plus_mod3IxEEE10hipError_tPvRmT1_T2_T3_mT4_P12ihipStream_tbEUlT_E0_NS1_11comp_targetILNS1_3genE10ELNS1_11target_archE1200ELNS1_3gpuE4ELNS1_3repE0EEENS1_30default_config_static_selectorELNS0_4arch9wavefront6targetE1EEEvSD_,"axG",@progbits,_ZN7rocprim17ROCPRIM_400000_NS6detail17trampoline_kernelINS0_14default_configENS1_22reduce_config_selectorIxEEZNS1_11reduce_implILb1ES3_PxS7_x9plus_mod3IxEEE10hipError_tPvRmT1_T2_T3_mT4_P12ihipStream_tbEUlT_E0_NS1_11comp_targetILNS1_3genE10ELNS1_11target_archE1200ELNS1_3gpuE4ELNS1_3repE0EEENS1_30default_config_static_selectorELNS0_4arch9wavefront6targetE1EEEvSD_,comdat
	.protected	_ZN7rocprim17ROCPRIM_400000_NS6detail17trampoline_kernelINS0_14default_configENS1_22reduce_config_selectorIxEEZNS1_11reduce_implILb1ES3_PxS7_x9plus_mod3IxEEE10hipError_tPvRmT1_T2_T3_mT4_P12ihipStream_tbEUlT_E0_NS1_11comp_targetILNS1_3genE10ELNS1_11target_archE1200ELNS1_3gpuE4ELNS1_3repE0EEENS1_30default_config_static_selectorELNS0_4arch9wavefront6targetE1EEEvSD_ ; -- Begin function _ZN7rocprim17ROCPRIM_400000_NS6detail17trampoline_kernelINS0_14default_configENS1_22reduce_config_selectorIxEEZNS1_11reduce_implILb1ES3_PxS7_x9plus_mod3IxEEE10hipError_tPvRmT1_T2_T3_mT4_P12ihipStream_tbEUlT_E0_NS1_11comp_targetILNS1_3genE10ELNS1_11target_archE1200ELNS1_3gpuE4ELNS1_3repE0EEENS1_30default_config_static_selectorELNS0_4arch9wavefront6targetE1EEEvSD_
	.globl	_ZN7rocprim17ROCPRIM_400000_NS6detail17trampoline_kernelINS0_14default_configENS1_22reduce_config_selectorIxEEZNS1_11reduce_implILb1ES3_PxS7_x9plus_mod3IxEEE10hipError_tPvRmT1_T2_T3_mT4_P12ihipStream_tbEUlT_E0_NS1_11comp_targetILNS1_3genE10ELNS1_11target_archE1200ELNS1_3gpuE4ELNS1_3repE0EEENS1_30default_config_static_selectorELNS0_4arch9wavefront6targetE1EEEvSD_
	.p2align	8
	.type	_ZN7rocprim17ROCPRIM_400000_NS6detail17trampoline_kernelINS0_14default_configENS1_22reduce_config_selectorIxEEZNS1_11reduce_implILb1ES3_PxS7_x9plus_mod3IxEEE10hipError_tPvRmT1_T2_T3_mT4_P12ihipStream_tbEUlT_E0_NS1_11comp_targetILNS1_3genE10ELNS1_11target_archE1200ELNS1_3gpuE4ELNS1_3repE0EEENS1_30default_config_static_selectorELNS0_4arch9wavefront6targetE1EEEvSD_,@function
_ZN7rocprim17ROCPRIM_400000_NS6detail17trampoline_kernelINS0_14default_configENS1_22reduce_config_selectorIxEEZNS1_11reduce_implILb1ES3_PxS7_x9plus_mod3IxEEE10hipError_tPvRmT1_T2_T3_mT4_P12ihipStream_tbEUlT_E0_NS1_11comp_targetILNS1_3genE10ELNS1_11target_archE1200ELNS1_3gpuE4ELNS1_3repE0EEENS1_30default_config_static_selectorELNS0_4arch9wavefront6targetE1EEEvSD_: ; @_ZN7rocprim17ROCPRIM_400000_NS6detail17trampoline_kernelINS0_14default_configENS1_22reduce_config_selectorIxEEZNS1_11reduce_implILb1ES3_PxS7_x9plus_mod3IxEEE10hipError_tPvRmT1_T2_T3_mT4_P12ihipStream_tbEUlT_E0_NS1_11comp_targetILNS1_3genE10ELNS1_11target_archE1200ELNS1_3gpuE4ELNS1_3repE0EEENS1_30default_config_static_selectorELNS0_4arch9wavefront6targetE1EEEvSD_
; %bb.0:
	.section	.rodata,"a",@progbits
	.p2align	6, 0x0
	.amdhsa_kernel _ZN7rocprim17ROCPRIM_400000_NS6detail17trampoline_kernelINS0_14default_configENS1_22reduce_config_selectorIxEEZNS1_11reduce_implILb1ES3_PxS7_x9plus_mod3IxEEE10hipError_tPvRmT1_T2_T3_mT4_P12ihipStream_tbEUlT_E0_NS1_11comp_targetILNS1_3genE10ELNS1_11target_archE1200ELNS1_3gpuE4ELNS1_3repE0EEENS1_30default_config_static_selectorELNS0_4arch9wavefront6targetE1EEEvSD_
		.amdhsa_group_segment_fixed_size 0
		.amdhsa_private_segment_fixed_size 0
		.amdhsa_kernarg_size 64
		.amdhsa_user_sgpr_count 2
		.amdhsa_user_sgpr_dispatch_ptr 0
		.amdhsa_user_sgpr_queue_ptr 0
		.amdhsa_user_sgpr_kernarg_segment_ptr 1
		.amdhsa_user_sgpr_dispatch_id 0
		.amdhsa_user_sgpr_kernarg_preload_length 0
		.amdhsa_user_sgpr_kernarg_preload_offset 0
		.amdhsa_user_sgpr_private_segment_size 0
		.amdhsa_uses_dynamic_stack 0
		.amdhsa_enable_private_segment 0
		.amdhsa_system_sgpr_workgroup_id_x 1
		.amdhsa_system_sgpr_workgroup_id_y 0
		.amdhsa_system_sgpr_workgroup_id_z 0
		.amdhsa_system_sgpr_workgroup_info 0
		.amdhsa_system_vgpr_workitem_id 0
		.amdhsa_next_free_vgpr 1
		.amdhsa_next_free_sgpr 0
		.amdhsa_accum_offset 4
		.amdhsa_reserve_vcc 0
		.amdhsa_float_round_mode_32 0
		.amdhsa_float_round_mode_16_64 0
		.amdhsa_float_denorm_mode_32 3
		.amdhsa_float_denorm_mode_16_64 3
		.amdhsa_dx10_clamp 1
		.amdhsa_ieee_mode 1
		.amdhsa_fp16_overflow 0
		.amdhsa_tg_split 0
		.amdhsa_exception_fp_ieee_invalid_op 0
		.amdhsa_exception_fp_denorm_src 0
		.amdhsa_exception_fp_ieee_div_zero 0
		.amdhsa_exception_fp_ieee_overflow 0
		.amdhsa_exception_fp_ieee_underflow 0
		.amdhsa_exception_fp_ieee_inexact 0
		.amdhsa_exception_int_div_zero 0
	.end_amdhsa_kernel
	.section	.text._ZN7rocprim17ROCPRIM_400000_NS6detail17trampoline_kernelINS0_14default_configENS1_22reduce_config_selectorIxEEZNS1_11reduce_implILb1ES3_PxS7_x9plus_mod3IxEEE10hipError_tPvRmT1_T2_T3_mT4_P12ihipStream_tbEUlT_E0_NS1_11comp_targetILNS1_3genE10ELNS1_11target_archE1200ELNS1_3gpuE4ELNS1_3repE0EEENS1_30default_config_static_selectorELNS0_4arch9wavefront6targetE1EEEvSD_,"axG",@progbits,_ZN7rocprim17ROCPRIM_400000_NS6detail17trampoline_kernelINS0_14default_configENS1_22reduce_config_selectorIxEEZNS1_11reduce_implILb1ES3_PxS7_x9plus_mod3IxEEE10hipError_tPvRmT1_T2_T3_mT4_P12ihipStream_tbEUlT_E0_NS1_11comp_targetILNS1_3genE10ELNS1_11target_archE1200ELNS1_3gpuE4ELNS1_3repE0EEENS1_30default_config_static_selectorELNS0_4arch9wavefront6targetE1EEEvSD_,comdat
.Lfunc_end881:
	.size	_ZN7rocprim17ROCPRIM_400000_NS6detail17trampoline_kernelINS0_14default_configENS1_22reduce_config_selectorIxEEZNS1_11reduce_implILb1ES3_PxS7_x9plus_mod3IxEEE10hipError_tPvRmT1_T2_T3_mT4_P12ihipStream_tbEUlT_E0_NS1_11comp_targetILNS1_3genE10ELNS1_11target_archE1200ELNS1_3gpuE4ELNS1_3repE0EEENS1_30default_config_static_selectorELNS0_4arch9wavefront6targetE1EEEvSD_, .Lfunc_end881-_ZN7rocprim17ROCPRIM_400000_NS6detail17trampoline_kernelINS0_14default_configENS1_22reduce_config_selectorIxEEZNS1_11reduce_implILb1ES3_PxS7_x9plus_mod3IxEEE10hipError_tPvRmT1_T2_T3_mT4_P12ihipStream_tbEUlT_E0_NS1_11comp_targetILNS1_3genE10ELNS1_11target_archE1200ELNS1_3gpuE4ELNS1_3repE0EEENS1_30default_config_static_selectorELNS0_4arch9wavefront6targetE1EEEvSD_
                                        ; -- End function
	.set _ZN7rocprim17ROCPRIM_400000_NS6detail17trampoline_kernelINS0_14default_configENS1_22reduce_config_selectorIxEEZNS1_11reduce_implILb1ES3_PxS7_x9plus_mod3IxEEE10hipError_tPvRmT1_T2_T3_mT4_P12ihipStream_tbEUlT_E0_NS1_11comp_targetILNS1_3genE10ELNS1_11target_archE1200ELNS1_3gpuE4ELNS1_3repE0EEENS1_30default_config_static_selectorELNS0_4arch9wavefront6targetE1EEEvSD_.num_vgpr, 0
	.set _ZN7rocprim17ROCPRIM_400000_NS6detail17trampoline_kernelINS0_14default_configENS1_22reduce_config_selectorIxEEZNS1_11reduce_implILb1ES3_PxS7_x9plus_mod3IxEEE10hipError_tPvRmT1_T2_T3_mT4_P12ihipStream_tbEUlT_E0_NS1_11comp_targetILNS1_3genE10ELNS1_11target_archE1200ELNS1_3gpuE4ELNS1_3repE0EEENS1_30default_config_static_selectorELNS0_4arch9wavefront6targetE1EEEvSD_.num_agpr, 0
	.set _ZN7rocprim17ROCPRIM_400000_NS6detail17trampoline_kernelINS0_14default_configENS1_22reduce_config_selectorIxEEZNS1_11reduce_implILb1ES3_PxS7_x9plus_mod3IxEEE10hipError_tPvRmT1_T2_T3_mT4_P12ihipStream_tbEUlT_E0_NS1_11comp_targetILNS1_3genE10ELNS1_11target_archE1200ELNS1_3gpuE4ELNS1_3repE0EEENS1_30default_config_static_selectorELNS0_4arch9wavefront6targetE1EEEvSD_.numbered_sgpr, 0
	.set _ZN7rocprim17ROCPRIM_400000_NS6detail17trampoline_kernelINS0_14default_configENS1_22reduce_config_selectorIxEEZNS1_11reduce_implILb1ES3_PxS7_x9plus_mod3IxEEE10hipError_tPvRmT1_T2_T3_mT4_P12ihipStream_tbEUlT_E0_NS1_11comp_targetILNS1_3genE10ELNS1_11target_archE1200ELNS1_3gpuE4ELNS1_3repE0EEENS1_30default_config_static_selectorELNS0_4arch9wavefront6targetE1EEEvSD_.num_named_barrier, 0
	.set _ZN7rocprim17ROCPRIM_400000_NS6detail17trampoline_kernelINS0_14default_configENS1_22reduce_config_selectorIxEEZNS1_11reduce_implILb1ES3_PxS7_x9plus_mod3IxEEE10hipError_tPvRmT1_T2_T3_mT4_P12ihipStream_tbEUlT_E0_NS1_11comp_targetILNS1_3genE10ELNS1_11target_archE1200ELNS1_3gpuE4ELNS1_3repE0EEENS1_30default_config_static_selectorELNS0_4arch9wavefront6targetE1EEEvSD_.private_seg_size, 0
	.set _ZN7rocprim17ROCPRIM_400000_NS6detail17trampoline_kernelINS0_14default_configENS1_22reduce_config_selectorIxEEZNS1_11reduce_implILb1ES3_PxS7_x9plus_mod3IxEEE10hipError_tPvRmT1_T2_T3_mT4_P12ihipStream_tbEUlT_E0_NS1_11comp_targetILNS1_3genE10ELNS1_11target_archE1200ELNS1_3gpuE4ELNS1_3repE0EEENS1_30default_config_static_selectorELNS0_4arch9wavefront6targetE1EEEvSD_.uses_vcc, 0
	.set _ZN7rocprim17ROCPRIM_400000_NS6detail17trampoline_kernelINS0_14default_configENS1_22reduce_config_selectorIxEEZNS1_11reduce_implILb1ES3_PxS7_x9plus_mod3IxEEE10hipError_tPvRmT1_T2_T3_mT4_P12ihipStream_tbEUlT_E0_NS1_11comp_targetILNS1_3genE10ELNS1_11target_archE1200ELNS1_3gpuE4ELNS1_3repE0EEENS1_30default_config_static_selectorELNS0_4arch9wavefront6targetE1EEEvSD_.uses_flat_scratch, 0
	.set _ZN7rocprim17ROCPRIM_400000_NS6detail17trampoline_kernelINS0_14default_configENS1_22reduce_config_selectorIxEEZNS1_11reduce_implILb1ES3_PxS7_x9plus_mod3IxEEE10hipError_tPvRmT1_T2_T3_mT4_P12ihipStream_tbEUlT_E0_NS1_11comp_targetILNS1_3genE10ELNS1_11target_archE1200ELNS1_3gpuE4ELNS1_3repE0EEENS1_30default_config_static_selectorELNS0_4arch9wavefront6targetE1EEEvSD_.has_dyn_sized_stack, 0
	.set _ZN7rocprim17ROCPRIM_400000_NS6detail17trampoline_kernelINS0_14default_configENS1_22reduce_config_selectorIxEEZNS1_11reduce_implILb1ES3_PxS7_x9plus_mod3IxEEE10hipError_tPvRmT1_T2_T3_mT4_P12ihipStream_tbEUlT_E0_NS1_11comp_targetILNS1_3genE10ELNS1_11target_archE1200ELNS1_3gpuE4ELNS1_3repE0EEENS1_30default_config_static_selectorELNS0_4arch9wavefront6targetE1EEEvSD_.has_recursion, 0
	.set _ZN7rocprim17ROCPRIM_400000_NS6detail17trampoline_kernelINS0_14default_configENS1_22reduce_config_selectorIxEEZNS1_11reduce_implILb1ES3_PxS7_x9plus_mod3IxEEE10hipError_tPvRmT1_T2_T3_mT4_P12ihipStream_tbEUlT_E0_NS1_11comp_targetILNS1_3genE10ELNS1_11target_archE1200ELNS1_3gpuE4ELNS1_3repE0EEENS1_30default_config_static_selectorELNS0_4arch9wavefront6targetE1EEEvSD_.has_indirect_call, 0
	.section	.AMDGPU.csdata,"",@progbits
; Kernel info:
; codeLenInByte = 0
; TotalNumSgprs: 6
; NumVgprs: 0
; NumAgprs: 0
; TotalNumVgprs: 0
; ScratchSize: 0
; MemoryBound: 0
; FloatMode: 240
; IeeeMode: 1
; LDSByteSize: 0 bytes/workgroup (compile time only)
; SGPRBlocks: 0
; VGPRBlocks: 0
; NumSGPRsForWavesPerEU: 6
; NumVGPRsForWavesPerEU: 1
; AccumOffset: 4
; Occupancy: 8
; WaveLimiterHint : 0
; COMPUTE_PGM_RSRC2:SCRATCH_EN: 0
; COMPUTE_PGM_RSRC2:USER_SGPR: 2
; COMPUTE_PGM_RSRC2:TRAP_HANDLER: 0
; COMPUTE_PGM_RSRC2:TGID_X_EN: 1
; COMPUTE_PGM_RSRC2:TGID_Y_EN: 0
; COMPUTE_PGM_RSRC2:TGID_Z_EN: 0
; COMPUTE_PGM_RSRC2:TIDIG_COMP_CNT: 0
; COMPUTE_PGM_RSRC3_GFX90A:ACCUM_OFFSET: 0
; COMPUTE_PGM_RSRC3_GFX90A:TG_SPLIT: 0
	.section	.text._ZN7rocprim17ROCPRIM_400000_NS6detail17trampoline_kernelINS0_14default_configENS1_22reduce_config_selectorIxEEZNS1_11reduce_implILb1ES3_PxS7_x9plus_mod3IxEEE10hipError_tPvRmT1_T2_T3_mT4_P12ihipStream_tbEUlT_E0_NS1_11comp_targetILNS1_3genE9ELNS1_11target_archE1100ELNS1_3gpuE3ELNS1_3repE0EEENS1_30default_config_static_selectorELNS0_4arch9wavefront6targetE1EEEvSD_,"axG",@progbits,_ZN7rocprim17ROCPRIM_400000_NS6detail17trampoline_kernelINS0_14default_configENS1_22reduce_config_selectorIxEEZNS1_11reduce_implILb1ES3_PxS7_x9plus_mod3IxEEE10hipError_tPvRmT1_T2_T3_mT4_P12ihipStream_tbEUlT_E0_NS1_11comp_targetILNS1_3genE9ELNS1_11target_archE1100ELNS1_3gpuE3ELNS1_3repE0EEENS1_30default_config_static_selectorELNS0_4arch9wavefront6targetE1EEEvSD_,comdat
	.protected	_ZN7rocprim17ROCPRIM_400000_NS6detail17trampoline_kernelINS0_14default_configENS1_22reduce_config_selectorIxEEZNS1_11reduce_implILb1ES3_PxS7_x9plus_mod3IxEEE10hipError_tPvRmT1_T2_T3_mT4_P12ihipStream_tbEUlT_E0_NS1_11comp_targetILNS1_3genE9ELNS1_11target_archE1100ELNS1_3gpuE3ELNS1_3repE0EEENS1_30default_config_static_selectorELNS0_4arch9wavefront6targetE1EEEvSD_ ; -- Begin function _ZN7rocprim17ROCPRIM_400000_NS6detail17trampoline_kernelINS0_14default_configENS1_22reduce_config_selectorIxEEZNS1_11reduce_implILb1ES3_PxS7_x9plus_mod3IxEEE10hipError_tPvRmT1_T2_T3_mT4_P12ihipStream_tbEUlT_E0_NS1_11comp_targetILNS1_3genE9ELNS1_11target_archE1100ELNS1_3gpuE3ELNS1_3repE0EEENS1_30default_config_static_selectorELNS0_4arch9wavefront6targetE1EEEvSD_
	.globl	_ZN7rocprim17ROCPRIM_400000_NS6detail17trampoline_kernelINS0_14default_configENS1_22reduce_config_selectorIxEEZNS1_11reduce_implILb1ES3_PxS7_x9plus_mod3IxEEE10hipError_tPvRmT1_T2_T3_mT4_P12ihipStream_tbEUlT_E0_NS1_11comp_targetILNS1_3genE9ELNS1_11target_archE1100ELNS1_3gpuE3ELNS1_3repE0EEENS1_30default_config_static_selectorELNS0_4arch9wavefront6targetE1EEEvSD_
	.p2align	8
	.type	_ZN7rocprim17ROCPRIM_400000_NS6detail17trampoline_kernelINS0_14default_configENS1_22reduce_config_selectorIxEEZNS1_11reduce_implILb1ES3_PxS7_x9plus_mod3IxEEE10hipError_tPvRmT1_T2_T3_mT4_P12ihipStream_tbEUlT_E0_NS1_11comp_targetILNS1_3genE9ELNS1_11target_archE1100ELNS1_3gpuE3ELNS1_3repE0EEENS1_30default_config_static_selectorELNS0_4arch9wavefront6targetE1EEEvSD_,@function
_ZN7rocprim17ROCPRIM_400000_NS6detail17trampoline_kernelINS0_14default_configENS1_22reduce_config_selectorIxEEZNS1_11reduce_implILb1ES3_PxS7_x9plus_mod3IxEEE10hipError_tPvRmT1_T2_T3_mT4_P12ihipStream_tbEUlT_E0_NS1_11comp_targetILNS1_3genE9ELNS1_11target_archE1100ELNS1_3gpuE3ELNS1_3repE0EEENS1_30default_config_static_selectorELNS0_4arch9wavefront6targetE1EEEvSD_: ; @_ZN7rocprim17ROCPRIM_400000_NS6detail17trampoline_kernelINS0_14default_configENS1_22reduce_config_selectorIxEEZNS1_11reduce_implILb1ES3_PxS7_x9plus_mod3IxEEE10hipError_tPvRmT1_T2_T3_mT4_P12ihipStream_tbEUlT_E0_NS1_11comp_targetILNS1_3genE9ELNS1_11target_archE1100ELNS1_3gpuE3ELNS1_3repE0EEENS1_30default_config_static_selectorELNS0_4arch9wavefront6targetE1EEEvSD_
; %bb.0:
	.section	.rodata,"a",@progbits
	.p2align	6, 0x0
	.amdhsa_kernel _ZN7rocprim17ROCPRIM_400000_NS6detail17trampoline_kernelINS0_14default_configENS1_22reduce_config_selectorIxEEZNS1_11reduce_implILb1ES3_PxS7_x9plus_mod3IxEEE10hipError_tPvRmT1_T2_T3_mT4_P12ihipStream_tbEUlT_E0_NS1_11comp_targetILNS1_3genE9ELNS1_11target_archE1100ELNS1_3gpuE3ELNS1_3repE0EEENS1_30default_config_static_selectorELNS0_4arch9wavefront6targetE1EEEvSD_
		.amdhsa_group_segment_fixed_size 0
		.amdhsa_private_segment_fixed_size 0
		.amdhsa_kernarg_size 64
		.amdhsa_user_sgpr_count 2
		.amdhsa_user_sgpr_dispatch_ptr 0
		.amdhsa_user_sgpr_queue_ptr 0
		.amdhsa_user_sgpr_kernarg_segment_ptr 1
		.amdhsa_user_sgpr_dispatch_id 0
		.amdhsa_user_sgpr_kernarg_preload_length 0
		.amdhsa_user_sgpr_kernarg_preload_offset 0
		.amdhsa_user_sgpr_private_segment_size 0
		.amdhsa_uses_dynamic_stack 0
		.amdhsa_enable_private_segment 0
		.amdhsa_system_sgpr_workgroup_id_x 1
		.amdhsa_system_sgpr_workgroup_id_y 0
		.amdhsa_system_sgpr_workgroup_id_z 0
		.amdhsa_system_sgpr_workgroup_info 0
		.amdhsa_system_vgpr_workitem_id 0
		.amdhsa_next_free_vgpr 1
		.amdhsa_next_free_sgpr 0
		.amdhsa_accum_offset 4
		.amdhsa_reserve_vcc 0
		.amdhsa_float_round_mode_32 0
		.amdhsa_float_round_mode_16_64 0
		.amdhsa_float_denorm_mode_32 3
		.amdhsa_float_denorm_mode_16_64 3
		.amdhsa_dx10_clamp 1
		.amdhsa_ieee_mode 1
		.amdhsa_fp16_overflow 0
		.amdhsa_tg_split 0
		.amdhsa_exception_fp_ieee_invalid_op 0
		.amdhsa_exception_fp_denorm_src 0
		.amdhsa_exception_fp_ieee_div_zero 0
		.amdhsa_exception_fp_ieee_overflow 0
		.amdhsa_exception_fp_ieee_underflow 0
		.amdhsa_exception_fp_ieee_inexact 0
		.amdhsa_exception_int_div_zero 0
	.end_amdhsa_kernel
	.section	.text._ZN7rocprim17ROCPRIM_400000_NS6detail17trampoline_kernelINS0_14default_configENS1_22reduce_config_selectorIxEEZNS1_11reduce_implILb1ES3_PxS7_x9plus_mod3IxEEE10hipError_tPvRmT1_T2_T3_mT4_P12ihipStream_tbEUlT_E0_NS1_11comp_targetILNS1_3genE9ELNS1_11target_archE1100ELNS1_3gpuE3ELNS1_3repE0EEENS1_30default_config_static_selectorELNS0_4arch9wavefront6targetE1EEEvSD_,"axG",@progbits,_ZN7rocprim17ROCPRIM_400000_NS6detail17trampoline_kernelINS0_14default_configENS1_22reduce_config_selectorIxEEZNS1_11reduce_implILb1ES3_PxS7_x9plus_mod3IxEEE10hipError_tPvRmT1_T2_T3_mT4_P12ihipStream_tbEUlT_E0_NS1_11comp_targetILNS1_3genE9ELNS1_11target_archE1100ELNS1_3gpuE3ELNS1_3repE0EEENS1_30default_config_static_selectorELNS0_4arch9wavefront6targetE1EEEvSD_,comdat
.Lfunc_end882:
	.size	_ZN7rocprim17ROCPRIM_400000_NS6detail17trampoline_kernelINS0_14default_configENS1_22reduce_config_selectorIxEEZNS1_11reduce_implILb1ES3_PxS7_x9plus_mod3IxEEE10hipError_tPvRmT1_T2_T3_mT4_P12ihipStream_tbEUlT_E0_NS1_11comp_targetILNS1_3genE9ELNS1_11target_archE1100ELNS1_3gpuE3ELNS1_3repE0EEENS1_30default_config_static_selectorELNS0_4arch9wavefront6targetE1EEEvSD_, .Lfunc_end882-_ZN7rocprim17ROCPRIM_400000_NS6detail17trampoline_kernelINS0_14default_configENS1_22reduce_config_selectorIxEEZNS1_11reduce_implILb1ES3_PxS7_x9plus_mod3IxEEE10hipError_tPvRmT1_T2_T3_mT4_P12ihipStream_tbEUlT_E0_NS1_11comp_targetILNS1_3genE9ELNS1_11target_archE1100ELNS1_3gpuE3ELNS1_3repE0EEENS1_30default_config_static_selectorELNS0_4arch9wavefront6targetE1EEEvSD_
                                        ; -- End function
	.set _ZN7rocprim17ROCPRIM_400000_NS6detail17trampoline_kernelINS0_14default_configENS1_22reduce_config_selectorIxEEZNS1_11reduce_implILb1ES3_PxS7_x9plus_mod3IxEEE10hipError_tPvRmT1_T2_T3_mT4_P12ihipStream_tbEUlT_E0_NS1_11comp_targetILNS1_3genE9ELNS1_11target_archE1100ELNS1_3gpuE3ELNS1_3repE0EEENS1_30default_config_static_selectorELNS0_4arch9wavefront6targetE1EEEvSD_.num_vgpr, 0
	.set _ZN7rocprim17ROCPRIM_400000_NS6detail17trampoline_kernelINS0_14default_configENS1_22reduce_config_selectorIxEEZNS1_11reduce_implILb1ES3_PxS7_x9plus_mod3IxEEE10hipError_tPvRmT1_T2_T3_mT4_P12ihipStream_tbEUlT_E0_NS1_11comp_targetILNS1_3genE9ELNS1_11target_archE1100ELNS1_3gpuE3ELNS1_3repE0EEENS1_30default_config_static_selectorELNS0_4arch9wavefront6targetE1EEEvSD_.num_agpr, 0
	.set _ZN7rocprim17ROCPRIM_400000_NS6detail17trampoline_kernelINS0_14default_configENS1_22reduce_config_selectorIxEEZNS1_11reduce_implILb1ES3_PxS7_x9plus_mod3IxEEE10hipError_tPvRmT1_T2_T3_mT4_P12ihipStream_tbEUlT_E0_NS1_11comp_targetILNS1_3genE9ELNS1_11target_archE1100ELNS1_3gpuE3ELNS1_3repE0EEENS1_30default_config_static_selectorELNS0_4arch9wavefront6targetE1EEEvSD_.numbered_sgpr, 0
	.set _ZN7rocprim17ROCPRIM_400000_NS6detail17trampoline_kernelINS0_14default_configENS1_22reduce_config_selectorIxEEZNS1_11reduce_implILb1ES3_PxS7_x9plus_mod3IxEEE10hipError_tPvRmT1_T2_T3_mT4_P12ihipStream_tbEUlT_E0_NS1_11comp_targetILNS1_3genE9ELNS1_11target_archE1100ELNS1_3gpuE3ELNS1_3repE0EEENS1_30default_config_static_selectorELNS0_4arch9wavefront6targetE1EEEvSD_.num_named_barrier, 0
	.set _ZN7rocprim17ROCPRIM_400000_NS6detail17trampoline_kernelINS0_14default_configENS1_22reduce_config_selectorIxEEZNS1_11reduce_implILb1ES3_PxS7_x9plus_mod3IxEEE10hipError_tPvRmT1_T2_T3_mT4_P12ihipStream_tbEUlT_E0_NS1_11comp_targetILNS1_3genE9ELNS1_11target_archE1100ELNS1_3gpuE3ELNS1_3repE0EEENS1_30default_config_static_selectorELNS0_4arch9wavefront6targetE1EEEvSD_.private_seg_size, 0
	.set _ZN7rocprim17ROCPRIM_400000_NS6detail17trampoline_kernelINS0_14default_configENS1_22reduce_config_selectorIxEEZNS1_11reduce_implILb1ES3_PxS7_x9plus_mod3IxEEE10hipError_tPvRmT1_T2_T3_mT4_P12ihipStream_tbEUlT_E0_NS1_11comp_targetILNS1_3genE9ELNS1_11target_archE1100ELNS1_3gpuE3ELNS1_3repE0EEENS1_30default_config_static_selectorELNS0_4arch9wavefront6targetE1EEEvSD_.uses_vcc, 0
	.set _ZN7rocprim17ROCPRIM_400000_NS6detail17trampoline_kernelINS0_14default_configENS1_22reduce_config_selectorIxEEZNS1_11reduce_implILb1ES3_PxS7_x9plus_mod3IxEEE10hipError_tPvRmT1_T2_T3_mT4_P12ihipStream_tbEUlT_E0_NS1_11comp_targetILNS1_3genE9ELNS1_11target_archE1100ELNS1_3gpuE3ELNS1_3repE0EEENS1_30default_config_static_selectorELNS0_4arch9wavefront6targetE1EEEvSD_.uses_flat_scratch, 0
	.set _ZN7rocprim17ROCPRIM_400000_NS6detail17trampoline_kernelINS0_14default_configENS1_22reduce_config_selectorIxEEZNS1_11reduce_implILb1ES3_PxS7_x9plus_mod3IxEEE10hipError_tPvRmT1_T2_T3_mT4_P12ihipStream_tbEUlT_E0_NS1_11comp_targetILNS1_3genE9ELNS1_11target_archE1100ELNS1_3gpuE3ELNS1_3repE0EEENS1_30default_config_static_selectorELNS0_4arch9wavefront6targetE1EEEvSD_.has_dyn_sized_stack, 0
	.set _ZN7rocprim17ROCPRIM_400000_NS6detail17trampoline_kernelINS0_14default_configENS1_22reduce_config_selectorIxEEZNS1_11reduce_implILb1ES3_PxS7_x9plus_mod3IxEEE10hipError_tPvRmT1_T2_T3_mT4_P12ihipStream_tbEUlT_E0_NS1_11comp_targetILNS1_3genE9ELNS1_11target_archE1100ELNS1_3gpuE3ELNS1_3repE0EEENS1_30default_config_static_selectorELNS0_4arch9wavefront6targetE1EEEvSD_.has_recursion, 0
	.set _ZN7rocprim17ROCPRIM_400000_NS6detail17trampoline_kernelINS0_14default_configENS1_22reduce_config_selectorIxEEZNS1_11reduce_implILb1ES3_PxS7_x9plus_mod3IxEEE10hipError_tPvRmT1_T2_T3_mT4_P12ihipStream_tbEUlT_E0_NS1_11comp_targetILNS1_3genE9ELNS1_11target_archE1100ELNS1_3gpuE3ELNS1_3repE0EEENS1_30default_config_static_selectorELNS0_4arch9wavefront6targetE1EEEvSD_.has_indirect_call, 0
	.section	.AMDGPU.csdata,"",@progbits
; Kernel info:
; codeLenInByte = 0
; TotalNumSgprs: 6
; NumVgprs: 0
; NumAgprs: 0
; TotalNumVgprs: 0
; ScratchSize: 0
; MemoryBound: 0
; FloatMode: 240
; IeeeMode: 1
; LDSByteSize: 0 bytes/workgroup (compile time only)
; SGPRBlocks: 0
; VGPRBlocks: 0
; NumSGPRsForWavesPerEU: 6
; NumVGPRsForWavesPerEU: 1
; AccumOffset: 4
; Occupancy: 8
; WaveLimiterHint : 0
; COMPUTE_PGM_RSRC2:SCRATCH_EN: 0
; COMPUTE_PGM_RSRC2:USER_SGPR: 2
; COMPUTE_PGM_RSRC2:TRAP_HANDLER: 0
; COMPUTE_PGM_RSRC2:TGID_X_EN: 1
; COMPUTE_PGM_RSRC2:TGID_Y_EN: 0
; COMPUTE_PGM_RSRC2:TGID_Z_EN: 0
; COMPUTE_PGM_RSRC2:TIDIG_COMP_CNT: 0
; COMPUTE_PGM_RSRC3_GFX90A:ACCUM_OFFSET: 0
; COMPUTE_PGM_RSRC3_GFX90A:TG_SPLIT: 0
	.section	.text._ZN7rocprim17ROCPRIM_400000_NS6detail17trampoline_kernelINS0_14default_configENS1_22reduce_config_selectorIxEEZNS1_11reduce_implILb1ES3_PxS7_x9plus_mod3IxEEE10hipError_tPvRmT1_T2_T3_mT4_P12ihipStream_tbEUlT_E0_NS1_11comp_targetILNS1_3genE8ELNS1_11target_archE1030ELNS1_3gpuE2ELNS1_3repE0EEENS1_30default_config_static_selectorELNS0_4arch9wavefront6targetE1EEEvSD_,"axG",@progbits,_ZN7rocprim17ROCPRIM_400000_NS6detail17trampoline_kernelINS0_14default_configENS1_22reduce_config_selectorIxEEZNS1_11reduce_implILb1ES3_PxS7_x9plus_mod3IxEEE10hipError_tPvRmT1_T2_T3_mT4_P12ihipStream_tbEUlT_E0_NS1_11comp_targetILNS1_3genE8ELNS1_11target_archE1030ELNS1_3gpuE2ELNS1_3repE0EEENS1_30default_config_static_selectorELNS0_4arch9wavefront6targetE1EEEvSD_,comdat
	.protected	_ZN7rocprim17ROCPRIM_400000_NS6detail17trampoline_kernelINS0_14default_configENS1_22reduce_config_selectorIxEEZNS1_11reduce_implILb1ES3_PxS7_x9plus_mod3IxEEE10hipError_tPvRmT1_T2_T3_mT4_P12ihipStream_tbEUlT_E0_NS1_11comp_targetILNS1_3genE8ELNS1_11target_archE1030ELNS1_3gpuE2ELNS1_3repE0EEENS1_30default_config_static_selectorELNS0_4arch9wavefront6targetE1EEEvSD_ ; -- Begin function _ZN7rocprim17ROCPRIM_400000_NS6detail17trampoline_kernelINS0_14default_configENS1_22reduce_config_selectorIxEEZNS1_11reduce_implILb1ES3_PxS7_x9plus_mod3IxEEE10hipError_tPvRmT1_T2_T3_mT4_P12ihipStream_tbEUlT_E0_NS1_11comp_targetILNS1_3genE8ELNS1_11target_archE1030ELNS1_3gpuE2ELNS1_3repE0EEENS1_30default_config_static_selectorELNS0_4arch9wavefront6targetE1EEEvSD_
	.globl	_ZN7rocprim17ROCPRIM_400000_NS6detail17trampoline_kernelINS0_14default_configENS1_22reduce_config_selectorIxEEZNS1_11reduce_implILb1ES3_PxS7_x9plus_mod3IxEEE10hipError_tPvRmT1_T2_T3_mT4_P12ihipStream_tbEUlT_E0_NS1_11comp_targetILNS1_3genE8ELNS1_11target_archE1030ELNS1_3gpuE2ELNS1_3repE0EEENS1_30default_config_static_selectorELNS0_4arch9wavefront6targetE1EEEvSD_
	.p2align	8
	.type	_ZN7rocprim17ROCPRIM_400000_NS6detail17trampoline_kernelINS0_14default_configENS1_22reduce_config_selectorIxEEZNS1_11reduce_implILb1ES3_PxS7_x9plus_mod3IxEEE10hipError_tPvRmT1_T2_T3_mT4_P12ihipStream_tbEUlT_E0_NS1_11comp_targetILNS1_3genE8ELNS1_11target_archE1030ELNS1_3gpuE2ELNS1_3repE0EEENS1_30default_config_static_selectorELNS0_4arch9wavefront6targetE1EEEvSD_,@function
_ZN7rocprim17ROCPRIM_400000_NS6detail17trampoline_kernelINS0_14default_configENS1_22reduce_config_selectorIxEEZNS1_11reduce_implILb1ES3_PxS7_x9plus_mod3IxEEE10hipError_tPvRmT1_T2_T3_mT4_P12ihipStream_tbEUlT_E0_NS1_11comp_targetILNS1_3genE8ELNS1_11target_archE1030ELNS1_3gpuE2ELNS1_3repE0EEENS1_30default_config_static_selectorELNS0_4arch9wavefront6targetE1EEEvSD_: ; @_ZN7rocprim17ROCPRIM_400000_NS6detail17trampoline_kernelINS0_14default_configENS1_22reduce_config_selectorIxEEZNS1_11reduce_implILb1ES3_PxS7_x9plus_mod3IxEEE10hipError_tPvRmT1_T2_T3_mT4_P12ihipStream_tbEUlT_E0_NS1_11comp_targetILNS1_3genE8ELNS1_11target_archE1030ELNS1_3gpuE2ELNS1_3repE0EEENS1_30default_config_static_selectorELNS0_4arch9wavefront6targetE1EEEvSD_
; %bb.0:
	.section	.rodata,"a",@progbits
	.p2align	6, 0x0
	.amdhsa_kernel _ZN7rocprim17ROCPRIM_400000_NS6detail17trampoline_kernelINS0_14default_configENS1_22reduce_config_selectorIxEEZNS1_11reduce_implILb1ES3_PxS7_x9plus_mod3IxEEE10hipError_tPvRmT1_T2_T3_mT4_P12ihipStream_tbEUlT_E0_NS1_11comp_targetILNS1_3genE8ELNS1_11target_archE1030ELNS1_3gpuE2ELNS1_3repE0EEENS1_30default_config_static_selectorELNS0_4arch9wavefront6targetE1EEEvSD_
		.amdhsa_group_segment_fixed_size 0
		.amdhsa_private_segment_fixed_size 0
		.amdhsa_kernarg_size 64
		.amdhsa_user_sgpr_count 2
		.amdhsa_user_sgpr_dispatch_ptr 0
		.amdhsa_user_sgpr_queue_ptr 0
		.amdhsa_user_sgpr_kernarg_segment_ptr 1
		.amdhsa_user_sgpr_dispatch_id 0
		.amdhsa_user_sgpr_kernarg_preload_length 0
		.amdhsa_user_sgpr_kernarg_preload_offset 0
		.amdhsa_user_sgpr_private_segment_size 0
		.amdhsa_uses_dynamic_stack 0
		.amdhsa_enable_private_segment 0
		.amdhsa_system_sgpr_workgroup_id_x 1
		.amdhsa_system_sgpr_workgroup_id_y 0
		.amdhsa_system_sgpr_workgroup_id_z 0
		.amdhsa_system_sgpr_workgroup_info 0
		.amdhsa_system_vgpr_workitem_id 0
		.amdhsa_next_free_vgpr 1
		.amdhsa_next_free_sgpr 0
		.amdhsa_accum_offset 4
		.amdhsa_reserve_vcc 0
		.amdhsa_float_round_mode_32 0
		.amdhsa_float_round_mode_16_64 0
		.amdhsa_float_denorm_mode_32 3
		.amdhsa_float_denorm_mode_16_64 3
		.amdhsa_dx10_clamp 1
		.amdhsa_ieee_mode 1
		.amdhsa_fp16_overflow 0
		.amdhsa_tg_split 0
		.amdhsa_exception_fp_ieee_invalid_op 0
		.amdhsa_exception_fp_denorm_src 0
		.amdhsa_exception_fp_ieee_div_zero 0
		.amdhsa_exception_fp_ieee_overflow 0
		.amdhsa_exception_fp_ieee_underflow 0
		.amdhsa_exception_fp_ieee_inexact 0
		.amdhsa_exception_int_div_zero 0
	.end_amdhsa_kernel
	.section	.text._ZN7rocprim17ROCPRIM_400000_NS6detail17trampoline_kernelINS0_14default_configENS1_22reduce_config_selectorIxEEZNS1_11reduce_implILb1ES3_PxS7_x9plus_mod3IxEEE10hipError_tPvRmT1_T2_T3_mT4_P12ihipStream_tbEUlT_E0_NS1_11comp_targetILNS1_3genE8ELNS1_11target_archE1030ELNS1_3gpuE2ELNS1_3repE0EEENS1_30default_config_static_selectorELNS0_4arch9wavefront6targetE1EEEvSD_,"axG",@progbits,_ZN7rocprim17ROCPRIM_400000_NS6detail17trampoline_kernelINS0_14default_configENS1_22reduce_config_selectorIxEEZNS1_11reduce_implILb1ES3_PxS7_x9plus_mod3IxEEE10hipError_tPvRmT1_T2_T3_mT4_P12ihipStream_tbEUlT_E0_NS1_11comp_targetILNS1_3genE8ELNS1_11target_archE1030ELNS1_3gpuE2ELNS1_3repE0EEENS1_30default_config_static_selectorELNS0_4arch9wavefront6targetE1EEEvSD_,comdat
.Lfunc_end883:
	.size	_ZN7rocprim17ROCPRIM_400000_NS6detail17trampoline_kernelINS0_14default_configENS1_22reduce_config_selectorIxEEZNS1_11reduce_implILb1ES3_PxS7_x9plus_mod3IxEEE10hipError_tPvRmT1_T2_T3_mT4_P12ihipStream_tbEUlT_E0_NS1_11comp_targetILNS1_3genE8ELNS1_11target_archE1030ELNS1_3gpuE2ELNS1_3repE0EEENS1_30default_config_static_selectorELNS0_4arch9wavefront6targetE1EEEvSD_, .Lfunc_end883-_ZN7rocprim17ROCPRIM_400000_NS6detail17trampoline_kernelINS0_14default_configENS1_22reduce_config_selectorIxEEZNS1_11reduce_implILb1ES3_PxS7_x9plus_mod3IxEEE10hipError_tPvRmT1_T2_T3_mT4_P12ihipStream_tbEUlT_E0_NS1_11comp_targetILNS1_3genE8ELNS1_11target_archE1030ELNS1_3gpuE2ELNS1_3repE0EEENS1_30default_config_static_selectorELNS0_4arch9wavefront6targetE1EEEvSD_
                                        ; -- End function
	.set _ZN7rocprim17ROCPRIM_400000_NS6detail17trampoline_kernelINS0_14default_configENS1_22reduce_config_selectorIxEEZNS1_11reduce_implILb1ES3_PxS7_x9plus_mod3IxEEE10hipError_tPvRmT1_T2_T3_mT4_P12ihipStream_tbEUlT_E0_NS1_11comp_targetILNS1_3genE8ELNS1_11target_archE1030ELNS1_3gpuE2ELNS1_3repE0EEENS1_30default_config_static_selectorELNS0_4arch9wavefront6targetE1EEEvSD_.num_vgpr, 0
	.set _ZN7rocprim17ROCPRIM_400000_NS6detail17trampoline_kernelINS0_14default_configENS1_22reduce_config_selectorIxEEZNS1_11reduce_implILb1ES3_PxS7_x9plus_mod3IxEEE10hipError_tPvRmT1_T2_T3_mT4_P12ihipStream_tbEUlT_E0_NS1_11comp_targetILNS1_3genE8ELNS1_11target_archE1030ELNS1_3gpuE2ELNS1_3repE0EEENS1_30default_config_static_selectorELNS0_4arch9wavefront6targetE1EEEvSD_.num_agpr, 0
	.set _ZN7rocprim17ROCPRIM_400000_NS6detail17trampoline_kernelINS0_14default_configENS1_22reduce_config_selectorIxEEZNS1_11reduce_implILb1ES3_PxS7_x9plus_mod3IxEEE10hipError_tPvRmT1_T2_T3_mT4_P12ihipStream_tbEUlT_E0_NS1_11comp_targetILNS1_3genE8ELNS1_11target_archE1030ELNS1_3gpuE2ELNS1_3repE0EEENS1_30default_config_static_selectorELNS0_4arch9wavefront6targetE1EEEvSD_.numbered_sgpr, 0
	.set _ZN7rocprim17ROCPRIM_400000_NS6detail17trampoline_kernelINS0_14default_configENS1_22reduce_config_selectorIxEEZNS1_11reduce_implILb1ES3_PxS7_x9plus_mod3IxEEE10hipError_tPvRmT1_T2_T3_mT4_P12ihipStream_tbEUlT_E0_NS1_11comp_targetILNS1_3genE8ELNS1_11target_archE1030ELNS1_3gpuE2ELNS1_3repE0EEENS1_30default_config_static_selectorELNS0_4arch9wavefront6targetE1EEEvSD_.num_named_barrier, 0
	.set _ZN7rocprim17ROCPRIM_400000_NS6detail17trampoline_kernelINS0_14default_configENS1_22reduce_config_selectorIxEEZNS1_11reduce_implILb1ES3_PxS7_x9plus_mod3IxEEE10hipError_tPvRmT1_T2_T3_mT4_P12ihipStream_tbEUlT_E0_NS1_11comp_targetILNS1_3genE8ELNS1_11target_archE1030ELNS1_3gpuE2ELNS1_3repE0EEENS1_30default_config_static_selectorELNS0_4arch9wavefront6targetE1EEEvSD_.private_seg_size, 0
	.set _ZN7rocprim17ROCPRIM_400000_NS6detail17trampoline_kernelINS0_14default_configENS1_22reduce_config_selectorIxEEZNS1_11reduce_implILb1ES3_PxS7_x9plus_mod3IxEEE10hipError_tPvRmT1_T2_T3_mT4_P12ihipStream_tbEUlT_E0_NS1_11comp_targetILNS1_3genE8ELNS1_11target_archE1030ELNS1_3gpuE2ELNS1_3repE0EEENS1_30default_config_static_selectorELNS0_4arch9wavefront6targetE1EEEvSD_.uses_vcc, 0
	.set _ZN7rocprim17ROCPRIM_400000_NS6detail17trampoline_kernelINS0_14default_configENS1_22reduce_config_selectorIxEEZNS1_11reduce_implILb1ES3_PxS7_x9plus_mod3IxEEE10hipError_tPvRmT1_T2_T3_mT4_P12ihipStream_tbEUlT_E0_NS1_11comp_targetILNS1_3genE8ELNS1_11target_archE1030ELNS1_3gpuE2ELNS1_3repE0EEENS1_30default_config_static_selectorELNS0_4arch9wavefront6targetE1EEEvSD_.uses_flat_scratch, 0
	.set _ZN7rocprim17ROCPRIM_400000_NS6detail17trampoline_kernelINS0_14default_configENS1_22reduce_config_selectorIxEEZNS1_11reduce_implILb1ES3_PxS7_x9plus_mod3IxEEE10hipError_tPvRmT1_T2_T3_mT4_P12ihipStream_tbEUlT_E0_NS1_11comp_targetILNS1_3genE8ELNS1_11target_archE1030ELNS1_3gpuE2ELNS1_3repE0EEENS1_30default_config_static_selectorELNS0_4arch9wavefront6targetE1EEEvSD_.has_dyn_sized_stack, 0
	.set _ZN7rocprim17ROCPRIM_400000_NS6detail17trampoline_kernelINS0_14default_configENS1_22reduce_config_selectorIxEEZNS1_11reduce_implILb1ES3_PxS7_x9plus_mod3IxEEE10hipError_tPvRmT1_T2_T3_mT4_P12ihipStream_tbEUlT_E0_NS1_11comp_targetILNS1_3genE8ELNS1_11target_archE1030ELNS1_3gpuE2ELNS1_3repE0EEENS1_30default_config_static_selectorELNS0_4arch9wavefront6targetE1EEEvSD_.has_recursion, 0
	.set _ZN7rocprim17ROCPRIM_400000_NS6detail17trampoline_kernelINS0_14default_configENS1_22reduce_config_selectorIxEEZNS1_11reduce_implILb1ES3_PxS7_x9plus_mod3IxEEE10hipError_tPvRmT1_T2_T3_mT4_P12ihipStream_tbEUlT_E0_NS1_11comp_targetILNS1_3genE8ELNS1_11target_archE1030ELNS1_3gpuE2ELNS1_3repE0EEENS1_30default_config_static_selectorELNS0_4arch9wavefront6targetE1EEEvSD_.has_indirect_call, 0
	.section	.AMDGPU.csdata,"",@progbits
; Kernel info:
; codeLenInByte = 0
; TotalNumSgprs: 6
; NumVgprs: 0
; NumAgprs: 0
; TotalNumVgprs: 0
; ScratchSize: 0
; MemoryBound: 0
; FloatMode: 240
; IeeeMode: 1
; LDSByteSize: 0 bytes/workgroup (compile time only)
; SGPRBlocks: 0
; VGPRBlocks: 0
; NumSGPRsForWavesPerEU: 6
; NumVGPRsForWavesPerEU: 1
; AccumOffset: 4
; Occupancy: 8
; WaveLimiterHint : 0
; COMPUTE_PGM_RSRC2:SCRATCH_EN: 0
; COMPUTE_PGM_RSRC2:USER_SGPR: 2
; COMPUTE_PGM_RSRC2:TRAP_HANDLER: 0
; COMPUTE_PGM_RSRC2:TGID_X_EN: 1
; COMPUTE_PGM_RSRC2:TGID_Y_EN: 0
; COMPUTE_PGM_RSRC2:TGID_Z_EN: 0
; COMPUTE_PGM_RSRC2:TIDIG_COMP_CNT: 0
; COMPUTE_PGM_RSRC3_GFX90A:ACCUM_OFFSET: 0
; COMPUTE_PGM_RSRC3_GFX90A:TG_SPLIT: 0
	.section	.text._ZN7rocprim17ROCPRIM_400000_NS6detail17trampoline_kernelINS0_14default_configENS1_22reduce_config_selectorIxEEZNS1_11reduce_implILb1ES3_PxS7_x9plus_mod3IxEEE10hipError_tPvRmT1_T2_T3_mT4_P12ihipStream_tbEUlT_E1_NS1_11comp_targetILNS1_3genE0ELNS1_11target_archE4294967295ELNS1_3gpuE0ELNS1_3repE0EEENS1_30default_config_static_selectorELNS0_4arch9wavefront6targetE1EEEvSD_,"axG",@progbits,_ZN7rocprim17ROCPRIM_400000_NS6detail17trampoline_kernelINS0_14default_configENS1_22reduce_config_selectorIxEEZNS1_11reduce_implILb1ES3_PxS7_x9plus_mod3IxEEE10hipError_tPvRmT1_T2_T3_mT4_P12ihipStream_tbEUlT_E1_NS1_11comp_targetILNS1_3genE0ELNS1_11target_archE4294967295ELNS1_3gpuE0ELNS1_3repE0EEENS1_30default_config_static_selectorELNS0_4arch9wavefront6targetE1EEEvSD_,comdat
	.protected	_ZN7rocprim17ROCPRIM_400000_NS6detail17trampoline_kernelINS0_14default_configENS1_22reduce_config_selectorIxEEZNS1_11reduce_implILb1ES3_PxS7_x9plus_mod3IxEEE10hipError_tPvRmT1_T2_T3_mT4_P12ihipStream_tbEUlT_E1_NS1_11comp_targetILNS1_3genE0ELNS1_11target_archE4294967295ELNS1_3gpuE0ELNS1_3repE0EEENS1_30default_config_static_selectorELNS0_4arch9wavefront6targetE1EEEvSD_ ; -- Begin function _ZN7rocprim17ROCPRIM_400000_NS6detail17trampoline_kernelINS0_14default_configENS1_22reduce_config_selectorIxEEZNS1_11reduce_implILb1ES3_PxS7_x9plus_mod3IxEEE10hipError_tPvRmT1_T2_T3_mT4_P12ihipStream_tbEUlT_E1_NS1_11comp_targetILNS1_3genE0ELNS1_11target_archE4294967295ELNS1_3gpuE0ELNS1_3repE0EEENS1_30default_config_static_selectorELNS0_4arch9wavefront6targetE1EEEvSD_
	.globl	_ZN7rocprim17ROCPRIM_400000_NS6detail17trampoline_kernelINS0_14default_configENS1_22reduce_config_selectorIxEEZNS1_11reduce_implILb1ES3_PxS7_x9plus_mod3IxEEE10hipError_tPvRmT1_T2_T3_mT4_P12ihipStream_tbEUlT_E1_NS1_11comp_targetILNS1_3genE0ELNS1_11target_archE4294967295ELNS1_3gpuE0ELNS1_3repE0EEENS1_30default_config_static_selectorELNS0_4arch9wavefront6targetE1EEEvSD_
	.p2align	8
	.type	_ZN7rocprim17ROCPRIM_400000_NS6detail17trampoline_kernelINS0_14default_configENS1_22reduce_config_selectorIxEEZNS1_11reduce_implILb1ES3_PxS7_x9plus_mod3IxEEE10hipError_tPvRmT1_T2_T3_mT4_P12ihipStream_tbEUlT_E1_NS1_11comp_targetILNS1_3genE0ELNS1_11target_archE4294967295ELNS1_3gpuE0ELNS1_3repE0EEENS1_30default_config_static_selectorELNS0_4arch9wavefront6targetE1EEEvSD_,@function
_ZN7rocprim17ROCPRIM_400000_NS6detail17trampoline_kernelINS0_14default_configENS1_22reduce_config_selectorIxEEZNS1_11reduce_implILb1ES3_PxS7_x9plus_mod3IxEEE10hipError_tPvRmT1_T2_T3_mT4_P12ihipStream_tbEUlT_E1_NS1_11comp_targetILNS1_3genE0ELNS1_11target_archE4294967295ELNS1_3gpuE0ELNS1_3repE0EEENS1_30default_config_static_selectorELNS0_4arch9wavefront6targetE1EEEvSD_: ; @_ZN7rocprim17ROCPRIM_400000_NS6detail17trampoline_kernelINS0_14default_configENS1_22reduce_config_selectorIxEEZNS1_11reduce_implILb1ES3_PxS7_x9plus_mod3IxEEE10hipError_tPvRmT1_T2_T3_mT4_P12ihipStream_tbEUlT_E1_NS1_11comp_targetILNS1_3genE0ELNS1_11target_archE4294967295ELNS1_3gpuE0ELNS1_3repE0EEENS1_30default_config_static_selectorELNS0_4arch9wavefront6targetE1EEEvSD_
; %bb.0:
	s_load_dword s33, s[0:1], 0x4
	s_load_dwordx8 s[36:43], s[0:1], 0x8
	s_load_dwordx2 s[30:31], s[0:1], 0x28
	s_waitcnt lgkmcnt(0)
	s_cmp_lt_i32 s33, 4
	s_cbranch_scc1 .LBB884_10
; %bb.1:
	s_cmp_gt_i32 s33, 7
	s_cbranch_scc0 .LBB884_11
; %bb.2:
	s_cmp_gt_i32 s33, 15
	s_cbranch_scc0 .LBB884_12
; %bb.3:
	s_mov_b64 s[34:35], 0
	s_cmp_eq_u32 s33, 16
	s_mov_b64 s[16:17], 0
	s_mov_b64 s[14:15], 0
                                        ; implicit-def: $vgpr2_vgpr3
	s_cbranch_scc0 .LBB884_13
; %bb.4:
	s_mov_b32 s3, 0
	s_lshl_b32 s0, s2, 12
	s_mov_b32 s1, s3
	s_lshr_b64 s[4:5], s[38:39], 12
	s_lshl_b64 s[6:7], s[0:1], 3
	s_add_u32 s46, s36, s6
	s_addc_u32 s47, s37, s7
	s_cmp_lg_u64 s[4:5], s[2:3]
	s_cbranch_scc0 .LBB884_22
; %bb.5:
	v_lshlrev_b32_e32 v2, 3, v0
	global_load_dword v1, v2, s[46:47]
	global_load_dword v7, v2, s[46:47] offset:2048
	v_mov_b32_e32 v3, 0
	v_lshl_add_u64 v[4:5], s[46:47], 0, v[2:3]
	v_mov_b32_e32 v6, v3
	v_add_co_u32_e32 v8, vcc, 0x1000, v4
	s_waitcnt vmcnt(0)
	v_add_u32_e32 v7, v7, v1
	v_ashrrev_i64 v[6:7], 29, v[6:7]
	v_addc_co_u32_e32 v9, vcc, 0, v5, vcc
	v_lshl_add_u64 v[6:7], s[30:31], 0, v[6:7]
	global_load_dword v2, v[8:9], off
	global_load_dword v1, v[6:7], off
	v_add_co_u32_e32 v10, vcc, 0x2000, v4
	v_mov_b32_e32 v6, v3
	s_nop 0
	v_addc_co_u32_e32 v11, vcc, 0, v5, vcc
	v_add_co_u32_e32 v12, vcc, 0x3000, v4
	s_waitcnt vmcnt(0)
	v_add_u32_e32 v7, v1, v2
	v_addc_co_u32_e32 v13, vcc, 0, v5, vcc
	v_ashrrev_i64 v[6:7], 29, v[6:7]
	v_add_co_u32_e32 v14, vcc, 0x4000, v4
	v_lshl_add_u64 v[6:7], s[30:31], 0, v[6:7]
	s_nop 0
	v_addc_co_u32_e32 v15, vcc, 0, v5, vcc
	global_load_dword v16, v[8:9], off offset:2048
	global_load_dword v17, v[10:11], off
	global_load_dword v18, v[10:11], off offset:2048
	global_load_dword v19, v[12:13], off
	;; [unrolled: 2-line block ×4, first 2 shown]
	v_mov_b32_e32 v6, v3
	v_add_co_u32_e32 v8, vcc, 0x5000, v4
	s_waitcnt vmcnt(0)
	v_add_u32_e32 v7, v1, v16
	v_ashrrev_i64 v[6:7], 29, v[6:7]
	v_lshl_add_u64 v[6:7], s[30:31], 0, v[6:7]
	global_load_dword v1, v[6:7], off
	v_mov_b32_e32 v6, v3
	v_addc_co_u32_e32 v9, vcc, 0, v5, vcc
	global_load_dword v2, v[8:9], off
	v_add_co_u32_e32 v10, vcc, 0x6000, v4
	s_waitcnt vmcnt(1)
	v_add_u32_e32 v7, v1, v17
	v_ashrrev_i64 v[6:7], 29, v[6:7]
	v_lshl_add_u64 v[6:7], s[30:31], 0, v[6:7]
	global_load_dword v1, v[6:7], off
	v_mov_b32_e32 v6, v3
	v_addc_co_u32_e32 v11, vcc, 0, v5, vcc
	v_add_co_u32_e32 v4, vcc, 0x7000, v4
	s_waitcnt vmcnt(0)
	v_add_u32_e32 v7, v1, v18
	v_ashrrev_i64 v[6:7], 29, v[6:7]
	v_lshl_add_u64 v[6:7], s[30:31], 0, v[6:7]
	global_load_dword v1, v[6:7], off
	v_mov_b32_e32 v6, v3
	v_addc_co_u32_e32 v5, vcc, 0, v5, vcc
	s_waitcnt vmcnt(0)
	v_add_u32_e32 v7, v1, v19
	v_ashrrev_i64 v[6:7], 29, v[6:7]
	v_lshl_add_u64 v[6:7], s[30:31], 0, v[6:7]
	global_load_dword v1, v[6:7], off
	v_mov_b32_e32 v6, v3
	s_waitcnt vmcnt(0)
	v_add_u32_e32 v7, v1, v20
	v_ashrrev_i64 v[6:7], 29, v[6:7]
	v_lshl_add_u64 v[6:7], s[30:31], 0, v[6:7]
	global_load_dword v1, v[6:7], off
	v_mov_b32_e32 v6, v3
	;; [unrolled: 6-line block ×4, first 2 shown]
	global_load_dword v12, v[8:9], off offset:2048
	global_load_dword v13, v[10:11], off
	global_load_dword v14, v[10:11], off offset:2048
	global_load_dword v15, v[4:5], off
	global_load_dword v16, v[4:5], off offset:2048
	s_waitcnt vmcnt(5)
	v_add_u32_e32 v7, v1, v2
	v_ashrrev_i64 v[4:5], 29, v[6:7]
	v_lshl_add_u64 v[4:5], s[30:31], 0, v[4:5]
	global_load_dword v1, v[4:5], off
	v_mov_b32_e32 v4, v3
	v_mov_b32_e32 v2, v3
	s_waitcnt vmcnt(0)
	v_add_u32_e32 v5, v1, v12
	v_ashrrev_i64 v[4:5], 29, v[4:5]
	v_lshl_add_u64 v[4:5], s[30:31], 0, v[4:5]
	global_load_dword v1, v[4:5], off
	v_mov_b32_e32 v4, v3
	s_waitcnt vmcnt(0)
	v_add_u32_e32 v5, v1, v13
	v_ashrrev_i64 v[4:5], 29, v[4:5]
	v_lshl_add_u64 v[4:5], s[30:31], 0, v[4:5]
	global_load_dword v1, v[4:5], off
	;; [unrolled: 6-line block ×5, first 2 shown]
	v_mov_b32_e32 v4, v3
	s_waitcnt vmcnt(0)
	v_add_u32_dpp v5, v1, v1 quad_perm:[1,0,3,2] row_mask:0xf bank_mask:0xf bound_ctrl:1
	v_ashrrev_i64 v[4:5], 29, v[4:5]
	v_lshl_add_u64 v[4:5], s[30:31], 0, v[4:5]
	global_load_dword v1, v[4:5], off
	v_mov_b32_e32 v4, v3
	s_waitcnt vmcnt(0)
	v_add_u32_dpp v5, v1, v1 quad_perm:[2,3,0,1] row_mask:0xf bank_mask:0xf bound_ctrl:1
	v_ashrrev_i64 v[4:5], 29, v[4:5]
	v_lshl_add_u64 v[4:5], s[30:31], 0, v[4:5]
	global_load_dword v1, v[4:5], off
	v_mov_b32_e32 v4, v3
	s_waitcnt vmcnt(0)
	v_add_u32_dpp v5, v1, v1 row_ror:4 row_mask:0xf bank_mask:0xf bound_ctrl:1
	v_ashrrev_i64 v[4:5], 29, v[4:5]
	v_lshl_add_u64 v[4:5], s[30:31], 0, v[4:5]
	global_load_dword v1, v[4:5], off
	v_mov_b32_e32 v4, v3
	s_waitcnt vmcnt(0)
	v_add_u32_dpp v5, v1, v1 row_ror:8 row_mask:0xf bank_mask:0xf bound_ctrl:1
	v_ashrrev_i64 v[4:5], 29, v[4:5]
	v_lshl_add_u64 v[4:5], s[30:31], 0, v[4:5]
	global_load_dword v1, v[4:5], off
	v_mov_b32_e32 v4, v3
	s_waitcnt vmcnt(0)
	v_add_u32_dpp v5, v1, v1 row_bcast:15 row_mask:0xf bank_mask:0xf bound_ctrl:1
	v_ashrrev_i64 v[4:5], 29, v[4:5]
	v_lshl_add_u64 v[4:5], s[30:31], 0, v[4:5]
	global_load_dword v1, v[4:5], off
	s_waitcnt vmcnt(0)
	s_nop 0
	v_add_u32_dpp v3, v1, v1 row_bcast:31 row_mask:0xf bank_mask:0xf bound_ctrl:1
	v_ashrrev_i64 v[2:3], 29, v[2:3]
	v_lshl_add_u64 v[2:3], s[30:31], 0, v[2:3]
	global_load_dwordx2 v[2:3], v[2:3], off
	v_mbcnt_lo_u32_b32 v1, -1, 0
	v_mbcnt_hi_u32_b32 v5, -1, v1
	v_lshlrev_b32_e32 v1, 2, v5
	v_or_b32_e32 v4, 0xfc, v1
	v_cmp_eq_u32_e32 vcc, 0, v5
	s_waitcnt vmcnt(0)
	ds_bpermute_b32 v2, v4, v2
	ds_bpermute_b32 v3, v4, v3
	s_and_saveexec_b64 s[4:5], vcc
	s_cbranch_execz .LBB884_7
; %bb.6:
	v_lshrrev_b32_e32 v4, 3, v0
	v_and_b32_e32 v4, 24, v4
	s_waitcnt lgkmcnt(0)
	ds_write_b64 v4, v[2:3] offset:32
.LBB884_7:
	s_or_b64 exec, exec, s[4:5]
	v_cmp_gt_u32_e32 vcc, 64, v0
	s_mov_b64 s[4:5], 0
	s_mov_b64 s[44:45], 0
	s_waitcnt lgkmcnt(0)
	s_barrier
                                        ; implicit-def: $vgpr4
	s_and_saveexec_b64 s[6:7], vcc
	s_xor_b64 s[6:7], exec, s[6:7]
	s_cbranch_execz .LBB884_9
; %bb.8:
	v_and_b32_e32 v2, 3, v5
	v_lshlrev_b32_e32 v3, 3, v2
	ds_read_b32 v3, v3 offset:32
	v_cmp_ne_u32_e32 vcc, 3, v2
	v_or_b32_e32 v1, 8, v1
	s_mov_b64 s[44:45], exec
	v_addc_co_u32_e32 v2, vcc, 0, v5, vcc
	v_lshlrev_b32_e32 v2, 2, v2
	s_waitcnt lgkmcnt(0)
	ds_bpermute_b32 v2, v2, v3
	s_waitcnt lgkmcnt(0)
	v_add_u32_e32 v3, v3, v2
	v_mov_b32_e32 v2, 0
	v_ashrrev_i64 v[2:3], 29, v[2:3]
	v_lshl_add_u64 v[2:3], s[30:31], 0, v[2:3]
	global_load_dwordx2 v[2:3], v[2:3], off
	s_waitcnt vmcnt(0)
	ds_bpermute_b32 v4, v1, v2
.LBB884_9:
	s_or_b64 exec, exec, s[6:7]
	s_branch .LBB884_23
.LBB884_10:
	s_mov_b64 s[16:17], 0
	s_mov_b64 s[14:15], 0
                                        ; implicit-def: $vgpr2_vgpr3
	s_cbranch_execnz .LBB884_190
	s_branch .LBB884_239
.LBB884_11:
	s_mov_b64 s[16:17], 0
	s_mov_b64 s[14:15], 0
                                        ; implicit-def: $vgpr2_vgpr3
	s_cbranch_execnz .LBB884_145
	s_branch .LBB884_153
.LBB884_12:
	s_mov_b64 s[34:35], -1
	s_mov_b64 s[16:17], 0
	s_mov_b64 s[14:15], 0
                                        ; implicit-def: $vgpr2_vgpr3
.LBB884_13:
	s_and_b64 vcc, exec, s[34:35]
	s_cbranch_vccz .LBB884_95
.LBB884_14:
	s_cmp_eq_u32 s33, 8
	s_cbranch_scc0 .LBB884_21
; %bb.15:
	s_mov_b32 s3, 0
	s_lshl_b32 s0, s2, 11
	s_mov_b32 s1, s3
	s_lshr_b64 s[4:5], s[38:39], 11
	s_lshl_b64 s[6:7], s[0:1], 3
	s_add_u32 s20, s36, s6
	s_addc_u32 s21, s37, s7
	s_cmp_lg_u64 s[4:5], s[2:3]
	s_cbranch_scc0 .LBB884_96
; %bb.16:
	s_waitcnt vmcnt(0)
	v_lshlrev_b32_e32 v2, 3, v0
	global_load_dword v1, v2, s[20:21]
	global_load_dword v7, v2, s[20:21] offset:2048
	v_mov_b32_e32 v3, 0
	s_waitcnt lgkmcnt(0)
	v_lshl_add_u64 v[4:5], s[20:21], 0, v[2:3]
	v_mov_b32_e32 v6, v3
	v_add_co_u32_e32 v8, vcc, 0x1000, v4
	s_waitcnt vmcnt(0)
	v_add_u32_e32 v7, v7, v1
	v_ashrrev_i64 v[6:7], 29, v[6:7]
	v_addc_co_u32_e32 v9, vcc, 0, v5, vcc
	v_lshl_add_u64 v[6:7], s[30:31], 0, v[6:7]
	global_load_dword v2, v[8:9], off
	global_load_dword v1, v[6:7], off
	v_add_co_u32_e32 v10, vcc, 0x2000, v4
	v_mov_b32_e32 v6, v3
	s_nop 0
	v_addc_co_u32_e32 v11, vcc, 0, v5, vcc
	v_add_co_u32_e32 v4, vcc, 0x3000, v4
	s_waitcnt vmcnt(0)
	v_add_u32_e32 v7, v1, v2
	v_addc_co_u32_e32 v5, vcc, 0, v5, vcc
	global_load_dword v12, v[8:9], off offset:2048
	global_load_dword v13, v[10:11], off
	global_load_dword v14, v[10:11], off offset:2048
	global_load_dword v15, v[4:5], off
	global_load_dword v16, v[4:5], off offset:2048
	v_ashrrev_i64 v[4:5], 29, v[6:7]
	v_lshl_add_u64 v[4:5], s[30:31], 0, v[4:5]
	global_load_dword v1, v[4:5], off
	v_mov_b32_e32 v4, v3
	v_mov_b32_e32 v2, v3
	s_waitcnt vmcnt(0)
	v_add_u32_e32 v5, v1, v12
	v_ashrrev_i64 v[4:5], 29, v[4:5]
	v_lshl_add_u64 v[4:5], s[30:31], 0, v[4:5]
	global_load_dword v1, v[4:5], off
	v_mov_b32_e32 v4, v3
	s_waitcnt vmcnt(0)
	v_add_u32_e32 v5, v1, v13
	v_ashrrev_i64 v[4:5], 29, v[4:5]
	v_lshl_add_u64 v[4:5], s[30:31], 0, v[4:5]
	global_load_dword v1, v[4:5], off
	v_mov_b32_e32 v4, v3
	s_waitcnt vmcnt(0)
	v_add_u32_e32 v5, v1, v14
	v_ashrrev_i64 v[4:5], 29, v[4:5]
	v_lshl_add_u64 v[4:5], s[30:31], 0, v[4:5]
	global_load_dword v1, v[4:5], off
	v_mov_b32_e32 v4, v3
	s_waitcnt vmcnt(0)
	v_add_u32_e32 v5, v1, v15
	v_ashrrev_i64 v[4:5], 29, v[4:5]
	v_lshl_add_u64 v[4:5], s[30:31], 0, v[4:5]
	global_load_dword v1, v[4:5], off
	v_mov_b32_e32 v4, v3
	s_waitcnt vmcnt(0)
	v_add_u32_e32 v5, v1, v16
	v_ashrrev_i64 v[4:5], 29, v[4:5]
	v_lshl_add_u64 v[4:5], s[30:31], 0, v[4:5]
	global_load_dword v1, v[4:5], off
	v_mov_b32_e32 v4, v3
	s_waitcnt vmcnt(0)
	v_add_u32_dpp v5, v1, v1 quad_perm:[1,0,3,2] row_mask:0xf bank_mask:0xf bound_ctrl:1
	v_ashrrev_i64 v[4:5], 29, v[4:5]
	v_lshl_add_u64 v[4:5], s[30:31], 0, v[4:5]
	global_load_dword v1, v[4:5], off
	v_mov_b32_e32 v4, v3
	s_waitcnt vmcnt(0)
	v_add_u32_dpp v5, v1, v1 quad_perm:[2,3,0,1] row_mask:0xf bank_mask:0xf bound_ctrl:1
	v_ashrrev_i64 v[4:5], 29, v[4:5]
	v_lshl_add_u64 v[4:5], s[30:31], 0, v[4:5]
	global_load_dword v1, v[4:5], off
	v_mov_b32_e32 v4, v3
	s_waitcnt vmcnt(0)
	v_add_u32_dpp v5, v1, v1 row_ror:4 row_mask:0xf bank_mask:0xf bound_ctrl:1
	v_ashrrev_i64 v[4:5], 29, v[4:5]
	v_lshl_add_u64 v[4:5], s[30:31], 0, v[4:5]
	global_load_dword v1, v[4:5], off
	v_mov_b32_e32 v4, v3
	s_waitcnt vmcnt(0)
	v_add_u32_dpp v5, v1, v1 row_ror:8 row_mask:0xf bank_mask:0xf bound_ctrl:1
	v_ashrrev_i64 v[4:5], 29, v[4:5]
	v_lshl_add_u64 v[4:5], s[30:31], 0, v[4:5]
	global_load_dword v1, v[4:5], off
	v_mov_b32_e32 v4, v3
	s_waitcnt vmcnt(0)
	v_add_u32_dpp v5, v1, v1 row_bcast:15 row_mask:0xf bank_mask:0xf bound_ctrl:1
	v_ashrrev_i64 v[4:5], 29, v[4:5]
	v_lshl_add_u64 v[4:5], s[30:31], 0, v[4:5]
	global_load_dword v1, v[4:5], off
	s_waitcnt vmcnt(0)
	s_nop 0
	v_add_u32_dpp v3, v1, v1 row_bcast:31 row_mask:0xf bank_mask:0xf bound_ctrl:1
	v_ashrrev_i64 v[2:3], 29, v[2:3]
	v_lshl_add_u64 v[2:3], s[30:31], 0, v[2:3]
	global_load_dwordx2 v[2:3], v[2:3], off
	v_mbcnt_lo_u32_b32 v1, -1, 0
	v_mbcnt_hi_u32_b32 v5, -1, v1
	v_lshlrev_b32_e32 v1, 2, v5
	v_or_b32_e32 v4, 0xfc, v1
	v_cmp_eq_u32_e32 vcc, 0, v5
	s_waitcnt vmcnt(0)
	ds_bpermute_b32 v2, v4, v2
	ds_bpermute_b32 v3, v4, v3
	s_and_saveexec_b64 s[4:5], vcc
	s_cbranch_execz .LBB884_18
; %bb.17:
	v_lshrrev_b32_e32 v4, 3, v0
	v_and_b32_e32 v4, 24, v4
	s_waitcnt lgkmcnt(0)
	ds_write_b64 v4, v[2:3] offset:160
.LBB884_18:
	s_or_b64 exec, exec, s[4:5]
	v_cmp_gt_u32_e32 vcc, 64, v0
	s_mov_b64 s[4:5], 0
	s_mov_b64 s[18:19], 0
	s_waitcnt lgkmcnt(0)
	s_barrier
                                        ; implicit-def: $vgpr4
	s_and_saveexec_b64 s[6:7], vcc
	s_xor_b64 s[6:7], exec, s[6:7]
	s_cbranch_execz .LBB884_20
; %bb.19:
	v_and_b32_e32 v2, 3, v5
	v_lshlrev_b32_e32 v3, 3, v2
	ds_read_b32 v3, v3 offset:160
	v_cmp_ne_u32_e32 vcc, 3, v2
	v_or_b32_e32 v1, 8, v1
	s_mov_b64 s[18:19], exec
	v_addc_co_u32_e32 v2, vcc, 0, v5, vcc
	v_lshlrev_b32_e32 v2, 2, v2
	s_waitcnt lgkmcnt(0)
	ds_bpermute_b32 v2, v2, v3
	s_waitcnt lgkmcnt(0)
	v_add_u32_e32 v3, v3, v2
	v_mov_b32_e32 v2, 0
	v_ashrrev_i64 v[2:3], 29, v[2:3]
	v_lshl_add_u64 v[2:3], s[30:31], 0, v[2:3]
	global_load_dwordx2 v[2:3], v[2:3], off
	s_waitcnt vmcnt(0)
	ds_bpermute_b32 v4, v1, v2
.LBB884_20:
	s_or_b64 exec, exec, s[6:7]
	s_branch .LBB884_97
.LBB884_21:
                                        ; implicit-def: $vgpr2_vgpr3
	s_branch .LBB884_153
.LBB884_22:
	s_mov_b64 s[4:5], -1
	s_mov_b64 s[44:45], 0
                                        ; implicit-def: $vgpr4
                                        ; implicit-def: $vgpr2_vgpr3
.LBB884_23:
	s_and_b64 vcc, exec, s[4:5]
	s_cbranch_vccz .LBB884_90
; %bb.24:
	s_sub_i32 s50, s38, s0
	v_mov_b32_e32 v2, 0
	v_cmp_gt_u32_e32 vcc, s50, v0
	v_mov_b32_e32 v3, v2
	s_waitcnt lgkmcnt(0)
	v_mov_b32_e32 v4, v2
	v_mov_b32_e32 v6, v2
	;; [unrolled: 1-line block ×15, first 2 shown]
	s_and_saveexec_b64 s[0:1], vcc
	s_cbranch_execz .LBB884_26
; %bb.25:
	v_lshlrev_b32_e32 v1, 3, v0
	global_load_dwordx2 v[4:5], v1, s[46:47]
	v_mov_b32_e32 v6, v2
	v_mov_b32_e32 v8, v2
	;; [unrolled: 1-line block ×15, first 2 shown]
	s_waitcnt vmcnt(0)
	v_mov_b64_e32 v[2:3], v[4:5]
	v_mov_b64_e32 v[4:5], v[6:7]
	;; [unrolled: 1-line block ×16, first 2 shown]
.LBB884_26:
	s_or_b64 exec, exec, s[0:1]
	v_or_b32_e32 v1, 0x100, v0
	v_cmp_gt_u32_e32 vcc, s50, v1
	s_and_saveexec_b64 s[0:1], vcc
	s_cbranch_execz .LBB884_28
; %bb.27:
	v_lshlrev_b32_e32 v1, 3, v0
	global_load_dwordx2 v[4:5], v1, s[46:47] offset:2048
.LBB884_28:
	s_or_b64 exec, exec, s[0:1]
	v_or_b32_e32 v1, 0x200, v0
	v_cmp_gt_u32_e64 s[0:1], s50, v1
	s_and_saveexec_b64 s[4:5], s[0:1]
	s_cbranch_execz .LBB884_30
; %bb.29:
	v_lshlrev_b32_e32 v1, 3, v1
	global_load_dwordx2 v[6:7], v1, s[46:47]
.LBB884_30:
	s_or_b64 exec, exec, s[4:5]
	v_or_b32_e32 v1, 0x300, v0
	v_cmp_gt_u32_e64 s[4:5], s50, v1
	s_and_saveexec_b64 s[6:7], s[4:5]
	s_cbranch_execz .LBB884_32
; %bb.31:
	v_lshlrev_b32_e32 v1, 3, v1
	global_load_dwordx2 v[8:9], v1, s[46:47]
.LBB884_32:
	;; [unrolled: 9-line block ×13, first 2 shown]
	s_or_b64 exec, exec, s[28:29]
	v_or_b32_e32 v1, 0xf00, v0
	v_cmp_gt_u32_e64 s[28:29], s50, v1
	s_and_saveexec_b64 s[48:49], s[28:29]
	s_cbranch_execnz .LBB884_274
; %bb.55:
	s_or_b64 exec, exec, s[48:49]
	s_and_saveexec_b64 s[46:47], vcc
	s_cbranch_execnz .LBB884_275
.LBB884_56:
	s_or_b64 exec, exec, s[46:47]
	s_and_saveexec_b64 s[46:47], s[0:1]
	s_cbranch_execnz .LBB884_276
.LBB884_57:
	s_or_b64 exec, exec, s[46:47]
	s_and_saveexec_b64 s[0:1], s[4:5]
	s_cbranch_execnz .LBB884_277
.LBB884_58:
	s_or_b64 exec, exec, s[0:1]
	s_and_saveexec_b64 s[0:1], s[6:7]
	s_cbranch_execnz .LBB884_278
.LBB884_59:
	s_or_b64 exec, exec, s[0:1]
	s_and_saveexec_b64 s[0:1], s[8:9]
	s_cbranch_execnz .LBB884_279
.LBB884_60:
	s_or_b64 exec, exec, s[0:1]
	s_and_saveexec_b64 s[0:1], s[10:11]
	s_cbranch_execnz .LBB884_280
.LBB884_61:
	s_or_b64 exec, exec, s[0:1]
	s_and_saveexec_b64 s[0:1], s[12:13]
	s_cbranch_execnz .LBB884_281
.LBB884_62:
	s_or_b64 exec, exec, s[0:1]
	s_and_saveexec_b64 s[0:1], s[14:15]
	s_cbranch_execnz .LBB884_282
.LBB884_63:
	s_or_b64 exec, exec, s[0:1]
	s_and_saveexec_b64 s[0:1], s[16:17]
	s_cbranch_execnz .LBB884_283
.LBB884_64:
	s_or_b64 exec, exec, s[0:1]
	s_and_saveexec_b64 s[0:1], s[18:19]
	s_cbranch_execnz .LBB884_284
.LBB884_65:
	s_or_b64 exec, exec, s[0:1]
	s_and_saveexec_b64 s[0:1], s[20:21]
	s_cbranch_execnz .LBB884_285
.LBB884_66:
	s_or_b64 exec, exec, s[0:1]
	s_and_saveexec_b64 s[0:1], s[22:23]
	s_cbranch_execnz .LBB884_286
.LBB884_67:
	s_or_b64 exec, exec, s[0:1]
	s_and_saveexec_b64 s[0:1], s[24:25]
	s_cbranch_execnz .LBB884_287
.LBB884_68:
	s_or_b64 exec, exec, s[0:1]
	s_and_saveexec_b64 s[0:1], s[26:27]
	s_cbranch_execnz .LBB884_288
.LBB884_69:
	s_or_b64 exec, exec, s[0:1]
	s_and_saveexec_b64 s[0:1], s[28:29]
	s_cbranch_execz .LBB884_71
.LBB884_70:
	s_waitcnt vmcnt(0)
	v_add_u32_e32 v3, v2, v32
	v_mov_b32_e32 v2, 0
	v_ashrrev_i64 v[2:3], 29, v[2:3]
	v_lshl_add_u64 v[2:3], s[30:31], 0, v[2:3]
	global_load_dwordx2 v[2:3], v[2:3], off
.LBB884_71:
	s_or_b64 exec, exec, s[0:1]
	v_mbcnt_lo_u32_b32 v1, -1, 0
	v_mbcnt_hi_u32_b32 v1, -1, v1
	s_waitcnt vmcnt(0)
	v_and_b32_e32 v4, 63, v1
	v_cmp_ne_u32_e32 vcc, 63, v4
	s_min_u32 s4, s50, 0x100
	v_add_u32_e32 v7, 1, v4
	v_addc_co_u32_e32 v5, vcc, 0, v1, vcc
	v_lshlrev_b32_e32 v5, 2, v5
	ds_bpermute_b32 v6, v5, v2
	v_and_b32_e32 v5, 0xc0, v0
	v_sub_u32_e64 v5, s4, v5 clamp
	v_cmp_lt_u32_e32 vcc, v7, v5
	s_and_saveexec_b64 s[0:1], vcc
	s_xor_b64 s[0:1], exec, s[0:1]
	s_cbranch_execz .LBB884_73
; %bb.72:
	s_waitcnt lgkmcnt(0)
	v_add_u32_e32 v3, v2, v6
	v_mov_b32_e32 v2, 0
	v_ashrrev_i64 v[2:3], 29, v[2:3]
	v_lshl_add_u64 v[2:3], s[30:31], 0, v[2:3]
	global_load_dwordx2 v[2:3], v[2:3], off
.LBB884_73:
	s_or_b64 exec, exec, s[0:1]
	v_cmp_gt_u32_e32 vcc, 62, v4
	v_add_u32_e32 v7, 2, v4
	s_waitcnt lgkmcnt(0)
	v_cndmask_b32_e64 v6, 0, 2, vcc
	v_add_lshl_u32 v6, v6, v1, 2
	s_waitcnt vmcnt(0)
	ds_bpermute_b32 v6, v6, v2
	v_cmp_lt_u32_e32 vcc, v7, v5
	s_and_saveexec_b64 s[0:1], vcc
	s_cbranch_execz .LBB884_75
; %bb.74:
	s_waitcnt lgkmcnt(0)
	v_add_u32_e32 v3, v2, v6
	v_mov_b32_e32 v2, 0
	v_ashrrev_i64 v[2:3], 29, v[2:3]
	v_lshl_add_u64 v[2:3], s[30:31], 0, v[2:3]
	global_load_dwordx2 v[2:3], v[2:3], off
.LBB884_75:
	s_or_b64 exec, exec, s[0:1]
	v_cmp_gt_u32_e32 vcc, 60, v4
	v_add_u32_e32 v7, 4, v4
	s_waitcnt lgkmcnt(0)
	v_cndmask_b32_e64 v6, 0, 4, vcc
	v_add_lshl_u32 v6, v6, v1, 2
	s_waitcnt vmcnt(0)
	ds_bpermute_b32 v6, v6, v2
	v_cmp_lt_u32_e32 vcc, v7, v5
	s_and_saveexec_b64 s[0:1], vcc
	;; [unrolled: 19-line block ×4, first 2 shown]
	s_cbranch_execz .LBB884_81
; %bb.80:
	s_waitcnt lgkmcnt(0)
	v_add_u32_e32 v3, v2, v6
	v_mov_b32_e32 v2, 0
	v_ashrrev_i64 v[2:3], 29, v[2:3]
	v_lshl_add_u64 v[2:3], s[30:31], 0, v[2:3]
	global_load_dwordx2 v[2:3], v[2:3], off
.LBB884_81:
	s_or_b64 exec, exec, s[0:1]
	s_waitcnt lgkmcnt(0)
	v_lshlrev_b32_e32 v6, 2, v1
	v_or_b32_e32 v7, 0x80, v6
	s_waitcnt vmcnt(0)
	ds_bpermute_b32 v7, v7, v2
	v_add_u32_e32 v4, 32, v4
	v_cmp_lt_u32_e32 vcc, v4, v5
	s_and_saveexec_b64 s[0:1], vcc
	s_cbranch_execz .LBB884_83
; %bb.82:
	s_waitcnt lgkmcnt(0)
	v_add_u32_e32 v3, v2, v7
	v_mov_b32_e32 v2, 0
	v_ashrrev_i64 v[2:3], 29, v[2:3]
	v_lshl_add_u64 v[2:3], s[30:31], 0, v[2:3]
	global_load_dwordx2 v[2:3], v[2:3], off
.LBB884_83:
	s_or_b64 exec, exec, s[0:1]
	v_cmp_eq_u32_e32 vcc, 0, v1
	s_and_saveexec_b64 s[0:1], vcc
	s_cbranch_execz .LBB884_85
; %bb.84:
	v_lshrrev_b32_e32 v4, 3, v0
	v_and_b32_e32 v4, 24, v4
	s_waitcnt vmcnt(0)
	ds_write_b64 v4, v[2:3]
.LBB884_85:
	s_or_b64 exec, exec, s[0:1]
	v_cmp_gt_u32_e32 vcc, 4, v0
	s_waitcnt lgkmcnt(0)
	s_barrier
                                        ; implicit-def: $vgpr4
	s_and_saveexec_b64 s[0:1], vcc
	s_cbranch_execz .LBB884_89
; %bb.86:
	s_waitcnt vmcnt(0)
	v_lshlrev_b32_e32 v2, 3, v1
	ds_read_b64 v[2:3], v2
	v_and_b32_e32 v4, 3, v1
	v_cmp_ne_u32_e32 vcc, 3, v4
	s_add_i32 s4, s4, 63
	s_lshr_b32 s6, s4, 6
	v_addc_co_u32_e32 v1, vcc, 0, v1, vcc
	v_lshlrev_b32_e32 v1, 2, v1
	s_waitcnt lgkmcnt(0)
	ds_bpermute_b32 v1, v1, v2
	v_add_u32_e32 v3, 1, v4
	v_cmp_gt_u32_e32 vcc, s6, v3
	s_and_saveexec_b64 s[4:5], vcc
	s_cbranch_execz .LBB884_88
; %bb.87:
	s_waitcnt lgkmcnt(0)
	v_add_u32_e32 v3, v2, v1
	v_mov_b32_e32 v2, 0
	v_ashrrev_i64 v[2:3], 29, v[2:3]
	v_lshl_add_u64 v[2:3], s[30:31], 0, v[2:3]
	global_load_dwordx2 v[2:3], v[2:3], off
.LBB884_88:
	s_or_b64 exec, exec, s[4:5]
	s_waitcnt vmcnt(0)
	v_or_b32_e32 v3, 8, v6
	s_waitcnt lgkmcnt(0)
	v_add_u32_e32 v1, 2, v4
	ds_bpermute_b32 v4, v3, v2
	v_cmp_gt_u32_e32 vcc, s6, v1
	s_andn2_b64 s[4:5], s[44:45], exec
	s_and_b64 s[6:7], vcc, exec
	s_or_b64 s[44:45], s[4:5], s[6:7]
.LBB884_89:
	s_or_b64 exec, exec, s[0:1]
.LBB884_90:
	s_and_saveexec_b64 s[0:1], s[44:45]
	s_cbranch_execz .LBB884_92
; %bb.91:
	s_waitcnt vmcnt(0) lgkmcnt(0)
	v_add_u32_e32 v3, v2, v4
	v_mov_b32_e32 v2, 0
	v_ashrrev_i64 v[2:3], 29, v[2:3]
	v_lshl_add_u64 v[2:3], s[30:31], 0, v[2:3]
	global_load_dwordx2 v[2:3], v[2:3], off
.LBB884_92:
	s_or_b64 exec, exec, s[0:1]
	v_cmp_eq_u32_e32 vcc, 0, v0
	s_mov_b64 s[16:17], 0
	s_mov_b64 s[14:15], 0
	s_and_saveexec_b64 s[0:1], vcc
	s_xor_b64 s[0:1], exec, s[0:1]
; %bb.93:
	s_cmp_eq_u64 s[38:39], 0
	s_cselect_b64 s[4:5], -1, 0
	s_cmp_lg_u64 s[38:39], 0
	s_cselect_b64 s[6:7], -1, 0
	s_and_b64 s[14:15], s[4:5], exec
	s_and_b64 s[16:17], s[6:7], exec
; %bb.94:
	s_or_b64 exec, exec, s[0:1]
	s_and_b64 vcc, exec, s[34:35]
	s_cbranch_vccnz .LBB884_14
.LBB884_95:
	s_branch .LBB884_153
.LBB884_96:
	s_mov_b64 s[4:5], -1
	s_mov_b64 s[18:19], 0
                                        ; implicit-def: $vgpr4
                                        ; implicit-def: $vgpr2_vgpr3
.LBB884_97:
	s_and_b64 vcc, exec, s[4:5]
	s_cbranch_vccz .LBB884_140
; %bb.98:
	s_sub_i32 s24, s38, s0
	s_waitcnt vmcnt(0)
	v_mov_b32_e32 v2, 0
	v_cmp_gt_u32_e32 vcc, s24, v0
	v_mov_b32_e32 v3, v2
	s_waitcnt lgkmcnt(0)
	v_mov_b32_e32 v4, v2
	v_mov_b32_e32 v6, v2
	;; [unrolled: 1-line block ×7, first 2 shown]
	s_and_saveexec_b64 s[0:1], vcc
	s_cbranch_execz .LBB884_100
; %bb.99:
	v_lshlrev_b32_e32 v1, 3, v0
	global_load_dwordx2 v[4:5], v1, s[20:21]
	v_mov_b32_e32 v6, v2
	v_mov_b32_e32 v8, v2
	v_mov_b32_e32 v10, v2
	v_mov_b32_e32 v12, v2
	v_mov_b32_e32 v14, v2
	v_mov_b32_e32 v16, v2
	v_mov_b32_e32 v18, v2
	s_waitcnt vmcnt(0)
	v_mov_b64_e32 v[2:3], v[4:5]
	v_mov_b64_e32 v[4:5], v[6:7]
	;; [unrolled: 1-line block ×8, first 2 shown]
.LBB884_100:
	s_or_b64 exec, exec, s[0:1]
	v_or_b32_e32 v1, 0x100, v0
	v_cmp_gt_u32_e32 vcc, s24, v1
	s_and_saveexec_b64 s[0:1], vcc
	s_cbranch_execz .LBB884_102
; %bb.101:
	v_lshlrev_b32_e32 v1, 3, v0
	global_load_dwordx2 v[4:5], v1, s[20:21] offset:2048
.LBB884_102:
	s_or_b64 exec, exec, s[0:1]
	v_or_b32_e32 v1, 0x200, v0
	v_cmp_gt_u32_e64 s[0:1], s24, v1
	s_and_saveexec_b64 s[4:5], s[0:1]
	s_cbranch_execz .LBB884_104
; %bb.103:
	v_lshlrev_b32_e32 v1, 3, v1
	global_load_dwordx2 v[6:7], v1, s[20:21]
.LBB884_104:
	s_or_b64 exec, exec, s[4:5]
	v_or_b32_e32 v1, 0x300, v0
	v_cmp_gt_u32_e64 s[4:5], s24, v1
	s_and_saveexec_b64 s[6:7], s[4:5]
	s_cbranch_execz .LBB884_106
; %bb.105:
	v_lshlrev_b32_e32 v1, 3, v1
	global_load_dwordx2 v[8:9], v1, s[20:21]
.LBB884_106:
	s_or_b64 exec, exec, s[6:7]
	v_or_b32_e32 v1, 0x400, v0
	v_cmp_gt_u32_e64 s[6:7], s24, v1
	s_and_saveexec_b64 s[8:9], s[6:7]
	s_cbranch_execz .LBB884_108
; %bb.107:
	v_lshlrev_b32_e32 v1, 3, v1
	global_load_dwordx2 v[10:11], v1, s[20:21]
.LBB884_108:
	s_or_b64 exec, exec, s[8:9]
	v_or_b32_e32 v1, 0x500, v0
	v_cmp_gt_u32_e64 s[8:9], s24, v1
	s_and_saveexec_b64 s[10:11], s[8:9]
	s_cbranch_execz .LBB884_110
; %bb.109:
	v_lshlrev_b32_e32 v1, 3, v1
	global_load_dwordx2 v[12:13], v1, s[20:21]
.LBB884_110:
	s_or_b64 exec, exec, s[10:11]
	v_or_b32_e32 v1, 0x600, v0
	v_cmp_gt_u32_e64 s[10:11], s24, v1
	s_and_saveexec_b64 s[12:13], s[10:11]
	s_cbranch_execz .LBB884_112
; %bb.111:
	v_lshlrev_b32_e32 v1, 3, v1
	global_load_dwordx2 v[14:15], v1, s[20:21]
.LBB884_112:
	s_or_b64 exec, exec, s[12:13]
	v_or_b32_e32 v1, 0x700, v0
	v_cmp_gt_u32_e64 s[12:13], s24, v1
	s_and_saveexec_b64 s[22:23], s[12:13]
	s_cbranch_execnz .LBB884_289
; %bb.113:
	s_or_b64 exec, exec, s[22:23]
	s_and_saveexec_b64 s[20:21], vcc
	s_cbranch_execnz .LBB884_290
.LBB884_114:
	s_or_b64 exec, exec, s[20:21]
	s_and_saveexec_b64 s[20:21], s[0:1]
	s_cbranch_execnz .LBB884_291
.LBB884_115:
	s_or_b64 exec, exec, s[20:21]
	s_and_saveexec_b64 s[0:1], s[4:5]
	s_cbranch_execnz .LBB884_292
.LBB884_116:
	s_or_b64 exec, exec, s[0:1]
	s_and_saveexec_b64 s[0:1], s[6:7]
	s_cbranch_execnz .LBB884_293
.LBB884_117:
	s_or_b64 exec, exec, s[0:1]
	s_and_saveexec_b64 s[0:1], s[8:9]
	s_cbranch_execnz .LBB884_294
.LBB884_118:
	s_or_b64 exec, exec, s[0:1]
	s_and_saveexec_b64 s[0:1], s[10:11]
	s_cbranch_execnz .LBB884_295
.LBB884_119:
	s_or_b64 exec, exec, s[0:1]
	s_and_saveexec_b64 s[0:1], s[12:13]
	s_cbranch_execz .LBB884_121
.LBB884_120:
	s_waitcnt vmcnt(0)
	v_add_u32_e32 v3, v2, v16
	v_mov_b32_e32 v2, 0
	v_ashrrev_i64 v[2:3], 29, v[2:3]
	v_lshl_add_u64 v[2:3], s[30:31], 0, v[2:3]
	global_load_dwordx2 v[2:3], v[2:3], off
.LBB884_121:
	s_or_b64 exec, exec, s[0:1]
	v_mbcnt_lo_u32_b32 v1, -1, 0
	v_mbcnt_hi_u32_b32 v1, -1, v1
	s_waitcnt vmcnt(0)
	v_and_b32_e32 v4, 63, v1
	v_cmp_ne_u32_e32 vcc, 63, v4
	s_min_u32 s4, s24, 0x100
	v_add_u32_e32 v7, 1, v4
	v_addc_co_u32_e32 v5, vcc, 0, v1, vcc
	v_lshlrev_b32_e32 v5, 2, v5
	ds_bpermute_b32 v6, v5, v2
	v_and_b32_e32 v5, 0xc0, v0
	v_sub_u32_e64 v5, s4, v5 clamp
	v_cmp_lt_u32_e32 vcc, v7, v5
	s_and_saveexec_b64 s[0:1], vcc
	s_xor_b64 s[0:1], exec, s[0:1]
	s_cbranch_execz .LBB884_123
; %bb.122:
	s_waitcnt lgkmcnt(0)
	v_add_u32_e32 v3, v2, v6
	v_mov_b32_e32 v2, 0
	v_ashrrev_i64 v[2:3], 29, v[2:3]
	v_lshl_add_u64 v[2:3], s[30:31], 0, v[2:3]
	global_load_dwordx2 v[2:3], v[2:3], off
.LBB884_123:
	s_or_b64 exec, exec, s[0:1]
	v_cmp_gt_u32_e32 vcc, 62, v4
	v_add_u32_e32 v7, 2, v4
	s_waitcnt lgkmcnt(0)
	v_cndmask_b32_e64 v6, 0, 2, vcc
	v_add_lshl_u32 v6, v6, v1, 2
	s_waitcnt vmcnt(0)
	ds_bpermute_b32 v6, v6, v2
	v_cmp_lt_u32_e32 vcc, v7, v5
	s_and_saveexec_b64 s[0:1], vcc
	s_cbranch_execz .LBB884_125
; %bb.124:
	s_waitcnt lgkmcnt(0)
	v_add_u32_e32 v3, v2, v6
	v_mov_b32_e32 v2, 0
	v_ashrrev_i64 v[2:3], 29, v[2:3]
	v_lshl_add_u64 v[2:3], s[30:31], 0, v[2:3]
	global_load_dwordx2 v[2:3], v[2:3], off
.LBB884_125:
	s_or_b64 exec, exec, s[0:1]
	v_cmp_gt_u32_e32 vcc, 60, v4
	v_add_u32_e32 v7, 4, v4
	s_waitcnt lgkmcnt(0)
	v_cndmask_b32_e64 v6, 0, 4, vcc
	v_add_lshl_u32 v6, v6, v1, 2
	s_waitcnt vmcnt(0)
	ds_bpermute_b32 v6, v6, v2
	v_cmp_lt_u32_e32 vcc, v7, v5
	s_and_saveexec_b64 s[0:1], vcc
	;; [unrolled: 19-line block ×4, first 2 shown]
	s_cbranch_execz .LBB884_131
; %bb.130:
	s_waitcnt lgkmcnt(0)
	v_add_u32_e32 v3, v2, v6
	v_mov_b32_e32 v2, 0
	v_ashrrev_i64 v[2:3], 29, v[2:3]
	v_lshl_add_u64 v[2:3], s[30:31], 0, v[2:3]
	global_load_dwordx2 v[2:3], v[2:3], off
.LBB884_131:
	s_or_b64 exec, exec, s[0:1]
	s_waitcnt lgkmcnt(0)
	v_lshlrev_b32_e32 v6, 2, v1
	v_or_b32_e32 v7, 0x80, v6
	s_waitcnt vmcnt(0)
	ds_bpermute_b32 v7, v7, v2
	v_add_u32_e32 v4, 32, v4
	v_cmp_lt_u32_e32 vcc, v4, v5
	s_and_saveexec_b64 s[0:1], vcc
	s_cbranch_execz .LBB884_133
; %bb.132:
	s_waitcnt lgkmcnt(0)
	v_add_u32_e32 v3, v2, v7
	v_mov_b32_e32 v2, 0
	v_ashrrev_i64 v[2:3], 29, v[2:3]
	v_lshl_add_u64 v[2:3], s[30:31], 0, v[2:3]
	global_load_dwordx2 v[2:3], v[2:3], off
.LBB884_133:
	s_or_b64 exec, exec, s[0:1]
	v_cmp_eq_u32_e32 vcc, 0, v1
	s_and_saveexec_b64 s[0:1], vcc
	s_cbranch_execz .LBB884_135
; %bb.134:
	v_lshrrev_b32_e32 v4, 3, v0
	v_and_b32_e32 v4, 24, v4
	s_waitcnt vmcnt(0)
	ds_write_b64 v4, v[2:3]
.LBB884_135:
	s_or_b64 exec, exec, s[0:1]
	v_cmp_gt_u32_e32 vcc, 4, v0
	s_waitcnt lgkmcnt(0)
	s_barrier
                                        ; implicit-def: $vgpr4
	s_and_saveexec_b64 s[0:1], vcc
	s_cbranch_execz .LBB884_139
; %bb.136:
	s_waitcnt vmcnt(0)
	v_lshlrev_b32_e32 v2, 3, v1
	ds_read_b64 v[2:3], v2
	v_and_b32_e32 v4, 3, v1
	v_cmp_ne_u32_e32 vcc, 3, v4
	s_add_i32 s4, s4, 63
	s_lshr_b32 s6, s4, 6
	v_addc_co_u32_e32 v1, vcc, 0, v1, vcc
	v_lshlrev_b32_e32 v1, 2, v1
	s_waitcnt lgkmcnt(0)
	ds_bpermute_b32 v1, v1, v2
	v_add_u32_e32 v3, 1, v4
	v_cmp_gt_u32_e32 vcc, s6, v3
	s_and_saveexec_b64 s[4:5], vcc
	s_cbranch_execz .LBB884_138
; %bb.137:
	s_waitcnt lgkmcnt(0)
	v_add_u32_e32 v3, v2, v1
	v_mov_b32_e32 v2, 0
	v_ashrrev_i64 v[2:3], 29, v[2:3]
	v_lshl_add_u64 v[2:3], s[30:31], 0, v[2:3]
	global_load_dwordx2 v[2:3], v[2:3], off
.LBB884_138:
	s_or_b64 exec, exec, s[4:5]
	s_waitcnt vmcnt(0)
	v_or_b32_e32 v3, 8, v6
	s_waitcnt lgkmcnt(0)
	v_add_u32_e32 v1, 2, v4
	ds_bpermute_b32 v4, v3, v2
	v_cmp_gt_u32_e32 vcc, s6, v1
	s_andn2_b64 s[4:5], s[18:19], exec
	s_and_b64 s[6:7], vcc, exec
	s_or_b64 s[18:19], s[4:5], s[6:7]
.LBB884_139:
	s_or_b64 exec, exec, s[0:1]
.LBB884_140:
	s_and_saveexec_b64 s[0:1], s[18:19]
	s_cbranch_execz .LBB884_142
; %bb.141:
	s_waitcnt vmcnt(0) lgkmcnt(0)
	v_add_u32_e32 v3, v2, v4
	v_mov_b32_e32 v2, 0
	v_ashrrev_i64 v[2:3], 29, v[2:3]
	v_lshl_add_u64 v[2:3], s[30:31], 0, v[2:3]
	global_load_dwordx2 v[2:3], v[2:3], off
.LBB884_142:
	s_or_b64 exec, exec, s[0:1]
	v_cmp_eq_u32_e32 vcc, 0, v0
	s_and_saveexec_b64 s[0:1], vcc
	s_xor_b64 s[0:1], exec, s[0:1]
	s_cbranch_execz .LBB884_144
; %bb.143:
	s_cmp_eq_u64 s[38:39], 0
	s_cselect_b64 s[4:5], -1, 0
	s_cmp_lg_u64 s[38:39], 0
	s_cselect_b64 s[6:7], -1, 0
	s_andn2_b64 s[8:9], s[14:15], exec
	s_and_b64 s[4:5], s[4:5], exec
	s_or_b64 s[14:15], s[8:9], s[4:5]
	s_andn2_b64 s[4:5], s[16:17], exec
	s_and_b64 s[6:7], s[6:7], exec
	s_or_b64 s[16:17], s[4:5], s[6:7]
.LBB884_144:
	s_or_b64 exec, exec, s[0:1]
	s_branch .LBB884_153
.LBB884_145:
	s_cmp_eq_u32 s33, 4
	s_cbranch_scc0 .LBB884_152
; %bb.146:
	s_mov_b32 s3, 0
	s_lshl_b32 s0, s2, 10
	s_mov_b32 s1, s3
	s_lshr_b64 s[4:5], s[38:39], 10
	s_lshl_b64 s[6:7], s[0:1], 3
	s_add_u32 s8, s36, s6
	s_addc_u32 s9, s37, s7
	s_cmp_lg_u64 s[4:5], s[2:3]
	s_cbranch_scc0 .LBB884_154
; %bb.147:
	s_waitcnt vmcnt(0)
	v_lshlrev_b32_e32 v2, 3, v0
	global_load_dword v1, v2, s[8:9]
	global_load_dword v7, v2, s[8:9] offset:2048
	v_mov_b32_e32 v3, 0
	s_waitcnt lgkmcnt(0)
	v_lshl_add_u64 v[4:5], s[8:9], 0, v[2:3]
	v_mov_b32_e32 v6, v3
	v_add_co_u32_e32 v4, vcc, 0x1000, v4
	s_waitcnt vmcnt(0)
	v_add_u32_e32 v7, v7, v1
	v_ashrrev_i64 v[6:7], 29, v[6:7]
	v_addc_co_u32_e32 v5, vcc, 0, v5, vcc
	v_lshl_add_u64 v[6:7], s[30:31], 0, v[6:7]
	global_load_dword v2, v[4:5], off
	global_load_dword v8, v[4:5], off offset:2048
	global_load_dword v1, v[6:7], off
	v_mov_b32_e32 v6, v3
	s_waitcnt vmcnt(0)
	v_add_u32_e32 v7, v1, v2
	v_ashrrev_i64 v[4:5], 29, v[6:7]
	v_lshl_add_u64 v[4:5], s[30:31], 0, v[4:5]
	global_load_dword v1, v[4:5], off
	v_mov_b32_e32 v4, v3
	v_mov_b32_e32 v2, v3
	s_waitcnt vmcnt(0)
	v_add_u32_e32 v5, v1, v8
	v_ashrrev_i64 v[4:5], 29, v[4:5]
	v_lshl_add_u64 v[4:5], s[30:31], 0, v[4:5]
	global_load_dword v1, v[4:5], off
	v_mov_b32_e32 v4, v3
	s_waitcnt vmcnt(0)
	v_add_u32_dpp v5, v1, v1 quad_perm:[1,0,3,2] row_mask:0xf bank_mask:0xf bound_ctrl:1
	v_ashrrev_i64 v[4:5], 29, v[4:5]
	v_lshl_add_u64 v[4:5], s[30:31], 0, v[4:5]
	global_load_dword v1, v[4:5], off
	v_mov_b32_e32 v4, v3
	s_waitcnt vmcnt(0)
	v_add_u32_dpp v5, v1, v1 quad_perm:[2,3,0,1] row_mask:0xf bank_mask:0xf bound_ctrl:1
	v_ashrrev_i64 v[4:5], 29, v[4:5]
	v_lshl_add_u64 v[4:5], s[30:31], 0, v[4:5]
	global_load_dword v1, v[4:5], off
	v_mov_b32_e32 v4, v3
	s_waitcnt vmcnt(0)
	v_add_u32_dpp v5, v1, v1 row_ror:4 row_mask:0xf bank_mask:0xf bound_ctrl:1
	v_ashrrev_i64 v[4:5], 29, v[4:5]
	v_lshl_add_u64 v[4:5], s[30:31], 0, v[4:5]
	global_load_dword v1, v[4:5], off
	v_mov_b32_e32 v4, v3
	s_waitcnt vmcnt(0)
	v_add_u32_dpp v5, v1, v1 row_ror:8 row_mask:0xf bank_mask:0xf bound_ctrl:1
	v_ashrrev_i64 v[4:5], 29, v[4:5]
	v_lshl_add_u64 v[4:5], s[30:31], 0, v[4:5]
	global_load_dword v1, v[4:5], off
	v_mov_b32_e32 v4, v3
	s_waitcnt vmcnt(0)
	v_add_u32_dpp v5, v1, v1 row_bcast:15 row_mask:0xf bank_mask:0xf bound_ctrl:1
	v_ashrrev_i64 v[4:5], 29, v[4:5]
	v_lshl_add_u64 v[4:5], s[30:31], 0, v[4:5]
	global_load_dword v1, v[4:5], off
	s_waitcnt vmcnt(0)
	s_nop 0
	v_add_u32_dpp v3, v1, v1 row_bcast:31 row_mask:0xf bank_mask:0xf bound_ctrl:1
	v_ashrrev_i64 v[2:3], 29, v[2:3]
	v_lshl_add_u64 v[2:3], s[30:31], 0, v[2:3]
	global_load_dwordx2 v[2:3], v[2:3], off
	v_mbcnt_lo_u32_b32 v1, -1, 0
	v_mbcnt_hi_u32_b32 v5, -1, v1
	v_lshlrev_b32_e32 v1, 2, v5
	v_or_b32_e32 v4, 0xfc, v1
	v_cmp_eq_u32_e32 vcc, 0, v5
	s_waitcnt vmcnt(0)
	ds_bpermute_b32 v2, v4, v2
	ds_bpermute_b32 v3, v4, v3
	s_and_saveexec_b64 s[4:5], vcc
	s_cbranch_execz .LBB884_149
; %bb.148:
	v_lshrrev_b32_e32 v4, 3, v0
	v_and_b32_e32 v4, 24, v4
	s_waitcnt lgkmcnt(0)
	ds_write_b64 v4, v[2:3] offset:128
.LBB884_149:
	s_or_b64 exec, exec, s[4:5]
	v_cmp_gt_u32_e32 vcc, 64, v0
	s_mov_b64 s[4:5], 0
	s_mov_b64 s[6:7], 0
	s_waitcnt lgkmcnt(0)
	s_barrier
                                        ; implicit-def: $vgpr4
	s_and_saveexec_b64 s[10:11], vcc
	s_xor_b64 s[10:11], exec, s[10:11]
	s_cbranch_execz .LBB884_151
; %bb.150:
	v_and_b32_e32 v2, 3, v5
	v_lshlrev_b32_e32 v3, 3, v2
	ds_read_b32 v3, v3 offset:128
	v_cmp_ne_u32_e32 vcc, 3, v2
	v_or_b32_e32 v1, 8, v1
	s_mov_b64 s[6:7], exec
	v_addc_co_u32_e32 v2, vcc, 0, v5, vcc
	v_lshlrev_b32_e32 v2, 2, v2
	s_waitcnt lgkmcnt(0)
	ds_bpermute_b32 v2, v2, v3
	s_waitcnt lgkmcnt(0)
	v_add_u32_e32 v3, v3, v2
	v_mov_b32_e32 v2, 0
	v_ashrrev_i64 v[2:3], 29, v[2:3]
	v_lshl_add_u64 v[2:3], s[30:31], 0, v[2:3]
	global_load_dwordx2 v[2:3], v[2:3], off
	s_waitcnt vmcnt(0)
	ds_bpermute_b32 v4, v1, v2
.LBB884_151:
	s_or_b64 exec, exec, s[10:11]
	s_and_b64 vcc, exec, s[4:5]
	s_cbranch_vccnz .LBB884_155
	s_branch .LBB884_185
.LBB884_152:
                                        ; implicit-def: $vgpr2_vgpr3
.LBB884_153:
	s_branch .LBB884_239
.LBB884_154:
	s_mov_b64 s[6:7], 0
                                        ; implicit-def: $vgpr4
                                        ; implicit-def: $vgpr2_vgpr3
	s_cbranch_execz .LBB884_185
.LBB884_155:
	s_sub_i32 s12, s38, s0
	s_waitcnt vmcnt(0)
	v_mov_b32_e32 v2, 0
	v_cmp_gt_u32_e32 vcc, s12, v0
	v_mov_b32_e32 v3, v2
	s_waitcnt lgkmcnt(0)
	v_mov_b32_e32 v4, v2
	v_mov_b32_e32 v6, v2
	;; [unrolled: 1-line block ×3, first 2 shown]
	s_and_saveexec_b64 s[0:1], vcc
	s_cbranch_execz .LBB884_157
; %bb.156:
	v_lshlrev_b32_e32 v1, 3, v0
	global_load_dwordx2 v[4:5], v1, s[8:9]
	v_mov_b32_e32 v6, v2
	v_mov_b32_e32 v8, v2
	;; [unrolled: 1-line block ×3, first 2 shown]
	s_waitcnt vmcnt(0)
	v_mov_b64_e32 v[2:3], v[4:5]
	v_mov_b64_e32 v[4:5], v[6:7]
	;; [unrolled: 1-line block ×4, first 2 shown]
.LBB884_157:
	s_or_b64 exec, exec, s[0:1]
	v_or_b32_e32 v1, 0x100, v0
	v_cmp_gt_u32_e32 vcc, s12, v1
	s_and_saveexec_b64 s[0:1], vcc
	s_cbranch_execz .LBB884_159
; %bb.158:
	v_lshlrev_b32_e32 v1, 3, v0
	global_load_dwordx2 v[4:5], v1, s[8:9] offset:2048
.LBB884_159:
	s_or_b64 exec, exec, s[0:1]
	v_or_b32_e32 v1, 0x200, v0
	v_cmp_gt_u32_e64 s[0:1], s12, v1
	s_and_saveexec_b64 s[4:5], s[0:1]
	s_cbranch_execz .LBB884_161
; %bb.160:
	v_lshlrev_b32_e32 v1, 3, v1
	global_load_dwordx2 v[6:7], v1, s[8:9]
.LBB884_161:
	s_or_b64 exec, exec, s[4:5]
	v_or_b32_e32 v1, 0x300, v0
	v_cmp_gt_u32_e64 s[4:5], s12, v1
	s_and_saveexec_b64 s[10:11], s[4:5]
	s_cbranch_execnz .LBB884_271
; %bb.162:
	s_or_b64 exec, exec, s[10:11]
	s_and_saveexec_b64 s[8:9], vcc
	s_cbranch_execnz .LBB884_272
.LBB884_163:
	s_or_b64 exec, exec, s[8:9]
	s_and_saveexec_b64 s[8:9], s[0:1]
	s_cbranch_execnz .LBB884_273
.LBB884_164:
	s_or_b64 exec, exec, s[8:9]
	s_and_saveexec_b64 s[0:1], s[4:5]
	s_cbranch_execz .LBB884_166
.LBB884_165:
	s_waitcnt vmcnt(0)
	v_add_u32_e32 v3, v2, v8
	v_mov_b32_e32 v2, 0
	v_ashrrev_i64 v[2:3], 29, v[2:3]
	v_lshl_add_u64 v[2:3], s[30:31], 0, v[2:3]
	global_load_dwordx2 v[2:3], v[2:3], off
.LBB884_166:
	s_or_b64 exec, exec, s[0:1]
	v_mbcnt_lo_u32_b32 v1, -1, 0
	v_mbcnt_hi_u32_b32 v1, -1, v1
	s_waitcnt vmcnt(0)
	v_and_b32_e32 v4, 63, v1
	v_cmp_ne_u32_e32 vcc, 63, v4
	s_min_u32 s4, s12, 0x100
	v_add_u32_e32 v7, 1, v4
	v_addc_co_u32_e32 v5, vcc, 0, v1, vcc
	v_lshlrev_b32_e32 v5, 2, v5
	ds_bpermute_b32 v6, v5, v2
	v_and_b32_e32 v5, 0xc0, v0
	v_sub_u32_e64 v5, s4, v5 clamp
	v_cmp_lt_u32_e32 vcc, v7, v5
	s_and_saveexec_b64 s[0:1], vcc
	s_xor_b64 s[0:1], exec, s[0:1]
	s_cbranch_execz .LBB884_168
; %bb.167:
	s_waitcnt lgkmcnt(0)
	v_add_u32_e32 v3, v2, v6
	v_mov_b32_e32 v2, 0
	v_ashrrev_i64 v[2:3], 29, v[2:3]
	v_lshl_add_u64 v[2:3], s[30:31], 0, v[2:3]
	global_load_dwordx2 v[2:3], v[2:3], off
.LBB884_168:
	s_or_b64 exec, exec, s[0:1]
	v_cmp_gt_u32_e32 vcc, 62, v4
	v_add_u32_e32 v7, 2, v4
	s_waitcnt lgkmcnt(0)
	v_cndmask_b32_e64 v6, 0, 2, vcc
	v_add_lshl_u32 v6, v6, v1, 2
	s_waitcnt vmcnt(0)
	ds_bpermute_b32 v6, v6, v2
	v_cmp_lt_u32_e32 vcc, v7, v5
	s_and_saveexec_b64 s[0:1], vcc
	s_cbranch_execz .LBB884_170
; %bb.169:
	s_waitcnt lgkmcnt(0)
	v_add_u32_e32 v3, v2, v6
	v_mov_b32_e32 v2, 0
	v_ashrrev_i64 v[2:3], 29, v[2:3]
	v_lshl_add_u64 v[2:3], s[30:31], 0, v[2:3]
	global_load_dwordx2 v[2:3], v[2:3], off
.LBB884_170:
	s_or_b64 exec, exec, s[0:1]
	v_cmp_gt_u32_e32 vcc, 60, v4
	v_add_u32_e32 v7, 4, v4
	s_waitcnt lgkmcnt(0)
	v_cndmask_b32_e64 v6, 0, 4, vcc
	v_add_lshl_u32 v6, v6, v1, 2
	s_waitcnt vmcnt(0)
	ds_bpermute_b32 v6, v6, v2
	v_cmp_lt_u32_e32 vcc, v7, v5
	s_and_saveexec_b64 s[0:1], vcc
	;; [unrolled: 19-line block ×4, first 2 shown]
	s_cbranch_execz .LBB884_176
; %bb.175:
	s_waitcnt lgkmcnt(0)
	v_add_u32_e32 v3, v2, v6
	v_mov_b32_e32 v2, 0
	v_ashrrev_i64 v[2:3], 29, v[2:3]
	v_lshl_add_u64 v[2:3], s[30:31], 0, v[2:3]
	global_load_dwordx2 v[2:3], v[2:3], off
.LBB884_176:
	s_or_b64 exec, exec, s[0:1]
	s_waitcnt lgkmcnt(0)
	v_lshlrev_b32_e32 v6, 2, v1
	v_or_b32_e32 v7, 0x80, v6
	s_waitcnt vmcnt(0)
	ds_bpermute_b32 v7, v7, v2
	v_add_u32_e32 v4, 32, v4
	v_cmp_lt_u32_e32 vcc, v4, v5
	s_and_saveexec_b64 s[0:1], vcc
	s_cbranch_execz .LBB884_178
; %bb.177:
	s_waitcnt lgkmcnt(0)
	v_add_u32_e32 v3, v2, v7
	v_mov_b32_e32 v2, 0
	v_ashrrev_i64 v[2:3], 29, v[2:3]
	v_lshl_add_u64 v[2:3], s[30:31], 0, v[2:3]
	global_load_dwordx2 v[2:3], v[2:3], off
.LBB884_178:
	s_or_b64 exec, exec, s[0:1]
	v_cmp_eq_u32_e32 vcc, 0, v1
	s_and_saveexec_b64 s[0:1], vcc
	s_cbranch_execz .LBB884_180
; %bb.179:
	v_lshrrev_b32_e32 v4, 3, v0
	v_and_b32_e32 v4, 24, v4
	s_waitcnt vmcnt(0)
	ds_write_b64 v4, v[2:3]
.LBB884_180:
	s_or_b64 exec, exec, s[0:1]
	v_cmp_gt_u32_e32 vcc, 4, v0
	s_waitcnt lgkmcnt(0)
	s_barrier
                                        ; implicit-def: $vgpr4
	s_and_saveexec_b64 s[0:1], vcc
	s_cbranch_execz .LBB884_184
; %bb.181:
	s_waitcnt vmcnt(0)
	v_lshlrev_b32_e32 v2, 3, v1
	ds_read_b64 v[2:3], v2
	v_and_b32_e32 v4, 3, v1
	v_cmp_ne_u32_e32 vcc, 3, v4
	s_add_i32 s4, s4, 63
	s_lshr_b32 s8, s4, 6
	v_addc_co_u32_e32 v1, vcc, 0, v1, vcc
	v_lshlrev_b32_e32 v1, 2, v1
	s_waitcnt lgkmcnt(0)
	ds_bpermute_b32 v1, v1, v2
	v_add_u32_e32 v3, 1, v4
	v_cmp_gt_u32_e32 vcc, s8, v3
	s_and_saveexec_b64 s[4:5], vcc
	s_cbranch_execz .LBB884_183
; %bb.182:
	s_waitcnt lgkmcnt(0)
	v_add_u32_e32 v3, v2, v1
	v_mov_b32_e32 v2, 0
	v_ashrrev_i64 v[2:3], 29, v[2:3]
	v_lshl_add_u64 v[2:3], s[30:31], 0, v[2:3]
	global_load_dwordx2 v[2:3], v[2:3], off
.LBB884_183:
	s_or_b64 exec, exec, s[4:5]
	s_waitcnt vmcnt(0)
	v_or_b32_e32 v3, 8, v6
	s_waitcnt lgkmcnt(0)
	v_add_u32_e32 v1, 2, v4
	ds_bpermute_b32 v4, v3, v2
	v_cmp_gt_u32_e32 vcc, s8, v1
	s_andn2_b64 s[4:5], s[6:7], exec
	s_and_b64 s[6:7], vcc, exec
	s_or_b64 s[6:7], s[4:5], s[6:7]
.LBB884_184:
	s_or_b64 exec, exec, s[0:1]
.LBB884_185:
	s_and_saveexec_b64 s[0:1], s[6:7]
	s_cbranch_execz .LBB884_187
; %bb.186:
	s_waitcnt vmcnt(0) lgkmcnt(0)
	v_add_u32_e32 v3, v2, v4
	v_mov_b32_e32 v2, 0
	v_ashrrev_i64 v[2:3], 29, v[2:3]
	v_lshl_add_u64 v[2:3], s[30:31], 0, v[2:3]
	global_load_dwordx2 v[2:3], v[2:3], off
.LBB884_187:
	s_or_b64 exec, exec, s[0:1]
	v_cmp_eq_u32_e32 vcc, 0, v0
	s_and_saveexec_b64 s[0:1], vcc
	s_xor_b64 s[0:1], exec, s[0:1]
	s_cbranch_execz .LBB884_189
; %bb.188:
	s_cmp_eq_u64 s[38:39], 0
	s_cselect_b64 s[4:5], -1, 0
	s_cmp_lg_u64 s[38:39], 0
	s_cselect_b64 s[6:7], -1, 0
	s_andn2_b64 s[8:9], s[14:15], exec
	s_and_b64 s[4:5], s[4:5], exec
	s_or_b64 s[14:15], s[8:9], s[4:5]
	s_andn2_b64 s[4:5], s[16:17], exec
	s_and_b64 s[6:7], s[6:7], exec
	s_or_b64 s[16:17], s[4:5], s[6:7]
.LBB884_189:
	s_or_b64 exec, exec, s[0:1]
	s_branch .LBB884_239
.LBB884_190:
	s_cmp_gt_i32 s33, 1
	s_cbranch_scc0 .LBB884_198
; %bb.191:
	s_cmp_eq_u32 s33, 2
	s_cbranch_scc0 .LBB884_199
; %bb.192:
	s_mov_b32 s3, 0
	s_lshl_b32 s6, s2, 9
	s_mov_b32 s7, s3
	s_lshr_b64 s[0:1], s[38:39], 9
	s_lshl_b64 s[4:5], s[6:7], 3
	s_add_u32 s4, s36, s4
	s_addc_u32 s5, s37, s5
	s_cmp_lg_u64 s[0:1], s[2:3]
	s_cbranch_scc0 .LBB884_200
; %bb.193:
	v_lshlrev_b32_e32 v1, 3, v0
	global_load_dword v3, v1, s[4:5]
	s_waitcnt lgkmcnt(0)
	global_load_dword v4, v1, s[4:5] offset:2048
	s_waitcnt vmcnt(2)
	v_mov_b32_e32 v2, 0
	s_waitcnt vmcnt(0)
	v_add_u32_e32 v3, v4, v3
	v_ashrrev_i64 v[4:5], 29, v[2:3]
	v_lshl_add_u64 v[4:5], s[30:31], 0, v[4:5]
	global_load_dword v1, v[4:5], off
	s_waitcnt vmcnt(0)
	s_nop 0
	v_add_u32_dpp v3, v1, v1 quad_perm:[1,0,3,2] row_mask:0xf bank_mask:0xf bound_ctrl:1
	v_ashrrev_i64 v[4:5], 29, v[2:3]
	v_lshl_add_u64 v[4:5], s[30:31], 0, v[4:5]
	global_load_dword v1, v[4:5], off
	s_waitcnt vmcnt(0)
	s_nop 0
	v_add_u32_dpp v3, v1, v1 quad_perm:[2,3,0,1] row_mask:0xf bank_mask:0xf bound_ctrl:1
	v_ashrrev_i64 v[4:5], 29, v[2:3]
	v_lshl_add_u64 v[4:5], s[30:31], 0, v[4:5]
	global_load_dword v1, v[4:5], off
	s_waitcnt vmcnt(0)
	s_nop 0
	v_add_u32_dpp v3, v1, v1 row_ror:4 row_mask:0xf bank_mask:0xf bound_ctrl:1
	v_ashrrev_i64 v[4:5], 29, v[2:3]
	v_lshl_add_u64 v[4:5], s[30:31], 0, v[4:5]
	global_load_dword v1, v[4:5], off
	s_waitcnt vmcnt(0)
	s_nop 0
	v_add_u32_dpp v3, v1, v1 row_ror:8 row_mask:0xf bank_mask:0xf bound_ctrl:1
	v_ashrrev_i64 v[4:5], 29, v[2:3]
	v_lshl_add_u64 v[4:5], s[30:31], 0, v[4:5]
	global_load_dword v1, v[4:5], off
	s_waitcnt vmcnt(0)
	s_nop 0
	v_add_u32_dpp v3, v1, v1 row_bcast:15 row_mask:0xf bank_mask:0xf bound_ctrl:1
	v_ashrrev_i64 v[4:5], 29, v[2:3]
	v_lshl_add_u64 v[4:5], s[30:31], 0, v[4:5]
	global_load_dword v1, v[4:5], off
	s_waitcnt vmcnt(0)
	s_nop 0
	v_add_u32_dpp v3, v1, v1 row_bcast:31 row_mask:0xf bank_mask:0xf bound_ctrl:1
	v_ashrrev_i64 v[2:3], 29, v[2:3]
	v_lshl_add_u64 v[2:3], s[30:31], 0, v[2:3]
	global_load_dwordx2 v[2:3], v[2:3], off
	v_mbcnt_lo_u32_b32 v1, -1, 0
	v_mbcnt_hi_u32_b32 v5, -1, v1
	v_lshlrev_b32_e32 v1, 2, v5
	v_or_b32_e32 v4, 0xfc, v1
	v_cmp_eq_u32_e32 vcc, 0, v5
	s_waitcnt vmcnt(0)
	ds_bpermute_b32 v2, v4, v2
	ds_bpermute_b32 v3, v4, v3
	s_and_saveexec_b64 s[0:1], vcc
	s_cbranch_execz .LBB884_195
; %bb.194:
	v_lshrrev_b32_e32 v4, 3, v0
	v_and_b32_e32 v4, 24, v4
	s_waitcnt lgkmcnt(0)
	ds_write_b64 v4, v[2:3] offset:96
.LBB884_195:
	s_or_b64 exec, exec, s[0:1]
	v_cmp_gt_u32_e32 vcc, 64, v0
	s_mov_b64 s[8:9], 0
	s_mov_b64 s[0:1], 0
	s_waitcnt lgkmcnt(0)
	s_barrier
                                        ; implicit-def: $vgpr4
	s_and_saveexec_b64 s[10:11], vcc
	s_xor_b64 s[10:11], exec, s[10:11]
	s_cbranch_execz .LBB884_197
; %bb.196:
	v_and_b32_e32 v2, 3, v5
	v_lshlrev_b32_e32 v3, 3, v2
	ds_read_b32 v3, v3 offset:96
	v_cmp_ne_u32_e32 vcc, 3, v2
	v_or_b32_e32 v1, 8, v1
	s_mov_b64 s[0:1], exec
	v_addc_co_u32_e32 v2, vcc, 0, v5, vcc
	v_lshlrev_b32_e32 v2, 2, v2
	s_waitcnt lgkmcnt(0)
	ds_bpermute_b32 v2, v2, v3
	s_waitcnt lgkmcnt(0)
	v_add_u32_e32 v3, v3, v2
	v_mov_b32_e32 v2, 0
	v_ashrrev_i64 v[2:3], 29, v[2:3]
	v_lshl_add_u64 v[2:3], s[30:31], 0, v[2:3]
	global_load_dwordx2 v[2:3], v[2:3], off
	s_waitcnt vmcnt(0)
	ds_bpermute_b32 v4, v1, v2
.LBB884_197:
	s_or_b64 exec, exec, s[10:11]
	s_and_b64 vcc, exec, s[8:9]
	s_cbranch_vccnz .LBB884_201
	s_branch .LBB884_226
.LBB884_198:
                                        ; implicit-def: $vgpr2_vgpr3
	s_cbranch_execnz .LBB884_231
	s_branch .LBB884_239
.LBB884_199:
                                        ; implicit-def: $vgpr2_vgpr3
	s_branch .LBB884_239
.LBB884_200:
	s_mov_b64 s[0:1], 0
                                        ; implicit-def: $vgpr4
                                        ; implicit-def: $vgpr2_vgpr3
	s_cbranch_execz .LBB884_226
.LBB884_201:
	s_sub_i32 s8, s38, s6
	s_waitcnt vmcnt(0)
	v_mov_b32_e32 v2, 0
	v_cmp_gt_u32_e32 vcc, s8, v0
	v_mov_b32_e32 v3, v2
	s_waitcnt lgkmcnt(0)
	v_mov_b32_e32 v4, v2
	s_and_saveexec_b64 s[6:7], vcc
	s_cbranch_execz .LBB884_203
; %bb.202:
	v_lshlrev_b32_e32 v1, 3, v0
	global_load_dwordx2 v[4:5], v1, s[4:5]
	v_mov_b32_e32 v6, v2
	s_waitcnt vmcnt(0)
	v_mov_b64_e32 v[2:3], v[4:5]
	v_mov_b64_e32 v[4:5], v[6:7]
.LBB884_203:
	s_or_b64 exec, exec, s[6:7]
	v_or_b32_e32 v1, 0x100, v0
	v_cmp_gt_u32_e32 vcc, s8, v1
	s_and_saveexec_b64 s[6:7], vcc
	s_cbranch_execz .LBB884_205
; %bb.204:
	v_lshlrev_b32_e32 v1, 3, v0
	global_load_dwordx2 v[4:5], v1, s[4:5] offset:2048
.LBB884_205:
	s_or_b64 exec, exec, s[6:7]
	s_and_saveexec_b64 s[4:5], vcc
	s_cbranch_execz .LBB884_207
; %bb.206:
	s_waitcnt vmcnt(0)
	v_add_u32_e32 v3, v2, v4
	v_mov_b32_e32 v2, 0
	v_ashrrev_i64 v[2:3], 29, v[2:3]
	v_lshl_add_u64 v[2:3], s[30:31], 0, v[2:3]
	global_load_dwordx2 v[2:3], v[2:3], off
.LBB884_207:
	s_or_b64 exec, exec, s[4:5]
	v_mbcnt_lo_u32_b32 v1, -1, 0
	v_mbcnt_hi_u32_b32 v1, -1, v1
	s_waitcnt vmcnt(0)
	v_and_b32_e32 v4, 63, v1
	v_cmp_ne_u32_e32 vcc, 63, v4
	s_min_u32 s6, s8, 0x100
	v_add_u32_e32 v7, 1, v4
	v_addc_co_u32_e32 v5, vcc, 0, v1, vcc
	v_lshlrev_b32_e32 v5, 2, v5
	ds_bpermute_b32 v6, v5, v2
	v_and_b32_e32 v5, 0xc0, v0
	v_sub_u32_e64 v5, s6, v5 clamp
	v_cmp_lt_u32_e32 vcc, v7, v5
	s_and_saveexec_b64 s[4:5], vcc
	s_xor_b64 s[4:5], exec, s[4:5]
	s_cbranch_execz .LBB884_209
; %bb.208:
	s_waitcnt lgkmcnt(0)
	v_add_u32_e32 v3, v2, v6
	v_mov_b32_e32 v2, 0
	v_ashrrev_i64 v[2:3], 29, v[2:3]
	v_lshl_add_u64 v[2:3], s[30:31], 0, v[2:3]
	global_load_dwordx2 v[2:3], v[2:3], off
.LBB884_209:
	s_or_b64 exec, exec, s[4:5]
	v_cmp_gt_u32_e32 vcc, 62, v4
	v_add_u32_e32 v7, 2, v4
	s_waitcnt lgkmcnt(0)
	v_cndmask_b32_e64 v6, 0, 2, vcc
	v_add_lshl_u32 v6, v6, v1, 2
	s_waitcnt vmcnt(0)
	ds_bpermute_b32 v6, v6, v2
	v_cmp_lt_u32_e32 vcc, v7, v5
	s_and_saveexec_b64 s[4:5], vcc
	s_cbranch_execz .LBB884_211
; %bb.210:
	s_waitcnt lgkmcnt(0)
	v_add_u32_e32 v3, v2, v6
	v_mov_b32_e32 v2, 0
	v_ashrrev_i64 v[2:3], 29, v[2:3]
	v_lshl_add_u64 v[2:3], s[30:31], 0, v[2:3]
	global_load_dwordx2 v[2:3], v[2:3], off
.LBB884_211:
	s_or_b64 exec, exec, s[4:5]
	v_cmp_gt_u32_e32 vcc, 60, v4
	v_add_u32_e32 v7, 4, v4
	s_waitcnt lgkmcnt(0)
	v_cndmask_b32_e64 v6, 0, 4, vcc
	v_add_lshl_u32 v6, v6, v1, 2
	s_waitcnt vmcnt(0)
	ds_bpermute_b32 v6, v6, v2
	v_cmp_lt_u32_e32 vcc, v7, v5
	s_and_saveexec_b64 s[4:5], vcc
	s_cbranch_execz .LBB884_213
; %bb.212:
	s_waitcnt lgkmcnt(0)
	v_add_u32_e32 v3, v2, v6
	v_mov_b32_e32 v2, 0
	v_ashrrev_i64 v[2:3], 29, v[2:3]
	v_lshl_add_u64 v[2:3], s[30:31], 0, v[2:3]
	global_load_dwordx2 v[2:3], v[2:3], off
.LBB884_213:
	s_or_b64 exec, exec, s[4:5]
	v_cmp_gt_u32_e32 vcc, 56, v4
	v_add_u32_e32 v7, 8, v4
	s_waitcnt lgkmcnt(0)
	v_cndmask_b32_e64 v6, 0, 8, vcc
	v_add_lshl_u32 v6, v6, v1, 2
	s_waitcnt vmcnt(0)
	ds_bpermute_b32 v6, v6, v2
	v_cmp_lt_u32_e32 vcc, v7, v5
	s_and_saveexec_b64 s[4:5], vcc
	s_cbranch_execz .LBB884_215
; %bb.214:
	s_waitcnt lgkmcnt(0)
	v_add_u32_e32 v3, v2, v6
	v_mov_b32_e32 v2, 0
	v_ashrrev_i64 v[2:3], 29, v[2:3]
	v_lshl_add_u64 v[2:3], s[30:31], 0, v[2:3]
	global_load_dwordx2 v[2:3], v[2:3], off
.LBB884_215:
	s_or_b64 exec, exec, s[4:5]
	v_cmp_gt_u32_e32 vcc, 48, v4
	v_add_u32_e32 v7, 16, v4
	s_waitcnt lgkmcnt(0)
	v_cndmask_b32_e64 v6, 0, 16, vcc
	v_add_lshl_u32 v6, v6, v1, 2
	s_waitcnt vmcnt(0)
	ds_bpermute_b32 v6, v6, v2
	v_cmp_lt_u32_e32 vcc, v7, v5
	s_and_saveexec_b64 s[4:5], vcc
	s_cbranch_execz .LBB884_217
; %bb.216:
	s_waitcnt lgkmcnt(0)
	v_add_u32_e32 v3, v2, v6
	v_mov_b32_e32 v2, 0
	v_ashrrev_i64 v[2:3], 29, v[2:3]
	v_lshl_add_u64 v[2:3], s[30:31], 0, v[2:3]
	global_load_dwordx2 v[2:3], v[2:3], off
.LBB884_217:
	s_or_b64 exec, exec, s[4:5]
	s_waitcnt lgkmcnt(0)
	v_lshlrev_b32_e32 v6, 2, v1
	v_or_b32_e32 v7, 0x80, v6
	s_waitcnt vmcnt(0)
	ds_bpermute_b32 v7, v7, v2
	v_add_u32_e32 v4, 32, v4
	v_cmp_lt_u32_e32 vcc, v4, v5
	s_and_saveexec_b64 s[4:5], vcc
	s_cbranch_execz .LBB884_219
; %bb.218:
	s_waitcnt lgkmcnt(0)
	v_add_u32_e32 v3, v2, v7
	v_mov_b32_e32 v2, 0
	v_ashrrev_i64 v[2:3], 29, v[2:3]
	v_lshl_add_u64 v[2:3], s[30:31], 0, v[2:3]
	global_load_dwordx2 v[2:3], v[2:3], off
.LBB884_219:
	s_or_b64 exec, exec, s[4:5]
	v_cmp_eq_u32_e32 vcc, 0, v1
	s_and_saveexec_b64 s[4:5], vcc
	s_cbranch_execz .LBB884_221
; %bb.220:
	v_lshrrev_b32_e32 v4, 3, v0
	v_and_b32_e32 v4, 24, v4
	s_waitcnt vmcnt(0)
	ds_write_b64 v4, v[2:3]
.LBB884_221:
	s_or_b64 exec, exec, s[4:5]
	v_cmp_gt_u32_e32 vcc, 4, v0
	s_waitcnt lgkmcnt(0)
	s_barrier
                                        ; implicit-def: $vgpr4
	s_and_saveexec_b64 s[4:5], vcc
	s_cbranch_execz .LBB884_225
; %bb.222:
	s_waitcnt vmcnt(0)
	v_lshlrev_b32_e32 v2, 3, v1
	ds_read_b64 v[2:3], v2
	v_and_b32_e32 v4, 3, v1
	v_cmp_ne_u32_e32 vcc, 3, v4
	s_add_i32 s6, s6, 63
	s_lshr_b32 s8, s6, 6
	v_addc_co_u32_e32 v1, vcc, 0, v1, vcc
	v_lshlrev_b32_e32 v1, 2, v1
	s_waitcnt lgkmcnt(0)
	ds_bpermute_b32 v1, v1, v2
	v_add_u32_e32 v3, 1, v4
	v_cmp_gt_u32_e32 vcc, s8, v3
	s_and_saveexec_b64 s[6:7], vcc
	s_cbranch_execz .LBB884_224
; %bb.223:
	s_waitcnt lgkmcnt(0)
	v_add_u32_e32 v3, v2, v1
	v_mov_b32_e32 v2, 0
	v_ashrrev_i64 v[2:3], 29, v[2:3]
	v_lshl_add_u64 v[2:3], s[30:31], 0, v[2:3]
	global_load_dwordx2 v[2:3], v[2:3], off
.LBB884_224:
	s_or_b64 exec, exec, s[6:7]
	s_waitcnt vmcnt(0)
	v_or_b32_e32 v3, 8, v6
	s_waitcnt lgkmcnt(0)
	v_add_u32_e32 v1, 2, v4
	ds_bpermute_b32 v4, v3, v2
	v_cmp_gt_u32_e32 vcc, s8, v1
	s_andn2_b64 s[0:1], s[0:1], exec
	s_and_b64 s[6:7], vcc, exec
	s_or_b64 s[0:1], s[0:1], s[6:7]
.LBB884_225:
	s_or_b64 exec, exec, s[4:5]
.LBB884_226:
	s_and_saveexec_b64 s[4:5], s[0:1]
	s_cbranch_execz .LBB884_228
; %bb.227:
	s_waitcnt vmcnt(0) lgkmcnt(0)
	v_add_u32_e32 v3, v2, v4
	v_mov_b32_e32 v2, 0
	v_ashrrev_i64 v[2:3], 29, v[2:3]
	v_lshl_add_u64 v[2:3], s[30:31], 0, v[2:3]
	global_load_dwordx2 v[2:3], v[2:3], off
.LBB884_228:
	s_or_b64 exec, exec, s[4:5]
	v_cmp_eq_u32_e32 vcc, 0, v0
	s_and_saveexec_b64 s[0:1], vcc
	s_xor_b64 s[0:1], exec, s[0:1]
	s_cbranch_execz .LBB884_230
; %bb.229:
	s_cmp_eq_u64 s[38:39], 0
	s_cselect_b64 s[4:5], -1, 0
	s_cmp_lg_u64 s[38:39], 0
	s_cselect_b64 s[6:7], -1, 0
	s_andn2_b64 s[8:9], s[14:15], exec
	s_and_b64 s[4:5], s[4:5], exec
	s_or_b64 s[14:15], s[8:9], s[4:5]
	s_andn2_b64 s[4:5], s[16:17], exec
	s_and_b64 s[6:7], s[6:7], exec
	s_or_b64 s[16:17], s[4:5], s[6:7]
.LBB884_230:
	s_or_b64 exec, exec, s[0:1]
	s_branch .LBB884_239
.LBB884_231:
	s_cmp_eq_u32 s33, 1
	s_cbranch_scc0 .LBB884_238
; %bb.232:
	s_mov_b32 s5, 0
	s_lshl_b32 s4, s2, 8
	s_mov_b32 s3, s5
	s_lshr_b64 s[0:1], s[38:39], 8
	s_cmp_lg_u64 s[0:1], s[2:3]
	v_mbcnt_lo_u32_b32 v1, -1, 0
	s_cbranch_scc0 .LBB884_242
; %bb.233:
	s_lshl_b64 s[0:1], s[4:5], 3
	s_add_u32 s0, s36, s0
	s_addc_u32 s1, s37, s1
	s_waitcnt vmcnt(0)
	v_lshlrev_b32_e32 v2, 3, v0
	global_load_dword v3, v2, s[0:1]
	v_mov_b32_e32 v2, 0
	v_mbcnt_hi_u32_b32 v6, -1, v1
	v_cmp_eq_u32_e32 vcc, 0, v6
	s_waitcnt vmcnt(0)
	v_add_u32_dpp v3, v3, v3 quad_perm:[1,0,3,2] row_mask:0xf bank_mask:0xf bound_ctrl:1
	s_waitcnt lgkmcnt(0)
	v_ashrrev_i64 v[4:5], 29, v[2:3]
	v_lshl_add_u64 v[4:5], s[30:31], 0, v[4:5]
	global_load_dword v3, v[4:5], off
	s_waitcnt vmcnt(0)
	s_nop 0
	v_add_u32_dpp v3, v3, v3 quad_perm:[2,3,0,1] row_mask:0xf bank_mask:0xf bound_ctrl:1
	v_ashrrev_i64 v[4:5], 29, v[2:3]
	v_lshl_add_u64 v[4:5], s[30:31], 0, v[4:5]
	global_load_dword v3, v[4:5], off
	s_waitcnt vmcnt(0)
	s_nop 0
	v_add_u32_dpp v3, v3, v3 row_ror:4 row_mask:0xf bank_mask:0xf bound_ctrl:1
	v_ashrrev_i64 v[4:5], 29, v[2:3]
	v_lshl_add_u64 v[4:5], s[30:31], 0, v[4:5]
	global_load_dword v3, v[4:5], off
	s_waitcnt vmcnt(0)
	s_nop 0
	v_add_u32_dpp v3, v3, v3 row_ror:8 row_mask:0xf bank_mask:0xf bound_ctrl:1
	v_ashrrev_i64 v[4:5], 29, v[2:3]
	v_lshl_add_u64 v[4:5], s[30:31], 0, v[4:5]
	global_load_dword v3, v[4:5], off
	s_waitcnt vmcnt(0)
	s_nop 0
	v_add_u32_dpp v3, v3, v3 row_bcast:15 row_mask:0xf bank_mask:0xf bound_ctrl:1
	v_ashrrev_i64 v[4:5], 29, v[2:3]
	v_lshl_add_u64 v[4:5], s[30:31], 0, v[4:5]
	global_load_dword v3, v[4:5], off
	v_lshlrev_b32_e32 v5, 2, v6
	v_or_b32_e32 v4, 0xfc, v5
	s_waitcnt vmcnt(0)
	v_add_u32_dpp v3, v3, v3 row_bcast:31 row_mask:0xf bank_mask:0xf bound_ctrl:1
	v_ashrrev_i64 v[2:3], 29, v[2:3]
	v_lshl_add_u64 v[2:3], s[30:31], 0, v[2:3]
	global_load_dwordx2 v[2:3], v[2:3], off
	s_waitcnt vmcnt(0)
	ds_bpermute_b32 v2, v4, v2
	ds_bpermute_b32 v3, v4, v3
	s_and_saveexec_b64 s[0:1], vcc
	s_cbranch_execz .LBB884_235
; %bb.234:
	v_lshrrev_b32_e32 v4, 3, v0
	v_and_b32_e32 v4, 24, v4
	s_waitcnt lgkmcnt(0)
	ds_write_b64 v4, v[2:3] offset:64
.LBB884_235:
	s_or_b64 exec, exec, s[0:1]
	v_cmp_gt_u32_e32 vcc, 64, v0
	s_mov_b64 s[6:7], 0
	s_mov_b64 s[0:1], 0
	s_waitcnt lgkmcnt(0)
	s_barrier
                                        ; implicit-def: $vgpr4
	s_and_saveexec_b64 s[8:9], vcc
	s_xor_b64 s[8:9], exec, s[8:9]
	s_cbranch_execz .LBB884_237
; %bb.236:
	v_and_b32_e32 v2, 3, v6
	v_lshlrev_b32_e32 v3, 3, v2
	ds_read_b32 v3, v3 offset:64
	v_cmp_ne_u32_e32 vcc, 3, v2
	s_mov_b64 s[0:1], exec
	s_nop 0
	v_addc_co_u32_e32 v2, vcc, 0, v6, vcc
	v_lshlrev_b32_e32 v2, 2, v2
	s_waitcnt lgkmcnt(0)
	ds_bpermute_b32 v2, v2, v3
	s_waitcnt lgkmcnt(0)
	v_add_u32_e32 v3, v3, v2
	v_mov_b32_e32 v2, 0
	v_ashrrev_i64 v[2:3], 29, v[2:3]
	v_lshl_add_u64 v[2:3], s[30:31], 0, v[2:3]
	global_load_dwordx2 v[2:3], v[2:3], off
	s_waitcnt vmcnt(0)
	v_or_b32_e32 v3, 8, v5
	ds_bpermute_b32 v4, v3, v2
.LBB884_237:
	s_or_b64 exec, exec, s[8:9]
	s_and_b64 vcc, exec, s[6:7]
	s_cbranch_vccnz .LBB884_243
	s_branch .LBB884_264
.LBB884_238:
                                        ; implicit-def: $sgpr2_sgpr3
                                        ; implicit-def: $vgpr2_vgpr3
.LBB884_239:
	v_mov_b64_e32 v[0:1], s[42:43]
	s_and_saveexec_b64 s[0:1], s[16:17]
	s_cbranch_execnz .LBB884_269
.LBB884_240:
	s_or_b64 exec, exec, s[0:1]
	s_and_saveexec_b64 s[0:1], s[14:15]
	s_cbranch_execnz .LBB884_270
.LBB884_241:
	s_endpgm
.LBB884_242:
	s_mov_b64 s[0:1], 0
                                        ; implicit-def: $vgpr4
                                        ; implicit-def: $vgpr2_vgpr3
	s_cbranch_execz .LBB884_264
.LBB884_243:
	s_sub_i32 s8, s38, s4
	v_cmp_gt_u32_e32 vcc, s8, v0
                                        ; implicit-def: $vgpr2_vgpr3
	s_and_saveexec_b64 s[6:7], vcc
	s_cbranch_execz .LBB884_245
; %bb.244:
	s_lshl_b64 s[4:5], s[4:5], 3
	s_add_u32 s4, s36, s4
	s_addc_u32 s5, s37, s5
	s_waitcnt vmcnt(0)
	v_lshlrev_b32_e32 v2, 3, v0
	global_load_dwordx2 v[2:3], v2, s[4:5]
.LBB884_245:
	s_or_b64 exec, exec, s[6:7]
	v_mbcnt_hi_u32_b32 v1, -1, v1
	s_waitcnt lgkmcnt(0)
	v_and_b32_e32 v4, 63, v1
	v_cmp_ne_u32_e32 vcc, 63, v4
	s_min_u32 s6, s8, 0x100
	v_add_u32_e32 v7, 1, v4
	v_addc_co_u32_e32 v5, vcc, 0, v1, vcc
	v_lshlrev_b32_e32 v5, 2, v5
	s_waitcnt vmcnt(0)
	ds_bpermute_b32 v6, v5, v2
	v_and_b32_e32 v5, 0xc0, v0
	v_sub_u32_e64 v5, s6, v5 clamp
	v_cmp_lt_u32_e32 vcc, v7, v5
	s_and_saveexec_b64 s[4:5], vcc
	s_cbranch_execz .LBB884_247
; %bb.246:
	s_waitcnt lgkmcnt(0)
	v_add_u32_e32 v3, v2, v6
	v_mov_b32_e32 v2, 0
	v_ashrrev_i64 v[2:3], 29, v[2:3]
	v_lshl_add_u64 v[2:3], s[30:31], 0, v[2:3]
	global_load_dwordx2 v[2:3], v[2:3], off
.LBB884_247:
	s_or_b64 exec, exec, s[4:5]
	v_cmp_gt_u32_e32 vcc, 62, v4
	v_add_u32_e32 v7, 2, v4
	s_waitcnt lgkmcnt(0)
	v_cndmask_b32_e64 v6, 0, 2, vcc
	v_add_lshl_u32 v6, v6, v1, 2
	s_waitcnt vmcnt(0)
	ds_bpermute_b32 v6, v6, v2
	v_cmp_lt_u32_e32 vcc, v7, v5
	s_and_saveexec_b64 s[4:5], vcc
	s_cbranch_execz .LBB884_249
; %bb.248:
	s_waitcnt lgkmcnt(0)
	v_add_u32_e32 v3, v2, v6
	v_mov_b32_e32 v2, 0
	v_ashrrev_i64 v[2:3], 29, v[2:3]
	v_lshl_add_u64 v[2:3], s[30:31], 0, v[2:3]
	global_load_dwordx2 v[2:3], v[2:3], off
.LBB884_249:
	s_or_b64 exec, exec, s[4:5]
	v_cmp_gt_u32_e32 vcc, 60, v4
	v_add_u32_e32 v7, 4, v4
	s_waitcnt lgkmcnt(0)
	v_cndmask_b32_e64 v6, 0, 4, vcc
	v_add_lshl_u32 v6, v6, v1, 2
	s_waitcnt vmcnt(0)
	ds_bpermute_b32 v6, v6, v2
	;; [unrolled: 19-line block ×4, first 2 shown]
	v_cmp_lt_u32_e32 vcc, v7, v5
	s_and_saveexec_b64 s[4:5], vcc
	s_cbranch_execz .LBB884_255
; %bb.254:
	s_waitcnt lgkmcnt(0)
	v_add_u32_e32 v3, v2, v6
	v_mov_b32_e32 v2, 0
	v_ashrrev_i64 v[2:3], 29, v[2:3]
	v_lshl_add_u64 v[2:3], s[30:31], 0, v[2:3]
	global_load_dwordx2 v[2:3], v[2:3], off
.LBB884_255:
	s_or_b64 exec, exec, s[4:5]
	s_waitcnt lgkmcnt(0)
	v_lshlrev_b32_e32 v6, 2, v1
	v_or_b32_e32 v7, 0x80, v6
	s_waitcnt vmcnt(0)
	ds_bpermute_b32 v7, v7, v2
	v_add_u32_e32 v4, 32, v4
	v_cmp_lt_u32_e32 vcc, v4, v5
	s_and_saveexec_b64 s[4:5], vcc
	s_cbranch_execz .LBB884_257
; %bb.256:
	s_waitcnt lgkmcnt(0)
	v_add_u32_e32 v3, v2, v7
	v_mov_b32_e32 v2, 0
	v_ashrrev_i64 v[2:3], 29, v[2:3]
	v_lshl_add_u64 v[2:3], s[30:31], 0, v[2:3]
	global_load_dwordx2 v[2:3], v[2:3], off
.LBB884_257:
	s_or_b64 exec, exec, s[4:5]
	v_cmp_eq_u32_e32 vcc, 0, v1
	s_and_saveexec_b64 s[4:5], vcc
	s_cbranch_execz .LBB884_259
; %bb.258:
	v_lshrrev_b32_e32 v4, 3, v0
	v_and_b32_e32 v4, 24, v4
	s_waitcnt vmcnt(0)
	ds_write_b64 v4, v[2:3]
.LBB884_259:
	s_or_b64 exec, exec, s[4:5]
	v_cmp_gt_u32_e32 vcc, 4, v0
	s_waitcnt lgkmcnt(0)
	s_barrier
                                        ; implicit-def: $vgpr4
	s_and_saveexec_b64 s[4:5], vcc
	s_cbranch_execz .LBB884_263
; %bb.260:
	s_waitcnt vmcnt(0)
	v_lshlrev_b32_e32 v2, 3, v1
	ds_read_b64 v[2:3], v2
	v_and_b32_e32 v4, 3, v1
	v_cmp_ne_u32_e32 vcc, 3, v4
	s_add_i32 s6, s6, 63
	s_lshr_b32 s8, s6, 6
	v_addc_co_u32_e32 v1, vcc, 0, v1, vcc
	v_lshlrev_b32_e32 v1, 2, v1
	s_waitcnt lgkmcnt(0)
	ds_bpermute_b32 v1, v1, v2
	v_add_u32_e32 v3, 1, v4
	v_cmp_gt_u32_e32 vcc, s8, v3
	s_and_saveexec_b64 s[6:7], vcc
	s_cbranch_execz .LBB884_262
; %bb.261:
	s_waitcnt lgkmcnt(0)
	v_add_u32_e32 v3, v2, v1
	v_mov_b32_e32 v2, 0
	v_ashrrev_i64 v[2:3], 29, v[2:3]
	v_lshl_add_u64 v[2:3], s[30:31], 0, v[2:3]
	global_load_dwordx2 v[2:3], v[2:3], off
.LBB884_262:
	s_or_b64 exec, exec, s[6:7]
	s_waitcnt vmcnt(0)
	v_or_b32_e32 v3, 8, v6
	s_waitcnt lgkmcnt(0)
	v_add_u32_e32 v1, 2, v4
	ds_bpermute_b32 v4, v3, v2
	v_cmp_gt_u32_e32 vcc, s8, v1
	s_andn2_b64 s[0:1], s[0:1], exec
	s_and_b64 s[6:7], vcc, exec
	s_or_b64 s[0:1], s[0:1], s[6:7]
.LBB884_263:
	s_or_b64 exec, exec, s[4:5]
.LBB884_264:
	s_and_saveexec_b64 s[4:5], s[0:1]
	s_cbranch_execz .LBB884_266
; %bb.265:
	s_waitcnt vmcnt(0) lgkmcnt(0)
	v_add_u32_e32 v3, v2, v4
	v_mov_b32_e32 v2, 0
	v_ashrrev_i64 v[2:3], 29, v[2:3]
	v_lshl_add_u64 v[2:3], s[30:31], 0, v[2:3]
	global_load_dwordx2 v[2:3], v[2:3], off
.LBB884_266:
	s_or_b64 exec, exec, s[4:5]
	v_cmp_eq_u32_e32 vcc, 0, v0
	s_and_saveexec_b64 s[0:1], vcc
	s_cbranch_execz .LBB884_268
; %bb.267:
	s_cmp_eq_u64 s[38:39], 0
	s_cselect_b64 s[4:5], -1, 0
	s_cmp_lg_u64 s[38:39], 0
	s_cselect_b64 s[6:7], -1, 0
	s_andn2_b64 s[8:9], s[14:15], exec
	s_and_b64 s[4:5], s[4:5], exec
	s_or_b64 s[14:15], s[8:9], s[4:5]
	s_andn2_b64 s[4:5], s[16:17], exec
	s_and_b64 s[6:7], s[6:7], exec
	s_or_b64 s[16:17], s[4:5], s[6:7]
.LBB884_268:
	s_or_b64 exec, exec, s[0:1]
	v_mov_b64_e32 v[0:1], s[42:43]
	s_and_saveexec_b64 s[0:1], s[16:17]
	s_cbranch_execz .LBB884_240
.LBB884_269:
	s_waitcnt vmcnt(0)
	v_add_u32_e32 v1, s42, v2
	v_mov_b32_e32 v0, 0
	v_ashrrev_i64 v[0:1], 29, v[0:1]
	v_lshl_add_u64 v[0:1], s[30:31], 0, v[0:1]
	global_load_dwordx2 v[0:1], v[0:1], off
	s_or_b64 s[14:15], s[14:15], exec
	s_or_b64 exec, exec, s[0:1]
	s_and_saveexec_b64 s[0:1], s[14:15]
	s_cbranch_execz .LBB884_241
.LBB884_270:
	s_lshl_b64 s[0:1], s[2:3], 3
	s_add_u32 s0, s40, s0
	s_addc_u32 s1, s41, s1
	s_waitcnt vmcnt(0)
	v_mov_b32_e32 v2, 0
	global_store_dwordx2 v2, v[0:1], s[0:1]
	s_endpgm
.LBB884_271:
	v_lshlrev_b32_e32 v1, 3, v1
	global_load_dwordx2 v[8:9], v1, s[8:9]
	s_or_b64 exec, exec, s[10:11]
	s_and_saveexec_b64 s[8:9], vcc
	s_cbranch_execz .LBB884_163
.LBB884_272:
	s_waitcnt vmcnt(0)
	v_add_u32_e32 v3, v4, v2
	v_mov_b32_e32 v2, 0
	v_ashrrev_i64 v[2:3], 29, v[2:3]
	v_lshl_add_u64 v[2:3], s[30:31], 0, v[2:3]
	global_load_dwordx2 v[2:3], v[2:3], off
	s_or_b64 exec, exec, s[8:9]
	s_and_saveexec_b64 s[8:9], s[0:1]
	s_cbranch_execz .LBB884_164
.LBB884_273:
	s_waitcnt vmcnt(0)
	v_add_u32_e32 v3, v2, v6
	v_mov_b32_e32 v2, 0
	v_ashrrev_i64 v[2:3], 29, v[2:3]
	v_lshl_add_u64 v[2:3], s[30:31], 0, v[2:3]
	global_load_dwordx2 v[2:3], v[2:3], off
	s_or_b64 exec, exec, s[8:9]
	s_and_saveexec_b64 s[0:1], s[4:5]
	s_cbranch_execnz .LBB884_165
	s_branch .LBB884_166
.LBB884_274:
	v_lshlrev_b32_e32 v1, 3, v1
	global_load_dwordx2 v[32:33], v1, s[46:47]
	s_or_b64 exec, exec, s[48:49]
	s_and_saveexec_b64 s[46:47], vcc
	s_cbranch_execz .LBB884_56
.LBB884_275:
	s_waitcnt vmcnt(0)
	v_add_u32_e32 v3, v4, v2
	v_mov_b32_e32 v2, 0
	v_ashrrev_i64 v[2:3], 29, v[2:3]
	v_lshl_add_u64 v[2:3], s[30:31], 0, v[2:3]
	global_load_dwordx2 v[2:3], v[2:3], off
	s_or_b64 exec, exec, s[46:47]
	s_and_saveexec_b64 s[46:47], s[0:1]
	s_cbranch_execz .LBB884_57
.LBB884_276:
	s_waitcnt vmcnt(0)
	v_add_u32_e32 v3, v2, v6
	v_mov_b32_e32 v2, 0
	v_ashrrev_i64 v[2:3], 29, v[2:3]
	v_lshl_add_u64 v[2:3], s[30:31], 0, v[2:3]
	global_load_dwordx2 v[2:3], v[2:3], off
	s_or_b64 exec, exec, s[46:47]
	s_and_saveexec_b64 s[0:1], s[4:5]
	s_cbranch_execz .LBB884_58
.LBB884_277:
	s_waitcnt vmcnt(0)
	v_add_u32_e32 v3, v2, v8
	v_mov_b32_e32 v2, 0
	v_ashrrev_i64 v[2:3], 29, v[2:3]
	v_lshl_add_u64 v[2:3], s[30:31], 0, v[2:3]
	global_load_dwordx2 v[2:3], v[2:3], off
	s_or_b64 exec, exec, s[0:1]
	s_and_saveexec_b64 s[0:1], s[6:7]
	s_cbranch_execz .LBB884_59
.LBB884_278:
	s_waitcnt vmcnt(0)
	v_add_u32_e32 v3, v2, v10
	v_mov_b32_e32 v2, 0
	v_ashrrev_i64 v[2:3], 29, v[2:3]
	v_lshl_add_u64 v[2:3], s[30:31], 0, v[2:3]
	global_load_dwordx2 v[2:3], v[2:3], off
	s_or_b64 exec, exec, s[0:1]
	s_and_saveexec_b64 s[0:1], s[8:9]
	s_cbranch_execz .LBB884_60
.LBB884_279:
	s_waitcnt vmcnt(0)
	v_add_u32_e32 v3, v2, v12
	v_mov_b32_e32 v2, 0
	v_ashrrev_i64 v[2:3], 29, v[2:3]
	v_lshl_add_u64 v[2:3], s[30:31], 0, v[2:3]
	global_load_dwordx2 v[2:3], v[2:3], off
	s_or_b64 exec, exec, s[0:1]
	s_and_saveexec_b64 s[0:1], s[10:11]
	s_cbranch_execz .LBB884_61
.LBB884_280:
	s_waitcnt vmcnt(0)
	v_add_u32_e32 v3, v2, v14
	v_mov_b32_e32 v2, 0
	v_ashrrev_i64 v[2:3], 29, v[2:3]
	v_lshl_add_u64 v[2:3], s[30:31], 0, v[2:3]
	global_load_dwordx2 v[2:3], v[2:3], off
	s_or_b64 exec, exec, s[0:1]
	s_and_saveexec_b64 s[0:1], s[12:13]
	s_cbranch_execz .LBB884_62
.LBB884_281:
	s_waitcnt vmcnt(0)
	v_add_u32_e32 v3, v2, v16
	v_mov_b32_e32 v2, 0
	v_ashrrev_i64 v[2:3], 29, v[2:3]
	v_lshl_add_u64 v[2:3], s[30:31], 0, v[2:3]
	global_load_dwordx2 v[2:3], v[2:3], off
	s_or_b64 exec, exec, s[0:1]
	s_and_saveexec_b64 s[0:1], s[14:15]
	s_cbranch_execz .LBB884_63
.LBB884_282:
	s_waitcnt vmcnt(0)
	v_add_u32_e32 v3, v2, v18
	v_mov_b32_e32 v2, 0
	v_ashrrev_i64 v[2:3], 29, v[2:3]
	v_lshl_add_u64 v[2:3], s[30:31], 0, v[2:3]
	global_load_dwordx2 v[2:3], v[2:3], off
	s_or_b64 exec, exec, s[0:1]
	s_and_saveexec_b64 s[0:1], s[16:17]
	s_cbranch_execz .LBB884_64
.LBB884_283:
	s_waitcnt vmcnt(0)
	v_add_u32_e32 v3, v2, v20
	v_mov_b32_e32 v2, 0
	v_ashrrev_i64 v[2:3], 29, v[2:3]
	v_lshl_add_u64 v[2:3], s[30:31], 0, v[2:3]
	global_load_dwordx2 v[2:3], v[2:3], off
	s_or_b64 exec, exec, s[0:1]
	s_and_saveexec_b64 s[0:1], s[18:19]
	s_cbranch_execz .LBB884_65
.LBB884_284:
	s_waitcnt vmcnt(0)
	v_add_u32_e32 v3, v2, v22
	v_mov_b32_e32 v2, 0
	v_ashrrev_i64 v[2:3], 29, v[2:3]
	v_lshl_add_u64 v[2:3], s[30:31], 0, v[2:3]
	global_load_dwordx2 v[2:3], v[2:3], off
	s_or_b64 exec, exec, s[0:1]
	s_and_saveexec_b64 s[0:1], s[20:21]
	s_cbranch_execz .LBB884_66
.LBB884_285:
	s_waitcnt vmcnt(0)
	v_add_u32_e32 v3, v2, v24
	v_mov_b32_e32 v2, 0
	v_ashrrev_i64 v[2:3], 29, v[2:3]
	v_lshl_add_u64 v[2:3], s[30:31], 0, v[2:3]
	global_load_dwordx2 v[2:3], v[2:3], off
	s_or_b64 exec, exec, s[0:1]
	s_and_saveexec_b64 s[0:1], s[22:23]
	s_cbranch_execz .LBB884_67
.LBB884_286:
	s_waitcnt vmcnt(0)
	v_add_u32_e32 v3, v2, v26
	v_mov_b32_e32 v2, 0
	v_ashrrev_i64 v[2:3], 29, v[2:3]
	v_lshl_add_u64 v[2:3], s[30:31], 0, v[2:3]
	global_load_dwordx2 v[2:3], v[2:3], off
	s_or_b64 exec, exec, s[0:1]
	s_and_saveexec_b64 s[0:1], s[24:25]
	s_cbranch_execz .LBB884_68
.LBB884_287:
	s_waitcnt vmcnt(0)
	v_add_u32_e32 v3, v2, v28
	v_mov_b32_e32 v2, 0
	v_ashrrev_i64 v[2:3], 29, v[2:3]
	v_lshl_add_u64 v[2:3], s[30:31], 0, v[2:3]
	global_load_dwordx2 v[2:3], v[2:3], off
	s_or_b64 exec, exec, s[0:1]
	s_and_saveexec_b64 s[0:1], s[26:27]
	s_cbranch_execz .LBB884_69
.LBB884_288:
	s_waitcnt vmcnt(0)
	v_add_u32_e32 v3, v2, v30
	v_mov_b32_e32 v2, 0
	v_ashrrev_i64 v[2:3], 29, v[2:3]
	v_lshl_add_u64 v[2:3], s[30:31], 0, v[2:3]
	global_load_dwordx2 v[2:3], v[2:3], off
	s_or_b64 exec, exec, s[0:1]
	s_and_saveexec_b64 s[0:1], s[28:29]
	s_cbranch_execnz .LBB884_70
	s_branch .LBB884_71
.LBB884_289:
	v_lshlrev_b32_e32 v1, 3, v1
	global_load_dwordx2 v[16:17], v1, s[20:21]
	s_or_b64 exec, exec, s[22:23]
	s_and_saveexec_b64 s[20:21], vcc
	s_cbranch_execz .LBB884_114
.LBB884_290:
	s_waitcnt vmcnt(0)
	v_add_u32_e32 v3, v4, v2
	v_mov_b32_e32 v2, 0
	v_ashrrev_i64 v[2:3], 29, v[2:3]
	v_lshl_add_u64 v[2:3], s[30:31], 0, v[2:3]
	global_load_dwordx2 v[2:3], v[2:3], off
	s_or_b64 exec, exec, s[20:21]
	s_and_saveexec_b64 s[20:21], s[0:1]
	s_cbranch_execz .LBB884_115
.LBB884_291:
	s_waitcnt vmcnt(0)
	v_add_u32_e32 v3, v2, v6
	v_mov_b32_e32 v2, 0
	v_ashrrev_i64 v[2:3], 29, v[2:3]
	v_lshl_add_u64 v[2:3], s[30:31], 0, v[2:3]
	global_load_dwordx2 v[2:3], v[2:3], off
	s_or_b64 exec, exec, s[20:21]
	s_and_saveexec_b64 s[0:1], s[4:5]
	s_cbranch_execz .LBB884_116
.LBB884_292:
	s_waitcnt vmcnt(0)
	v_add_u32_e32 v3, v2, v8
	v_mov_b32_e32 v2, 0
	v_ashrrev_i64 v[2:3], 29, v[2:3]
	v_lshl_add_u64 v[2:3], s[30:31], 0, v[2:3]
	global_load_dwordx2 v[2:3], v[2:3], off
	s_or_b64 exec, exec, s[0:1]
	s_and_saveexec_b64 s[0:1], s[6:7]
	s_cbranch_execz .LBB884_117
.LBB884_293:
	s_waitcnt vmcnt(0)
	v_add_u32_e32 v3, v2, v10
	v_mov_b32_e32 v2, 0
	v_ashrrev_i64 v[2:3], 29, v[2:3]
	v_lshl_add_u64 v[2:3], s[30:31], 0, v[2:3]
	global_load_dwordx2 v[2:3], v[2:3], off
	s_or_b64 exec, exec, s[0:1]
	s_and_saveexec_b64 s[0:1], s[8:9]
	s_cbranch_execz .LBB884_118
.LBB884_294:
	s_waitcnt vmcnt(0)
	v_add_u32_e32 v3, v2, v12
	v_mov_b32_e32 v2, 0
	v_ashrrev_i64 v[2:3], 29, v[2:3]
	v_lshl_add_u64 v[2:3], s[30:31], 0, v[2:3]
	global_load_dwordx2 v[2:3], v[2:3], off
	s_or_b64 exec, exec, s[0:1]
	s_and_saveexec_b64 s[0:1], s[10:11]
	s_cbranch_execz .LBB884_119
.LBB884_295:
	s_waitcnt vmcnt(0)
	v_add_u32_e32 v3, v2, v14
	v_mov_b32_e32 v2, 0
	v_ashrrev_i64 v[2:3], 29, v[2:3]
	v_lshl_add_u64 v[2:3], s[30:31], 0, v[2:3]
	global_load_dwordx2 v[2:3], v[2:3], off
	s_or_b64 exec, exec, s[0:1]
	s_and_saveexec_b64 s[0:1], s[12:13]
	s_cbranch_execnz .LBB884_120
	s_branch .LBB884_121
	.section	.rodata,"a",@progbits
	.p2align	6, 0x0
	.amdhsa_kernel _ZN7rocprim17ROCPRIM_400000_NS6detail17trampoline_kernelINS0_14default_configENS1_22reduce_config_selectorIxEEZNS1_11reduce_implILb1ES3_PxS7_x9plus_mod3IxEEE10hipError_tPvRmT1_T2_T3_mT4_P12ihipStream_tbEUlT_E1_NS1_11comp_targetILNS1_3genE0ELNS1_11target_archE4294967295ELNS1_3gpuE0ELNS1_3repE0EEENS1_30default_config_static_selectorELNS0_4arch9wavefront6targetE1EEEvSD_
		.amdhsa_group_segment_fixed_size 192
		.amdhsa_private_segment_fixed_size 0
		.amdhsa_kernarg_size 48
		.amdhsa_user_sgpr_count 2
		.amdhsa_user_sgpr_dispatch_ptr 0
		.amdhsa_user_sgpr_queue_ptr 0
		.amdhsa_user_sgpr_kernarg_segment_ptr 1
		.amdhsa_user_sgpr_dispatch_id 0
		.amdhsa_user_sgpr_kernarg_preload_length 0
		.amdhsa_user_sgpr_kernarg_preload_offset 0
		.amdhsa_user_sgpr_private_segment_size 0
		.amdhsa_uses_dynamic_stack 0
		.amdhsa_enable_private_segment 0
		.amdhsa_system_sgpr_workgroup_id_x 1
		.amdhsa_system_sgpr_workgroup_id_y 0
		.amdhsa_system_sgpr_workgroup_id_z 0
		.amdhsa_system_sgpr_workgroup_info 0
		.amdhsa_system_vgpr_workitem_id 0
		.amdhsa_next_free_vgpr 36
		.amdhsa_next_free_sgpr 51
		.amdhsa_accum_offset 36
		.amdhsa_reserve_vcc 1
		.amdhsa_float_round_mode_32 0
		.amdhsa_float_round_mode_16_64 0
		.amdhsa_float_denorm_mode_32 3
		.amdhsa_float_denorm_mode_16_64 3
		.amdhsa_dx10_clamp 1
		.amdhsa_ieee_mode 1
		.amdhsa_fp16_overflow 0
		.amdhsa_tg_split 0
		.amdhsa_exception_fp_ieee_invalid_op 0
		.amdhsa_exception_fp_denorm_src 0
		.amdhsa_exception_fp_ieee_div_zero 0
		.amdhsa_exception_fp_ieee_overflow 0
		.amdhsa_exception_fp_ieee_underflow 0
		.amdhsa_exception_fp_ieee_inexact 0
		.amdhsa_exception_int_div_zero 0
	.end_amdhsa_kernel
	.section	.text._ZN7rocprim17ROCPRIM_400000_NS6detail17trampoline_kernelINS0_14default_configENS1_22reduce_config_selectorIxEEZNS1_11reduce_implILb1ES3_PxS7_x9plus_mod3IxEEE10hipError_tPvRmT1_T2_T3_mT4_P12ihipStream_tbEUlT_E1_NS1_11comp_targetILNS1_3genE0ELNS1_11target_archE4294967295ELNS1_3gpuE0ELNS1_3repE0EEENS1_30default_config_static_selectorELNS0_4arch9wavefront6targetE1EEEvSD_,"axG",@progbits,_ZN7rocprim17ROCPRIM_400000_NS6detail17trampoline_kernelINS0_14default_configENS1_22reduce_config_selectorIxEEZNS1_11reduce_implILb1ES3_PxS7_x9plus_mod3IxEEE10hipError_tPvRmT1_T2_T3_mT4_P12ihipStream_tbEUlT_E1_NS1_11comp_targetILNS1_3genE0ELNS1_11target_archE4294967295ELNS1_3gpuE0ELNS1_3repE0EEENS1_30default_config_static_selectorELNS0_4arch9wavefront6targetE1EEEvSD_,comdat
.Lfunc_end884:
	.size	_ZN7rocprim17ROCPRIM_400000_NS6detail17trampoline_kernelINS0_14default_configENS1_22reduce_config_selectorIxEEZNS1_11reduce_implILb1ES3_PxS7_x9plus_mod3IxEEE10hipError_tPvRmT1_T2_T3_mT4_P12ihipStream_tbEUlT_E1_NS1_11comp_targetILNS1_3genE0ELNS1_11target_archE4294967295ELNS1_3gpuE0ELNS1_3repE0EEENS1_30default_config_static_selectorELNS0_4arch9wavefront6targetE1EEEvSD_, .Lfunc_end884-_ZN7rocprim17ROCPRIM_400000_NS6detail17trampoline_kernelINS0_14default_configENS1_22reduce_config_selectorIxEEZNS1_11reduce_implILb1ES3_PxS7_x9plus_mod3IxEEE10hipError_tPvRmT1_T2_T3_mT4_P12ihipStream_tbEUlT_E1_NS1_11comp_targetILNS1_3genE0ELNS1_11target_archE4294967295ELNS1_3gpuE0ELNS1_3repE0EEENS1_30default_config_static_selectorELNS0_4arch9wavefront6targetE1EEEvSD_
                                        ; -- End function
	.set _ZN7rocprim17ROCPRIM_400000_NS6detail17trampoline_kernelINS0_14default_configENS1_22reduce_config_selectorIxEEZNS1_11reduce_implILb1ES3_PxS7_x9plus_mod3IxEEE10hipError_tPvRmT1_T2_T3_mT4_P12ihipStream_tbEUlT_E1_NS1_11comp_targetILNS1_3genE0ELNS1_11target_archE4294967295ELNS1_3gpuE0ELNS1_3repE0EEENS1_30default_config_static_selectorELNS0_4arch9wavefront6targetE1EEEvSD_.num_vgpr, 36
	.set _ZN7rocprim17ROCPRIM_400000_NS6detail17trampoline_kernelINS0_14default_configENS1_22reduce_config_selectorIxEEZNS1_11reduce_implILb1ES3_PxS7_x9plus_mod3IxEEE10hipError_tPvRmT1_T2_T3_mT4_P12ihipStream_tbEUlT_E1_NS1_11comp_targetILNS1_3genE0ELNS1_11target_archE4294967295ELNS1_3gpuE0ELNS1_3repE0EEENS1_30default_config_static_selectorELNS0_4arch9wavefront6targetE1EEEvSD_.num_agpr, 0
	.set _ZN7rocprim17ROCPRIM_400000_NS6detail17trampoline_kernelINS0_14default_configENS1_22reduce_config_selectorIxEEZNS1_11reduce_implILb1ES3_PxS7_x9plus_mod3IxEEE10hipError_tPvRmT1_T2_T3_mT4_P12ihipStream_tbEUlT_E1_NS1_11comp_targetILNS1_3genE0ELNS1_11target_archE4294967295ELNS1_3gpuE0ELNS1_3repE0EEENS1_30default_config_static_selectorELNS0_4arch9wavefront6targetE1EEEvSD_.numbered_sgpr, 51
	.set _ZN7rocprim17ROCPRIM_400000_NS6detail17trampoline_kernelINS0_14default_configENS1_22reduce_config_selectorIxEEZNS1_11reduce_implILb1ES3_PxS7_x9plus_mod3IxEEE10hipError_tPvRmT1_T2_T3_mT4_P12ihipStream_tbEUlT_E1_NS1_11comp_targetILNS1_3genE0ELNS1_11target_archE4294967295ELNS1_3gpuE0ELNS1_3repE0EEENS1_30default_config_static_selectorELNS0_4arch9wavefront6targetE1EEEvSD_.num_named_barrier, 0
	.set _ZN7rocprim17ROCPRIM_400000_NS6detail17trampoline_kernelINS0_14default_configENS1_22reduce_config_selectorIxEEZNS1_11reduce_implILb1ES3_PxS7_x9plus_mod3IxEEE10hipError_tPvRmT1_T2_T3_mT4_P12ihipStream_tbEUlT_E1_NS1_11comp_targetILNS1_3genE0ELNS1_11target_archE4294967295ELNS1_3gpuE0ELNS1_3repE0EEENS1_30default_config_static_selectorELNS0_4arch9wavefront6targetE1EEEvSD_.private_seg_size, 0
	.set _ZN7rocprim17ROCPRIM_400000_NS6detail17trampoline_kernelINS0_14default_configENS1_22reduce_config_selectorIxEEZNS1_11reduce_implILb1ES3_PxS7_x9plus_mod3IxEEE10hipError_tPvRmT1_T2_T3_mT4_P12ihipStream_tbEUlT_E1_NS1_11comp_targetILNS1_3genE0ELNS1_11target_archE4294967295ELNS1_3gpuE0ELNS1_3repE0EEENS1_30default_config_static_selectorELNS0_4arch9wavefront6targetE1EEEvSD_.uses_vcc, 1
	.set _ZN7rocprim17ROCPRIM_400000_NS6detail17trampoline_kernelINS0_14default_configENS1_22reduce_config_selectorIxEEZNS1_11reduce_implILb1ES3_PxS7_x9plus_mod3IxEEE10hipError_tPvRmT1_T2_T3_mT4_P12ihipStream_tbEUlT_E1_NS1_11comp_targetILNS1_3genE0ELNS1_11target_archE4294967295ELNS1_3gpuE0ELNS1_3repE0EEENS1_30default_config_static_selectorELNS0_4arch9wavefront6targetE1EEEvSD_.uses_flat_scratch, 0
	.set _ZN7rocprim17ROCPRIM_400000_NS6detail17trampoline_kernelINS0_14default_configENS1_22reduce_config_selectorIxEEZNS1_11reduce_implILb1ES3_PxS7_x9plus_mod3IxEEE10hipError_tPvRmT1_T2_T3_mT4_P12ihipStream_tbEUlT_E1_NS1_11comp_targetILNS1_3genE0ELNS1_11target_archE4294967295ELNS1_3gpuE0ELNS1_3repE0EEENS1_30default_config_static_selectorELNS0_4arch9wavefront6targetE1EEEvSD_.has_dyn_sized_stack, 0
	.set _ZN7rocprim17ROCPRIM_400000_NS6detail17trampoline_kernelINS0_14default_configENS1_22reduce_config_selectorIxEEZNS1_11reduce_implILb1ES3_PxS7_x9plus_mod3IxEEE10hipError_tPvRmT1_T2_T3_mT4_P12ihipStream_tbEUlT_E1_NS1_11comp_targetILNS1_3genE0ELNS1_11target_archE4294967295ELNS1_3gpuE0ELNS1_3repE0EEENS1_30default_config_static_selectorELNS0_4arch9wavefront6targetE1EEEvSD_.has_recursion, 0
	.set _ZN7rocprim17ROCPRIM_400000_NS6detail17trampoline_kernelINS0_14default_configENS1_22reduce_config_selectorIxEEZNS1_11reduce_implILb1ES3_PxS7_x9plus_mod3IxEEE10hipError_tPvRmT1_T2_T3_mT4_P12ihipStream_tbEUlT_E1_NS1_11comp_targetILNS1_3genE0ELNS1_11target_archE4294967295ELNS1_3gpuE0ELNS1_3repE0EEENS1_30default_config_static_selectorELNS0_4arch9wavefront6targetE1EEEvSD_.has_indirect_call, 0
	.section	.AMDGPU.csdata,"",@progbits
; Kernel info:
; codeLenInByte = 11940
; TotalNumSgprs: 57
; NumVgprs: 36
; NumAgprs: 0
; TotalNumVgprs: 36
; ScratchSize: 0
; MemoryBound: 0
; FloatMode: 240
; IeeeMode: 1
; LDSByteSize: 192 bytes/workgroup (compile time only)
; SGPRBlocks: 7
; VGPRBlocks: 4
; NumSGPRsForWavesPerEU: 57
; NumVGPRsForWavesPerEU: 36
; AccumOffset: 36
; Occupancy: 8
; WaveLimiterHint : 1
; COMPUTE_PGM_RSRC2:SCRATCH_EN: 0
; COMPUTE_PGM_RSRC2:USER_SGPR: 2
; COMPUTE_PGM_RSRC2:TRAP_HANDLER: 0
; COMPUTE_PGM_RSRC2:TGID_X_EN: 1
; COMPUTE_PGM_RSRC2:TGID_Y_EN: 0
; COMPUTE_PGM_RSRC2:TGID_Z_EN: 0
; COMPUTE_PGM_RSRC2:TIDIG_COMP_CNT: 0
; COMPUTE_PGM_RSRC3_GFX90A:ACCUM_OFFSET: 8
; COMPUTE_PGM_RSRC3_GFX90A:TG_SPLIT: 0
	.section	.text._ZN7rocprim17ROCPRIM_400000_NS6detail17trampoline_kernelINS0_14default_configENS1_22reduce_config_selectorIxEEZNS1_11reduce_implILb1ES3_PxS7_x9plus_mod3IxEEE10hipError_tPvRmT1_T2_T3_mT4_P12ihipStream_tbEUlT_E1_NS1_11comp_targetILNS1_3genE5ELNS1_11target_archE942ELNS1_3gpuE9ELNS1_3repE0EEENS1_30default_config_static_selectorELNS0_4arch9wavefront6targetE1EEEvSD_,"axG",@progbits,_ZN7rocprim17ROCPRIM_400000_NS6detail17trampoline_kernelINS0_14default_configENS1_22reduce_config_selectorIxEEZNS1_11reduce_implILb1ES3_PxS7_x9plus_mod3IxEEE10hipError_tPvRmT1_T2_T3_mT4_P12ihipStream_tbEUlT_E1_NS1_11comp_targetILNS1_3genE5ELNS1_11target_archE942ELNS1_3gpuE9ELNS1_3repE0EEENS1_30default_config_static_selectorELNS0_4arch9wavefront6targetE1EEEvSD_,comdat
	.protected	_ZN7rocprim17ROCPRIM_400000_NS6detail17trampoline_kernelINS0_14default_configENS1_22reduce_config_selectorIxEEZNS1_11reduce_implILb1ES3_PxS7_x9plus_mod3IxEEE10hipError_tPvRmT1_T2_T3_mT4_P12ihipStream_tbEUlT_E1_NS1_11comp_targetILNS1_3genE5ELNS1_11target_archE942ELNS1_3gpuE9ELNS1_3repE0EEENS1_30default_config_static_selectorELNS0_4arch9wavefront6targetE1EEEvSD_ ; -- Begin function _ZN7rocprim17ROCPRIM_400000_NS6detail17trampoline_kernelINS0_14default_configENS1_22reduce_config_selectorIxEEZNS1_11reduce_implILb1ES3_PxS7_x9plus_mod3IxEEE10hipError_tPvRmT1_T2_T3_mT4_P12ihipStream_tbEUlT_E1_NS1_11comp_targetILNS1_3genE5ELNS1_11target_archE942ELNS1_3gpuE9ELNS1_3repE0EEENS1_30default_config_static_selectorELNS0_4arch9wavefront6targetE1EEEvSD_
	.globl	_ZN7rocprim17ROCPRIM_400000_NS6detail17trampoline_kernelINS0_14default_configENS1_22reduce_config_selectorIxEEZNS1_11reduce_implILb1ES3_PxS7_x9plus_mod3IxEEE10hipError_tPvRmT1_T2_T3_mT4_P12ihipStream_tbEUlT_E1_NS1_11comp_targetILNS1_3genE5ELNS1_11target_archE942ELNS1_3gpuE9ELNS1_3repE0EEENS1_30default_config_static_selectorELNS0_4arch9wavefront6targetE1EEEvSD_
	.p2align	8
	.type	_ZN7rocprim17ROCPRIM_400000_NS6detail17trampoline_kernelINS0_14default_configENS1_22reduce_config_selectorIxEEZNS1_11reduce_implILb1ES3_PxS7_x9plus_mod3IxEEE10hipError_tPvRmT1_T2_T3_mT4_P12ihipStream_tbEUlT_E1_NS1_11comp_targetILNS1_3genE5ELNS1_11target_archE942ELNS1_3gpuE9ELNS1_3repE0EEENS1_30default_config_static_selectorELNS0_4arch9wavefront6targetE1EEEvSD_,@function
_ZN7rocprim17ROCPRIM_400000_NS6detail17trampoline_kernelINS0_14default_configENS1_22reduce_config_selectorIxEEZNS1_11reduce_implILb1ES3_PxS7_x9plus_mod3IxEEE10hipError_tPvRmT1_T2_T3_mT4_P12ihipStream_tbEUlT_E1_NS1_11comp_targetILNS1_3genE5ELNS1_11target_archE942ELNS1_3gpuE9ELNS1_3repE0EEENS1_30default_config_static_selectorELNS0_4arch9wavefront6targetE1EEEvSD_: ; @_ZN7rocprim17ROCPRIM_400000_NS6detail17trampoline_kernelINS0_14default_configENS1_22reduce_config_selectorIxEEZNS1_11reduce_implILb1ES3_PxS7_x9plus_mod3IxEEE10hipError_tPvRmT1_T2_T3_mT4_P12ihipStream_tbEUlT_E1_NS1_11comp_targetILNS1_3genE5ELNS1_11target_archE942ELNS1_3gpuE9ELNS1_3repE0EEENS1_30default_config_static_selectorELNS0_4arch9wavefront6targetE1EEEvSD_
; %bb.0:
	.section	.rodata,"a",@progbits
	.p2align	6, 0x0
	.amdhsa_kernel _ZN7rocprim17ROCPRIM_400000_NS6detail17trampoline_kernelINS0_14default_configENS1_22reduce_config_selectorIxEEZNS1_11reduce_implILb1ES3_PxS7_x9plus_mod3IxEEE10hipError_tPvRmT1_T2_T3_mT4_P12ihipStream_tbEUlT_E1_NS1_11comp_targetILNS1_3genE5ELNS1_11target_archE942ELNS1_3gpuE9ELNS1_3repE0EEENS1_30default_config_static_selectorELNS0_4arch9wavefront6targetE1EEEvSD_
		.amdhsa_group_segment_fixed_size 0
		.amdhsa_private_segment_fixed_size 0
		.amdhsa_kernarg_size 48
		.amdhsa_user_sgpr_count 2
		.amdhsa_user_sgpr_dispatch_ptr 0
		.amdhsa_user_sgpr_queue_ptr 0
		.amdhsa_user_sgpr_kernarg_segment_ptr 1
		.amdhsa_user_sgpr_dispatch_id 0
		.amdhsa_user_sgpr_kernarg_preload_length 0
		.amdhsa_user_sgpr_kernarg_preload_offset 0
		.amdhsa_user_sgpr_private_segment_size 0
		.amdhsa_uses_dynamic_stack 0
		.amdhsa_enable_private_segment 0
		.amdhsa_system_sgpr_workgroup_id_x 1
		.amdhsa_system_sgpr_workgroup_id_y 0
		.amdhsa_system_sgpr_workgroup_id_z 0
		.amdhsa_system_sgpr_workgroup_info 0
		.amdhsa_system_vgpr_workitem_id 0
		.amdhsa_next_free_vgpr 1
		.amdhsa_next_free_sgpr 0
		.amdhsa_accum_offset 4
		.amdhsa_reserve_vcc 0
		.amdhsa_float_round_mode_32 0
		.amdhsa_float_round_mode_16_64 0
		.amdhsa_float_denorm_mode_32 3
		.amdhsa_float_denorm_mode_16_64 3
		.amdhsa_dx10_clamp 1
		.amdhsa_ieee_mode 1
		.amdhsa_fp16_overflow 0
		.amdhsa_tg_split 0
		.amdhsa_exception_fp_ieee_invalid_op 0
		.amdhsa_exception_fp_denorm_src 0
		.amdhsa_exception_fp_ieee_div_zero 0
		.amdhsa_exception_fp_ieee_overflow 0
		.amdhsa_exception_fp_ieee_underflow 0
		.amdhsa_exception_fp_ieee_inexact 0
		.amdhsa_exception_int_div_zero 0
	.end_amdhsa_kernel
	.section	.text._ZN7rocprim17ROCPRIM_400000_NS6detail17trampoline_kernelINS0_14default_configENS1_22reduce_config_selectorIxEEZNS1_11reduce_implILb1ES3_PxS7_x9plus_mod3IxEEE10hipError_tPvRmT1_T2_T3_mT4_P12ihipStream_tbEUlT_E1_NS1_11comp_targetILNS1_3genE5ELNS1_11target_archE942ELNS1_3gpuE9ELNS1_3repE0EEENS1_30default_config_static_selectorELNS0_4arch9wavefront6targetE1EEEvSD_,"axG",@progbits,_ZN7rocprim17ROCPRIM_400000_NS6detail17trampoline_kernelINS0_14default_configENS1_22reduce_config_selectorIxEEZNS1_11reduce_implILb1ES3_PxS7_x9plus_mod3IxEEE10hipError_tPvRmT1_T2_T3_mT4_P12ihipStream_tbEUlT_E1_NS1_11comp_targetILNS1_3genE5ELNS1_11target_archE942ELNS1_3gpuE9ELNS1_3repE0EEENS1_30default_config_static_selectorELNS0_4arch9wavefront6targetE1EEEvSD_,comdat
.Lfunc_end885:
	.size	_ZN7rocprim17ROCPRIM_400000_NS6detail17trampoline_kernelINS0_14default_configENS1_22reduce_config_selectorIxEEZNS1_11reduce_implILb1ES3_PxS7_x9plus_mod3IxEEE10hipError_tPvRmT1_T2_T3_mT4_P12ihipStream_tbEUlT_E1_NS1_11comp_targetILNS1_3genE5ELNS1_11target_archE942ELNS1_3gpuE9ELNS1_3repE0EEENS1_30default_config_static_selectorELNS0_4arch9wavefront6targetE1EEEvSD_, .Lfunc_end885-_ZN7rocprim17ROCPRIM_400000_NS6detail17trampoline_kernelINS0_14default_configENS1_22reduce_config_selectorIxEEZNS1_11reduce_implILb1ES3_PxS7_x9plus_mod3IxEEE10hipError_tPvRmT1_T2_T3_mT4_P12ihipStream_tbEUlT_E1_NS1_11comp_targetILNS1_3genE5ELNS1_11target_archE942ELNS1_3gpuE9ELNS1_3repE0EEENS1_30default_config_static_selectorELNS0_4arch9wavefront6targetE1EEEvSD_
                                        ; -- End function
	.set _ZN7rocprim17ROCPRIM_400000_NS6detail17trampoline_kernelINS0_14default_configENS1_22reduce_config_selectorIxEEZNS1_11reduce_implILb1ES3_PxS7_x9plus_mod3IxEEE10hipError_tPvRmT1_T2_T3_mT4_P12ihipStream_tbEUlT_E1_NS1_11comp_targetILNS1_3genE5ELNS1_11target_archE942ELNS1_3gpuE9ELNS1_3repE0EEENS1_30default_config_static_selectorELNS0_4arch9wavefront6targetE1EEEvSD_.num_vgpr, 0
	.set _ZN7rocprim17ROCPRIM_400000_NS6detail17trampoline_kernelINS0_14default_configENS1_22reduce_config_selectorIxEEZNS1_11reduce_implILb1ES3_PxS7_x9plus_mod3IxEEE10hipError_tPvRmT1_T2_T3_mT4_P12ihipStream_tbEUlT_E1_NS1_11comp_targetILNS1_3genE5ELNS1_11target_archE942ELNS1_3gpuE9ELNS1_3repE0EEENS1_30default_config_static_selectorELNS0_4arch9wavefront6targetE1EEEvSD_.num_agpr, 0
	.set _ZN7rocprim17ROCPRIM_400000_NS6detail17trampoline_kernelINS0_14default_configENS1_22reduce_config_selectorIxEEZNS1_11reduce_implILb1ES3_PxS7_x9plus_mod3IxEEE10hipError_tPvRmT1_T2_T3_mT4_P12ihipStream_tbEUlT_E1_NS1_11comp_targetILNS1_3genE5ELNS1_11target_archE942ELNS1_3gpuE9ELNS1_3repE0EEENS1_30default_config_static_selectorELNS0_4arch9wavefront6targetE1EEEvSD_.numbered_sgpr, 0
	.set _ZN7rocprim17ROCPRIM_400000_NS6detail17trampoline_kernelINS0_14default_configENS1_22reduce_config_selectorIxEEZNS1_11reduce_implILb1ES3_PxS7_x9plus_mod3IxEEE10hipError_tPvRmT1_T2_T3_mT4_P12ihipStream_tbEUlT_E1_NS1_11comp_targetILNS1_3genE5ELNS1_11target_archE942ELNS1_3gpuE9ELNS1_3repE0EEENS1_30default_config_static_selectorELNS0_4arch9wavefront6targetE1EEEvSD_.num_named_barrier, 0
	.set _ZN7rocprim17ROCPRIM_400000_NS6detail17trampoline_kernelINS0_14default_configENS1_22reduce_config_selectorIxEEZNS1_11reduce_implILb1ES3_PxS7_x9plus_mod3IxEEE10hipError_tPvRmT1_T2_T3_mT4_P12ihipStream_tbEUlT_E1_NS1_11comp_targetILNS1_3genE5ELNS1_11target_archE942ELNS1_3gpuE9ELNS1_3repE0EEENS1_30default_config_static_selectorELNS0_4arch9wavefront6targetE1EEEvSD_.private_seg_size, 0
	.set _ZN7rocprim17ROCPRIM_400000_NS6detail17trampoline_kernelINS0_14default_configENS1_22reduce_config_selectorIxEEZNS1_11reduce_implILb1ES3_PxS7_x9plus_mod3IxEEE10hipError_tPvRmT1_T2_T3_mT4_P12ihipStream_tbEUlT_E1_NS1_11comp_targetILNS1_3genE5ELNS1_11target_archE942ELNS1_3gpuE9ELNS1_3repE0EEENS1_30default_config_static_selectorELNS0_4arch9wavefront6targetE1EEEvSD_.uses_vcc, 0
	.set _ZN7rocprim17ROCPRIM_400000_NS6detail17trampoline_kernelINS0_14default_configENS1_22reduce_config_selectorIxEEZNS1_11reduce_implILb1ES3_PxS7_x9plus_mod3IxEEE10hipError_tPvRmT1_T2_T3_mT4_P12ihipStream_tbEUlT_E1_NS1_11comp_targetILNS1_3genE5ELNS1_11target_archE942ELNS1_3gpuE9ELNS1_3repE0EEENS1_30default_config_static_selectorELNS0_4arch9wavefront6targetE1EEEvSD_.uses_flat_scratch, 0
	.set _ZN7rocprim17ROCPRIM_400000_NS6detail17trampoline_kernelINS0_14default_configENS1_22reduce_config_selectorIxEEZNS1_11reduce_implILb1ES3_PxS7_x9plus_mod3IxEEE10hipError_tPvRmT1_T2_T3_mT4_P12ihipStream_tbEUlT_E1_NS1_11comp_targetILNS1_3genE5ELNS1_11target_archE942ELNS1_3gpuE9ELNS1_3repE0EEENS1_30default_config_static_selectorELNS0_4arch9wavefront6targetE1EEEvSD_.has_dyn_sized_stack, 0
	.set _ZN7rocprim17ROCPRIM_400000_NS6detail17trampoline_kernelINS0_14default_configENS1_22reduce_config_selectorIxEEZNS1_11reduce_implILb1ES3_PxS7_x9plus_mod3IxEEE10hipError_tPvRmT1_T2_T3_mT4_P12ihipStream_tbEUlT_E1_NS1_11comp_targetILNS1_3genE5ELNS1_11target_archE942ELNS1_3gpuE9ELNS1_3repE0EEENS1_30default_config_static_selectorELNS0_4arch9wavefront6targetE1EEEvSD_.has_recursion, 0
	.set _ZN7rocprim17ROCPRIM_400000_NS6detail17trampoline_kernelINS0_14default_configENS1_22reduce_config_selectorIxEEZNS1_11reduce_implILb1ES3_PxS7_x9plus_mod3IxEEE10hipError_tPvRmT1_T2_T3_mT4_P12ihipStream_tbEUlT_E1_NS1_11comp_targetILNS1_3genE5ELNS1_11target_archE942ELNS1_3gpuE9ELNS1_3repE0EEENS1_30default_config_static_selectorELNS0_4arch9wavefront6targetE1EEEvSD_.has_indirect_call, 0
	.section	.AMDGPU.csdata,"",@progbits
; Kernel info:
; codeLenInByte = 0
; TotalNumSgprs: 6
; NumVgprs: 0
; NumAgprs: 0
; TotalNumVgprs: 0
; ScratchSize: 0
; MemoryBound: 0
; FloatMode: 240
; IeeeMode: 1
; LDSByteSize: 0 bytes/workgroup (compile time only)
; SGPRBlocks: 0
; VGPRBlocks: 0
; NumSGPRsForWavesPerEU: 6
; NumVGPRsForWavesPerEU: 1
; AccumOffset: 4
; Occupancy: 8
; WaveLimiterHint : 0
; COMPUTE_PGM_RSRC2:SCRATCH_EN: 0
; COMPUTE_PGM_RSRC2:USER_SGPR: 2
; COMPUTE_PGM_RSRC2:TRAP_HANDLER: 0
; COMPUTE_PGM_RSRC2:TGID_X_EN: 1
; COMPUTE_PGM_RSRC2:TGID_Y_EN: 0
; COMPUTE_PGM_RSRC2:TGID_Z_EN: 0
; COMPUTE_PGM_RSRC2:TIDIG_COMP_CNT: 0
; COMPUTE_PGM_RSRC3_GFX90A:ACCUM_OFFSET: 0
; COMPUTE_PGM_RSRC3_GFX90A:TG_SPLIT: 0
	.section	.text._ZN7rocprim17ROCPRIM_400000_NS6detail17trampoline_kernelINS0_14default_configENS1_22reduce_config_selectorIxEEZNS1_11reduce_implILb1ES3_PxS7_x9plus_mod3IxEEE10hipError_tPvRmT1_T2_T3_mT4_P12ihipStream_tbEUlT_E1_NS1_11comp_targetILNS1_3genE4ELNS1_11target_archE910ELNS1_3gpuE8ELNS1_3repE0EEENS1_30default_config_static_selectorELNS0_4arch9wavefront6targetE1EEEvSD_,"axG",@progbits,_ZN7rocprim17ROCPRIM_400000_NS6detail17trampoline_kernelINS0_14default_configENS1_22reduce_config_selectorIxEEZNS1_11reduce_implILb1ES3_PxS7_x9plus_mod3IxEEE10hipError_tPvRmT1_T2_T3_mT4_P12ihipStream_tbEUlT_E1_NS1_11comp_targetILNS1_3genE4ELNS1_11target_archE910ELNS1_3gpuE8ELNS1_3repE0EEENS1_30default_config_static_selectorELNS0_4arch9wavefront6targetE1EEEvSD_,comdat
	.protected	_ZN7rocprim17ROCPRIM_400000_NS6detail17trampoline_kernelINS0_14default_configENS1_22reduce_config_selectorIxEEZNS1_11reduce_implILb1ES3_PxS7_x9plus_mod3IxEEE10hipError_tPvRmT1_T2_T3_mT4_P12ihipStream_tbEUlT_E1_NS1_11comp_targetILNS1_3genE4ELNS1_11target_archE910ELNS1_3gpuE8ELNS1_3repE0EEENS1_30default_config_static_selectorELNS0_4arch9wavefront6targetE1EEEvSD_ ; -- Begin function _ZN7rocprim17ROCPRIM_400000_NS6detail17trampoline_kernelINS0_14default_configENS1_22reduce_config_selectorIxEEZNS1_11reduce_implILb1ES3_PxS7_x9plus_mod3IxEEE10hipError_tPvRmT1_T2_T3_mT4_P12ihipStream_tbEUlT_E1_NS1_11comp_targetILNS1_3genE4ELNS1_11target_archE910ELNS1_3gpuE8ELNS1_3repE0EEENS1_30default_config_static_selectorELNS0_4arch9wavefront6targetE1EEEvSD_
	.globl	_ZN7rocprim17ROCPRIM_400000_NS6detail17trampoline_kernelINS0_14default_configENS1_22reduce_config_selectorIxEEZNS1_11reduce_implILb1ES3_PxS7_x9plus_mod3IxEEE10hipError_tPvRmT1_T2_T3_mT4_P12ihipStream_tbEUlT_E1_NS1_11comp_targetILNS1_3genE4ELNS1_11target_archE910ELNS1_3gpuE8ELNS1_3repE0EEENS1_30default_config_static_selectorELNS0_4arch9wavefront6targetE1EEEvSD_
	.p2align	8
	.type	_ZN7rocprim17ROCPRIM_400000_NS6detail17trampoline_kernelINS0_14default_configENS1_22reduce_config_selectorIxEEZNS1_11reduce_implILb1ES3_PxS7_x9plus_mod3IxEEE10hipError_tPvRmT1_T2_T3_mT4_P12ihipStream_tbEUlT_E1_NS1_11comp_targetILNS1_3genE4ELNS1_11target_archE910ELNS1_3gpuE8ELNS1_3repE0EEENS1_30default_config_static_selectorELNS0_4arch9wavefront6targetE1EEEvSD_,@function
_ZN7rocprim17ROCPRIM_400000_NS6detail17trampoline_kernelINS0_14default_configENS1_22reduce_config_selectorIxEEZNS1_11reduce_implILb1ES3_PxS7_x9plus_mod3IxEEE10hipError_tPvRmT1_T2_T3_mT4_P12ihipStream_tbEUlT_E1_NS1_11comp_targetILNS1_3genE4ELNS1_11target_archE910ELNS1_3gpuE8ELNS1_3repE0EEENS1_30default_config_static_selectorELNS0_4arch9wavefront6targetE1EEEvSD_: ; @_ZN7rocprim17ROCPRIM_400000_NS6detail17trampoline_kernelINS0_14default_configENS1_22reduce_config_selectorIxEEZNS1_11reduce_implILb1ES3_PxS7_x9plus_mod3IxEEE10hipError_tPvRmT1_T2_T3_mT4_P12ihipStream_tbEUlT_E1_NS1_11comp_targetILNS1_3genE4ELNS1_11target_archE910ELNS1_3gpuE8ELNS1_3repE0EEENS1_30default_config_static_selectorELNS0_4arch9wavefront6targetE1EEEvSD_
; %bb.0:
	.section	.rodata,"a",@progbits
	.p2align	6, 0x0
	.amdhsa_kernel _ZN7rocprim17ROCPRIM_400000_NS6detail17trampoline_kernelINS0_14default_configENS1_22reduce_config_selectorIxEEZNS1_11reduce_implILb1ES3_PxS7_x9plus_mod3IxEEE10hipError_tPvRmT1_T2_T3_mT4_P12ihipStream_tbEUlT_E1_NS1_11comp_targetILNS1_3genE4ELNS1_11target_archE910ELNS1_3gpuE8ELNS1_3repE0EEENS1_30default_config_static_selectorELNS0_4arch9wavefront6targetE1EEEvSD_
		.amdhsa_group_segment_fixed_size 0
		.amdhsa_private_segment_fixed_size 0
		.amdhsa_kernarg_size 48
		.amdhsa_user_sgpr_count 2
		.amdhsa_user_sgpr_dispatch_ptr 0
		.amdhsa_user_sgpr_queue_ptr 0
		.amdhsa_user_sgpr_kernarg_segment_ptr 1
		.amdhsa_user_sgpr_dispatch_id 0
		.amdhsa_user_sgpr_kernarg_preload_length 0
		.amdhsa_user_sgpr_kernarg_preload_offset 0
		.amdhsa_user_sgpr_private_segment_size 0
		.amdhsa_uses_dynamic_stack 0
		.amdhsa_enable_private_segment 0
		.amdhsa_system_sgpr_workgroup_id_x 1
		.amdhsa_system_sgpr_workgroup_id_y 0
		.amdhsa_system_sgpr_workgroup_id_z 0
		.amdhsa_system_sgpr_workgroup_info 0
		.amdhsa_system_vgpr_workitem_id 0
		.amdhsa_next_free_vgpr 1
		.amdhsa_next_free_sgpr 0
		.amdhsa_accum_offset 4
		.amdhsa_reserve_vcc 0
		.amdhsa_float_round_mode_32 0
		.amdhsa_float_round_mode_16_64 0
		.amdhsa_float_denorm_mode_32 3
		.amdhsa_float_denorm_mode_16_64 3
		.amdhsa_dx10_clamp 1
		.amdhsa_ieee_mode 1
		.amdhsa_fp16_overflow 0
		.amdhsa_tg_split 0
		.amdhsa_exception_fp_ieee_invalid_op 0
		.amdhsa_exception_fp_denorm_src 0
		.amdhsa_exception_fp_ieee_div_zero 0
		.amdhsa_exception_fp_ieee_overflow 0
		.amdhsa_exception_fp_ieee_underflow 0
		.amdhsa_exception_fp_ieee_inexact 0
		.amdhsa_exception_int_div_zero 0
	.end_amdhsa_kernel
	.section	.text._ZN7rocprim17ROCPRIM_400000_NS6detail17trampoline_kernelINS0_14default_configENS1_22reduce_config_selectorIxEEZNS1_11reduce_implILb1ES3_PxS7_x9plus_mod3IxEEE10hipError_tPvRmT1_T2_T3_mT4_P12ihipStream_tbEUlT_E1_NS1_11comp_targetILNS1_3genE4ELNS1_11target_archE910ELNS1_3gpuE8ELNS1_3repE0EEENS1_30default_config_static_selectorELNS0_4arch9wavefront6targetE1EEEvSD_,"axG",@progbits,_ZN7rocprim17ROCPRIM_400000_NS6detail17trampoline_kernelINS0_14default_configENS1_22reduce_config_selectorIxEEZNS1_11reduce_implILb1ES3_PxS7_x9plus_mod3IxEEE10hipError_tPvRmT1_T2_T3_mT4_P12ihipStream_tbEUlT_E1_NS1_11comp_targetILNS1_3genE4ELNS1_11target_archE910ELNS1_3gpuE8ELNS1_3repE0EEENS1_30default_config_static_selectorELNS0_4arch9wavefront6targetE1EEEvSD_,comdat
.Lfunc_end886:
	.size	_ZN7rocprim17ROCPRIM_400000_NS6detail17trampoline_kernelINS0_14default_configENS1_22reduce_config_selectorIxEEZNS1_11reduce_implILb1ES3_PxS7_x9plus_mod3IxEEE10hipError_tPvRmT1_T2_T3_mT4_P12ihipStream_tbEUlT_E1_NS1_11comp_targetILNS1_3genE4ELNS1_11target_archE910ELNS1_3gpuE8ELNS1_3repE0EEENS1_30default_config_static_selectorELNS0_4arch9wavefront6targetE1EEEvSD_, .Lfunc_end886-_ZN7rocprim17ROCPRIM_400000_NS6detail17trampoline_kernelINS0_14default_configENS1_22reduce_config_selectorIxEEZNS1_11reduce_implILb1ES3_PxS7_x9plus_mod3IxEEE10hipError_tPvRmT1_T2_T3_mT4_P12ihipStream_tbEUlT_E1_NS1_11comp_targetILNS1_3genE4ELNS1_11target_archE910ELNS1_3gpuE8ELNS1_3repE0EEENS1_30default_config_static_selectorELNS0_4arch9wavefront6targetE1EEEvSD_
                                        ; -- End function
	.set _ZN7rocprim17ROCPRIM_400000_NS6detail17trampoline_kernelINS0_14default_configENS1_22reduce_config_selectorIxEEZNS1_11reduce_implILb1ES3_PxS7_x9plus_mod3IxEEE10hipError_tPvRmT1_T2_T3_mT4_P12ihipStream_tbEUlT_E1_NS1_11comp_targetILNS1_3genE4ELNS1_11target_archE910ELNS1_3gpuE8ELNS1_3repE0EEENS1_30default_config_static_selectorELNS0_4arch9wavefront6targetE1EEEvSD_.num_vgpr, 0
	.set _ZN7rocprim17ROCPRIM_400000_NS6detail17trampoline_kernelINS0_14default_configENS1_22reduce_config_selectorIxEEZNS1_11reduce_implILb1ES3_PxS7_x9plus_mod3IxEEE10hipError_tPvRmT1_T2_T3_mT4_P12ihipStream_tbEUlT_E1_NS1_11comp_targetILNS1_3genE4ELNS1_11target_archE910ELNS1_3gpuE8ELNS1_3repE0EEENS1_30default_config_static_selectorELNS0_4arch9wavefront6targetE1EEEvSD_.num_agpr, 0
	.set _ZN7rocprim17ROCPRIM_400000_NS6detail17trampoline_kernelINS0_14default_configENS1_22reduce_config_selectorIxEEZNS1_11reduce_implILb1ES3_PxS7_x9plus_mod3IxEEE10hipError_tPvRmT1_T2_T3_mT4_P12ihipStream_tbEUlT_E1_NS1_11comp_targetILNS1_3genE4ELNS1_11target_archE910ELNS1_3gpuE8ELNS1_3repE0EEENS1_30default_config_static_selectorELNS0_4arch9wavefront6targetE1EEEvSD_.numbered_sgpr, 0
	.set _ZN7rocprim17ROCPRIM_400000_NS6detail17trampoline_kernelINS0_14default_configENS1_22reduce_config_selectorIxEEZNS1_11reduce_implILb1ES3_PxS7_x9plus_mod3IxEEE10hipError_tPvRmT1_T2_T3_mT4_P12ihipStream_tbEUlT_E1_NS1_11comp_targetILNS1_3genE4ELNS1_11target_archE910ELNS1_3gpuE8ELNS1_3repE0EEENS1_30default_config_static_selectorELNS0_4arch9wavefront6targetE1EEEvSD_.num_named_barrier, 0
	.set _ZN7rocprim17ROCPRIM_400000_NS6detail17trampoline_kernelINS0_14default_configENS1_22reduce_config_selectorIxEEZNS1_11reduce_implILb1ES3_PxS7_x9plus_mod3IxEEE10hipError_tPvRmT1_T2_T3_mT4_P12ihipStream_tbEUlT_E1_NS1_11comp_targetILNS1_3genE4ELNS1_11target_archE910ELNS1_3gpuE8ELNS1_3repE0EEENS1_30default_config_static_selectorELNS0_4arch9wavefront6targetE1EEEvSD_.private_seg_size, 0
	.set _ZN7rocprim17ROCPRIM_400000_NS6detail17trampoline_kernelINS0_14default_configENS1_22reduce_config_selectorIxEEZNS1_11reduce_implILb1ES3_PxS7_x9plus_mod3IxEEE10hipError_tPvRmT1_T2_T3_mT4_P12ihipStream_tbEUlT_E1_NS1_11comp_targetILNS1_3genE4ELNS1_11target_archE910ELNS1_3gpuE8ELNS1_3repE0EEENS1_30default_config_static_selectorELNS0_4arch9wavefront6targetE1EEEvSD_.uses_vcc, 0
	.set _ZN7rocprim17ROCPRIM_400000_NS6detail17trampoline_kernelINS0_14default_configENS1_22reduce_config_selectorIxEEZNS1_11reduce_implILb1ES3_PxS7_x9plus_mod3IxEEE10hipError_tPvRmT1_T2_T3_mT4_P12ihipStream_tbEUlT_E1_NS1_11comp_targetILNS1_3genE4ELNS1_11target_archE910ELNS1_3gpuE8ELNS1_3repE0EEENS1_30default_config_static_selectorELNS0_4arch9wavefront6targetE1EEEvSD_.uses_flat_scratch, 0
	.set _ZN7rocprim17ROCPRIM_400000_NS6detail17trampoline_kernelINS0_14default_configENS1_22reduce_config_selectorIxEEZNS1_11reduce_implILb1ES3_PxS7_x9plus_mod3IxEEE10hipError_tPvRmT1_T2_T3_mT4_P12ihipStream_tbEUlT_E1_NS1_11comp_targetILNS1_3genE4ELNS1_11target_archE910ELNS1_3gpuE8ELNS1_3repE0EEENS1_30default_config_static_selectorELNS0_4arch9wavefront6targetE1EEEvSD_.has_dyn_sized_stack, 0
	.set _ZN7rocprim17ROCPRIM_400000_NS6detail17trampoline_kernelINS0_14default_configENS1_22reduce_config_selectorIxEEZNS1_11reduce_implILb1ES3_PxS7_x9plus_mod3IxEEE10hipError_tPvRmT1_T2_T3_mT4_P12ihipStream_tbEUlT_E1_NS1_11comp_targetILNS1_3genE4ELNS1_11target_archE910ELNS1_3gpuE8ELNS1_3repE0EEENS1_30default_config_static_selectorELNS0_4arch9wavefront6targetE1EEEvSD_.has_recursion, 0
	.set _ZN7rocprim17ROCPRIM_400000_NS6detail17trampoline_kernelINS0_14default_configENS1_22reduce_config_selectorIxEEZNS1_11reduce_implILb1ES3_PxS7_x9plus_mod3IxEEE10hipError_tPvRmT1_T2_T3_mT4_P12ihipStream_tbEUlT_E1_NS1_11comp_targetILNS1_3genE4ELNS1_11target_archE910ELNS1_3gpuE8ELNS1_3repE0EEENS1_30default_config_static_selectorELNS0_4arch9wavefront6targetE1EEEvSD_.has_indirect_call, 0
	.section	.AMDGPU.csdata,"",@progbits
; Kernel info:
; codeLenInByte = 0
; TotalNumSgprs: 6
; NumVgprs: 0
; NumAgprs: 0
; TotalNumVgprs: 0
; ScratchSize: 0
; MemoryBound: 0
; FloatMode: 240
; IeeeMode: 1
; LDSByteSize: 0 bytes/workgroup (compile time only)
; SGPRBlocks: 0
; VGPRBlocks: 0
; NumSGPRsForWavesPerEU: 6
; NumVGPRsForWavesPerEU: 1
; AccumOffset: 4
; Occupancy: 8
; WaveLimiterHint : 0
; COMPUTE_PGM_RSRC2:SCRATCH_EN: 0
; COMPUTE_PGM_RSRC2:USER_SGPR: 2
; COMPUTE_PGM_RSRC2:TRAP_HANDLER: 0
; COMPUTE_PGM_RSRC2:TGID_X_EN: 1
; COMPUTE_PGM_RSRC2:TGID_Y_EN: 0
; COMPUTE_PGM_RSRC2:TGID_Z_EN: 0
; COMPUTE_PGM_RSRC2:TIDIG_COMP_CNT: 0
; COMPUTE_PGM_RSRC3_GFX90A:ACCUM_OFFSET: 0
; COMPUTE_PGM_RSRC3_GFX90A:TG_SPLIT: 0
	.section	.text._ZN7rocprim17ROCPRIM_400000_NS6detail17trampoline_kernelINS0_14default_configENS1_22reduce_config_selectorIxEEZNS1_11reduce_implILb1ES3_PxS7_x9plus_mod3IxEEE10hipError_tPvRmT1_T2_T3_mT4_P12ihipStream_tbEUlT_E1_NS1_11comp_targetILNS1_3genE3ELNS1_11target_archE908ELNS1_3gpuE7ELNS1_3repE0EEENS1_30default_config_static_selectorELNS0_4arch9wavefront6targetE1EEEvSD_,"axG",@progbits,_ZN7rocprim17ROCPRIM_400000_NS6detail17trampoline_kernelINS0_14default_configENS1_22reduce_config_selectorIxEEZNS1_11reduce_implILb1ES3_PxS7_x9plus_mod3IxEEE10hipError_tPvRmT1_T2_T3_mT4_P12ihipStream_tbEUlT_E1_NS1_11comp_targetILNS1_3genE3ELNS1_11target_archE908ELNS1_3gpuE7ELNS1_3repE0EEENS1_30default_config_static_selectorELNS0_4arch9wavefront6targetE1EEEvSD_,comdat
	.protected	_ZN7rocprim17ROCPRIM_400000_NS6detail17trampoline_kernelINS0_14default_configENS1_22reduce_config_selectorIxEEZNS1_11reduce_implILb1ES3_PxS7_x9plus_mod3IxEEE10hipError_tPvRmT1_T2_T3_mT4_P12ihipStream_tbEUlT_E1_NS1_11comp_targetILNS1_3genE3ELNS1_11target_archE908ELNS1_3gpuE7ELNS1_3repE0EEENS1_30default_config_static_selectorELNS0_4arch9wavefront6targetE1EEEvSD_ ; -- Begin function _ZN7rocprim17ROCPRIM_400000_NS6detail17trampoline_kernelINS0_14default_configENS1_22reduce_config_selectorIxEEZNS1_11reduce_implILb1ES3_PxS7_x9plus_mod3IxEEE10hipError_tPvRmT1_T2_T3_mT4_P12ihipStream_tbEUlT_E1_NS1_11comp_targetILNS1_3genE3ELNS1_11target_archE908ELNS1_3gpuE7ELNS1_3repE0EEENS1_30default_config_static_selectorELNS0_4arch9wavefront6targetE1EEEvSD_
	.globl	_ZN7rocprim17ROCPRIM_400000_NS6detail17trampoline_kernelINS0_14default_configENS1_22reduce_config_selectorIxEEZNS1_11reduce_implILb1ES3_PxS7_x9plus_mod3IxEEE10hipError_tPvRmT1_T2_T3_mT4_P12ihipStream_tbEUlT_E1_NS1_11comp_targetILNS1_3genE3ELNS1_11target_archE908ELNS1_3gpuE7ELNS1_3repE0EEENS1_30default_config_static_selectorELNS0_4arch9wavefront6targetE1EEEvSD_
	.p2align	8
	.type	_ZN7rocprim17ROCPRIM_400000_NS6detail17trampoline_kernelINS0_14default_configENS1_22reduce_config_selectorIxEEZNS1_11reduce_implILb1ES3_PxS7_x9plus_mod3IxEEE10hipError_tPvRmT1_T2_T3_mT4_P12ihipStream_tbEUlT_E1_NS1_11comp_targetILNS1_3genE3ELNS1_11target_archE908ELNS1_3gpuE7ELNS1_3repE0EEENS1_30default_config_static_selectorELNS0_4arch9wavefront6targetE1EEEvSD_,@function
_ZN7rocprim17ROCPRIM_400000_NS6detail17trampoline_kernelINS0_14default_configENS1_22reduce_config_selectorIxEEZNS1_11reduce_implILb1ES3_PxS7_x9plus_mod3IxEEE10hipError_tPvRmT1_T2_T3_mT4_P12ihipStream_tbEUlT_E1_NS1_11comp_targetILNS1_3genE3ELNS1_11target_archE908ELNS1_3gpuE7ELNS1_3repE0EEENS1_30default_config_static_selectorELNS0_4arch9wavefront6targetE1EEEvSD_: ; @_ZN7rocprim17ROCPRIM_400000_NS6detail17trampoline_kernelINS0_14default_configENS1_22reduce_config_selectorIxEEZNS1_11reduce_implILb1ES3_PxS7_x9plus_mod3IxEEE10hipError_tPvRmT1_T2_T3_mT4_P12ihipStream_tbEUlT_E1_NS1_11comp_targetILNS1_3genE3ELNS1_11target_archE908ELNS1_3gpuE7ELNS1_3repE0EEENS1_30default_config_static_selectorELNS0_4arch9wavefront6targetE1EEEvSD_
; %bb.0:
	.section	.rodata,"a",@progbits
	.p2align	6, 0x0
	.amdhsa_kernel _ZN7rocprim17ROCPRIM_400000_NS6detail17trampoline_kernelINS0_14default_configENS1_22reduce_config_selectorIxEEZNS1_11reduce_implILb1ES3_PxS7_x9plus_mod3IxEEE10hipError_tPvRmT1_T2_T3_mT4_P12ihipStream_tbEUlT_E1_NS1_11comp_targetILNS1_3genE3ELNS1_11target_archE908ELNS1_3gpuE7ELNS1_3repE0EEENS1_30default_config_static_selectorELNS0_4arch9wavefront6targetE1EEEvSD_
		.amdhsa_group_segment_fixed_size 0
		.amdhsa_private_segment_fixed_size 0
		.amdhsa_kernarg_size 48
		.amdhsa_user_sgpr_count 2
		.amdhsa_user_sgpr_dispatch_ptr 0
		.amdhsa_user_sgpr_queue_ptr 0
		.amdhsa_user_sgpr_kernarg_segment_ptr 1
		.amdhsa_user_sgpr_dispatch_id 0
		.amdhsa_user_sgpr_kernarg_preload_length 0
		.amdhsa_user_sgpr_kernarg_preload_offset 0
		.amdhsa_user_sgpr_private_segment_size 0
		.amdhsa_uses_dynamic_stack 0
		.amdhsa_enable_private_segment 0
		.amdhsa_system_sgpr_workgroup_id_x 1
		.amdhsa_system_sgpr_workgroup_id_y 0
		.amdhsa_system_sgpr_workgroup_id_z 0
		.amdhsa_system_sgpr_workgroup_info 0
		.amdhsa_system_vgpr_workitem_id 0
		.amdhsa_next_free_vgpr 1
		.amdhsa_next_free_sgpr 0
		.amdhsa_accum_offset 4
		.amdhsa_reserve_vcc 0
		.amdhsa_float_round_mode_32 0
		.amdhsa_float_round_mode_16_64 0
		.amdhsa_float_denorm_mode_32 3
		.amdhsa_float_denorm_mode_16_64 3
		.amdhsa_dx10_clamp 1
		.amdhsa_ieee_mode 1
		.amdhsa_fp16_overflow 0
		.amdhsa_tg_split 0
		.amdhsa_exception_fp_ieee_invalid_op 0
		.amdhsa_exception_fp_denorm_src 0
		.amdhsa_exception_fp_ieee_div_zero 0
		.amdhsa_exception_fp_ieee_overflow 0
		.amdhsa_exception_fp_ieee_underflow 0
		.amdhsa_exception_fp_ieee_inexact 0
		.amdhsa_exception_int_div_zero 0
	.end_amdhsa_kernel
	.section	.text._ZN7rocprim17ROCPRIM_400000_NS6detail17trampoline_kernelINS0_14default_configENS1_22reduce_config_selectorIxEEZNS1_11reduce_implILb1ES3_PxS7_x9plus_mod3IxEEE10hipError_tPvRmT1_T2_T3_mT4_P12ihipStream_tbEUlT_E1_NS1_11comp_targetILNS1_3genE3ELNS1_11target_archE908ELNS1_3gpuE7ELNS1_3repE0EEENS1_30default_config_static_selectorELNS0_4arch9wavefront6targetE1EEEvSD_,"axG",@progbits,_ZN7rocprim17ROCPRIM_400000_NS6detail17trampoline_kernelINS0_14default_configENS1_22reduce_config_selectorIxEEZNS1_11reduce_implILb1ES3_PxS7_x9plus_mod3IxEEE10hipError_tPvRmT1_T2_T3_mT4_P12ihipStream_tbEUlT_E1_NS1_11comp_targetILNS1_3genE3ELNS1_11target_archE908ELNS1_3gpuE7ELNS1_3repE0EEENS1_30default_config_static_selectorELNS0_4arch9wavefront6targetE1EEEvSD_,comdat
.Lfunc_end887:
	.size	_ZN7rocprim17ROCPRIM_400000_NS6detail17trampoline_kernelINS0_14default_configENS1_22reduce_config_selectorIxEEZNS1_11reduce_implILb1ES3_PxS7_x9plus_mod3IxEEE10hipError_tPvRmT1_T2_T3_mT4_P12ihipStream_tbEUlT_E1_NS1_11comp_targetILNS1_3genE3ELNS1_11target_archE908ELNS1_3gpuE7ELNS1_3repE0EEENS1_30default_config_static_selectorELNS0_4arch9wavefront6targetE1EEEvSD_, .Lfunc_end887-_ZN7rocprim17ROCPRIM_400000_NS6detail17trampoline_kernelINS0_14default_configENS1_22reduce_config_selectorIxEEZNS1_11reduce_implILb1ES3_PxS7_x9plus_mod3IxEEE10hipError_tPvRmT1_T2_T3_mT4_P12ihipStream_tbEUlT_E1_NS1_11comp_targetILNS1_3genE3ELNS1_11target_archE908ELNS1_3gpuE7ELNS1_3repE0EEENS1_30default_config_static_selectorELNS0_4arch9wavefront6targetE1EEEvSD_
                                        ; -- End function
	.set _ZN7rocprim17ROCPRIM_400000_NS6detail17trampoline_kernelINS0_14default_configENS1_22reduce_config_selectorIxEEZNS1_11reduce_implILb1ES3_PxS7_x9plus_mod3IxEEE10hipError_tPvRmT1_T2_T3_mT4_P12ihipStream_tbEUlT_E1_NS1_11comp_targetILNS1_3genE3ELNS1_11target_archE908ELNS1_3gpuE7ELNS1_3repE0EEENS1_30default_config_static_selectorELNS0_4arch9wavefront6targetE1EEEvSD_.num_vgpr, 0
	.set _ZN7rocprim17ROCPRIM_400000_NS6detail17trampoline_kernelINS0_14default_configENS1_22reduce_config_selectorIxEEZNS1_11reduce_implILb1ES3_PxS7_x9plus_mod3IxEEE10hipError_tPvRmT1_T2_T3_mT4_P12ihipStream_tbEUlT_E1_NS1_11comp_targetILNS1_3genE3ELNS1_11target_archE908ELNS1_3gpuE7ELNS1_3repE0EEENS1_30default_config_static_selectorELNS0_4arch9wavefront6targetE1EEEvSD_.num_agpr, 0
	.set _ZN7rocprim17ROCPRIM_400000_NS6detail17trampoline_kernelINS0_14default_configENS1_22reduce_config_selectorIxEEZNS1_11reduce_implILb1ES3_PxS7_x9plus_mod3IxEEE10hipError_tPvRmT1_T2_T3_mT4_P12ihipStream_tbEUlT_E1_NS1_11comp_targetILNS1_3genE3ELNS1_11target_archE908ELNS1_3gpuE7ELNS1_3repE0EEENS1_30default_config_static_selectorELNS0_4arch9wavefront6targetE1EEEvSD_.numbered_sgpr, 0
	.set _ZN7rocprim17ROCPRIM_400000_NS6detail17trampoline_kernelINS0_14default_configENS1_22reduce_config_selectorIxEEZNS1_11reduce_implILb1ES3_PxS7_x9plus_mod3IxEEE10hipError_tPvRmT1_T2_T3_mT4_P12ihipStream_tbEUlT_E1_NS1_11comp_targetILNS1_3genE3ELNS1_11target_archE908ELNS1_3gpuE7ELNS1_3repE0EEENS1_30default_config_static_selectorELNS0_4arch9wavefront6targetE1EEEvSD_.num_named_barrier, 0
	.set _ZN7rocprim17ROCPRIM_400000_NS6detail17trampoline_kernelINS0_14default_configENS1_22reduce_config_selectorIxEEZNS1_11reduce_implILb1ES3_PxS7_x9plus_mod3IxEEE10hipError_tPvRmT1_T2_T3_mT4_P12ihipStream_tbEUlT_E1_NS1_11comp_targetILNS1_3genE3ELNS1_11target_archE908ELNS1_3gpuE7ELNS1_3repE0EEENS1_30default_config_static_selectorELNS0_4arch9wavefront6targetE1EEEvSD_.private_seg_size, 0
	.set _ZN7rocprim17ROCPRIM_400000_NS6detail17trampoline_kernelINS0_14default_configENS1_22reduce_config_selectorIxEEZNS1_11reduce_implILb1ES3_PxS7_x9plus_mod3IxEEE10hipError_tPvRmT1_T2_T3_mT4_P12ihipStream_tbEUlT_E1_NS1_11comp_targetILNS1_3genE3ELNS1_11target_archE908ELNS1_3gpuE7ELNS1_3repE0EEENS1_30default_config_static_selectorELNS0_4arch9wavefront6targetE1EEEvSD_.uses_vcc, 0
	.set _ZN7rocprim17ROCPRIM_400000_NS6detail17trampoline_kernelINS0_14default_configENS1_22reduce_config_selectorIxEEZNS1_11reduce_implILb1ES3_PxS7_x9plus_mod3IxEEE10hipError_tPvRmT1_T2_T3_mT4_P12ihipStream_tbEUlT_E1_NS1_11comp_targetILNS1_3genE3ELNS1_11target_archE908ELNS1_3gpuE7ELNS1_3repE0EEENS1_30default_config_static_selectorELNS0_4arch9wavefront6targetE1EEEvSD_.uses_flat_scratch, 0
	.set _ZN7rocprim17ROCPRIM_400000_NS6detail17trampoline_kernelINS0_14default_configENS1_22reduce_config_selectorIxEEZNS1_11reduce_implILb1ES3_PxS7_x9plus_mod3IxEEE10hipError_tPvRmT1_T2_T3_mT4_P12ihipStream_tbEUlT_E1_NS1_11comp_targetILNS1_3genE3ELNS1_11target_archE908ELNS1_3gpuE7ELNS1_3repE0EEENS1_30default_config_static_selectorELNS0_4arch9wavefront6targetE1EEEvSD_.has_dyn_sized_stack, 0
	.set _ZN7rocprim17ROCPRIM_400000_NS6detail17trampoline_kernelINS0_14default_configENS1_22reduce_config_selectorIxEEZNS1_11reduce_implILb1ES3_PxS7_x9plus_mod3IxEEE10hipError_tPvRmT1_T2_T3_mT4_P12ihipStream_tbEUlT_E1_NS1_11comp_targetILNS1_3genE3ELNS1_11target_archE908ELNS1_3gpuE7ELNS1_3repE0EEENS1_30default_config_static_selectorELNS0_4arch9wavefront6targetE1EEEvSD_.has_recursion, 0
	.set _ZN7rocprim17ROCPRIM_400000_NS6detail17trampoline_kernelINS0_14default_configENS1_22reduce_config_selectorIxEEZNS1_11reduce_implILb1ES3_PxS7_x9plus_mod3IxEEE10hipError_tPvRmT1_T2_T3_mT4_P12ihipStream_tbEUlT_E1_NS1_11comp_targetILNS1_3genE3ELNS1_11target_archE908ELNS1_3gpuE7ELNS1_3repE0EEENS1_30default_config_static_selectorELNS0_4arch9wavefront6targetE1EEEvSD_.has_indirect_call, 0
	.section	.AMDGPU.csdata,"",@progbits
; Kernel info:
; codeLenInByte = 0
; TotalNumSgprs: 6
; NumVgprs: 0
; NumAgprs: 0
; TotalNumVgprs: 0
; ScratchSize: 0
; MemoryBound: 0
; FloatMode: 240
; IeeeMode: 1
; LDSByteSize: 0 bytes/workgroup (compile time only)
; SGPRBlocks: 0
; VGPRBlocks: 0
; NumSGPRsForWavesPerEU: 6
; NumVGPRsForWavesPerEU: 1
; AccumOffset: 4
; Occupancy: 8
; WaveLimiterHint : 0
; COMPUTE_PGM_RSRC2:SCRATCH_EN: 0
; COMPUTE_PGM_RSRC2:USER_SGPR: 2
; COMPUTE_PGM_RSRC2:TRAP_HANDLER: 0
; COMPUTE_PGM_RSRC2:TGID_X_EN: 1
; COMPUTE_PGM_RSRC2:TGID_Y_EN: 0
; COMPUTE_PGM_RSRC2:TGID_Z_EN: 0
; COMPUTE_PGM_RSRC2:TIDIG_COMP_CNT: 0
; COMPUTE_PGM_RSRC3_GFX90A:ACCUM_OFFSET: 0
; COMPUTE_PGM_RSRC3_GFX90A:TG_SPLIT: 0
	.section	.text._ZN7rocprim17ROCPRIM_400000_NS6detail17trampoline_kernelINS0_14default_configENS1_22reduce_config_selectorIxEEZNS1_11reduce_implILb1ES3_PxS7_x9plus_mod3IxEEE10hipError_tPvRmT1_T2_T3_mT4_P12ihipStream_tbEUlT_E1_NS1_11comp_targetILNS1_3genE2ELNS1_11target_archE906ELNS1_3gpuE6ELNS1_3repE0EEENS1_30default_config_static_selectorELNS0_4arch9wavefront6targetE1EEEvSD_,"axG",@progbits,_ZN7rocprim17ROCPRIM_400000_NS6detail17trampoline_kernelINS0_14default_configENS1_22reduce_config_selectorIxEEZNS1_11reduce_implILb1ES3_PxS7_x9plus_mod3IxEEE10hipError_tPvRmT1_T2_T3_mT4_P12ihipStream_tbEUlT_E1_NS1_11comp_targetILNS1_3genE2ELNS1_11target_archE906ELNS1_3gpuE6ELNS1_3repE0EEENS1_30default_config_static_selectorELNS0_4arch9wavefront6targetE1EEEvSD_,comdat
	.protected	_ZN7rocprim17ROCPRIM_400000_NS6detail17trampoline_kernelINS0_14default_configENS1_22reduce_config_selectorIxEEZNS1_11reduce_implILb1ES3_PxS7_x9plus_mod3IxEEE10hipError_tPvRmT1_T2_T3_mT4_P12ihipStream_tbEUlT_E1_NS1_11comp_targetILNS1_3genE2ELNS1_11target_archE906ELNS1_3gpuE6ELNS1_3repE0EEENS1_30default_config_static_selectorELNS0_4arch9wavefront6targetE1EEEvSD_ ; -- Begin function _ZN7rocprim17ROCPRIM_400000_NS6detail17trampoline_kernelINS0_14default_configENS1_22reduce_config_selectorIxEEZNS1_11reduce_implILb1ES3_PxS7_x9plus_mod3IxEEE10hipError_tPvRmT1_T2_T3_mT4_P12ihipStream_tbEUlT_E1_NS1_11comp_targetILNS1_3genE2ELNS1_11target_archE906ELNS1_3gpuE6ELNS1_3repE0EEENS1_30default_config_static_selectorELNS0_4arch9wavefront6targetE1EEEvSD_
	.globl	_ZN7rocprim17ROCPRIM_400000_NS6detail17trampoline_kernelINS0_14default_configENS1_22reduce_config_selectorIxEEZNS1_11reduce_implILb1ES3_PxS7_x9plus_mod3IxEEE10hipError_tPvRmT1_T2_T3_mT4_P12ihipStream_tbEUlT_E1_NS1_11comp_targetILNS1_3genE2ELNS1_11target_archE906ELNS1_3gpuE6ELNS1_3repE0EEENS1_30default_config_static_selectorELNS0_4arch9wavefront6targetE1EEEvSD_
	.p2align	8
	.type	_ZN7rocprim17ROCPRIM_400000_NS6detail17trampoline_kernelINS0_14default_configENS1_22reduce_config_selectorIxEEZNS1_11reduce_implILb1ES3_PxS7_x9plus_mod3IxEEE10hipError_tPvRmT1_T2_T3_mT4_P12ihipStream_tbEUlT_E1_NS1_11comp_targetILNS1_3genE2ELNS1_11target_archE906ELNS1_3gpuE6ELNS1_3repE0EEENS1_30default_config_static_selectorELNS0_4arch9wavefront6targetE1EEEvSD_,@function
_ZN7rocprim17ROCPRIM_400000_NS6detail17trampoline_kernelINS0_14default_configENS1_22reduce_config_selectorIxEEZNS1_11reduce_implILb1ES3_PxS7_x9plus_mod3IxEEE10hipError_tPvRmT1_T2_T3_mT4_P12ihipStream_tbEUlT_E1_NS1_11comp_targetILNS1_3genE2ELNS1_11target_archE906ELNS1_3gpuE6ELNS1_3repE0EEENS1_30default_config_static_selectorELNS0_4arch9wavefront6targetE1EEEvSD_: ; @_ZN7rocprim17ROCPRIM_400000_NS6detail17trampoline_kernelINS0_14default_configENS1_22reduce_config_selectorIxEEZNS1_11reduce_implILb1ES3_PxS7_x9plus_mod3IxEEE10hipError_tPvRmT1_T2_T3_mT4_P12ihipStream_tbEUlT_E1_NS1_11comp_targetILNS1_3genE2ELNS1_11target_archE906ELNS1_3gpuE6ELNS1_3repE0EEENS1_30default_config_static_selectorELNS0_4arch9wavefront6targetE1EEEvSD_
; %bb.0:
	.section	.rodata,"a",@progbits
	.p2align	6, 0x0
	.amdhsa_kernel _ZN7rocprim17ROCPRIM_400000_NS6detail17trampoline_kernelINS0_14default_configENS1_22reduce_config_selectorIxEEZNS1_11reduce_implILb1ES3_PxS7_x9plus_mod3IxEEE10hipError_tPvRmT1_T2_T3_mT4_P12ihipStream_tbEUlT_E1_NS1_11comp_targetILNS1_3genE2ELNS1_11target_archE906ELNS1_3gpuE6ELNS1_3repE0EEENS1_30default_config_static_selectorELNS0_4arch9wavefront6targetE1EEEvSD_
		.amdhsa_group_segment_fixed_size 0
		.amdhsa_private_segment_fixed_size 0
		.amdhsa_kernarg_size 48
		.amdhsa_user_sgpr_count 2
		.amdhsa_user_sgpr_dispatch_ptr 0
		.amdhsa_user_sgpr_queue_ptr 0
		.amdhsa_user_sgpr_kernarg_segment_ptr 1
		.amdhsa_user_sgpr_dispatch_id 0
		.amdhsa_user_sgpr_kernarg_preload_length 0
		.amdhsa_user_sgpr_kernarg_preload_offset 0
		.amdhsa_user_sgpr_private_segment_size 0
		.amdhsa_uses_dynamic_stack 0
		.amdhsa_enable_private_segment 0
		.amdhsa_system_sgpr_workgroup_id_x 1
		.amdhsa_system_sgpr_workgroup_id_y 0
		.amdhsa_system_sgpr_workgroup_id_z 0
		.amdhsa_system_sgpr_workgroup_info 0
		.amdhsa_system_vgpr_workitem_id 0
		.amdhsa_next_free_vgpr 1
		.amdhsa_next_free_sgpr 0
		.amdhsa_accum_offset 4
		.amdhsa_reserve_vcc 0
		.amdhsa_float_round_mode_32 0
		.amdhsa_float_round_mode_16_64 0
		.amdhsa_float_denorm_mode_32 3
		.amdhsa_float_denorm_mode_16_64 3
		.amdhsa_dx10_clamp 1
		.amdhsa_ieee_mode 1
		.amdhsa_fp16_overflow 0
		.amdhsa_tg_split 0
		.amdhsa_exception_fp_ieee_invalid_op 0
		.amdhsa_exception_fp_denorm_src 0
		.amdhsa_exception_fp_ieee_div_zero 0
		.amdhsa_exception_fp_ieee_overflow 0
		.amdhsa_exception_fp_ieee_underflow 0
		.amdhsa_exception_fp_ieee_inexact 0
		.amdhsa_exception_int_div_zero 0
	.end_amdhsa_kernel
	.section	.text._ZN7rocprim17ROCPRIM_400000_NS6detail17trampoline_kernelINS0_14default_configENS1_22reduce_config_selectorIxEEZNS1_11reduce_implILb1ES3_PxS7_x9plus_mod3IxEEE10hipError_tPvRmT1_T2_T3_mT4_P12ihipStream_tbEUlT_E1_NS1_11comp_targetILNS1_3genE2ELNS1_11target_archE906ELNS1_3gpuE6ELNS1_3repE0EEENS1_30default_config_static_selectorELNS0_4arch9wavefront6targetE1EEEvSD_,"axG",@progbits,_ZN7rocprim17ROCPRIM_400000_NS6detail17trampoline_kernelINS0_14default_configENS1_22reduce_config_selectorIxEEZNS1_11reduce_implILb1ES3_PxS7_x9plus_mod3IxEEE10hipError_tPvRmT1_T2_T3_mT4_P12ihipStream_tbEUlT_E1_NS1_11comp_targetILNS1_3genE2ELNS1_11target_archE906ELNS1_3gpuE6ELNS1_3repE0EEENS1_30default_config_static_selectorELNS0_4arch9wavefront6targetE1EEEvSD_,comdat
.Lfunc_end888:
	.size	_ZN7rocprim17ROCPRIM_400000_NS6detail17trampoline_kernelINS0_14default_configENS1_22reduce_config_selectorIxEEZNS1_11reduce_implILb1ES3_PxS7_x9plus_mod3IxEEE10hipError_tPvRmT1_T2_T3_mT4_P12ihipStream_tbEUlT_E1_NS1_11comp_targetILNS1_3genE2ELNS1_11target_archE906ELNS1_3gpuE6ELNS1_3repE0EEENS1_30default_config_static_selectorELNS0_4arch9wavefront6targetE1EEEvSD_, .Lfunc_end888-_ZN7rocprim17ROCPRIM_400000_NS6detail17trampoline_kernelINS0_14default_configENS1_22reduce_config_selectorIxEEZNS1_11reduce_implILb1ES3_PxS7_x9plus_mod3IxEEE10hipError_tPvRmT1_T2_T3_mT4_P12ihipStream_tbEUlT_E1_NS1_11comp_targetILNS1_3genE2ELNS1_11target_archE906ELNS1_3gpuE6ELNS1_3repE0EEENS1_30default_config_static_selectorELNS0_4arch9wavefront6targetE1EEEvSD_
                                        ; -- End function
	.set _ZN7rocprim17ROCPRIM_400000_NS6detail17trampoline_kernelINS0_14default_configENS1_22reduce_config_selectorIxEEZNS1_11reduce_implILb1ES3_PxS7_x9plus_mod3IxEEE10hipError_tPvRmT1_T2_T3_mT4_P12ihipStream_tbEUlT_E1_NS1_11comp_targetILNS1_3genE2ELNS1_11target_archE906ELNS1_3gpuE6ELNS1_3repE0EEENS1_30default_config_static_selectorELNS0_4arch9wavefront6targetE1EEEvSD_.num_vgpr, 0
	.set _ZN7rocprim17ROCPRIM_400000_NS6detail17trampoline_kernelINS0_14default_configENS1_22reduce_config_selectorIxEEZNS1_11reduce_implILb1ES3_PxS7_x9plus_mod3IxEEE10hipError_tPvRmT1_T2_T3_mT4_P12ihipStream_tbEUlT_E1_NS1_11comp_targetILNS1_3genE2ELNS1_11target_archE906ELNS1_3gpuE6ELNS1_3repE0EEENS1_30default_config_static_selectorELNS0_4arch9wavefront6targetE1EEEvSD_.num_agpr, 0
	.set _ZN7rocprim17ROCPRIM_400000_NS6detail17trampoline_kernelINS0_14default_configENS1_22reduce_config_selectorIxEEZNS1_11reduce_implILb1ES3_PxS7_x9plus_mod3IxEEE10hipError_tPvRmT1_T2_T3_mT4_P12ihipStream_tbEUlT_E1_NS1_11comp_targetILNS1_3genE2ELNS1_11target_archE906ELNS1_3gpuE6ELNS1_3repE0EEENS1_30default_config_static_selectorELNS0_4arch9wavefront6targetE1EEEvSD_.numbered_sgpr, 0
	.set _ZN7rocprim17ROCPRIM_400000_NS6detail17trampoline_kernelINS0_14default_configENS1_22reduce_config_selectorIxEEZNS1_11reduce_implILb1ES3_PxS7_x9plus_mod3IxEEE10hipError_tPvRmT1_T2_T3_mT4_P12ihipStream_tbEUlT_E1_NS1_11comp_targetILNS1_3genE2ELNS1_11target_archE906ELNS1_3gpuE6ELNS1_3repE0EEENS1_30default_config_static_selectorELNS0_4arch9wavefront6targetE1EEEvSD_.num_named_barrier, 0
	.set _ZN7rocprim17ROCPRIM_400000_NS6detail17trampoline_kernelINS0_14default_configENS1_22reduce_config_selectorIxEEZNS1_11reduce_implILb1ES3_PxS7_x9plus_mod3IxEEE10hipError_tPvRmT1_T2_T3_mT4_P12ihipStream_tbEUlT_E1_NS1_11comp_targetILNS1_3genE2ELNS1_11target_archE906ELNS1_3gpuE6ELNS1_3repE0EEENS1_30default_config_static_selectorELNS0_4arch9wavefront6targetE1EEEvSD_.private_seg_size, 0
	.set _ZN7rocprim17ROCPRIM_400000_NS6detail17trampoline_kernelINS0_14default_configENS1_22reduce_config_selectorIxEEZNS1_11reduce_implILb1ES3_PxS7_x9plus_mod3IxEEE10hipError_tPvRmT1_T2_T3_mT4_P12ihipStream_tbEUlT_E1_NS1_11comp_targetILNS1_3genE2ELNS1_11target_archE906ELNS1_3gpuE6ELNS1_3repE0EEENS1_30default_config_static_selectorELNS0_4arch9wavefront6targetE1EEEvSD_.uses_vcc, 0
	.set _ZN7rocprim17ROCPRIM_400000_NS6detail17trampoline_kernelINS0_14default_configENS1_22reduce_config_selectorIxEEZNS1_11reduce_implILb1ES3_PxS7_x9plus_mod3IxEEE10hipError_tPvRmT1_T2_T3_mT4_P12ihipStream_tbEUlT_E1_NS1_11comp_targetILNS1_3genE2ELNS1_11target_archE906ELNS1_3gpuE6ELNS1_3repE0EEENS1_30default_config_static_selectorELNS0_4arch9wavefront6targetE1EEEvSD_.uses_flat_scratch, 0
	.set _ZN7rocprim17ROCPRIM_400000_NS6detail17trampoline_kernelINS0_14default_configENS1_22reduce_config_selectorIxEEZNS1_11reduce_implILb1ES3_PxS7_x9plus_mod3IxEEE10hipError_tPvRmT1_T2_T3_mT4_P12ihipStream_tbEUlT_E1_NS1_11comp_targetILNS1_3genE2ELNS1_11target_archE906ELNS1_3gpuE6ELNS1_3repE0EEENS1_30default_config_static_selectorELNS0_4arch9wavefront6targetE1EEEvSD_.has_dyn_sized_stack, 0
	.set _ZN7rocprim17ROCPRIM_400000_NS6detail17trampoline_kernelINS0_14default_configENS1_22reduce_config_selectorIxEEZNS1_11reduce_implILb1ES3_PxS7_x9plus_mod3IxEEE10hipError_tPvRmT1_T2_T3_mT4_P12ihipStream_tbEUlT_E1_NS1_11comp_targetILNS1_3genE2ELNS1_11target_archE906ELNS1_3gpuE6ELNS1_3repE0EEENS1_30default_config_static_selectorELNS0_4arch9wavefront6targetE1EEEvSD_.has_recursion, 0
	.set _ZN7rocprim17ROCPRIM_400000_NS6detail17trampoline_kernelINS0_14default_configENS1_22reduce_config_selectorIxEEZNS1_11reduce_implILb1ES3_PxS7_x9plus_mod3IxEEE10hipError_tPvRmT1_T2_T3_mT4_P12ihipStream_tbEUlT_E1_NS1_11comp_targetILNS1_3genE2ELNS1_11target_archE906ELNS1_3gpuE6ELNS1_3repE0EEENS1_30default_config_static_selectorELNS0_4arch9wavefront6targetE1EEEvSD_.has_indirect_call, 0
	.section	.AMDGPU.csdata,"",@progbits
; Kernel info:
; codeLenInByte = 0
; TotalNumSgprs: 6
; NumVgprs: 0
; NumAgprs: 0
; TotalNumVgprs: 0
; ScratchSize: 0
; MemoryBound: 0
; FloatMode: 240
; IeeeMode: 1
; LDSByteSize: 0 bytes/workgroup (compile time only)
; SGPRBlocks: 0
; VGPRBlocks: 0
; NumSGPRsForWavesPerEU: 6
; NumVGPRsForWavesPerEU: 1
; AccumOffset: 4
; Occupancy: 8
; WaveLimiterHint : 0
; COMPUTE_PGM_RSRC2:SCRATCH_EN: 0
; COMPUTE_PGM_RSRC2:USER_SGPR: 2
; COMPUTE_PGM_RSRC2:TRAP_HANDLER: 0
; COMPUTE_PGM_RSRC2:TGID_X_EN: 1
; COMPUTE_PGM_RSRC2:TGID_Y_EN: 0
; COMPUTE_PGM_RSRC2:TGID_Z_EN: 0
; COMPUTE_PGM_RSRC2:TIDIG_COMP_CNT: 0
; COMPUTE_PGM_RSRC3_GFX90A:ACCUM_OFFSET: 0
; COMPUTE_PGM_RSRC3_GFX90A:TG_SPLIT: 0
	.section	.text._ZN7rocprim17ROCPRIM_400000_NS6detail17trampoline_kernelINS0_14default_configENS1_22reduce_config_selectorIxEEZNS1_11reduce_implILb1ES3_PxS7_x9plus_mod3IxEEE10hipError_tPvRmT1_T2_T3_mT4_P12ihipStream_tbEUlT_E1_NS1_11comp_targetILNS1_3genE10ELNS1_11target_archE1201ELNS1_3gpuE5ELNS1_3repE0EEENS1_30default_config_static_selectorELNS0_4arch9wavefront6targetE1EEEvSD_,"axG",@progbits,_ZN7rocprim17ROCPRIM_400000_NS6detail17trampoline_kernelINS0_14default_configENS1_22reduce_config_selectorIxEEZNS1_11reduce_implILb1ES3_PxS7_x9plus_mod3IxEEE10hipError_tPvRmT1_T2_T3_mT4_P12ihipStream_tbEUlT_E1_NS1_11comp_targetILNS1_3genE10ELNS1_11target_archE1201ELNS1_3gpuE5ELNS1_3repE0EEENS1_30default_config_static_selectorELNS0_4arch9wavefront6targetE1EEEvSD_,comdat
	.protected	_ZN7rocprim17ROCPRIM_400000_NS6detail17trampoline_kernelINS0_14default_configENS1_22reduce_config_selectorIxEEZNS1_11reduce_implILb1ES3_PxS7_x9plus_mod3IxEEE10hipError_tPvRmT1_T2_T3_mT4_P12ihipStream_tbEUlT_E1_NS1_11comp_targetILNS1_3genE10ELNS1_11target_archE1201ELNS1_3gpuE5ELNS1_3repE0EEENS1_30default_config_static_selectorELNS0_4arch9wavefront6targetE1EEEvSD_ ; -- Begin function _ZN7rocprim17ROCPRIM_400000_NS6detail17trampoline_kernelINS0_14default_configENS1_22reduce_config_selectorIxEEZNS1_11reduce_implILb1ES3_PxS7_x9plus_mod3IxEEE10hipError_tPvRmT1_T2_T3_mT4_P12ihipStream_tbEUlT_E1_NS1_11comp_targetILNS1_3genE10ELNS1_11target_archE1201ELNS1_3gpuE5ELNS1_3repE0EEENS1_30default_config_static_selectorELNS0_4arch9wavefront6targetE1EEEvSD_
	.globl	_ZN7rocprim17ROCPRIM_400000_NS6detail17trampoline_kernelINS0_14default_configENS1_22reduce_config_selectorIxEEZNS1_11reduce_implILb1ES3_PxS7_x9plus_mod3IxEEE10hipError_tPvRmT1_T2_T3_mT4_P12ihipStream_tbEUlT_E1_NS1_11comp_targetILNS1_3genE10ELNS1_11target_archE1201ELNS1_3gpuE5ELNS1_3repE0EEENS1_30default_config_static_selectorELNS0_4arch9wavefront6targetE1EEEvSD_
	.p2align	8
	.type	_ZN7rocprim17ROCPRIM_400000_NS6detail17trampoline_kernelINS0_14default_configENS1_22reduce_config_selectorIxEEZNS1_11reduce_implILb1ES3_PxS7_x9plus_mod3IxEEE10hipError_tPvRmT1_T2_T3_mT4_P12ihipStream_tbEUlT_E1_NS1_11comp_targetILNS1_3genE10ELNS1_11target_archE1201ELNS1_3gpuE5ELNS1_3repE0EEENS1_30default_config_static_selectorELNS0_4arch9wavefront6targetE1EEEvSD_,@function
_ZN7rocprim17ROCPRIM_400000_NS6detail17trampoline_kernelINS0_14default_configENS1_22reduce_config_selectorIxEEZNS1_11reduce_implILb1ES3_PxS7_x9plus_mod3IxEEE10hipError_tPvRmT1_T2_T3_mT4_P12ihipStream_tbEUlT_E1_NS1_11comp_targetILNS1_3genE10ELNS1_11target_archE1201ELNS1_3gpuE5ELNS1_3repE0EEENS1_30default_config_static_selectorELNS0_4arch9wavefront6targetE1EEEvSD_: ; @_ZN7rocprim17ROCPRIM_400000_NS6detail17trampoline_kernelINS0_14default_configENS1_22reduce_config_selectorIxEEZNS1_11reduce_implILb1ES3_PxS7_x9plus_mod3IxEEE10hipError_tPvRmT1_T2_T3_mT4_P12ihipStream_tbEUlT_E1_NS1_11comp_targetILNS1_3genE10ELNS1_11target_archE1201ELNS1_3gpuE5ELNS1_3repE0EEENS1_30default_config_static_selectorELNS0_4arch9wavefront6targetE1EEEvSD_
; %bb.0:
	.section	.rodata,"a",@progbits
	.p2align	6, 0x0
	.amdhsa_kernel _ZN7rocprim17ROCPRIM_400000_NS6detail17trampoline_kernelINS0_14default_configENS1_22reduce_config_selectorIxEEZNS1_11reduce_implILb1ES3_PxS7_x9plus_mod3IxEEE10hipError_tPvRmT1_T2_T3_mT4_P12ihipStream_tbEUlT_E1_NS1_11comp_targetILNS1_3genE10ELNS1_11target_archE1201ELNS1_3gpuE5ELNS1_3repE0EEENS1_30default_config_static_selectorELNS0_4arch9wavefront6targetE1EEEvSD_
		.amdhsa_group_segment_fixed_size 0
		.amdhsa_private_segment_fixed_size 0
		.amdhsa_kernarg_size 48
		.amdhsa_user_sgpr_count 2
		.amdhsa_user_sgpr_dispatch_ptr 0
		.amdhsa_user_sgpr_queue_ptr 0
		.amdhsa_user_sgpr_kernarg_segment_ptr 1
		.amdhsa_user_sgpr_dispatch_id 0
		.amdhsa_user_sgpr_kernarg_preload_length 0
		.amdhsa_user_sgpr_kernarg_preload_offset 0
		.amdhsa_user_sgpr_private_segment_size 0
		.amdhsa_uses_dynamic_stack 0
		.amdhsa_enable_private_segment 0
		.amdhsa_system_sgpr_workgroup_id_x 1
		.amdhsa_system_sgpr_workgroup_id_y 0
		.amdhsa_system_sgpr_workgroup_id_z 0
		.amdhsa_system_sgpr_workgroup_info 0
		.amdhsa_system_vgpr_workitem_id 0
		.amdhsa_next_free_vgpr 1
		.amdhsa_next_free_sgpr 0
		.amdhsa_accum_offset 4
		.amdhsa_reserve_vcc 0
		.amdhsa_float_round_mode_32 0
		.amdhsa_float_round_mode_16_64 0
		.amdhsa_float_denorm_mode_32 3
		.amdhsa_float_denorm_mode_16_64 3
		.amdhsa_dx10_clamp 1
		.amdhsa_ieee_mode 1
		.amdhsa_fp16_overflow 0
		.amdhsa_tg_split 0
		.amdhsa_exception_fp_ieee_invalid_op 0
		.amdhsa_exception_fp_denorm_src 0
		.amdhsa_exception_fp_ieee_div_zero 0
		.amdhsa_exception_fp_ieee_overflow 0
		.amdhsa_exception_fp_ieee_underflow 0
		.amdhsa_exception_fp_ieee_inexact 0
		.amdhsa_exception_int_div_zero 0
	.end_amdhsa_kernel
	.section	.text._ZN7rocprim17ROCPRIM_400000_NS6detail17trampoline_kernelINS0_14default_configENS1_22reduce_config_selectorIxEEZNS1_11reduce_implILb1ES3_PxS7_x9plus_mod3IxEEE10hipError_tPvRmT1_T2_T3_mT4_P12ihipStream_tbEUlT_E1_NS1_11comp_targetILNS1_3genE10ELNS1_11target_archE1201ELNS1_3gpuE5ELNS1_3repE0EEENS1_30default_config_static_selectorELNS0_4arch9wavefront6targetE1EEEvSD_,"axG",@progbits,_ZN7rocprim17ROCPRIM_400000_NS6detail17trampoline_kernelINS0_14default_configENS1_22reduce_config_selectorIxEEZNS1_11reduce_implILb1ES3_PxS7_x9plus_mod3IxEEE10hipError_tPvRmT1_T2_T3_mT4_P12ihipStream_tbEUlT_E1_NS1_11comp_targetILNS1_3genE10ELNS1_11target_archE1201ELNS1_3gpuE5ELNS1_3repE0EEENS1_30default_config_static_selectorELNS0_4arch9wavefront6targetE1EEEvSD_,comdat
.Lfunc_end889:
	.size	_ZN7rocprim17ROCPRIM_400000_NS6detail17trampoline_kernelINS0_14default_configENS1_22reduce_config_selectorIxEEZNS1_11reduce_implILb1ES3_PxS7_x9plus_mod3IxEEE10hipError_tPvRmT1_T2_T3_mT4_P12ihipStream_tbEUlT_E1_NS1_11comp_targetILNS1_3genE10ELNS1_11target_archE1201ELNS1_3gpuE5ELNS1_3repE0EEENS1_30default_config_static_selectorELNS0_4arch9wavefront6targetE1EEEvSD_, .Lfunc_end889-_ZN7rocprim17ROCPRIM_400000_NS6detail17trampoline_kernelINS0_14default_configENS1_22reduce_config_selectorIxEEZNS1_11reduce_implILb1ES3_PxS7_x9plus_mod3IxEEE10hipError_tPvRmT1_T2_T3_mT4_P12ihipStream_tbEUlT_E1_NS1_11comp_targetILNS1_3genE10ELNS1_11target_archE1201ELNS1_3gpuE5ELNS1_3repE0EEENS1_30default_config_static_selectorELNS0_4arch9wavefront6targetE1EEEvSD_
                                        ; -- End function
	.set _ZN7rocprim17ROCPRIM_400000_NS6detail17trampoline_kernelINS0_14default_configENS1_22reduce_config_selectorIxEEZNS1_11reduce_implILb1ES3_PxS7_x9plus_mod3IxEEE10hipError_tPvRmT1_T2_T3_mT4_P12ihipStream_tbEUlT_E1_NS1_11comp_targetILNS1_3genE10ELNS1_11target_archE1201ELNS1_3gpuE5ELNS1_3repE0EEENS1_30default_config_static_selectorELNS0_4arch9wavefront6targetE1EEEvSD_.num_vgpr, 0
	.set _ZN7rocprim17ROCPRIM_400000_NS6detail17trampoline_kernelINS0_14default_configENS1_22reduce_config_selectorIxEEZNS1_11reduce_implILb1ES3_PxS7_x9plus_mod3IxEEE10hipError_tPvRmT1_T2_T3_mT4_P12ihipStream_tbEUlT_E1_NS1_11comp_targetILNS1_3genE10ELNS1_11target_archE1201ELNS1_3gpuE5ELNS1_3repE0EEENS1_30default_config_static_selectorELNS0_4arch9wavefront6targetE1EEEvSD_.num_agpr, 0
	.set _ZN7rocprim17ROCPRIM_400000_NS6detail17trampoline_kernelINS0_14default_configENS1_22reduce_config_selectorIxEEZNS1_11reduce_implILb1ES3_PxS7_x9plus_mod3IxEEE10hipError_tPvRmT1_T2_T3_mT4_P12ihipStream_tbEUlT_E1_NS1_11comp_targetILNS1_3genE10ELNS1_11target_archE1201ELNS1_3gpuE5ELNS1_3repE0EEENS1_30default_config_static_selectorELNS0_4arch9wavefront6targetE1EEEvSD_.numbered_sgpr, 0
	.set _ZN7rocprim17ROCPRIM_400000_NS6detail17trampoline_kernelINS0_14default_configENS1_22reduce_config_selectorIxEEZNS1_11reduce_implILb1ES3_PxS7_x9plus_mod3IxEEE10hipError_tPvRmT1_T2_T3_mT4_P12ihipStream_tbEUlT_E1_NS1_11comp_targetILNS1_3genE10ELNS1_11target_archE1201ELNS1_3gpuE5ELNS1_3repE0EEENS1_30default_config_static_selectorELNS0_4arch9wavefront6targetE1EEEvSD_.num_named_barrier, 0
	.set _ZN7rocprim17ROCPRIM_400000_NS6detail17trampoline_kernelINS0_14default_configENS1_22reduce_config_selectorIxEEZNS1_11reduce_implILb1ES3_PxS7_x9plus_mod3IxEEE10hipError_tPvRmT1_T2_T3_mT4_P12ihipStream_tbEUlT_E1_NS1_11comp_targetILNS1_3genE10ELNS1_11target_archE1201ELNS1_3gpuE5ELNS1_3repE0EEENS1_30default_config_static_selectorELNS0_4arch9wavefront6targetE1EEEvSD_.private_seg_size, 0
	.set _ZN7rocprim17ROCPRIM_400000_NS6detail17trampoline_kernelINS0_14default_configENS1_22reduce_config_selectorIxEEZNS1_11reduce_implILb1ES3_PxS7_x9plus_mod3IxEEE10hipError_tPvRmT1_T2_T3_mT4_P12ihipStream_tbEUlT_E1_NS1_11comp_targetILNS1_3genE10ELNS1_11target_archE1201ELNS1_3gpuE5ELNS1_3repE0EEENS1_30default_config_static_selectorELNS0_4arch9wavefront6targetE1EEEvSD_.uses_vcc, 0
	.set _ZN7rocprim17ROCPRIM_400000_NS6detail17trampoline_kernelINS0_14default_configENS1_22reduce_config_selectorIxEEZNS1_11reduce_implILb1ES3_PxS7_x9plus_mod3IxEEE10hipError_tPvRmT1_T2_T3_mT4_P12ihipStream_tbEUlT_E1_NS1_11comp_targetILNS1_3genE10ELNS1_11target_archE1201ELNS1_3gpuE5ELNS1_3repE0EEENS1_30default_config_static_selectorELNS0_4arch9wavefront6targetE1EEEvSD_.uses_flat_scratch, 0
	.set _ZN7rocprim17ROCPRIM_400000_NS6detail17trampoline_kernelINS0_14default_configENS1_22reduce_config_selectorIxEEZNS1_11reduce_implILb1ES3_PxS7_x9plus_mod3IxEEE10hipError_tPvRmT1_T2_T3_mT4_P12ihipStream_tbEUlT_E1_NS1_11comp_targetILNS1_3genE10ELNS1_11target_archE1201ELNS1_3gpuE5ELNS1_3repE0EEENS1_30default_config_static_selectorELNS0_4arch9wavefront6targetE1EEEvSD_.has_dyn_sized_stack, 0
	.set _ZN7rocprim17ROCPRIM_400000_NS6detail17trampoline_kernelINS0_14default_configENS1_22reduce_config_selectorIxEEZNS1_11reduce_implILb1ES3_PxS7_x9plus_mod3IxEEE10hipError_tPvRmT1_T2_T3_mT4_P12ihipStream_tbEUlT_E1_NS1_11comp_targetILNS1_3genE10ELNS1_11target_archE1201ELNS1_3gpuE5ELNS1_3repE0EEENS1_30default_config_static_selectorELNS0_4arch9wavefront6targetE1EEEvSD_.has_recursion, 0
	.set _ZN7rocprim17ROCPRIM_400000_NS6detail17trampoline_kernelINS0_14default_configENS1_22reduce_config_selectorIxEEZNS1_11reduce_implILb1ES3_PxS7_x9plus_mod3IxEEE10hipError_tPvRmT1_T2_T3_mT4_P12ihipStream_tbEUlT_E1_NS1_11comp_targetILNS1_3genE10ELNS1_11target_archE1201ELNS1_3gpuE5ELNS1_3repE0EEENS1_30default_config_static_selectorELNS0_4arch9wavefront6targetE1EEEvSD_.has_indirect_call, 0
	.section	.AMDGPU.csdata,"",@progbits
; Kernel info:
; codeLenInByte = 0
; TotalNumSgprs: 6
; NumVgprs: 0
; NumAgprs: 0
; TotalNumVgprs: 0
; ScratchSize: 0
; MemoryBound: 0
; FloatMode: 240
; IeeeMode: 1
; LDSByteSize: 0 bytes/workgroup (compile time only)
; SGPRBlocks: 0
; VGPRBlocks: 0
; NumSGPRsForWavesPerEU: 6
; NumVGPRsForWavesPerEU: 1
; AccumOffset: 4
; Occupancy: 8
; WaveLimiterHint : 0
; COMPUTE_PGM_RSRC2:SCRATCH_EN: 0
; COMPUTE_PGM_RSRC2:USER_SGPR: 2
; COMPUTE_PGM_RSRC2:TRAP_HANDLER: 0
; COMPUTE_PGM_RSRC2:TGID_X_EN: 1
; COMPUTE_PGM_RSRC2:TGID_Y_EN: 0
; COMPUTE_PGM_RSRC2:TGID_Z_EN: 0
; COMPUTE_PGM_RSRC2:TIDIG_COMP_CNT: 0
; COMPUTE_PGM_RSRC3_GFX90A:ACCUM_OFFSET: 0
; COMPUTE_PGM_RSRC3_GFX90A:TG_SPLIT: 0
	.section	.text._ZN7rocprim17ROCPRIM_400000_NS6detail17trampoline_kernelINS0_14default_configENS1_22reduce_config_selectorIxEEZNS1_11reduce_implILb1ES3_PxS7_x9plus_mod3IxEEE10hipError_tPvRmT1_T2_T3_mT4_P12ihipStream_tbEUlT_E1_NS1_11comp_targetILNS1_3genE10ELNS1_11target_archE1200ELNS1_3gpuE4ELNS1_3repE0EEENS1_30default_config_static_selectorELNS0_4arch9wavefront6targetE1EEEvSD_,"axG",@progbits,_ZN7rocprim17ROCPRIM_400000_NS6detail17trampoline_kernelINS0_14default_configENS1_22reduce_config_selectorIxEEZNS1_11reduce_implILb1ES3_PxS7_x9plus_mod3IxEEE10hipError_tPvRmT1_T2_T3_mT4_P12ihipStream_tbEUlT_E1_NS1_11comp_targetILNS1_3genE10ELNS1_11target_archE1200ELNS1_3gpuE4ELNS1_3repE0EEENS1_30default_config_static_selectorELNS0_4arch9wavefront6targetE1EEEvSD_,comdat
	.protected	_ZN7rocprim17ROCPRIM_400000_NS6detail17trampoline_kernelINS0_14default_configENS1_22reduce_config_selectorIxEEZNS1_11reduce_implILb1ES3_PxS7_x9plus_mod3IxEEE10hipError_tPvRmT1_T2_T3_mT4_P12ihipStream_tbEUlT_E1_NS1_11comp_targetILNS1_3genE10ELNS1_11target_archE1200ELNS1_3gpuE4ELNS1_3repE0EEENS1_30default_config_static_selectorELNS0_4arch9wavefront6targetE1EEEvSD_ ; -- Begin function _ZN7rocprim17ROCPRIM_400000_NS6detail17trampoline_kernelINS0_14default_configENS1_22reduce_config_selectorIxEEZNS1_11reduce_implILb1ES3_PxS7_x9plus_mod3IxEEE10hipError_tPvRmT1_T2_T3_mT4_P12ihipStream_tbEUlT_E1_NS1_11comp_targetILNS1_3genE10ELNS1_11target_archE1200ELNS1_3gpuE4ELNS1_3repE0EEENS1_30default_config_static_selectorELNS0_4arch9wavefront6targetE1EEEvSD_
	.globl	_ZN7rocprim17ROCPRIM_400000_NS6detail17trampoline_kernelINS0_14default_configENS1_22reduce_config_selectorIxEEZNS1_11reduce_implILb1ES3_PxS7_x9plus_mod3IxEEE10hipError_tPvRmT1_T2_T3_mT4_P12ihipStream_tbEUlT_E1_NS1_11comp_targetILNS1_3genE10ELNS1_11target_archE1200ELNS1_3gpuE4ELNS1_3repE0EEENS1_30default_config_static_selectorELNS0_4arch9wavefront6targetE1EEEvSD_
	.p2align	8
	.type	_ZN7rocprim17ROCPRIM_400000_NS6detail17trampoline_kernelINS0_14default_configENS1_22reduce_config_selectorIxEEZNS1_11reduce_implILb1ES3_PxS7_x9plus_mod3IxEEE10hipError_tPvRmT1_T2_T3_mT4_P12ihipStream_tbEUlT_E1_NS1_11comp_targetILNS1_3genE10ELNS1_11target_archE1200ELNS1_3gpuE4ELNS1_3repE0EEENS1_30default_config_static_selectorELNS0_4arch9wavefront6targetE1EEEvSD_,@function
_ZN7rocprim17ROCPRIM_400000_NS6detail17trampoline_kernelINS0_14default_configENS1_22reduce_config_selectorIxEEZNS1_11reduce_implILb1ES3_PxS7_x9plus_mod3IxEEE10hipError_tPvRmT1_T2_T3_mT4_P12ihipStream_tbEUlT_E1_NS1_11comp_targetILNS1_3genE10ELNS1_11target_archE1200ELNS1_3gpuE4ELNS1_3repE0EEENS1_30default_config_static_selectorELNS0_4arch9wavefront6targetE1EEEvSD_: ; @_ZN7rocprim17ROCPRIM_400000_NS6detail17trampoline_kernelINS0_14default_configENS1_22reduce_config_selectorIxEEZNS1_11reduce_implILb1ES3_PxS7_x9plus_mod3IxEEE10hipError_tPvRmT1_T2_T3_mT4_P12ihipStream_tbEUlT_E1_NS1_11comp_targetILNS1_3genE10ELNS1_11target_archE1200ELNS1_3gpuE4ELNS1_3repE0EEENS1_30default_config_static_selectorELNS0_4arch9wavefront6targetE1EEEvSD_
; %bb.0:
	.section	.rodata,"a",@progbits
	.p2align	6, 0x0
	.amdhsa_kernel _ZN7rocprim17ROCPRIM_400000_NS6detail17trampoline_kernelINS0_14default_configENS1_22reduce_config_selectorIxEEZNS1_11reduce_implILb1ES3_PxS7_x9plus_mod3IxEEE10hipError_tPvRmT1_T2_T3_mT4_P12ihipStream_tbEUlT_E1_NS1_11comp_targetILNS1_3genE10ELNS1_11target_archE1200ELNS1_3gpuE4ELNS1_3repE0EEENS1_30default_config_static_selectorELNS0_4arch9wavefront6targetE1EEEvSD_
		.amdhsa_group_segment_fixed_size 0
		.amdhsa_private_segment_fixed_size 0
		.amdhsa_kernarg_size 48
		.amdhsa_user_sgpr_count 2
		.amdhsa_user_sgpr_dispatch_ptr 0
		.amdhsa_user_sgpr_queue_ptr 0
		.amdhsa_user_sgpr_kernarg_segment_ptr 1
		.amdhsa_user_sgpr_dispatch_id 0
		.amdhsa_user_sgpr_kernarg_preload_length 0
		.amdhsa_user_sgpr_kernarg_preload_offset 0
		.amdhsa_user_sgpr_private_segment_size 0
		.amdhsa_uses_dynamic_stack 0
		.amdhsa_enable_private_segment 0
		.amdhsa_system_sgpr_workgroup_id_x 1
		.amdhsa_system_sgpr_workgroup_id_y 0
		.amdhsa_system_sgpr_workgroup_id_z 0
		.amdhsa_system_sgpr_workgroup_info 0
		.amdhsa_system_vgpr_workitem_id 0
		.amdhsa_next_free_vgpr 1
		.amdhsa_next_free_sgpr 0
		.amdhsa_accum_offset 4
		.amdhsa_reserve_vcc 0
		.amdhsa_float_round_mode_32 0
		.amdhsa_float_round_mode_16_64 0
		.amdhsa_float_denorm_mode_32 3
		.amdhsa_float_denorm_mode_16_64 3
		.amdhsa_dx10_clamp 1
		.amdhsa_ieee_mode 1
		.amdhsa_fp16_overflow 0
		.amdhsa_tg_split 0
		.amdhsa_exception_fp_ieee_invalid_op 0
		.amdhsa_exception_fp_denorm_src 0
		.amdhsa_exception_fp_ieee_div_zero 0
		.amdhsa_exception_fp_ieee_overflow 0
		.amdhsa_exception_fp_ieee_underflow 0
		.amdhsa_exception_fp_ieee_inexact 0
		.amdhsa_exception_int_div_zero 0
	.end_amdhsa_kernel
	.section	.text._ZN7rocprim17ROCPRIM_400000_NS6detail17trampoline_kernelINS0_14default_configENS1_22reduce_config_selectorIxEEZNS1_11reduce_implILb1ES3_PxS7_x9plus_mod3IxEEE10hipError_tPvRmT1_T2_T3_mT4_P12ihipStream_tbEUlT_E1_NS1_11comp_targetILNS1_3genE10ELNS1_11target_archE1200ELNS1_3gpuE4ELNS1_3repE0EEENS1_30default_config_static_selectorELNS0_4arch9wavefront6targetE1EEEvSD_,"axG",@progbits,_ZN7rocprim17ROCPRIM_400000_NS6detail17trampoline_kernelINS0_14default_configENS1_22reduce_config_selectorIxEEZNS1_11reduce_implILb1ES3_PxS7_x9plus_mod3IxEEE10hipError_tPvRmT1_T2_T3_mT4_P12ihipStream_tbEUlT_E1_NS1_11comp_targetILNS1_3genE10ELNS1_11target_archE1200ELNS1_3gpuE4ELNS1_3repE0EEENS1_30default_config_static_selectorELNS0_4arch9wavefront6targetE1EEEvSD_,comdat
.Lfunc_end890:
	.size	_ZN7rocprim17ROCPRIM_400000_NS6detail17trampoline_kernelINS0_14default_configENS1_22reduce_config_selectorIxEEZNS1_11reduce_implILb1ES3_PxS7_x9plus_mod3IxEEE10hipError_tPvRmT1_T2_T3_mT4_P12ihipStream_tbEUlT_E1_NS1_11comp_targetILNS1_3genE10ELNS1_11target_archE1200ELNS1_3gpuE4ELNS1_3repE0EEENS1_30default_config_static_selectorELNS0_4arch9wavefront6targetE1EEEvSD_, .Lfunc_end890-_ZN7rocprim17ROCPRIM_400000_NS6detail17trampoline_kernelINS0_14default_configENS1_22reduce_config_selectorIxEEZNS1_11reduce_implILb1ES3_PxS7_x9plus_mod3IxEEE10hipError_tPvRmT1_T2_T3_mT4_P12ihipStream_tbEUlT_E1_NS1_11comp_targetILNS1_3genE10ELNS1_11target_archE1200ELNS1_3gpuE4ELNS1_3repE0EEENS1_30default_config_static_selectorELNS0_4arch9wavefront6targetE1EEEvSD_
                                        ; -- End function
	.set _ZN7rocprim17ROCPRIM_400000_NS6detail17trampoline_kernelINS0_14default_configENS1_22reduce_config_selectorIxEEZNS1_11reduce_implILb1ES3_PxS7_x9plus_mod3IxEEE10hipError_tPvRmT1_T2_T3_mT4_P12ihipStream_tbEUlT_E1_NS1_11comp_targetILNS1_3genE10ELNS1_11target_archE1200ELNS1_3gpuE4ELNS1_3repE0EEENS1_30default_config_static_selectorELNS0_4arch9wavefront6targetE1EEEvSD_.num_vgpr, 0
	.set _ZN7rocprim17ROCPRIM_400000_NS6detail17trampoline_kernelINS0_14default_configENS1_22reduce_config_selectorIxEEZNS1_11reduce_implILb1ES3_PxS7_x9plus_mod3IxEEE10hipError_tPvRmT1_T2_T3_mT4_P12ihipStream_tbEUlT_E1_NS1_11comp_targetILNS1_3genE10ELNS1_11target_archE1200ELNS1_3gpuE4ELNS1_3repE0EEENS1_30default_config_static_selectorELNS0_4arch9wavefront6targetE1EEEvSD_.num_agpr, 0
	.set _ZN7rocprim17ROCPRIM_400000_NS6detail17trampoline_kernelINS0_14default_configENS1_22reduce_config_selectorIxEEZNS1_11reduce_implILb1ES3_PxS7_x9plus_mod3IxEEE10hipError_tPvRmT1_T2_T3_mT4_P12ihipStream_tbEUlT_E1_NS1_11comp_targetILNS1_3genE10ELNS1_11target_archE1200ELNS1_3gpuE4ELNS1_3repE0EEENS1_30default_config_static_selectorELNS0_4arch9wavefront6targetE1EEEvSD_.numbered_sgpr, 0
	.set _ZN7rocprim17ROCPRIM_400000_NS6detail17trampoline_kernelINS0_14default_configENS1_22reduce_config_selectorIxEEZNS1_11reduce_implILb1ES3_PxS7_x9plus_mod3IxEEE10hipError_tPvRmT1_T2_T3_mT4_P12ihipStream_tbEUlT_E1_NS1_11comp_targetILNS1_3genE10ELNS1_11target_archE1200ELNS1_3gpuE4ELNS1_3repE0EEENS1_30default_config_static_selectorELNS0_4arch9wavefront6targetE1EEEvSD_.num_named_barrier, 0
	.set _ZN7rocprim17ROCPRIM_400000_NS6detail17trampoline_kernelINS0_14default_configENS1_22reduce_config_selectorIxEEZNS1_11reduce_implILb1ES3_PxS7_x9plus_mod3IxEEE10hipError_tPvRmT1_T2_T3_mT4_P12ihipStream_tbEUlT_E1_NS1_11comp_targetILNS1_3genE10ELNS1_11target_archE1200ELNS1_3gpuE4ELNS1_3repE0EEENS1_30default_config_static_selectorELNS0_4arch9wavefront6targetE1EEEvSD_.private_seg_size, 0
	.set _ZN7rocprim17ROCPRIM_400000_NS6detail17trampoline_kernelINS0_14default_configENS1_22reduce_config_selectorIxEEZNS1_11reduce_implILb1ES3_PxS7_x9plus_mod3IxEEE10hipError_tPvRmT1_T2_T3_mT4_P12ihipStream_tbEUlT_E1_NS1_11comp_targetILNS1_3genE10ELNS1_11target_archE1200ELNS1_3gpuE4ELNS1_3repE0EEENS1_30default_config_static_selectorELNS0_4arch9wavefront6targetE1EEEvSD_.uses_vcc, 0
	.set _ZN7rocprim17ROCPRIM_400000_NS6detail17trampoline_kernelINS0_14default_configENS1_22reduce_config_selectorIxEEZNS1_11reduce_implILb1ES3_PxS7_x9plus_mod3IxEEE10hipError_tPvRmT1_T2_T3_mT4_P12ihipStream_tbEUlT_E1_NS1_11comp_targetILNS1_3genE10ELNS1_11target_archE1200ELNS1_3gpuE4ELNS1_3repE0EEENS1_30default_config_static_selectorELNS0_4arch9wavefront6targetE1EEEvSD_.uses_flat_scratch, 0
	.set _ZN7rocprim17ROCPRIM_400000_NS6detail17trampoline_kernelINS0_14default_configENS1_22reduce_config_selectorIxEEZNS1_11reduce_implILb1ES3_PxS7_x9plus_mod3IxEEE10hipError_tPvRmT1_T2_T3_mT4_P12ihipStream_tbEUlT_E1_NS1_11comp_targetILNS1_3genE10ELNS1_11target_archE1200ELNS1_3gpuE4ELNS1_3repE0EEENS1_30default_config_static_selectorELNS0_4arch9wavefront6targetE1EEEvSD_.has_dyn_sized_stack, 0
	.set _ZN7rocprim17ROCPRIM_400000_NS6detail17trampoline_kernelINS0_14default_configENS1_22reduce_config_selectorIxEEZNS1_11reduce_implILb1ES3_PxS7_x9plus_mod3IxEEE10hipError_tPvRmT1_T2_T3_mT4_P12ihipStream_tbEUlT_E1_NS1_11comp_targetILNS1_3genE10ELNS1_11target_archE1200ELNS1_3gpuE4ELNS1_3repE0EEENS1_30default_config_static_selectorELNS0_4arch9wavefront6targetE1EEEvSD_.has_recursion, 0
	.set _ZN7rocprim17ROCPRIM_400000_NS6detail17trampoline_kernelINS0_14default_configENS1_22reduce_config_selectorIxEEZNS1_11reduce_implILb1ES3_PxS7_x9plus_mod3IxEEE10hipError_tPvRmT1_T2_T3_mT4_P12ihipStream_tbEUlT_E1_NS1_11comp_targetILNS1_3genE10ELNS1_11target_archE1200ELNS1_3gpuE4ELNS1_3repE0EEENS1_30default_config_static_selectorELNS0_4arch9wavefront6targetE1EEEvSD_.has_indirect_call, 0
	.section	.AMDGPU.csdata,"",@progbits
; Kernel info:
; codeLenInByte = 0
; TotalNumSgprs: 6
; NumVgprs: 0
; NumAgprs: 0
; TotalNumVgprs: 0
; ScratchSize: 0
; MemoryBound: 0
; FloatMode: 240
; IeeeMode: 1
; LDSByteSize: 0 bytes/workgroup (compile time only)
; SGPRBlocks: 0
; VGPRBlocks: 0
; NumSGPRsForWavesPerEU: 6
; NumVGPRsForWavesPerEU: 1
; AccumOffset: 4
; Occupancy: 8
; WaveLimiterHint : 0
; COMPUTE_PGM_RSRC2:SCRATCH_EN: 0
; COMPUTE_PGM_RSRC2:USER_SGPR: 2
; COMPUTE_PGM_RSRC2:TRAP_HANDLER: 0
; COMPUTE_PGM_RSRC2:TGID_X_EN: 1
; COMPUTE_PGM_RSRC2:TGID_Y_EN: 0
; COMPUTE_PGM_RSRC2:TGID_Z_EN: 0
; COMPUTE_PGM_RSRC2:TIDIG_COMP_CNT: 0
; COMPUTE_PGM_RSRC3_GFX90A:ACCUM_OFFSET: 0
; COMPUTE_PGM_RSRC3_GFX90A:TG_SPLIT: 0
	.section	.text._ZN7rocprim17ROCPRIM_400000_NS6detail17trampoline_kernelINS0_14default_configENS1_22reduce_config_selectorIxEEZNS1_11reduce_implILb1ES3_PxS7_x9plus_mod3IxEEE10hipError_tPvRmT1_T2_T3_mT4_P12ihipStream_tbEUlT_E1_NS1_11comp_targetILNS1_3genE9ELNS1_11target_archE1100ELNS1_3gpuE3ELNS1_3repE0EEENS1_30default_config_static_selectorELNS0_4arch9wavefront6targetE1EEEvSD_,"axG",@progbits,_ZN7rocprim17ROCPRIM_400000_NS6detail17trampoline_kernelINS0_14default_configENS1_22reduce_config_selectorIxEEZNS1_11reduce_implILb1ES3_PxS7_x9plus_mod3IxEEE10hipError_tPvRmT1_T2_T3_mT4_P12ihipStream_tbEUlT_E1_NS1_11comp_targetILNS1_3genE9ELNS1_11target_archE1100ELNS1_3gpuE3ELNS1_3repE0EEENS1_30default_config_static_selectorELNS0_4arch9wavefront6targetE1EEEvSD_,comdat
	.protected	_ZN7rocprim17ROCPRIM_400000_NS6detail17trampoline_kernelINS0_14default_configENS1_22reduce_config_selectorIxEEZNS1_11reduce_implILb1ES3_PxS7_x9plus_mod3IxEEE10hipError_tPvRmT1_T2_T3_mT4_P12ihipStream_tbEUlT_E1_NS1_11comp_targetILNS1_3genE9ELNS1_11target_archE1100ELNS1_3gpuE3ELNS1_3repE0EEENS1_30default_config_static_selectorELNS0_4arch9wavefront6targetE1EEEvSD_ ; -- Begin function _ZN7rocprim17ROCPRIM_400000_NS6detail17trampoline_kernelINS0_14default_configENS1_22reduce_config_selectorIxEEZNS1_11reduce_implILb1ES3_PxS7_x9plus_mod3IxEEE10hipError_tPvRmT1_T2_T3_mT4_P12ihipStream_tbEUlT_E1_NS1_11comp_targetILNS1_3genE9ELNS1_11target_archE1100ELNS1_3gpuE3ELNS1_3repE0EEENS1_30default_config_static_selectorELNS0_4arch9wavefront6targetE1EEEvSD_
	.globl	_ZN7rocprim17ROCPRIM_400000_NS6detail17trampoline_kernelINS0_14default_configENS1_22reduce_config_selectorIxEEZNS1_11reduce_implILb1ES3_PxS7_x9plus_mod3IxEEE10hipError_tPvRmT1_T2_T3_mT4_P12ihipStream_tbEUlT_E1_NS1_11comp_targetILNS1_3genE9ELNS1_11target_archE1100ELNS1_3gpuE3ELNS1_3repE0EEENS1_30default_config_static_selectorELNS0_4arch9wavefront6targetE1EEEvSD_
	.p2align	8
	.type	_ZN7rocprim17ROCPRIM_400000_NS6detail17trampoline_kernelINS0_14default_configENS1_22reduce_config_selectorIxEEZNS1_11reduce_implILb1ES3_PxS7_x9plus_mod3IxEEE10hipError_tPvRmT1_T2_T3_mT4_P12ihipStream_tbEUlT_E1_NS1_11comp_targetILNS1_3genE9ELNS1_11target_archE1100ELNS1_3gpuE3ELNS1_3repE0EEENS1_30default_config_static_selectorELNS0_4arch9wavefront6targetE1EEEvSD_,@function
_ZN7rocprim17ROCPRIM_400000_NS6detail17trampoline_kernelINS0_14default_configENS1_22reduce_config_selectorIxEEZNS1_11reduce_implILb1ES3_PxS7_x9plus_mod3IxEEE10hipError_tPvRmT1_T2_T3_mT4_P12ihipStream_tbEUlT_E1_NS1_11comp_targetILNS1_3genE9ELNS1_11target_archE1100ELNS1_3gpuE3ELNS1_3repE0EEENS1_30default_config_static_selectorELNS0_4arch9wavefront6targetE1EEEvSD_: ; @_ZN7rocprim17ROCPRIM_400000_NS6detail17trampoline_kernelINS0_14default_configENS1_22reduce_config_selectorIxEEZNS1_11reduce_implILb1ES3_PxS7_x9plus_mod3IxEEE10hipError_tPvRmT1_T2_T3_mT4_P12ihipStream_tbEUlT_E1_NS1_11comp_targetILNS1_3genE9ELNS1_11target_archE1100ELNS1_3gpuE3ELNS1_3repE0EEENS1_30default_config_static_selectorELNS0_4arch9wavefront6targetE1EEEvSD_
; %bb.0:
	.section	.rodata,"a",@progbits
	.p2align	6, 0x0
	.amdhsa_kernel _ZN7rocprim17ROCPRIM_400000_NS6detail17trampoline_kernelINS0_14default_configENS1_22reduce_config_selectorIxEEZNS1_11reduce_implILb1ES3_PxS7_x9plus_mod3IxEEE10hipError_tPvRmT1_T2_T3_mT4_P12ihipStream_tbEUlT_E1_NS1_11comp_targetILNS1_3genE9ELNS1_11target_archE1100ELNS1_3gpuE3ELNS1_3repE0EEENS1_30default_config_static_selectorELNS0_4arch9wavefront6targetE1EEEvSD_
		.amdhsa_group_segment_fixed_size 0
		.amdhsa_private_segment_fixed_size 0
		.amdhsa_kernarg_size 48
		.amdhsa_user_sgpr_count 2
		.amdhsa_user_sgpr_dispatch_ptr 0
		.amdhsa_user_sgpr_queue_ptr 0
		.amdhsa_user_sgpr_kernarg_segment_ptr 1
		.amdhsa_user_sgpr_dispatch_id 0
		.amdhsa_user_sgpr_kernarg_preload_length 0
		.amdhsa_user_sgpr_kernarg_preload_offset 0
		.amdhsa_user_sgpr_private_segment_size 0
		.amdhsa_uses_dynamic_stack 0
		.amdhsa_enable_private_segment 0
		.amdhsa_system_sgpr_workgroup_id_x 1
		.amdhsa_system_sgpr_workgroup_id_y 0
		.amdhsa_system_sgpr_workgroup_id_z 0
		.amdhsa_system_sgpr_workgroup_info 0
		.amdhsa_system_vgpr_workitem_id 0
		.amdhsa_next_free_vgpr 1
		.amdhsa_next_free_sgpr 0
		.amdhsa_accum_offset 4
		.amdhsa_reserve_vcc 0
		.amdhsa_float_round_mode_32 0
		.amdhsa_float_round_mode_16_64 0
		.amdhsa_float_denorm_mode_32 3
		.amdhsa_float_denorm_mode_16_64 3
		.amdhsa_dx10_clamp 1
		.amdhsa_ieee_mode 1
		.amdhsa_fp16_overflow 0
		.amdhsa_tg_split 0
		.amdhsa_exception_fp_ieee_invalid_op 0
		.amdhsa_exception_fp_denorm_src 0
		.amdhsa_exception_fp_ieee_div_zero 0
		.amdhsa_exception_fp_ieee_overflow 0
		.amdhsa_exception_fp_ieee_underflow 0
		.amdhsa_exception_fp_ieee_inexact 0
		.amdhsa_exception_int_div_zero 0
	.end_amdhsa_kernel
	.section	.text._ZN7rocprim17ROCPRIM_400000_NS6detail17trampoline_kernelINS0_14default_configENS1_22reduce_config_selectorIxEEZNS1_11reduce_implILb1ES3_PxS7_x9plus_mod3IxEEE10hipError_tPvRmT1_T2_T3_mT4_P12ihipStream_tbEUlT_E1_NS1_11comp_targetILNS1_3genE9ELNS1_11target_archE1100ELNS1_3gpuE3ELNS1_3repE0EEENS1_30default_config_static_selectorELNS0_4arch9wavefront6targetE1EEEvSD_,"axG",@progbits,_ZN7rocprim17ROCPRIM_400000_NS6detail17trampoline_kernelINS0_14default_configENS1_22reduce_config_selectorIxEEZNS1_11reduce_implILb1ES3_PxS7_x9plus_mod3IxEEE10hipError_tPvRmT1_T2_T3_mT4_P12ihipStream_tbEUlT_E1_NS1_11comp_targetILNS1_3genE9ELNS1_11target_archE1100ELNS1_3gpuE3ELNS1_3repE0EEENS1_30default_config_static_selectorELNS0_4arch9wavefront6targetE1EEEvSD_,comdat
.Lfunc_end891:
	.size	_ZN7rocprim17ROCPRIM_400000_NS6detail17trampoline_kernelINS0_14default_configENS1_22reduce_config_selectorIxEEZNS1_11reduce_implILb1ES3_PxS7_x9plus_mod3IxEEE10hipError_tPvRmT1_T2_T3_mT4_P12ihipStream_tbEUlT_E1_NS1_11comp_targetILNS1_3genE9ELNS1_11target_archE1100ELNS1_3gpuE3ELNS1_3repE0EEENS1_30default_config_static_selectorELNS0_4arch9wavefront6targetE1EEEvSD_, .Lfunc_end891-_ZN7rocprim17ROCPRIM_400000_NS6detail17trampoline_kernelINS0_14default_configENS1_22reduce_config_selectorIxEEZNS1_11reduce_implILb1ES3_PxS7_x9plus_mod3IxEEE10hipError_tPvRmT1_T2_T3_mT4_P12ihipStream_tbEUlT_E1_NS1_11comp_targetILNS1_3genE9ELNS1_11target_archE1100ELNS1_3gpuE3ELNS1_3repE0EEENS1_30default_config_static_selectorELNS0_4arch9wavefront6targetE1EEEvSD_
                                        ; -- End function
	.set _ZN7rocprim17ROCPRIM_400000_NS6detail17trampoline_kernelINS0_14default_configENS1_22reduce_config_selectorIxEEZNS1_11reduce_implILb1ES3_PxS7_x9plus_mod3IxEEE10hipError_tPvRmT1_T2_T3_mT4_P12ihipStream_tbEUlT_E1_NS1_11comp_targetILNS1_3genE9ELNS1_11target_archE1100ELNS1_3gpuE3ELNS1_3repE0EEENS1_30default_config_static_selectorELNS0_4arch9wavefront6targetE1EEEvSD_.num_vgpr, 0
	.set _ZN7rocprim17ROCPRIM_400000_NS6detail17trampoline_kernelINS0_14default_configENS1_22reduce_config_selectorIxEEZNS1_11reduce_implILb1ES3_PxS7_x9plus_mod3IxEEE10hipError_tPvRmT1_T2_T3_mT4_P12ihipStream_tbEUlT_E1_NS1_11comp_targetILNS1_3genE9ELNS1_11target_archE1100ELNS1_3gpuE3ELNS1_3repE0EEENS1_30default_config_static_selectorELNS0_4arch9wavefront6targetE1EEEvSD_.num_agpr, 0
	.set _ZN7rocprim17ROCPRIM_400000_NS6detail17trampoline_kernelINS0_14default_configENS1_22reduce_config_selectorIxEEZNS1_11reduce_implILb1ES3_PxS7_x9plus_mod3IxEEE10hipError_tPvRmT1_T2_T3_mT4_P12ihipStream_tbEUlT_E1_NS1_11comp_targetILNS1_3genE9ELNS1_11target_archE1100ELNS1_3gpuE3ELNS1_3repE0EEENS1_30default_config_static_selectorELNS0_4arch9wavefront6targetE1EEEvSD_.numbered_sgpr, 0
	.set _ZN7rocprim17ROCPRIM_400000_NS6detail17trampoline_kernelINS0_14default_configENS1_22reduce_config_selectorIxEEZNS1_11reduce_implILb1ES3_PxS7_x9plus_mod3IxEEE10hipError_tPvRmT1_T2_T3_mT4_P12ihipStream_tbEUlT_E1_NS1_11comp_targetILNS1_3genE9ELNS1_11target_archE1100ELNS1_3gpuE3ELNS1_3repE0EEENS1_30default_config_static_selectorELNS0_4arch9wavefront6targetE1EEEvSD_.num_named_barrier, 0
	.set _ZN7rocprim17ROCPRIM_400000_NS6detail17trampoline_kernelINS0_14default_configENS1_22reduce_config_selectorIxEEZNS1_11reduce_implILb1ES3_PxS7_x9plus_mod3IxEEE10hipError_tPvRmT1_T2_T3_mT4_P12ihipStream_tbEUlT_E1_NS1_11comp_targetILNS1_3genE9ELNS1_11target_archE1100ELNS1_3gpuE3ELNS1_3repE0EEENS1_30default_config_static_selectorELNS0_4arch9wavefront6targetE1EEEvSD_.private_seg_size, 0
	.set _ZN7rocprim17ROCPRIM_400000_NS6detail17trampoline_kernelINS0_14default_configENS1_22reduce_config_selectorIxEEZNS1_11reduce_implILb1ES3_PxS7_x9plus_mod3IxEEE10hipError_tPvRmT1_T2_T3_mT4_P12ihipStream_tbEUlT_E1_NS1_11comp_targetILNS1_3genE9ELNS1_11target_archE1100ELNS1_3gpuE3ELNS1_3repE0EEENS1_30default_config_static_selectorELNS0_4arch9wavefront6targetE1EEEvSD_.uses_vcc, 0
	.set _ZN7rocprim17ROCPRIM_400000_NS6detail17trampoline_kernelINS0_14default_configENS1_22reduce_config_selectorIxEEZNS1_11reduce_implILb1ES3_PxS7_x9plus_mod3IxEEE10hipError_tPvRmT1_T2_T3_mT4_P12ihipStream_tbEUlT_E1_NS1_11comp_targetILNS1_3genE9ELNS1_11target_archE1100ELNS1_3gpuE3ELNS1_3repE0EEENS1_30default_config_static_selectorELNS0_4arch9wavefront6targetE1EEEvSD_.uses_flat_scratch, 0
	.set _ZN7rocprim17ROCPRIM_400000_NS6detail17trampoline_kernelINS0_14default_configENS1_22reduce_config_selectorIxEEZNS1_11reduce_implILb1ES3_PxS7_x9plus_mod3IxEEE10hipError_tPvRmT1_T2_T3_mT4_P12ihipStream_tbEUlT_E1_NS1_11comp_targetILNS1_3genE9ELNS1_11target_archE1100ELNS1_3gpuE3ELNS1_3repE0EEENS1_30default_config_static_selectorELNS0_4arch9wavefront6targetE1EEEvSD_.has_dyn_sized_stack, 0
	.set _ZN7rocprim17ROCPRIM_400000_NS6detail17trampoline_kernelINS0_14default_configENS1_22reduce_config_selectorIxEEZNS1_11reduce_implILb1ES3_PxS7_x9plus_mod3IxEEE10hipError_tPvRmT1_T2_T3_mT4_P12ihipStream_tbEUlT_E1_NS1_11comp_targetILNS1_3genE9ELNS1_11target_archE1100ELNS1_3gpuE3ELNS1_3repE0EEENS1_30default_config_static_selectorELNS0_4arch9wavefront6targetE1EEEvSD_.has_recursion, 0
	.set _ZN7rocprim17ROCPRIM_400000_NS6detail17trampoline_kernelINS0_14default_configENS1_22reduce_config_selectorIxEEZNS1_11reduce_implILb1ES3_PxS7_x9plus_mod3IxEEE10hipError_tPvRmT1_T2_T3_mT4_P12ihipStream_tbEUlT_E1_NS1_11comp_targetILNS1_3genE9ELNS1_11target_archE1100ELNS1_3gpuE3ELNS1_3repE0EEENS1_30default_config_static_selectorELNS0_4arch9wavefront6targetE1EEEvSD_.has_indirect_call, 0
	.section	.AMDGPU.csdata,"",@progbits
; Kernel info:
; codeLenInByte = 0
; TotalNumSgprs: 6
; NumVgprs: 0
; NumAgprs: 0
; TotalNumVgprs: 0
; ScratchSize: 0
; MemoryBound: 0
; FloatMode: 240
; IeeeMode: 1
; LDSByteSize: 0 bytes/workgroup (compile time only)
; SGPRBlocks: 0
; VGPRBlocks: 0
; NumSGPRsForWavesPerEU: 6
; NumVGPRsForWavesPerEU: 1
; AccumOffset: 4
; Occupancy: 8
; WaveLimiterHint : 0
; COMPUTE_PGM_RSRC2:SCRATCH_EN: 0
; COMPUTE_PGM_RSRC2:USER_SGPR: 2
; COMPUTE_PGM_RSRC2:TRAP_HANDLER: 0
; COMPUTE_PGM_RSRC2:TGID_X_EN: 1
; COMPUTE_PGM_RSRC2:TGID_Y_EN: 0
; COMPUTE_PGM_RSRC2:TGID_Z_EN: 0
; COMPUTE_PGM_RSRC2:TIDIG_COMP_CNT: 0
; COMPUTE_PGM_RSRC3_GFX90A:ACCUM_OFFSET: 0
; COMPUTE_PGM_RSRC3_GFX90A:TG_SPLIT: 0
	.section	.text._ZN7rocprim17ROCPRIM_400000_NS6detail17trampoline_kernelINS0_14default_configENS1_22reduce_config_selectorIxEEZNS1_11reduce_implILb1ES3_PxS7_x9plus_mod3IxEEE10hipError_tPvRmT1_T2_T3_mT4_P12ihipStream_tbEUlT_E1_NS1_11comp_targetILNS1_3genE8ELNS1_11target_archE1030ELNS1_3gpuE2ELNS1_3repE0EEENS1_30default_config_static_selectorELNS0_4arch9wavefront6targetE1EEEvSD_,"axG",@progbits,_ZN7rocprim17ROCPRIM_400000_NS6detail17trampoline_kernelINS0_14default_configENS1_22reduce_config_selectorIxEEZNS1_11reduce_implILb1ES3_PxS7_x9plus_mod3IxEEE10hipError_tPvRmT1_T2_T3_mT4_P12ihipStream_tbEUlT_E1_NS1_11comp_targetILNS1_3genE8ELNS1_11target_archE1030ELNS1_3gpuE2ELNS1_3repE0EEENS1_30default_config_static_selectorELNS0_4arch9wavefront6targetE1EEEvSD_,comdat
	.protected	_ZN7rocprim17ROCPRIM_400000_NS6detail17trampoline_kernelINS0_14default_configENS1_22reduce_config_selectorIxEEZNS1_11reduce_implILb1ES3_PxS7_x9plus_mod3IxEEE10hipError_tPvRmT1_T2_T3_mT4_P12ihipStream_tbEUlT_E1_NS1_11comp_targetILNS1_3genE8ELNS1_11target_archE1030ELNS1_3gpuE2ELNS1_3repE0EEENS1_30default_config_static_selectorELNS0_4arch9wavefront6targetE1EEEvSD_ ; -- Begin function _ZN7rocprim17ROCPRIM_400000_NS6detail17trampoline_kernelINS0_14default_configENS1_22reduce_config_selectorIxEEZNS1_11reduce_implILb1ES3_PxS7_x9plus_mod3IxEEE10hipError_tPvRmT1_T2_T3_mT4_P12ihipStream_tbEUlT_E1_NS1_11comp_targetILNS1_3genE8ELNS1_11target_archE1030ELNS1_3gpuE2ELNS1_3repE0EEENS1_30default_config_static_selectorELNS0_4arch9wavefront6targetE1EEEvSD_
	.globl	_ZN7rocprim17ROCPRIM_400000_NS6detail17trampoline_kernelINS0_14default_configENS1_22reduce_config_selectorIxEEZNS1_11reduce_implILb1ES3_PxS7_x9plus_mod3IxEEE10hipError_tPvRmT1_T2_T3_mT4_P12ihipStream_tbEUlT_E1_NS1_11comp_targetILNS1_3genE8ELNS1_11target_archE1030ELNS1_3gpuE2ELNS1_3repE0EEENS1_30default_config_static_selectorELNS0_4arch9wavefront6targetE1EEEvSD_
	.p2align	8
	.type	_ZN7rocprim17ROCPRIM_400000_NS6detail17trampoline_kernelINS0_14default_configENS1_22reduce_config_selectorIxEEZNS1_11reduce_implILb1ES3_PxS7_x9plus_mod3IxEEE10hipError_tPvRmT1_T2_T3_mT4_P12ihipStream_tbEUlT_E1_NS1_11comp_targetILNS1_3genE8ELNS1_11target_archE1030ELNS1_3gpuE2ELNS1_3repE0EEENS1_30default_config_static_selectorELNS0_4arch9wavefront6targetE1EEEvSD_,@function
_ZN7rocprim17ROCPRIM_400000_NS6detail17trampoline_kernelINS0_14default_configENS1_22reduce_config_selectorIxEEZNS1_11reduce_implILb1ES3_PxS7_x9plus_mod3IxEEE10hipError_tPvRmT1_T2_T3_mT4_P12ihipStream_tbEUlT_E1_NS1_11comp_targetILNS1_3genE8ELNS1_11target_archE1030ELNS1_3gpuE2ELNS1_3repE0EEENS1_30default_config_static_selectorELNS0_4arch9wavefront6targetE1EEEvSD_: ; @_ZN7rocprim17ROCPRIM_400000_NS6detail17trampoline_kernelINS0_14default_configENS1_22reduce_config_selectorIxEEZNS1_11reduce_implILb1ES3_PxS7_x9plus_mod3IxEEE10hipError_tPvRmT1_T2_T3_mT4_P12ihipStream_tbEUlT_E1_NS1_11comp_targetILNS1_3genE8ELNS1_11target_archE1030ELNS1_3gpuE2ELNS1_3repE0EEENS1_30default_config_static_selectorELNS0_4arch9wavefront6targetE1EEEvSD_
; %bb.0:
	.section	.rodata,"a",@progbits
	.p2align	6, 0x0
	.amdhsa_kernel _ZN7rocprim17ROCPRIM_400000_NS6detail17trampoline_kernelINS0_14default_configENS1_22reduce_config_selectorIxEEZNS1_11reduce_implILb1ES3_PxS7_x9plus_mod3IxEEE10hipError_tPvRmT1_T2_T3_mT4_P12ihipStream_tbEUlT_E1_NS1_11comp_targetILNS1_3genE8ELNS1_11target_archE1030ELNS1_3gpuE2ELNS1_3repE0EEENS1_30default_config_static_selectorELNS0_4arch9wavefront6targetE1EEEvSD_
		.amdhsa_group_segment_fixed_size 0
		.amdhsa_private_segment_fixed_size 0
		.amdhsa_kernarg_size 48
		.amdhsa_user_sgpr_count 2
		.amdhsa_user_sgpr_dispatch_ptr 0
		.amdhsa_user_sgpr_queue_ptr 0
		.amdhsa_user_sgpr_kernarg_segment_ptr 1
		.amdhsa_user_sgpr_dispatch_id 0
		.amdhsa_user_sgpr_kernarg_preload_length 0
		.amdhsa_user_sgpr_kernarg_preload_offset 0
		.amdhsa_user_sgpr_private_segment_size 0
		.amdhsa_uses_dynamic_stack 0
		.amdhsa_enable_private_segment 0
		.amdhsa_system_sgpr_workgroup_id_x 1
		.amdhsa_system_sgpr_workgroup_id_y 0
		.amdhsa_system_sgpr_workgroup_id_z 0
		.amdhsa_system_sgpr_workgroup_info 0
		.amdhsa_system_vgpr_workitem_id 0
		.amdhsa_next_free_vgpr 1
		.amdhsa_next_free_sgpr 0
		.amdhsa_accum_offset 4
		.amdhsa_reserve_vcc 0
		.amdhsa_float_round_mode_32 0
		.amdhsa_float_round_mode_16_64 0
		.amdhsa_float_denorm_mode_32 3
		.amdhsa_float_denorm_mode_16_64 3
		.amdhsa_dx10_clamp 1
		.amdhsa_ieee_mode 1
		.amdhsa_fp16_overflow 0
		.amdhsa_tg_split 0
		.amdhsa_exception_fp_ieee_invalid_op 0
		.amdhsa_exception_fp_denorm_src 0
		.amdhsa_exception_fp_ieee_div_zero 0
		.amdhsa_exception_fp_ieee_overflow 0
		.amdhsa_exception_fp_ieee_underflow 0
		.amdhsa_exception_fp_ieee_inexact 0
		.amdhsa_exception_int_div_zero 0
	.end_amdhsa_kernel
	.section	.text._ZN7rocprim17ROCPRIM_400000_NS6detail17trampoline_kernelINS0_14default_configENS1_22reduce_config_selectorIxEEZNS1_11reduce_implILb1ES3_PxS7_x9plus_mod3IxEEE10hipError_tPvRmT1_T2_T3_mT4_P12ihipStream_tbEUlT_E1_NS1_11comp_targetILNS1_3genE8ELNS1_11target_archE1030ELNS1_3gpuE2ELNS1_3repE0EEENS1_30default_config_static_selectorELNS0_4arch9wavefront6targetE1EEEvSD_,"axG",@progbits,_ZN7rocprim17ROCPRIM_400000_NS6detail17trampoline_kernelINS0_14default_configENS1_22reduce_config_selectorIxEEZNS1_11reduce_implILb1ES3_PxS7_x9plus_mod3IxEEE10hipError_tPvRmT1_T2_T3_mT4_P12ihipStream_tbEUlT_E1_NS1_11comp_targetILNS1_3genE8ELNS1_11target_archE1030ELNS1_3gpuE2ELNS1_3repE0EEENS1_30default_config_static_selectorELNS0_4arch9wavefront6targetE1EEEvSD_,comdat
.Lfunc_end892:
	.size	_ZN7rocprim17ROCPRIM_400000_NS6detail17trampoline_kernelINS0_14default_configENS1_22reduce_config_selectorIxEEZNS1_11reduce_implILb1ES3_PxS7_x9plus_mod3IxEEE10hipError_tPvRmT1_T2_T3_mT4_P12ihipStream_tbEUlT_E1_NS1_11comp_targetILNS1_3genE8ELNS1_11target_archE1030ELNS1_3gpuE2ELNS1_3repE0EEENS1_30default_config_static_selectorELNS0_4arch9wavefront6targetE1EEEvSD_, .Lfunc_end892-_ZN7rocprim17ROCPRIM_400000_NS6detail17trampoline_kernelINS0_14default_configENS1_22reduce_config_selectorIxEEZNS1_11reduce_implILb1ES3_PxS7_x9plus_mod3IxEEE10hipError_tPvRmT1_T2_T3_mT4_P12ihipStream_tbEUlT_E1_NS1_11comp_targetILNS1_3genE8ELNS1_11target_archE1030ELNS1_3gpuE2ELNS1_3repE0EEENS1_30default_config_static_selectorELNS0_4arch9wavefront6targetE1EEEvSD_
                                        ; -- End function
	.set _ZN7rocprim17ROCPRIM_400000_NS6detail17trampoline_kernelINS0_14default_configENS1_22reduce_config_selectorIxEEZNS1_11reduce_implILb1ES3_PxS7_x9plus_mod3IxEEE10hipError_tPvRmT1_T2_T3_mT4_P12ihipStream_tbEUlT_E1_NS1_11comp_targetILNS1_3genE8ELNS1_11target_archE1030ELNS1_3gpuE2ELNS1_3repE0EEENS1_30default_config_static_selectorELNS0_4arch9wavefront6targetE1EEEvSD_.num_vgpr, 0
	.set _ZN7rocprim17ROCPRIM_400000_NS6detail17trampoline_kernelINS0_14default_configENS1_22reduce_config_selectorIxEEZNS1_11reduce_implILb1ES3_PxS7_x9plus_mod3IxEEE10hipError_tPvRmT1_T2_T3_mT4_P12ihipStream_tbEUlT_E1_NS1_11comp_targetILNS1_3genE8ELNS1_11target_archE1030ELNS1_3gpuE2ELNS1_3repE0EEENS1_30default_config_static_selectorELNS0_4arch9wavefront6targetE1EEEvSD_.num_agpr, 0
	.set _ZN7rocprim17ROCPRIM_400000_NS6detail17trampoline_kernelINS0_14default_configENS1_22reduce_config_selectorIxEEZNS1_11reduce_implILb1ES3_PxS7_x9plus_mod3IxEEE10hipError_tPvRmT1_T2_T3_mT4_P12ihipStream_tbEUlT_E1_NS1_11comp_targetILNS1_3genE8ELNS1_11target_archE1030ELNS1_3gpuE2ELNS1_3repE0EEENS1_30default_config_static_selectorELNS0_4arch9wavefront6targetE1EEEvSD_.numbered_sgpr, 0
	.set _ZN7rocprim17ROCPRIM_400000_NS6detail17trampoline_kernelINS0_14default_configENS1_22reduce_config_selectorIxEEZNS1_11reduce_implILb1ES3_PxS7_x9plus_mod3IxEEE10hipError_tPvRmT1_T2_T3_mT4_P12ihipStream_tbEUlT_E1_NS1_11comp_targetILNS1_3genE8ELNS1_11target_archE1030ELNS1_3gpuE2ELNS1_3repE0EEENS1_30default_config_static_selectorELNS0_4arch9wavefront6targetE1EEEvSD_.num_named_barrier, 0
	.set _ZN7rocprim17ROCPRIM_400000_NS6detail17trampoline_kernelINS0_14default_configENS1_22reduce_config_selectorIxEEZNS1_11reduce_implILb1ES3_PxS7_x9plus_mod3IxEEE10hipError_tPvRmT1_T2_T3_mT4_P12ihipStream_tbEUlT_E1_NS1_11comp_targetILNS1_3genE8ELNS1_11target_archE1030ELNS1_3gpuE2ELNS1_3repE0EEENS1_30default_config_static_selectorELNS0_4arch9wavefront6targetE1EEEvSD_.private_seg_size, 0
	.set _ZN7rocprim17ROCPRIM_400000_NS6detail17trampoline_kernelINS0_14default_configENS1_22reduce_config_selectorIxEEZNS1_11reduce_implILb1ES3_PxS7_x9plus_mod3IxEEE10hipError_tPvRmT1_T2_T3_mT4_P12ihipStream_tbEUlT_E1_NS1_11comp_targetILNS1_3genE8ELNS1_11target_archE1030ELNS1_3gpuE2ELNS1_3repE0EEENS1_30default_config_static_selectorELNS0_4arch9wavefront6targetE1EEEvSD_.uses_vcc, 0
	.set _ZN7rocprim17ROCPRIM_400000_NS6detail17trampoline_kernelINS0_14default_configENS1_22reduce_config_selectorIxEEZNS1_11reduce_implILb1ES3_PxS7_x9plus_mod3IxEEE10hipError_tPvRmT1_T2_T3_mT4_P12ihipStream_tbEUlT_E1_NS1_11comp_targetILNS1_3genE8ELNS1_11target_archE1030ELNS1_3gpuE2ELNS1_3repE0EEENS1_30default_config_static_selectorELNS0_4arch9wavefront6targetE1EEEvSD_.uses_flat_scratch, 0
	.set _ZN7rocprim17ROCPRIM_400000_NS6detail17trampoline_kernelINS0_14default_configENS1_22reduce_config_selectorIxEEZNS1_11reduce_implILb1ES3_PxS7_x9plus_mod3IxEEE10hipError_tPvRmT1_T2_T3_mT4_P12ihipStream_tbEUlT_E1_NS1_11comp_targetILNS1_3genE8ELNS1_11target_archE1030ELNS1_3gpuE2ELNS1_3repE0EEENS1_30default_config_static_selectorELNS0_4arch9wavefront6targetE1EEEvSD_.has_dyn_sized_stack, 0
	.set _ZN7rocprim17ROCPRIM_400000_NS6detail17trampoline_kernelINS0_14default_configENS1_22reduce_config_selectorIxEEZNS1_11reduce_implILb1ES3_PxS7_x9plus_mod3IxEEE10hipError_tPvRmT1_T2_T3_mT4_P12ihipStream_tbEUlT_E1_NS1_11comp_targetILNS1_3genE8ELNS1_11target_archE1030ELNS1_3gpuE2ELNS1_3repE0EEENS1_30default_config_static_selectorELNS0_4arch9wavefront6targetE1EEEvSD_.has_recursion, 0
	.set _ZN7rocprim17ROCPRIM_400000_NS6detail17trampoline_kernelINS0_14default_configENS1_22reduce_config_selectorIxEEZNS1_11reduce_implILb1ES3_PxS7_x9plus_mod3IxEEE10hipError_tPvRmT1_T2_T3_mT4_P12ihipStream_tbEUlT_E1_NS1_11comp_targetILNS1_3genE8ELNS1_11target_archE1030ELNS1_3gpuE2ELNS1_3repE0EEENS1_30default_config_static_selectorELNS0_4arch9wavefront6targetE1EEEvSD_.has_indirect_call, 0
	.section	.AMDGPU.csdata,"",@progbits
; Kernel info:
; codeLenInByte = 0
; TotalNumSgprs: 6
; NumVgprs: 0
; NumAgprs: 0
; TotalNumVgprs: 0
; ScratchSize: 0
; MemoryBound: 0
; FloatMode: 240
; IeeeMode: 1
; LDSByteSize: 0 bytes/workgroup (compile time only)
; SGPRBlocks: 0
; VGPRBlocks: 0
; NumSGPRsForWavesPerEU: 6
; NumVGPRsForWavesPerEU: 1
; AccumOffset: 4
; Occupancy: 8
; WaveLimiterHint : 0
; COMPUTE_PGM_RSRC2:SCRATCH_EN: 0
; COMPUTE_PGM_RSRC2:USER_SGPR: 2
; COMPUTE_PGM_RSRC2:TRAP_HANDLER: 0
; COMPUTE_PGM_RSRC2:TGID_X_EN: 1
; COMPUTE_PGM_RSRC2:TGID_Y_EN: 0
; COMPUTE_PGM_RSRC2:TGID_Z_EN: 0
; COMPUTE_PGM_RSRC2:TIDIG_COMP_CNT: 0
; COMPUTE_PGM_RSRC3_GFX90A:ACCUM_OFFSET: 0
; COMPUTE_PGM_RSRC3_GFX90A:TG_SPLIT: 0
	.section	.text._ZN7rocprim17ROCPRIM_400000_NS6detail17trampoline_kernelINS0_14default_configENS1_22reduce_config_selectorIxEEZNS1_11reduce_implILb1ES3_N6thrust23THRUST_200600_302600_NS6detail15normal_iteratorINS8_10device_ptrIxEEEEPxx9plus_mod3IxEEE10hipError_tPvRmT1_T2_T3_mT4_P12ihipStream_tbEUlT_E0_NS1_11comp_targetILNS1_3genE0ELNS1_11target_archE4294967295ELNS1_3gpuE0ELNS1_3repE0EEENS1_30default_config_static_selectorELNS0_4arch9wavefront6targetE1EEEvSK_,"axG",@progbits,_ZN7rocprim17ROCPRIM_400000_NS6detail17trampoline_kernelINS0_14default_configENS1_22reduce_config_selectorIxEEZNS1_11reduce_implILb1ES3_N6thrust23THRUST_200600_302600_NS6detail15normal_iteratorINS8_10device_ptrIxEEEEPxx9plus_mod3IxEEE10hipError_tPvRmT1_T2_T3_mT4_P12ihipStream_tbEUlT_E0_NS1_11comp_targetILNS1_3genE0ELNS1_11target_archE4294967295ELNS1_3gpuE0ELNS1_3repE0EEENS1_30default_config_static_selectorELNS0_4arch9wavefront6targetE1EEEvSK_,comdat
	.protected	_ZN7rocprim17ROCPRIM_400000_NS6detail17trampoline_kernelINS0_14default_configENS1_22reduce_config_selectorIxEEZNS1_11reduce_implILb1ES3_N6thrust23THRUST_200600_302600_NS6detail15normal_iteratorINS8_10device_ptrIxEEEEPxx9plus_mod3IxEEE10hipError_tPvRmT1_T2_T3_mT4_P12ihipStream_tbEUlT_E0_NS1_11comp_targetILNS1_3genE0ELNS1_11target_archE4294967295ELNS1_3gpuE0ELNS1_3repE0EEENS1_30default_config_static_selectorELNS0_4arch9wavefront6targetE1EEEvSK_ ; -- Begin function _ZN7rocprim17ROCPRIM_400000_NS6detail17trampoline_kernelINS0_14default_configENS1_22reduce_config_selectorIxEEZNS1_11reduce_implILb1ES3_N6thrust23THRUST_200600_302600_NS6detail15normal_iteratorINS8_10device_ptrIxEEEEPxx9plus_mod3IxEEE10hipError_tPvRmT1_T2_T3_mT4_P12ihipStream_tbEUlT_E0_NS1_11comp_targetILNS1_3genE0ELNS1_11target_archE4294967295ELNS1_3gpuE0ELNS1_3repE0EEENS1_30default_config_static_selectorELNS0_4arch9wavefront6targetE1EEEvSK_
	.globl	_ZN7rocprim17ROCPRIM_400000_NS6detail17trampoline_kernelINS0_14default_configENS1_22reduce_config_selectorIxEEZNS1_11reduce_implILb1ES3_N6thrust23THRUST_200600_302600_NS6detail15normal_iteratorINS8_10device_ptrIxEEEEPxx9plus_mod3IxEEE10hipError_tPvRmT1_T2_T3_mT4_P12ihipStream_tbEUlT_E0_NS1_11comp_targetILNS1_3genE0ELNS1_11target_archE4294967295ELNS1_3gpuE0ELNS1_3repE0EEENS1_30default_config_static_selectorELNS0_4arch9wavefront6targetE1EEEvSK_
	.p2align	8
	.type	_ZN7rocprim17ROCPRIM_400000_NS6detail17trampoline_kernelINS0_14default_configENS1_22reduce_config_selectorIxEEZNS1_11reduce_implILb1ES3_N6thrust23THRUST_200600_302600_NS6detail15normal_iteratorINS8_10device_ptrIxEEEEPxx9plus_mod3IxEEE10hipError_tPvRmT1_T2_T3_mT4_P12ihipStream_tbEUlT_E0_NS1_11comp_targetILNS1_3genE0ELNS1_11target_archE4294967295ELNS1_3gpuE0ELNS1_3repE0EEENS1_30default_config_static_selectorELNS0_4arch9wavefront6targetE1EEEvSK_,@function
_ZN7rocprim17ROCPRIM_400000_NS6detail17trampoline_kernelINS0_14default_configENS1_22reduce_config_selectorIxEEZNS1_11reduce_implILb1ES3_N6thrust23THRUST_200600_302600_NS6detail15normal_iteratorINS8_10device_ptrIxEEEEPxx9plus_mod3IxEEE10hipError_tPvRmT1_T2_T3_mT4_P12ihipStream_tbEUlT_E0_NS1_11comp_targetILNS1_3genE0ELNS1_11target_archE4294967295ELNS1_3gpuE0ELNS1_3repE0EEENS1_30default_config_static_selectorELNS0_4arch9wavefront6targetE1EEEvSK_: ; @_ZN7rocprim17ROCPRIM_400000_NS6detail17trampoline_kernelINS0_14default_configENS1_22reduce_config_selectorIxEEZNS1_11reduce_implILb1ES3_N6thrust23THRUST_200600_302600_NS6detail15normal_iteratorINS8_10device_ptrIxEEEEPxx9plus_mod3IxEEE10hipError_tPvRmT1_T2_T3_mT4_P12ihipStream_tbEUlT_E0_NS1_11comp_targetILNS1_3genE0ELNS1_11target_archE4294967295ELNS1_3gpuE0ELNS1_3repE0EEENS1_30default_config_static_selectorELNS0_4arch9wavefront6targetE1EEEvSK_
; %bb.0:
	s_load_dwordx16 s[36:51], s[0:1], 0x0
	s_mov_b32 s1, 0
	s_mov_b32 s3, s1
	v_lshlrev_b32_e32 v34, 3, v0
	v_mbcnt_lo_u32_b32 v1, -1, 0
	s_waitcnt lgkmcnt(0)
	s_lshl_b64 s[4:5], s[38:39], 3
	s_add_u32 s8, s36, s4
	s_addc_u32 s9, s37, s5
	s_lshl_b32 s0, s2, 12
	s_lshr_b64 s[4:5], s[40:41], 12
	s_lshl_b64 s[6:7], s[0:1], 3
	s_add_u32 s34, s8, s6
	s_addc_u32 s35, s9, s7
	s_cmp_lg_u64 s[4:5], s[2:3]
	s_cbranch_scc0 .LBB893_6
; %bb.1:
	v_mov_b32_e32 v35, 0
	v_lshl_add_u64 v[2:3], s[34:35], 0, v[34:35]
	flat_load_dword v5, v[2:3]
	flat_load_dword v12, v[2:3] offset:2048
	v_add_co_u32_e32 v6, vcc, 0x1000, v2
	v_mov_b32_e32 v4, v35
	s_nop 0
	v_addc_co_u32_e32 v7, vcc, 0, v3, vcc
	v_add_co_u32_e32 v8, vcc, 0x2000, v2
	s_waitcnt vmcnt(0) lgkmcnt(0)
	v_add_u32_e32 v5, v12, v5
	v_addc_co_u32_e32 v9, vcc, 0, v3, vcc
	v_ashrrev_i64 v[4:5], 29, v[4:5]
	v_add_co_u32_e32 v10, vcc, 0x3000, v2
	v_lshl_add_u64 v[4:5], s[50:51], 0, v[4:5]
	s_nop 0
	v_addc_co_u32_e32 v11, vcc, 0, v3, vcc
	flat_load_dword v13, v[6:7]
	flat_load_dword v14, v[6:7] offset:2048
	flat_load_dword v15, v[8:9]
	flat_load_dword v16, v[8:9] offset:2048
	;; [unrolled: 2-line block ×3, first 2 shown]
	v_add_co_u32_e32 v6, vcc, 0x4000, v2
	global_load_dword v5, v[4:5], off
	v_mov_b32_e32 v4, v35
	v_addc_co_u32_e32 v7, vcc, 0, v3, vcc
	flat_load_dword v12, v[6:7]
	v_add_co_u32_e32 v8, vcc, 0x5000, v2
	s_waitcnt vmcnt(0) lgkmcnt(0)
	v_add_u32_e32 v5, v5, v13
	v_ashrrev_i64 v[4:5], 29, v[4:5]
	v_lshl_add_u64 v[4:5], s[50:51], 0, v[4:5]
	global_load_dword v5, v[4:5], off
	v_mov_b32_e32 v4, v35
	v_addc_co_u32_e32 v9, vcc, 0, v3, vcc
	v_add_co_u32_e32 v10, vcc, 0x6000, v2
	s_waitcnt vmcnt(0)
	v_add_u32_e32 v5, v5, v14
	v_ashrrev_i64 v[4:5], 29, v[4:5]
	v_lshl_add_u64 v[4:5], s[50:51], 0, v[4:5]
	global_load_dword v5, v[4:5], off
	v_mov_b32_e32 v4, v35
	v_addc_co_u32_e32 v11, vcc, 0, v3, vcc
	v_add_co_u32_e32 v2, vcc, 0x7000, v2
	s_waitcnt vmcnt(0)
	v_add_u32_e32 v5, v5, v15
	v_ashrrev_i64 v[4:5], 29, v[4:5]
	v_lshl_add_u64 v[4:5], s[50:51], 0, v[4:5]
	global_load_dword v5, v[4:5], off
	v_mov_b32_e32 v4, v35
	v_addc_co_u32_e32 v3, vcc, 0, v3, vcc
	s_waitcnt vmcnt(0)
	v_add_u32_e32 v5, v5, v16
	v_ashrrev_i64 v[4:5], 29, v[4:5]
	v_lshl_add_u64 v[4:5], s[50:51], 0, v[4:5]
	global_load_dword v5, v[4:5], off
	v_mov_b32_e32 v4, v35
	s_waitcnt vmcnt(0)
	v_add_u32_e32 v5, v5, v17
	v_ashrrev_i64 v[4:5], 29, v[4:5]
	v_lshl_add_u64 v[4:5], s[50:51], 0, v[4:5]
	global_load_dword v5, v[4:5], off
	v_mov_b32_e32 v4, v35
	s_waitcnt vmcnt(0)
	v_add_u32_e32 v5, v5, v18
	v_ashrrev_i64 v[4:5], 29, v[4:5]
	v_lshl_add_u64 v[4:5], s[50:51], 0, v[4:5]
	global_load_dword v5, v[4:5], off
	v_mov_b32_e32 v4, v35
	flat_load_dword v13, v[6:7] offset:2048
	flat_load_dword v14, v[8:9]
	flat_load_dword v15, v[8:9] offset:2048
	flat_load_dword v16, v[10:11]
	;; [unrolled: 2-line block ×3, first 2 shown]
	flat_load_dword v19, v[2:3] offset:2048
	v_mbcnt_hi_u32_b32 v6, -1, v1
	v_cmp_eq_u32_e32 vcc, 0, v6
	s_waitcnt vmcnt(0)
	v_add_u32_e32 v5, v5, v12
	v_ashrrev_i64 v[2:3], 29, v[4:5]
	v_lshl_add_u64 v[2:3], s[50:51], 0, v[2:3]
	global_load_dword v3, v[2:3], off
	v_mov_b32_e32 v2, v35
	v_lshlrev_b32_e32 v5, 2, v6
	v_or_b32_e32 v4, 0xfc, v5
	s_waitcnt vmcnt(0) lgkmcnt(0)
	v_add_u32_e32 v3, v3, v13
	v_ashrrev_i64 v[2:3], 29, v[2:3]
	v_lshl_add_u64 v[2:3], s[50:51], 0, v[2:3]
	global_load_dword v3, v[2:3], off
	v_mov_b32_e32 v2, v35
	s_waitcnt vmcnt(0)
	v_add_u32_e32 v3, v3, v14
	v_ashrrev_i64 v[2:3], 29, v[2:3]
	v_lshl_add_u64 v[2:3], s[50:51], 0, v[2:3]
	global_load_dword v3, v[2:3], off
	v_mov_b32_e32 v2, v35
	s_waitcnt vmcnt(0)
	;; [unrolled: 6-line block ×7, first 2 shown]
	v_add_u32_dpp v3, v3, v3 quad_perm:[1,0,3,2] row_mask:0xf bank_mask:0xf bound_ctrl:1
	v_ashrrev_i64 v[2:3], 29, v[2:3]
	v_lshl_add_u64 v[2:3], s[50:51], 0, v[2:3]
	global_load_dword v3, v[2:3], off
	v_mov_b32_e32 v2, v35
	s_waitcnt vmcnt(0)
	v_add_u32_dpp v3, v3, v3 quad_perm:[2,3,0,1] row_mask:0xf bank_mask:0xf bound_ctrl:1
	v_ashrrev_i64 v[2:3], 29, v[2:3]
	v_lshl_add_u64 v[2:3], s[50:51], 0, v[2:3]
	global_load_dword v3, v[2:3], off
	v_mov_b32_e32 v2, v35
	s_waitcnt vmcnt(0)
	v_add_u32_dpp v3, v3, v3 row_ror:4 row_mask:0xf bank_mask:0xf bound_ctrl:1
	v_ashrrev_i64 v[2:3], 29, v[2:3]
	v_lshl_add_u64 v[2:3], s[50:51], 0, v[2:3]
	global_load_dword v3, v[2:3], off
	v_mov_b32_e32 v2, v35
	s_waitcnt vmcnt(0)
	v_add_u32_dpp v3, v3, v3 row_ror:8 row_mask:0xf bank_mask:0xf bound_ctrl:1
	v_ashrrev_i64 v[2:3], 29, v[2:3]
	v_lshl_add_u64 v[2:3], s[50:51], 0, v[2:3]
	global_load_dword v3, v[2:3], off
	v_mov_b32_e32 v2, v35
	s_waitcnt vmcnt(0)
	v_add_u32_dpp v3, v3, v3 row_bcast:15 row_mask:0xf bank_mask:0xf bound_ctrl:1
	v_ashrrev_i64 v[2:3], 29, v[2:3]
	v_lshl_add_u64 v[2:3], s[50:51], 0, v[2:3]
	global_load_dword v3, v[2:3], off
	v_mov_b32_e32 v2, v35
	s_waitcnt vmcnt(0)
	v_add_u32_dpp v3, v3, v3 row_bcast:31 row_mask:0xf bank_mask:0xf bound_ctrl:1
	v_ashrrev_i64 v[2:3], 29, v[2:3]
	v_lshl_add_u64 v[2:3], s[50:51], 0, v[2:3]
	global_load_dwordx2 v[2:3], v[2:3], off
	s_waitcnt vmcnt(0)
	ds_bpermute_b32 v2, v4, v2
	ds_bpermute_b32 v3, v4, v3
	s_and_saveexec_b64 s[4:5], vcc
	s_cbranch_execz .LBB893_3
; %bb.2:
	v_lshrrev_b32_e32 v4, 3, v0
	v_and_b32_e32 v4, 24, v4
	s_waitcnt lgkmcnt(0)
	ds_write_b64 v4, v[2:3] offset:32
.LBB893_3:
	s_or_b64 exec, exec, s[4:5]
	v_cmp_gt_u32_e32 vcc, 64, v0
	s_mov_b64 s[4:5], 0
	s_mov_b64 s[30:31], 0
	s_waitcnt lgkmcnt(0)
	s_barrier
                                        ; implicit-def: $vgpr4
	s_and_saveexec_b64 s[6:7], vcc
	s_xor_b64 s[6:7], exec, s[6:7]
	s_cbranch_execz .LBB893_5
; %bb.4:
	v_and_b32_e32 v2, 3, v6
	v_lshlrev_b32_e32 v3, 3, v2
	ds_read_b32 v3, v3 offset:32
	v_cmp_ne_u32_e32 vcc, 3, v2
	v_or_b32_e32 v4, 8, v5
	s_mov_b64 s[30:31], exec
	v_addc_co_u32_e32 v2, vcc, 0, v6, vcc
	v_lshlrev_b32_e32 v2, 2, v2
	s_waitcnt lgkmcnt(0)
	ds_bpermute_b32 v2, v2, v3
	s_waitcnt lgkmcnt(0)
	v_add_u32_e32 v3, v3, v2
	v_mov_b32_e32 v2, 0
	v_ashrrev_i64 v[2:3], 29, v[2:3]
	v_lshl_add_u64 v[2:3], s[50:51], 0, v[2:3]
	global_load_dwordx2 v[2:3], v[2:3], off
	s_waitcnt vmcnt(0)
	ds_bpermute_b32 v4, v4, v2
.LBB893_5:
	s_or_b64 exec, exec, s[6:7]
	s_and_b64 vcc, exec, s[4:5]
	s_cbranch_vccnz .LBB893_7
	s_branch .LBB893_73
.LBB893_6:
	s_mov_b64 s[30:31], 0
                                        ; implicit-def: $vgpr4
                                        ; implicit-def: $vgpr2_vgpr3
	s_cbranch_execz .LBB893_73
.LBB893_7:
	s_sub_i32 s33, s40, s0
	v_mov_b32_e32 v2, 0
	v_cmp_gt_u32_e32 vcc, s33, v0
	v_mov_b32_e32 v3, v2
	s_waitcnt lgkmcnt(0)
	v_mov_b32_e32 v4, v2
	v_mov_b32_e32 v6, v2
	v_mov_b32_e32 v8, v2
	v_mov_b32_e32 v10, v2
	v_mov_b32_e32 v12, v2
	v_mov_b32_e32 v14, v2
	v_mov_b32_e32 v16, v2
	v_mov_b32_e32 v18, v2
	v_mov_b32_e32 v20, v2
	v_mov_b32_e32 v22, v2
	v_mov_b32_e32 v24, v2
	v_mov_b32_e32 v26, v2
	v_mov_b32_e32 v28, v2
	v_mov_b32_e32 v30, v2
	v_mov_b32_e32 v32, v2
	s_and_saveexec_b64 s[0:1], vcc
	s_cbranch_execz .LBB893_9
; %bb.8:
	v_mov_b32_e32 v35, v2
	v_lshl_add_u64 v[4:5], s[34:35], 0, v[34:35]
	flat_load_dwordx2 v[36:37], v[4:5]
	v_mov_b32_e32 v38, v2
	v_mov_b32_e32 v40, v2
	v_mov_b32_e32 v42, v2
	v_mov_b32_e32 v44, v2
	v_mov_b32_e32 v46, v2
	v_mov_b32_e32 v48, v2
	v_mov_b32_e32 v50, v2
	v_mov_b32_e32 v52, v2
	v_mov_b32_e32 v54, v2
	v_mov_b32_e32 v56, v2
	v_mov_b32_e32 v58, v2
	v_mov_b32_e32 v60, v2
	v_mov_b32_e32 v62, v2
	v_mov_b32_e32 v64, v2
	v_mov_b32_e32 v66, v2
	s_waitcnt vmcnt(0) lgkmcnt(0)
	v_mov_b64_e32 v[2:3], v[36:37]
	v_mov_b64_e32 v[4:5], v[38:39]
	;; [unrolled: 1-line block ×16, first 2 shown]
.LBB893_9:
	s_or_b64 exec, exec, s[0:1]
	v_or_b32_e32 v5, 0x100, v0
	v_cmp_gt_u32_e32 vcc, s33, v5
	s_and_saveexec_b64 s[0:1], vcc
	s_cbranch_execz .LBB893_11
; %bb.10:
	v_mov_b32_e32 v35, 0
	v_lshl_add_u64 v[4:5], s[34:35], 0, v[34:35]
	flat_load_dwordx2 v[4:5], v[4:5] offset:2048
.LBB893_11:
	s_or_b64 exec, exec, s[0:1]
	s_waitcnt vmcnt(0) lgkmcnt(0)
	v_or_b32_e32 v5, 0x200, v0
	v_cmp_gt_u32_e64 s[0:1], s33, v5
	s_and_saveexec_b64 s[4:5], s[0:1]
	s_cbranch_execz .LBB893_13
; %bb.12:
	v_lshlrev_b32_e32 v6, 3, v5
	v_mov_b32_e32 v7, 0
	v_lshl_add_u64 v[6:7], s[34:35], 0, v[6:7]
	flat_load_dwordx2 v[6:7], v[6:7]
.LBB893_13:
	s_or_b64 exec, exec, s[4:5]
	v_or_b32_e32 v5, 0x300, v0
	v_cmp_gt_u32_e64 s[4:5], s33, v5
	s_and_saveexec_b64 s[6:7], s[4:5]
	s_cbranch_execz .LBB893_15
; %bb.14:
	v_lshlrev_b32_e32 v8, 3, v5
	v_mov_b32_e32 v9, 0
	v_lshl_add_u64 v[8:9], s[34:35], 0, v[8:9]
	flat_load_dwordx2 v[8:9], v[8:9]
.LBB893_15:
	s_or_b64 exec, exec, s[6:7]
	;; [unrolled: 11-line block ×13, first 2 shown]
	v_or_b32_e32 v5, 0xf00, v0
	v_cmp_gt_u32_e64 s[28:29], s33, v5
	s_and_saveexec_b64 s[36:37], s[28:29]
	s_cbranch_execnz .LBB893_78
; %bb.38:
	s_or_b64 exec, exec, s[36:37]
	s_and_saveexec_b64 s[34:35], vcc
	s_cbranch_execnz .LBB893_79
.LBB893_39:
	s_or_b64 exec, exec, s[34:35]
	s_and_saveexec_b64 s[34:35], s[0:1]
	s_cbranch_execnz .LBB893_80
.LBB893_40:
	s_or_b64 exec, exec, s[34:35]
	s_and_saveexec_b64 s[0:1], s[4:5]
	s_cbranch_execnz .LBB893_81
.LBB893_41:
	s_or_b64 exec, exec, s[0:1]
	s_and_saveexec_b64 s[0:1], s[6:7]
	s_cbranch_execnz .LBB893_82
.LBB893_42:
	s_or_b64 exec, exec, s[0:1]
	s_and_saveexec_b64 s[0:1], s[8:9]
	s_cbranch_execnz .LBB893_83
.LBB893_43:
	s_or_b64 exec, exec, s[0:1]
	s_and_saveexec_b64 s[0:1], s[10:11]
	s_cbranch_execnz .LBB893_84
.LBB893_44:
	s_or_b64 exec, exec, s[0:1]
	s_and_saveexec_b64 s[0:1], s[12:13]
	s_cbranch_execnz .LBB893_85
.LBB893_45:
	s_or_b64 exec, exec, s[0:1]
	s_and_saveexec_b64 s[0:1], s[14:15]
	s_cbranch_execnz .LBB893_86
.LBB893_46:
	s_or_b64 exec, exec, s[0:1]
	s_and_saveexec_b64 s[0:1], s[16:17]
	s_cbranch_execnz .LBB893_87
.LBB893_47:
	s_or_b64 exec, exec, s[0:1]
	s_and_saveexec_b64 s[0:1], s[18:19]
	s_cbranch_execnz .LBB893_88
.LBB893_48:
	s_or_b64 exec, exec, s[0:1]
	s_and_saveexec_b64 s[0:1], s[20:21]
	s_cbranch_execnz .LBB893_89
.LBB893_49:
	s_or_b64 exec, exec, s[0:1]
	s_and_saveexec_b64 s[0:1], s[22:23]
	s_cbranch_execnz .LBB893_90
.LBB893_50:
	s_or_b64 exec, exec, s[0:1]
	s_and_saveexec_b64 s[0:1], s[24:25]
	s_cbranch_execnz .LBB893_91
.LBB893_51:
	s_or_b64 exec, exec, s[0:1]
	s_and_saveexec_b64 s[0:1], s[26:27]
	s_cbranch_execnz .LBB893_92
.LBB893_52:
	s_or_b64 exec, exec, s[0:1]
	s_and_saveexec_b64 s[0:1], s[28:29]
	s_cbranch_execz .LBB893_54
.LBB893_53:
	s_waitcnt vmcnt(0) lgkmcnt(0)
	v_add_u32_e32 v3, v2, v32
	v_mov_b32_e32 v2, 0
	v_ashrrev_i64 v[2:3], 29, v[2:3]
	v_lshl_add_u64 v[2:3], s[50:51], 0, v[2:3]
	global_load_dwordx2 v[2:3], v[2:3], off
.LBB893_54:
	s_or_b64 exec, exec, s[0:1]
	v_mbcnt_hi_u32_b32 v1, -1, v1
	v_and_b32_e32 v4, 63, v1
	v_cmp_ne_u32_e32 vcc, 63, v4
	s_min_u32 s4, s33, 0x100
	s_waitcnt vmcnt(0) lgkmcnt(0)
	v_add_u32_e32 v7, 1, v4
	v_addc_co_u32_e32 v5, vcc, 0, v1, vcc
	v_lshlrev_b32_e32 v5, 2, v5
	ds_bpermute_b32 v6, v5, v2
	v_and_b32_e32 v5, 0xc0, v0
	v_sub_u32_e64 v5, s4, v5 clamp
	v_cmp_lt_u32_e32 vcc, v7, v5
	s_and_saveexec_b64 s[0:1], vcc
	s_xor_b64 s[0:1], exec, s[0:1]
	s_cbranch_execz .LBB893_56
; %bb.55:
	s_waitcnt lgkmcnt(0)
	v_add_u32_e32 v3, v2, v6
	v_mov_b32_e32 v2, 0
	v_ashrrev_i64 v[2:3], 29, v[2:3]
	v_lshl_add_u64 v[2:3], s[50:51], 0, v[2:3]
	global_load_dwordx2 v[2:3], v[2:3], off
.LBB893_56:
	s_or_b64 exec, exec, s[0:1]
	v_cmp_gt_u32_e32 vcc, 62, v4
	v_add_u32_e32 v7, 2, v4
	s_waitcnt lgkmcnt(0)
	v_cndmask_b32_e64 v6, 0, 2, vcc
	v_add_lshl_u32 v6, v6, v1, 2
	s_waitcnt vmcnt(0)
	ds_bpermute_b32 v6, v6, v2
	v_cmp_lt_u32_e32 vcc, v7, v5
	s_and_saveexec_b64 s[0:1], vcc
	s_cbranch_execz .LBB893_58
; %bb.57:
	s_waitcnt lgkmcnt(0)
	v_add_u32_e32 v3, v2, v6
	v_mov_b32_e32 v2, 0
	v_ashrrev_i64 v[2:3], 29, v[2:3]
	v_lshl_add_u64 v[2:3], s[50:51], 0, v[2:3]
	global_load_dwordx2 v[2:3], v[2:3], off
.LBB893_58:
	s_or_b64 exec, exec, s[0:1]
	v_cmp_gt_u32_e32 vcc, 60, v4
	v_add_u32_e32 v7, 4, v4
	s_waitcnt lgkmcnt(0)
	v_cndmask_b32_e64 v6, 0, 4, vcc
	v_add_lshl_u32 v6, v6, v1, 2
	s_waitcnt vmcnt(0)
	ds_bpermute_b32 v6, v6, v2
	v_cmp_lt_u32_e32 vcc, v7, v5
	s_and_saveexec_b64 s[0:1], vcc
	;; [unrolled: 19-line block ×4, first 2 shown]
	s_cbranch_execz .LBB893_64
; %bb.63:
	s_waitcnt lgkmcnt(0)
	v_add_u32_e32 v3, v2, v6
	v_mov_b32_e32 v2, 0
	v_ashrrev_i64 v[2:3], 29, v[2:3]
	v_lshl_add_u64 v[2:3], s[50:51], 0, v[2:3]
	global_load_dwordx2 v[2:3], v[2:3], off
.LBB893_64:
	s_or_b64 exec, exec, s[0:1]
	s_waitcnt lgkmcnt(0)
	v_lshlrev_b32_e32 v6, 2, v1
	v_or_b32_e32 v7, 0x80, v6
	s_waitcnt vmcnt(0)
	ds_bpermute_b32 v7, v7, v2
	v_add_u32_e32 v4, 32, v4
	v_cmp_lt_u32_e32 vcc, v4, v5
	s_and_saveexec_b64 s[0:1], vcc
	s_cbranch_execz .LBB893_66
; %bb.65:
	s_waitcnt lgkmcnt(0)
	v_add_u32_e32 v3, v2, v7
	v_mov_b32_e32 v2, 0
	v_ashrrev_i64 v[2:3], 29, v[2:3]
	v_lshl_add_u64 v[2:3], s[50:51], 0, v[2:3]
	global_load_dwordx2 v[2:3], v[2:3], off
.LBB893_66:
	s_or_b64 exec, exec, s[0:1]
	v_cmp_eq_u32_e32 vcc, 0, v1
	s_and_saveexec_b64 s[0:1], vcc
	s_cbranch_execz .LBB893_68
; %bb.67:
	v_lshrrev_b32_e32 v4, 3, v0
	v_and_b32_e32 v4, 24, v4
	s_waitcnt vmcnt(0)
	ds_write_b64 v4, v[2:3]
.LBB893_68:
	s_or_b64 exec, exec, s[0:1]
	v_cmp_gt_u32_e32 vcc, 4, v0
	s_waitcnt lgkmcnt(0)
	s_barrier
                                        ; implicit-def: $vgpr4
	s_and_saveexec_b64 s[0:1], vcc
	s_cbranch_execz .LBB893_72
; %bb.69:
	s_waitcnt vmcnt(0)
	v_lshlrev_b32_e32 v2, 3, v1
	ds_read_b64 v[2:3], v2
	v_and_b32_e32 v4, 3, v1
	v_cmp_ne_u32_e32 vcc, 3, v4
	s_add_i32 s4, s4, 63
	s_lshr_b32 s6, s4, 6
	v_addc_co_u32_e32 v1, vcc, 0, v1, vcc
	v_lshlrev_b32_e32 v1, 2, v1
	s_waitcnt lgkmcnt(0)
	ds_bpermute_b32 v1, v1, v2
	v_add_u32_e32 v5, 1, v4
	v_cmp_gt_u32_e32 vcc, s6, v5
	s_and_saveexec_b64 s[4:5], vcc
	s_cbranch_execz .LBB893_71
; %bb.70:
	s_waitcnt lgkmcnt(0)
	v_add_u32_e32 v3, v2, v1
	v_mov_b32_e32 v2, 0
	v_ashrrev_i64 v[2:3], 29, v[2:3]
	v_lshl_add_u64 v[2:3], s[50:51], 0, v[2:3]
	global_load_dwordx2 v[2:3], v[2:3], off
.LBB893_71:
	s_or_b64 exec, exec, s[4:5]
	s_waitcnt lgkmcnt(0)
	v_add_u32_e32 v1, 2, v4
	v_or_b32_e32 v4, 8, v6
	s_waitcnt vmcnt(0)
	ds_bpermute_b32 v4, v4, v2
	v_cmp_gt_u32_e32 vcc, s6, v1
	s_andn2_b64 s[4:5], s[30:31], exec
	s_and_b64 s[6:7], vcc, exec
	s_or_b64 s[30:31], s[4:5], s[6:7]
.LBB893_72:
	s_or_b64 exec, exec, s[0:1]
.LBB893_73:
	s_and_saveexec_b64 s[0:1], s[30:31]
	s_cbranch_execnz .LBB893_76
; %bb.74:
	s_or_b64 exec, exec, s[0:1]
	v_cmp_eq_u32_e32 vcc, 0, v0
	s_and_saveexec_b64 s[0:1], vcc
	s_cbranch_execnz .LBB893_77
.LBB893_75:
	s_endpgm
.LBB893_76:
	s_waitcnt vmcnt(0) lgkmcnt(0)
	v_add_u32_e32 v3, v2, v4
	v_mov_b32_e32 v2, 0
	v_ashrrev_i64 v[2:3], 29, v[2:3]
	v_lshl_add_u64 v[2:3], s[50:51], 0, v[2:3]
	global_load_dwordx2 v[2:3], v[2:3], off
	s_or_b64 exec, exec, s[0:1]
	v_cmp_eq_u32_e32 vcc, 0, v0
	s_and_saveexec_b64 s[0:1], vcc
	s_cbranch_execz .LBB893_75
.LBB893_77:
	s_mul_i32 s0, s46, s45
	s_mul_hi_u32 s1, s46, s44
	s_add_i32 s0, s1, s0
	s_mul_i32 s1, s47, s44
	s_add_i32 s1, s0, s1
	s_mul_i32 s0, s46, s44
	s_lshl_b64 s[0:1], s[0:1], 3
	s_add_u32 s4, s42, s0
	s_addc_u32 s5, s43, s1
	s_cmp_eq_u64 s[40:41], 0
	v_mov_b32_e32 v0, s49
	s_cselect_b64 vcc, -1, 0
	s_lshl_b64 s[0:1], s[2:3], 3
	s_waitcnt vmcnt(0)
	v_cndmask_b32_e32 v1, v3, v0, vcc
	v_mov_b32_e32 v0, s48
	s_add_u32 s0, s4, s0
	v_cndmask_b32_e32 v0, v2, v0, vcc
	s_addc_u32 s1, s5, s1
	v_mov_b32_e32 v2, 0
	global_store_dwordx2 v2, v[0:1], s[0:1]
	s_endpgm
.LBB893_78:
	v_lshlrev_b32_e32 v32, 3, v5
	v_mov_b32_e32 v33, 0
	v_lshl_add_u64 v[32:33], s[34:35], 0, v[32:33]
	flat_load_dwordx2 v[32:33], v[32:33]
	s_or_b64 exec, exec, s[36:37]
	s_and_saveexec_b64 s[34:35], vcc
	s_cbranch_execz .LBB893_39
.LBB893_79:
	v_add_u32_e32 v3, v4, v2
	v_mov_b32_e32 v2, 0
	v_ashrrev_i64 v[2:3], 29, v[2:3]
	v_lshl_add_u64 v[2:3], s[50:51], 0, v[2:3]
	global_load_dwordx2 v[2:3], v[2:3], off
	s_or_b64 exec, exec, s[34:35]
	s_and_saveexec_b64 s[34:35], s[0:1]
	s_cbranch_execz .LBB893_40
.LBB893_80:
	s_waitcnt vmcnt(0) lgkmcnt(0)
	v_add_u32_e32 v3, v2, v6
	v_mov_b32_e32 v2, 0
	v_ashrrev_i64 v[2:3], 29, v[2:3]
	v_lshl_add_u64 v[2:3], s[50:51], 0, v[2:3]
	global_load_dwordx2 v[2:3], v[2:3], off
	s_or_b64 exec, exec, s[34:35]
	s_and_saveexec_b64 s[0:1], s[4:5]
	s_cbranch_execz .LBB893_41
.LBB893_81:
	s_waitcnt vmcnt(0) lgkmcnt(0)
	v_add_u32_e32 v3, v2, v8
	v_mov_b32_e32 v2, 0
	v_ashrrev_i64 v[2:3], 29, v[2:3]
	v_lshl_add_u64 v[2:3], s[50:51], 0, v[2:3]
	global_load_dwordx2 v[2:3], v[2:3], off
	s_or_b64 exec, exec, s[0:1]
	s_and_saveexec_b64 s[0:1], s[6:7]
	s_cbranch_execz .LBB893_42
.LBB893_82:
	s_waitcnt vmcnt(0) lgkmcnt(0)
	v_add_u32_e32 v3, v2, v10
	v_mov_b32_e32 v2, 0
	v_ashrrev_i64 v[2:3], 29, v[2:3]
	v_lshl_add_u64 v[2:3], s[50:51], 0, v[2:3]
	global_load_dwordx2 v[2:3], v[2:3], off
	s_or_b64 exec, exec, s[0:1]
	s_and_saveexec_b64 s[0:1], s[8:9]
	s_cbranch_execz .LBB893_43
.LBB893_83:
	s_waitcnt vmcnt(0) lgkmcnt(0)
	v_add_u32_e32 v3, v2, v12
	v_mov_b32_e32 v2, 0
	v_ashrrev_i64 v[2:3], 29, v[2:3]
	v_lshl_add_u64 v[2:3], s[50:51], 0, v[2:3]
	global_load_dwordx2 v[2:3], v[2:3], off
	s_or_b64 exec, exec, s[0:1]
	s_and_saveexec_b64 s[0:1], s[10:11]
	s_cbranch_execz .LBB893_44
.LBB893_84:
	s_waitcnt vmcnt(0) lgkmcnt(0)
	v_add_u32_e32 v3, v2, v14
	v_mov_b32_e32 v2, 0
	v_ashrrev_i64 v[2:3], 29, v[2:3]
	v_lshl_add_u64 v[2:3], s[50:51], 0, v[2:3]
	global_load_dwordx2 v[2:3], v[2:3], off
	s_or_b64 exec, exec, s[0:1]
	s_and_saveexec_b64 s[0:1], s[12:13]
	s_cbranch_execz .LBB893_45
.LBB893_85:
	s_waitcnt vmcnt(0) lgkmcnt(0)
	v_add_u32_e32 v3, v2, v16
	v_mov_b32_e32 v2, 0
	v_ashrrev_i64 v[2:3], 29, v[2:3]
	v_lshl_add_u64 v[2:3], s[50:51], 0, v[2:3]
	global_load_dwordx2 v[2:3], v[2:3], off
	s_or_b64 exec, exec, s[0:1]
	s_and_saveexec_b64 s[0:1], s[14:15]
	s_cbranch_execz .LBB893_46
.LBB893_86:
	s_waitcnt vmcnt(0) lgkmcnt(0)
	v_add_u32_e32 v3, v2, v18
	v_mov_b32_e32 v2, 0
	v_ashrrev_i64 v[2:3], 29, v[2:3]
	v_lshl_add_u64 v[2:3], s[50:51], 0, v[2:3]
	global_load_dwordx2 v[2:3], v[2:3], off
	s_or_b64 exec, exec, s[0:1]
	s_and_saveexec_b64 s[0:1], s[16:17]
	s_cbranch_execz .LBB893_47
.LBB893_87:
	s_waitcnt vmcnt(0) lgkmcnt(0)
	v_add_u32_e32 v3, v2, v20
	v_mov_b32_e32 v2, 0
	v_ashrrev_i64 v[2:3], 29, v[2:3]
	v_lshl_add_u64 v[2:3], s[50:51], 0, v[2:3]
	global_load_dwordx2 v[2:3], v[2:3], off
	s_or_b64 exec, exec, s[0:1]
	s_and_saveexec_b64 s[0:1], s[18:19]
	s_cbranch_execz .LBB893_48
.LBB893_88:
	s_waitcnt vmcnt(0) lgkmcnt(0)
	v_add_u32_e32 v3, v2, v22
	v_mov_b32_e32 v2, 0
	v_ashrrev_i64 v[2:3], 29, v[2:3]
	v_lshl_add_u64 v[2:3], s[50:51], 0, v[2:3]
	global_load_dwordx2 v[2:3], v[2:3], off
	s_or_b64 exec, exec, s[0:1]
	s_and_saveexec_b64 s[0:1], s[20:21]
	s_cbranch_execz .LBB893_49
.LBB893_89:
	s_waitcnt vmcnt(0) lgkmcnt(0)
	v_add_u32_e32 v3, v2, v24
	v_mov_b32_e32 v2, 0
	v_ashrrev_i64 v[2:3], 29, v[2:3]
	v_lshl_add_u64 v[2:3], s[50:51], 0, v[2:3]
	global_load_dwordx2 v[2:3], v[2:3], off
	s_or_b64 exec, exec, s[0:1]
	s_and_saveexec_b64 s[0:1], s[22:23]
	s_cbranch_execz .LBB893_50
.LBB893_90:
	s_waitcnt vmcnt(0) lgkmcnt(0)
	v_add_u32_e32 v3, v2, v26
	v_mov_b32_e32 v2, 0
	v_ashrrev_i64 v[2:3], 29, v[2:3]
	v_lshl_add_u64 v[2:3], s[50:51], 0, v[2:3]
	global_load_dwordx2 v[2:3], v[2:3], off
	s_or_b64 exec, exec, s[0:1]
	s_and_saveexec_b64 s[0:1], s[24:25]
	s_cbranch_execz .LBB893_51
.LBB893_91:
	s_waitcnt vmcnt(0) lgkmcnt(0)
	v_add_u32_e32 v3, v2, v28
	v_mov_b32_e32 v2, 0
	v_ashrrev_i64 v[2:3], 29, v[2:3]
	v_lshl_add_u64 v[2:3], s[50:51], 0, v[2:3]
	global_load_dwordx2 v[2:3], v[2:3], off
	s_or_b64 exec, exec, s[0:1]
	s_and_saveexec_b64 s[0:1], s[26:27]
	s_cbranch_execz .LBB893_52
.LBB893_92:
	s_waitcnt vmcnt(0) lgkmcnt(0)
	v_add_u32_e32 v3, v2, v30
	v_mov_b32_e32 v2, 0
	v_ashrrev_i64 v[2:3], 29, v[2:3]
	v_lshl_add_u64 v[2:3], s[50:51], 0, v[2:3]
	global_load_dwordx2 v[2:3], v[2:3], off
	s_or_b64 exec, exec, s[0:1]
	s_and_saveexec_b64 s[0:1], s[28:29]
	s_cbranch_execnz .LBB893_53
	s_branch .LBB893_54
	.section	.rodata,"a",@progbits
	.p2align	6, 0x0
	.amdhsa_kernel _ZN7rocprim17ROCPRIM_400000_NS6detail17trampoline_kernelINS0_14default_configENS1_22reduce_config_selectorIxEEZNS1_11reduce_implILb1ES3_N6thrust23THRUST_200600_302600_NS6detail15normal_iteratorINS8_10device_ptrIxEEEEPxx9plus_mod3IxEEE10hipError_tPvRmT1_T2_T3_mT4_P12ihipStream_tbEUlT_E0_NS1_11comp_targetILNS1_3genE0ELNS1_11target_archE4294967295ELNS1_3gpuE0ELNS1_3repE0EEENS1_30default_config_static_selectorELNS0_4arch9wavefront6targetE1EEEvSK_
		.amdhsa_group_segment_fixed_size 64
		.amdhsa_private_segment_fixed_size 0
		.amdhsa_kernarg_size 64
		.amdhsa_user_sgpr_count 2
		.amdhsa_user_sgpr_dispatch_ptr 0
		.amdhsa_user_sgpr_queue_ptr 0
		.amdhsa_user_sgpr_kernarg_segment_ptr 1
		.amdhsa_user_sgpr_dispatch_id 0
		.amdhsa_user_sgpr_kernarg_preload_length 0
		.amdhsa_user_sgpr_kernarg_preload_offset 0
		.amdhsa_user_sgpr_private_segment_size 0
		.amdhsa_uses_dynamic_stack 0
		.amdhsa_enable_private_segment 0
		.amdhsa_system_sgpr_workgroup_id_x 1
		.amdhsa_system_sgpr_workgroup_id_y 0
		.amdhsa_system_sgpr_workgroup_id_z 0
		.amdhsa_system_sgpr_workgroup_info 0
		.amdhsa_system_vgpr_workitem_id 0
		.amdhsa_next_free_vgpr 68
		.amdhsa_next_free_sgpr 52
		.amdhsa_accum_offset 68
		.amdhsa_reserve_vcc 1
		.amdhsa_float_round_mode_32 0
		.amdhsa_float_round_mode_16_64 0
		.amdhsa_float_denorm_mode_32 3
		.amdhsa_float_denorm_mode_16_64 3
		.amdhsa_dx10_clamp 1
		.amdhsa_ieee_mode 1
		.amdhsa_fp16_overflow 0
		.amdhsa_tg_split 0
		.amdhsa_exception_fp_ieee_invalid_op 0
		.amdhsa_exception_fp_denorm_src 0
		.amdhsa_exception_fp_ieee_div_zero 0
		.amdhsa_exception_fp_ieee_overflow 0
		.amdhsa_exception_fp_ieee_underflow 0
		.amdhsa_exception_fp_ieee_inexact 0
		.amdhsa_exception_int_div_zero 0
	.end_amdhsa_kernel
	.section	.text._ZN7rocprim17ROCPRIM_400000_NS6detail17trampoline_kernelINS0_14default_configENS1_22reduce_config_selectorIxEEZNS1_11reduce_implILb1ES3_N6thrust23THRUST_200600_302600_NS6detail15normal_iteratorINS8_10device_ptrIxEEEEPxx9plus_mod3IxEEE10hipError_tPvRmT1_T2_T3_mT4_P12ihipStream_tbEUlT_E0_NS1_11comp_targetILNS1_3genE0ELNS1_11target_archE4294967295ELNS1_3gpuE0ELNS1_3repE0EEENS1_30default_config_static_selectorELNS0_4arch9wavefront6targetE1EEEvSK_,"axG",@progbits,_ZN7rocprim17ROCPRIM_400000_NS6detail17trampoline_kernelINS0_14default_configENS1_22reduce_config_selectorIxEEZNS1_11reduce_implILb1ES3_N6thrust23THRUST_200600_302600_NS6detail15normal_iteratorINS8_10device_ptrIxEEEEPxx9plus_mod3IxEEE10hipError_tPvRmT1_T2_T3_mT4_P12ihipStream_tbEUlT_E0_NS1_11comp_targetILNS1_3genE0ELNS1_11target_archE4294967295ELNS1_3gpuE0ELNS1_3repE0EEENS1_30default_config_static_selectorELNS0_4arch9wavefront6targetE1EEEvSK_,comdat
.Lfunc_end893:
	.size	_ZN7rocprim17ROCPRIM_400000_NS6detail17trampoline_kernelINS0_14default_configENS1_22reduce_config_selectorIxEEZNS1_11reduce_implILb1ES3_N6thrust23THRUST_200600_302600_NS6detail15normal_iteratorINS8_10device_ptrIxEEEEPxx9plus_mod3IxEEE10hipError_tPvRmT1_T2_T3_mT4_P12ihipStream_tbEUlT_E0_NS1_11comp_targetILNS1_3genE0ELNS1_11target_archE4294967295ELNS1_3gpuE0ELNS1_3repE0EEENS1_30default_config_static_selectorELNS0_4arch9wavefront6targetE1EEEvSK_, .Lfunc_end893-_ZN7rocprim17ROCPRIM_400000_NS6detail17trampoline_kernelINS0_14default_configENS1_22reduce_config_selectorIxEEZNS1_11reduce_implILb1ES3_N6thrust23THRUST_200600_302600_NS6detail15normal_iteratorINS8_10device_ptrIxEEEEPxx9plus_mod3IxEEE10hipError_tPvRmT1_T2_T3_mT4_P12ihipStream_tbEUlT_E0_NS1_11comp_targetILNS1_3genE0ELNS1_11target_archE4294967295ELNS1_3gpuE0ELNS1_3repE0EEENS1_30default_config_static_selectorELNS0_4arch9wavefront6targetE1EEEvSK_
                                        ; -- End function
	.set _ZN7rocprim17ROCPRIM_400000_NS6detail17trampoline_kernelINS0_14default_configENS1_22reduce_config_selectorIxEEZNS1_11reduce_implILb1ES3_N6thrust23THRUST_200600_302600_NS6detail15normal_iteratorINS8_10device_ptrIxEEEEPxx9plus_mod3IxEEE10hipError_tPvRmT1_T2_T3_mT4_P12ihipStream_tbEUlT_E0_NS1_11comp_targetILNS1_3genE0ELNS1_11target_archE4294967295ELNS1_3gpuE0ELNS1_3repE0EEENS1_30default_config_static_selectorELNS0_4arch9wavefront6targetE1EEEvSK_.num_vgpr, 68
	.set _ZN7rocprim17ROCPRIM_400000_NS6detail17trampoline_kernelINS0_14default_configENS1_22reduce_config_selectorIxEEZNS1_11reduce_implILb1ES3_N6thrust23THRUST_200600_302600_NS6detail15normal_iteratorINS8_10device_ptrIxEEEEPxx9plus_mod3IxEEE10hipError_tPvRmT1_T2_T3_mT4_P12ihipStream_tbEUlT_E0_NS1_11comp_targetILNS1_3genE0ELNS1_11target_archE4294967295ELNS1_3gpuE0ELNS1_3repE0EEENS1_30default_config_static_selectorELNS0_4arch9wavefront6targetE1EEEvSK_.num_agpr, 0
	.set _ZN7rocprim17ROCPRIM_400000_NS6detail17trampoline_kernelINS0_14default_configENS1_22reduce_config_selectorIxEEZNS1_11reduce_implILb1ES3_N6thrust23THRUST_200600_302600_NS6detail15normal_iteratorINS8_10device_ptrIxEEEEPxx9plus_mod3IxEEE10hipError_tPvRmT1_T2_T3_mT4_P12ihipStream_tbEUlT_E0_NS1_11comp_targetILNS1_3genE0ELNS1_11target_archE4294967295ELNS1_3gpuE0ELNS1_3repE0EEENS1_30default_config_static_selectorELNS0_4arch9wavefront6targetE1EEEvSK_.numbered_sgpr, 52
	.set _ZN7rocprim17ROCPRIM_400000_NS6detail17trampoline_kernelINS0_14default_configENS1_22reduce_config_selectorIxEEZNS1_11reduce_implILb1ES3_N6thrust23THRUST_200600_302600_NS6detail15normal_iteratorINS8_10device_ptrIxEEEEPxx9plus_mod3IxEEE10hipError_tPvRmT1_T2_T3_mT4_P12ihipStream_tbEUlT_E0_NS1_11comp_targetILNS1_3genE0ELNS1_11target_archE4294967295ELNS1_3gpuE0ELNS1_3repE0EEENS1_30default_config_static_selectorELNS0_4arch9wavefront6targetE1EEEvSK_.num_named_barrier, 0
	.set _ZN7rocprim17ROCPRIM_400000_NS6detail17trampoline_kernelINS0_14default_configENS1_22reduce_config_selectorIxEEZNS1_11reduce_implILb1ES3_N6thrust23THRUST_200600_302600_NS6detail15normal_iteratorINS8_10device_ptrIxEEEEPxx9plus_mod3IxEEE10hipError_tPvRmT1_T2_T3_mT4_P12ihipStream_tbEUlT_E0_NS1_11comp_targetILNS1_3genE0ELNS1_11target_archE4294967295ELNS1_3gpuE0ELNS1_3repE0EEENS1_30default_config_static_selectorELNS0_4arch9wavefront6targetE1EEEvSK_.private_seg_size, 0
	.set _ZN7rocprim17ROCPRIM_400000_NS6detail17trampoline_kernelINS0_14default_configENS1_22reduce_config_selectorIxEEZNS1_11reduce_implILb1ES3_N6thrust23THRUST_200600_302600_NS6detail15normal_iteratorINS8_10device_ptrIxEEEEPxx9plus_mod3IxEEE10hipError_tPvRmT1_T2_T3_mT4_P12ihipStream_tbEUlT_E0_NS1_11comp_targetILNS1_3genE0ELNS1_11target_archE4294967295ELNS1_3gpuE0ELNS1_3repE0EEENS1_30default_config_static_selectorELNS0_4arch9wavefront6targetE1EEEvSK_.uses_vcc, 1
	.set _ZN7rocprim17ROCPRIM_400000_NS6detail17trampoline_kernelINS0_14default_configENS1_22reduce_config_selectorIxEEZNS1_11reduce_implILb1ES3_N6thrust23THRUST_200600_302600_NS6detail15normal_iteratorINS8_10device_ptrIxEEEEPxx9plus_mod3IxEEE10hipError_tPvRmT1_T2_T3_mT4_P12ihipStream_tbEUlT_E0_NS1_11comp_targetILNS1_3genE0ELNS1_11target_archE4294967295ELNS1_3gpuE0ELNS1_3repE0EEENS1_30default_config_static_selectorELNS0_4arch9wavefront6targetE1EEEvSK_.uses_flat_scratch, 0
	.set _ZN7rocprim17ROCPRIM_400000_NS6detail17trampoline_kernelINS0_14default_configENS1_22reduce_config_selectorIxEEZNS1_11reduce_implILb1ES3_N6thrust23THRUST_200600_302600_NS6detail15normal_iteratorINS8_10device_ptrIxEEEEPxx9plus_mod3IxEEE10hipError_tPvRmT1_T2_T3_mT4_P12ihipStream_tbEUlT_E0_NS1_11comp_targetILNS1_3genE0ELNS1_11target_archE4294967295ELNS1_3gpuE0ELNS1_3repE0EEENS1_30default_config_static_selectorELNS0_4arch9wavefront6targetE1EEEvSK_.has_dyn_sized_stack, 0
	.set _ZN7rocprim17ROCPRIM_400000_NS6detail17trampoline_kernelINS0_14default_configENS1_22reduce_config_selectorIxEEZNS1_11reduce_implILb1ES3_N6thrust23THRUST_200600_302600_NS6detail15normal_iteratorINS8_10device_ptrIxEEEEPxx9plus_mod3IxEEE10hipError_tPvRmT1_T2_T3_mT4_P12ihipStream_tbEUlT_E0_NS1_11comp_targetILNS1_3genE0ELNS1_11target_archE4294967295ELNS1_3gpuE0ELNS1_3repE0EEENS1_30default_config_static_selectorELNS0_4arch9wavefront6targetE1EEEvSK_.has_recursion, 0
	.set _ZN7rocprim17ROCPRIM_400000_NS6detail17trampoline_kernelINS0_14default_configENS1_22reduce_config_selectorIxEEZNS1_11reduce_implILb1ES3_N6thrust23THRUST_200600_302600_NS6detail15normal_iteratorINS8_10device_ptrIxEEEEPxx9plus_mod3IxEEE10hipError_tPvRmT1_T2_T3_mT4_P12ihipStream_tbEUlT_E0_NS1_11comp_targetILNS1_3genE0ELNS1_11target_archE4294967295ELNS1_3gpuE0ELNS1_3repE0EEENS1_30default_config_static_selectorELNS0_4arch9wavefront6targetE1EEEvSK_.has_indirect_call, 0
	.section	.AMDGPU.csdata,"",@progbits
; Kernel info:
; codeLenInByte = 4180
; TotalNumSgprs: 58
; NumVgprs: 68
; NumAgprs: 0
; TotalNumVgprs: 68
; ScratchSize: 0
; MemoryBound: 0
; FloatMode: 240
; IeeeMode: 1
; LDSByteSize: 64 bytes/workgroup (compile time only)
; SGPRBlocks: 7
; VGPRBlocks: 8
; NumSGPRsForWavesPerEU: 58
; NumVGPRsForWavesPerEU: 68
; AccumOffset: 68
; Occupancy: 7
; WaveLimiterHint : 1
; COMPUTE_PGM_RSRC2:SCRATCH_EN: 0
; COMPUTE_PGM_RSRC2:USER_SGPR: 2
; COMPUTE_PGM_RSRC2:TRAP_HANDLER: 0
; COMPUTE_PGM_RSRC2:TGID_X_EN: 1
; COMPUTE_PGM_RSRC2:TGID_Y_EN: 0
; COMPUTE_PGM_RSRC2:TGID_Z_EN: 0
; COMPUTE_PGM_RSRC2:TIDIG_COMP_CNT: 0
; COMPUTE_PGM_RSRC3_GFX90A:ACCUM_OFFSET: 16
; COMPUTE_PGM_RSRC3_GFX90A:TG_SPLIT: 0
	.section	.text._ZN7rocprim17ROCPRIM_400000_NS6detail17trampoline_kernelINS0_14default_configENS1_22reduce_config_selectorIxEEZNS1_11reduce_implILb1ES3_N6thrust23THRUST_200600_302600_NS6detail15normal_iteratorINS8_10device_ptrIxEEEEPxx9plus_mod3IxEEE10hipError_tPvRmT1_T2_T3_mT4_P12ihipStream_tbEUlT_E0_NS1_11comp_targetILNS1_3genE5ELNS1_11target_archE942ELNS1_3gpuE9ELNS1_3repE0EEENS1_30default_config_static_selectorELNS0_4arch9wavefront6targetE1EEEvSK_,"axG",@progbits,_ZN7rocprim17ROCPRIM_400000_NS6detail17trampoline_kernelINS0_14default_configENS1_22reduce_config_selectorIxEEZNS1_11reduce_implILb1ES3_N6thrust23THRUST_200600_302600_NS6detail15normal_iteratorINS8_10device_ptrIxEEEEPxx9plus_mod3IxEEE10hipError_tPvRmT1_T2_T3_mT4_P12ihipStream_tbEUlT_E0_NS1_11comp_targetILNS1_3genE5ELNS1_11target_archE942ELNS1_3gpuE9ELNS1_3repE0EEENS1_30default_config_static_selectorELNS0_4arch9wavefront6targetE1EEEvSK_,comdat
	.protected	_ZN7rocprim17ROCPRIM_400000_NS6detail17trampoline_kernelINS0_14default_configENS1_22reduce_config_selectorIxEEZNS1_11reduce_implILb1ES3_N6thrust23THRUST_200600_302600_NS6detail15normal_iteratorINS8_10device_ptrIxEEEEPxx9plus_mod3IxEEE10hipError_tPvRmT1_T2_T3_mT4_P12ihipStream_tbEUlT_E0_NS1_11comp_targetILNS1_3genE5ELNS1_11target_archE942ELNS1_3gpuE9ELNS1_3repE0EEENS1_30default_config_static_selectorELNS0_4arch9wavefront6targetE1EEEvSK_ ; -- Begin function _ZN7rocprim17ROCPRIM_400000_NS6detail17trampoline_kernelINS0_14default_configENS1_22reduce_config_selectorIxEEZNS1_11reduce_implILb1ES3_N6thrust23THRUST_200600_302600_NS6detail15normal_iteratorINS8_10device_ptrIxEEEEPxx9plus_mod3IxEEE10hipError_tPvRmT1_T2_T3_mT4_P12ihipStream_tbEUlT_E0_NS1_11comp_targetILNS1_3genE5ELNS1_11target_archE942ELNS1_3gpuE9ELNS1_3repE0EEENS1_30default_config_static_selectorELNS0_4arch9wavefront6targetE1EEEvSK_
	.globl	_ZN7rocprim17ROCPRIM_400000_NS6detail17trampoline_kernelINS0_14default_configENS1_22reduce_config_selectorIxEEZNS1_11reduce_implILb1ES3_N6thrust23THRUST_200600_302600_NS6detail15normal_iteratorINS8_10device_ptrIxEEEEPxx9plus_mod3IxEEE10hipError_tPvRmT1_T2_T3_mT4_P12ihipStream_tbEUlT_E0_NS1_11comp_targetILNS1_3genE5ELNS1_11target_archE942ELNS1_3gpuE9ELNS1_3repE0EEENS1_30default_config_static_selectorELNS0_4arch9wavefront6targetE1EEEvSK_
	.p2align	8
	.type	_ZN7rocprim17ROCPRIM_400000_NS6detail17trampoline_kernelINS0_14default_configENS1_22reduce_config_selectorIxEEZNS1_11reduce_implILb1ES3_N6thrust23THRUST_200600_302600_NS6detail15normal_iteratorINS8_10device_ptrIxEEEEPxx9plus_mod3IxEEE10hipError_tPvRmT1_T2_T3_mT4_P12ihipStream_tbEUlT_E0_NS1_11comp_targetILNS1_3genE5ELNS1_11target_archE942ELNS1_3gpuE9ELNS1_3repE0EEENS1_30default_config_static_selectorELNS0_4arch9wavefront6targetE1EEEvSK_,@function
_ZN7rocprim17ROCPRIM_400000_NS6detail17trampoline_kernelINS0_14default_configENS1_22reduce_config_selectorIxEEZNS1_11reduce_implILb1ES3_N6thrust23THRUST_200600_302600_NS6detail15normal_iteratorINS8_10device_ptrIxEEEEPxx9plus_mod3IxEEE10hipError_tPvRmT1_T2_T3_mT4_P12ihipStream_tbEUlT_E0_NS1_11comp_targetILNS1_3genE5ELNS1_11target_archE942ELNS1_3gpuE9ELNS1_3repE0EEENS1_30default_config_static_selectorELNS0_4arch9wavefront6targetE1EEEvSK_: ; @_ZN7rocprim17ROCPRIM_400000_NS6detail17trampoline_kernelINS0_14default_configENS1_22reduce_config_selectorIxEEZNS1_11reduce_implILb1ES3_N6thrust23THRUST_200600_302600_NS6detail15normal_iteratorINS8_10device_ptrIxEEEEPxx9plus_mod3IxEEE10hipError_tPvRmT1_T2_T3_mT4_P12ihipStream_tbEUlT_E0_NS1_11comp_targetILNS1_3genE5ELNS1_11target_archE942ELNS1_3gpuE9ELNS1_3repE0EEENS1_30default_config_static_selectorELNS0_4arch9wavefront6targetE1EEEvSK_
; %bb.0:
	.section	.rodata,"a",@progbits
	.p2align	6, 0x0
	.amdhsa_kernel _ZN7rocprim17ROCPRIM_400000_NS6detail17trampoline_kernelINS0_14default_configENS1_22reduce_config_selectorIxEEZNS1_11reduce_implILb1ES3_N6thrust23THRUST_200600_302600_NS6detail15normal_iteratorINS8_10device_ptrIxEEEEPxx9plus_mod3IxEEE10hipError_tPvRmT1_T2_T3_mT4_P12ihipStream_tbEUlT_E0_NS1_11comp_targetILNS1_3genE5ELNS1_11target_archE942ELNS1_3gpuE9ELNS1_3repE0EEENS1_30default_config_static_selectorELNS0_4arch9wavefront6targetE1EEEvSK_
		.amdhsa_group_segment_fixed_size 0
		.amdhsa_private_segment_fixed_size 0
		.amdhsa_kernarg_size 64
		.amdhsa_user_sgpr_count 2
		.amdhsa_user_sgpr_dispatch_ptr 0
		.amdhsa_user_sgpr_queue_ptr 0
		.amdhsa_user_sgpr_kernarg_segment_ptr 1
		.amdhsa_user_sgpr_dispatch_id 0
		.amdhsa_user_sgpr_kernarg_preload_length 0
		.amdhsa_user_sgpr_kernarg_preload_offset 0
		.amdhsa_user_sgpr_private_segment_size 0
		.amdhsa_uses_dynamic_stack 0
		.amdhsa_enable_private_segment 0
		.amdhsa_system_sgpr_workgroup_id_x 1
		.amdhsa_system_sgpr_workgroup_id_y 0
		.amdhsa_system_sgpr_workgroup_id_z 0
		.amdhsa_system_sgpr_workgroup_info 0
		.amdhsa_system_vgpr_workitem_id 0
		.amdhsa_next_free_vgpr 1
		.amdhsa_next_free_sgpr 0
		.amdhsa_accum_offset 4
		.amdhsa_reserve_vcc 0
		.amdhsa_float_round_mode_32 0
		.amdhsa_float_round_mode_16_64 0
		.amdhsa_float_denorm_mode_32 3
		.amdhsa_float_denorm_mode_16_64 3
		.amdhsa_dx10_clamp 1
		.amdhsa_ieee_mode 1
		.amdhsa_fp16_overflow 0
		.amdhsa_tg_split 0
		.amdhsa_exception_fp_ieee_invalid_op 0
		.amdhsa_exception_fp_denorm_src 0
		.amdhsa_exception_fp_ieee_div_zero 0
		.amdhsa_exception_fp_ieee_overflow 0
		.amdhsa_exception_fp_ieee_underflow 0
		.amdhsa_exception_fp_ieee_inexact 0
		.amdhsa_exception_int_div_zero 0
	.end_amdhsa_kernel
	.section	.text._ZN7rocprim17ROCPRIM_400000_NS6detail17trampoline_kernelINS0_14default_configENS1_22reduce_config_selectorIxEEZNS1_11reduce_implILb1ES3_N6thrust23THRUST_200600_302600_NS6detail15normal_iteratorINS8_10device_ptrIxEEEEPxx9plus_mod3IxEEE10hipError_tPvRmT1_T2_T3_mT4_P12ihipStream_tbEUlT_E0_NS1_11comp_targetILNS1_3genE5ELNS1_11target_archE942ELNS1_3gpuE9ELNS1_3repE0EEENS1_30default_config_static_selectorELNS0_4arch9wavefront6targetE1EEEvSK_,"axG",@progbits,_ZN7rocprim17ROCPRIM_400000_NS6detail17trampoline_kernelINS0_14default_configENS1_22reduce_config_selectorIxEEZNS1_11reduce_implILb1ES3_N6thrust23THRUST_200600_302600_NS6detail15normal_iteratorINS8_10device_ptrIxEEEEPxx9plus_mod3IxEEE10hipError_tPvRmT1_T2_T3_mT4_P12ihipStream_tbEUlT_E0_NS1_11comp_targetILNS1_3genE5ELNS1_11target_archE942ELNS1_3gpuE9ELNS1_3repE0EEENS1_30default_config_static_selectorELNS0_4arch9wavefront6targetE1EEEvSK_,comdat
.Lfunc_end894:
	.size	_ZN7rocprim17ROCPRIM_400000_NS6detail17trampoline_kernelINS0_14default_configENS1_22reduce_config_selectorIxEEZNS1_11reduce_implILb1ES3_N6thrust23THRUST_200600_302600_NS6detail15normal_iteratorINS8_10device_ptrIxEEEEPxx9plus_mod3IxEEE10hipError_tPvRmT1_T2_T3_mT4_P12ihipStream_tbEUlT_E0_NS1_11comp_targetILNS1_3genE5ELNS1_11target_archE942ELNS1_3gpuE9ELNS1_3repE0EEENS1_30default_config_static_selectorELNS0_4arch9wavefront6targetE1EEEvSK_, .Lfunc_end894-_ZN7rocprim17ROCPRIM_400000_NS6detail17trampoline_kernelINS0_14default_configENS1_22reduce_config_selectorIxEEZNS1_11reduce_implILb1ES3_N6thrust23THRUST_200600_302600_NS6detail15normal_iteratorINS8_10device_ptrIxEEEEPxx9plus_mod3IxEEE10hipError_tPvRmT1_T2_T3_mT4_P12ihipStream_tbEUlT_E0_NS1_11comp_targetILNS1_3genE5ELNS1_11target_archE942ELNS1_3gpuE9ELNS1_3repE0EEENS1_30default_config_static_selectorELNS0_4arch9wavefront6targetE1EEEvSK_
                                        ; -- End function
	.set _ZN7rocprim17ROCPRIM_400000_NS6detail17trampoline_kernelINS0_14default_configENS1_22reduce_config_selectorIxEEZNS1_11reduce_implILb1ES3_N6thrust23THRUST_200600_302600_NS6detail15normal_iteratorINS8_10device_ptrIxEEEEPxx9plus_mod3IxEEE10hipError_tPvRmT1_T2_T3_mT4_P12ihipStream_tbEUlT_E0_NS1_11comp_targetILNS1_3genE5ELNS1_11target_archE942ELNS1_3gpuE9ELNS1_3repE0EEENS1_30default_config_static_selectorELNS0_4arch9wavefront6targetE1EEEvSK_.num_vgpr, 0
	.set _ZN7rocprim17ROCPRIM_400000_NS6detail17trampoline_kernelINS0_14default_configENS1_22reduce_config_selectorIxEEZNS1_11reduce_implILb1ES3_N6thrust23THRUST_200600_302600_NS6detail15normal_iteratorINS8_10device_ptrIxEEEEPxx9plus_mod3IxEEE10hipError_tPvRmT1_T2_T3_mT4_P12ihipStream_tbEUlT_E0_NS1_11comp_targetILNS1_3genE5ELNS1_11target_archE942ELNS1_3gpuE9ELNS1_3repE0EEENS1_30default_config_static_selectorELNS0_4arch9wavefront6targetE1EEEvSK_.num_agpr, 0
	.set _ZN7rocprim17ROCPRIM_400000_NS6detail17trampoline_kernelINS0_14default_configENS1_22reduce_config_selectorIxEEZNS1_11reduce_implILb1ES3_N6thrust23THRUST_200600_302600_NS6detail15normal_iteratorINS8_10device_ptrIxEEEEPxx9plus_mod3IxEEE10hipError_tPvRmT1_T2_T3_mT4_P12ihipStream_tbEUlT_E0_NS1_11comp_targetILNS1_3genE5ELNS1_11target_archE942ELNS1_3gpuE9ELNS1_3repE0EEENS1_30default_config_static_selectorELNS0_4arch9wavefront6targetE1EEEvSK_.numbered_sgpr, 0
	.set _ZN7rocprim17ROCPRIM_400000_NS6detail17trampoline_kernelINS0_14default_configENS1_22reduce_config_selectorIxEEZNS1_11reduce_implILb1ES3_N6thrust23THRUST_200600_302600_NS6detail15normal_iteratorINS8_10device_ptrIxEEEEPxx9plus_mod3IxEEE10hipError_tPvRmT1_T2_T3_mT4_P12ihipStream_tbEUlT_E0_NS1_11comp_targetILNS1_3genE5ELNS1_11target_archE942ELNS1_3gpuE9ELNS1_3repE0EEENS1_30default_config_static_selectorELNS0_4arch9wavefront6targetE1EEEvSK_.num_named_barrier, 0
	.set _ZN7rocprim17ROCPRIM_400000_NS6detail17trampoline_kernelINS0_14default_configENS1_22reduce_config_selectorIxEEZNS1_11reduce_implILb1ES3_N6thrust23THRUST_200600_302600_NS6detail15normal_iteratorINS8_10device_ptrIxEEEEPxx9plus_mod3IxEEE10hipError_tPvRmT1_T2_T3_mT4_P12ihipStream_tbEUlT_E0_NS1_11comp_targetILNS1_3genE5ELNS1_11target_archE942ELNS1_3gpuE9ELNS1_3repE0EEENS1_30default_config_static_selectorELNS0_4arch9wavefront6targetE1EEEvSK_.private_seg_size, 0
	.set _ZN7rocprim17ROCPRIM_400000_NS6detail17trampoline_kernelINS0_14default_configENS1_22reduce_config_selectorIxEEZNS1_11reduce_implILb1ES3_N6thrust23THRUST_200600_302600_NS6detail15normal_iteratorINS8_10device_ptrIxEEEEPxx9plus_mod3IxEEE10hipError_tPvRmT1_T2_T3_mT4_P12ihipStream_tbEUlT_E0_NS1_11comp_targetILNS1_3genE5ELNS1_11target_archE942ELNS1_3gpuE9ELNS1_3repE0EEENS1_30default_config_static_selectorELNS0_4arch9wavefront6targetE1EEEvSK_.uses_vcc, 0
	.set _ZN7rocprim17ROCPRIM_400000_NS6detail17trampoline_kernelINS0_14default_configENS1_22reduce_config_selectorIxEEZNS1_11reduce_implILb1ES3_N6thrust23THRUST_200600_302600_NS6detail15normal_iteratorINS8_10device_ptrIxEEEEPxx9plus_mod3IxEEE10hipError_tPvRmT1_T2_T3_mT4_P12ihipStream_tbEUlT_E0_NS1_11comp_targetILNS1_3genE5ELNS1_11target_archE942ELNS1_3gpuE9ELNS1_3repE0EEENS1_30default_config_static_selectorELNS0_4arch9wavefront6targetE1EEEvSK_.uses_flat_scratch, 0
	.set _ZN7rocprim17ROCPRIM_400000_NS6detail17trampoline_kernelINS0_14default_configENS1_22reduce_config_selectorIxEEZNS1_11reduce_implILb1ES3_N6thrust23THRUST_200600_302600_NS6detail15normal_iteratorINS8_10device_ptrIxEEEEPxx9plus_mod3IxEEE10hipError_tPvRmT1_T2_T3_mT4_P12ihipStream_tbEUlT_E0_NS1_11comp_targetILNS1_3genE5ELNS1_11target_archE942ELNS1_3gpuE9ELNS1_3repE0EEENS1_30default_config_static_selectorELNS0_4arch9wavefront6targetE1EEEvSK_.has_dyn_sized_stack, 0
	.set _ZN7rocprim17ROCPRIM_400000_NS6detail17trampoline_kernelINS0_14default_configENS1_22reduce_config_selectorIxEEZNS1_11reduce_implILb1ES3_N6thrust23THRUST_200600_302600_NS6detail15normal_iteratorINS8_10device_ptrIxEEEEPxx9plus_mod3IxEEE10hipError_tPvRmT1_T2_T3_mT4_P12ihipStream_tbEUlT_E0_NS1_11comp_targetILNS1_3genE5ELNS1_11target_archE942ELNS1_3gpuE9ELNS1_3repE0EEENS1_30default_config_static_selectorELNS0_4arch9wavefront6targetE1EEEvSK_.has_recursion, 0
	.set _ZN7rocprim17ROCPRIM_400000_NS6detail17trampoline_kernelINS0_14default_configENS1_22reduce_config_selectorIxEEZNS1_11reduce_implILb1ES3_N6thrust23THRUST_200600_302600_NS6detail15normal_iteratorINS8_10device_ptrIxEEEEPxx9plus_mod3IxEEE10hipError_tPvRmT1_T2_T3_mT4_P12ihipStream_tbEUlT_E0_NS1_11comp_targetILNS1_3genE5ELNS1_11target_archE942ELNS1_3gpuE9ELNS1_3repE0EEENS1_30default_config_static_selectorELNS0_4arch9wavefront6targetE1EEEvSK_.has_indirect_call, 0
	.section	.AMDGPU.csdata,"",@progbits
; Kernel info:
; codeLenInByte = 0
; TotalNumSgprs: 6
; NumVgprs: 0
; NumAgprs: 0
; TotalNumVgprs: 0
; ScratchSize: 0
; MemoryBound: 0
; FloatMode: 240
; IeeeMode: 1
; LDSByteSize: 0 bytes/workgroup (compile time only)
; SGPRBlocks: 0
; VGPRBlocks: 0
; NumSGPRsForWavesPerEU: 6
; NumVGPRsForWavesPerEU: 1
; AccumOffset: 4
; Occupancy: 8
; WaveLimiterHint : 0
; COMPUTE_PGM_RSRC2:SCRATCH_EN: 0
; COMPUTE_PGM_RSRC2:USER_SGPR: 2
; COMPUTE_PGM_RSRC2:TRAP_HANDLER: 0
; COMPUTE_PGM_RSRC2:TGID_X_EN: 1
; COMPUTE_PGM_RSRC2:TGID_Y_EN: 0
; COMPUTE_PGM_RSRC2:TGID_Z_EN: 0
; COMPUTE_PGM_RSRC2:TIDIG_COMP_CNT: 0
; COMPUTE_PGM_RSRC3_GFX90A:ACCUM_OFFSET: 0
; COMPUTE_PGM_RSRC3_GFX90A:TG_SPLIT: 0
	.section	.text._ZN7rocprim17ROCPRIM_400000_NS6detail17trampoline_kernelINS0_14default_configENS1_22reduce_config_selectorIxEEZNS1_11reduce_implILb1ES3_N6thrust23THRUST_200600_302600_NS6detail15normal_iteratorINS8_10device_ptrIxEEEEPxx9plus_mod3IxEEE10hipError_tPvRmT1_T2_T3_mT4_P12ihipStream_tbEUlT_E0_NS1_11comp_targetILNS1_3genE4ELNS1_11target_archE910ELNS1_3gpuE8ELNS1_3repE0EEENS1_30default_config_static_selectorELNS0_4arch9wavefront6targetE1EEEvSK_,"axG",@progbits,_ZN7rocprim17ROCPRIM_400000_NS6detail17trampoline_kernelINS0_14default_configENS1_22reduce_config_selectorIxEEZNS1_11reduce_implILb1ES3_N6thrust23THRUST_200600_302600_NS6detail15normal_iteratorINS8_10device_ptrIxEEEEPxx9plus_mod3IxEEE10hipError_tPvRmT1_T2_T3_mT4_P12ihipStream_tbEUlT_E0_NS1_11comp_targetILNS1_3genE4ELNS1_11target_archE910ELNS1_3gpuE8ELNS1_3repE0EEENS1_30default_config_static_selectorELNS0_4arch9wavefront6targetE1EEEvSK_,comdat
	.protected	_ZN7rocprim17ROCPRIM_400000_NS6detail17trampoline_kernelINS0_14default_configENS1_22reduce_config_selectorIxEEZNS1_11reduce_implILb1ES3_N6thrust23THRUST_200600_302600_NS6detail15normal_iteratorINS8_10device_ptrIxEEEEPxx9plus_mod3IxEEE10hipError_tPvRmT1_T2_T3_mT4_P12ihipStream_tbEUlT_E0_NS1_11comp_targetILNS1_3genE4ELNS1_11target_archE910ELNS1_3gpuE8ELNS1_3repE0EEENS1_30default_config_static_selectorELNS0_4arch9wavefront6targetE1EEEvSK_ ; -- Begin function _ZN7rocprim17ROCPRIM_400000_NS6detail17trampoline_kernelINS0_14default_configENS1_22reduce_config_selectorIxEEZNS1_11reduce_implILb1ES3_N6thrust23THRUST_200600_302600_NS6detail15normal_iteratorINS8_10device_ptrIxEEEEPxx9plus_mod3IxEEE10hipError_tPvRmT1_T2_T3_mT4_P12ihipStream_tbEUlT_E0_NS1_11comp_targetILNS1_3genE4ELNS1_11target_archE910ELNS1_3gpuE8ELNS1_3repE0EEENS1_30default_config_static_selectorELNS0_4arch9wavefront6targetE1EEEvSK_
	.globl	_ZN7rocprim17ROCPRIM_400000_NS6detail17trampoline_kernelINS0_14default_configENS1_22reduce_config_selectorIxEEZNS1_11reduce_implILb1ES3_N6thrust23THRUST_200600_302600_NS6detail15normal_iteratorINS8_10device_ptrIxEEEEPxx9plus_mod3IxEEE10hipError_tPvRmT1_T2_T3_mT4_P12ihipStream_tbEUlT_E0_NS1_11comp_targetILNS1_3genE4ELNS1_11target_archE910ELNS1_3gpuE8ELNS1_3repE0EEENS1_30default_config_static_selectorELNS0_4arch9wavefront6targetE1EEEvSK_
	.p2align	8
	.type	_ZN7rocprim17ROCPRIM_400000_NS6detail17trampoline_kernelINS0_14default_configENS1_22reduce_config_selectorIxEEZNS1_11reduce_implILb1ES3_N6thrust23THRUST_200600_302600_NS6detail15normal_iteratorINS8_10device_ptrIxEEEEPxx9plus_mod3IxEEE10hipError_tPvRmT1_T2_T3_mT4_P12ihipStream_tbEUlT_E0_NS1_11comp_targetILNS1_3genE4ELNS1_11target_archE910ELNS1_3gpuE8ELNS1_3repE0EEENS1_30default_config_static_selectorELNS0_4arch9wavefront6targetE1EEEvSK_,@function
_ZN7rocprim17ROCPRIM_400000_NS6detail17trampoline_kernelINS0_14default_configENS1_22reduce_config_selectorIxEEZNS1_11reduce_implILb1ES3_N6thrust23THRUST_200600_302600_NS6detail15normal_iteratorINS8_10device_ptrIxEEEEPxx9plus_mod3IxEEE10hipError_tPvRmT1_T2_T3_mT4_P12ihipStream_tbEUlT_E0_NS1_11comp_targetILNS1_3genE4ELNS1_11target_archE910ELNS1_3gpuE8ELNS1_3repE0EEENS1_30default_config_static_selectorELNS0_4arch9wavefront6targetE1EEEvSK_: ; @_ZN7rocprim17ROCPRIM_400000_NS6detail17trampoline_kernelINS0_14default_configENS1_22reduce_config_selectorIxEEZNS1_11reduce_implILb1ES3_N6thrust23THRUST_200600_302600_NS6detail15normal_iteratorINS8_10device_ptrIxEEEEPxx9plus_mod3IxEEE10hipError_tPvRmT1_T2_T3_mT4_P12ihipStream_tbEUlT_E0_NS1_11comp_targetILNS1_3genE4ELNS1_11target_archE910ELNS1_3gpuE8ELNS1_3repE0EEENS1_30default_config_static_selectorELNS0_4arch9wavefront6targetE1EEEvSK_
; %bb.0:
	.section	.rodata,"a",@progbits
	.p2align	6, 0x0
	.amdhsa_kernel _ZN7rocprim17ROCPRIM_400000_NS6detail17trampoline_kernelINS0_14default_configENS1_22reduce_config_selectorIxEEZNS1_11reduce_implILb1ES3_N6thrust23THRUST_200600_302600_NS6detail15normal_iteratorINS8_10device_ptrIxEEEEPxx9plus_mod3IxEEE10hipError_tPvRmT1_T2_T3_mT4_P12ihipStream_tbEUlT_E0_NS1_11comp_targetILNS1_3genE4ELNS1_11target_archE910ELNS1_3gpuE8ELNS1_3repE0EEENS1_30default_config_static_selectorELNS0_4arch9wavefront6targetE1EEEvSK_
		.amdhsa_group_segment_fixed_size 0
		.amdhsa_private_segment_fixed_size 0
		.amdhsa_kernarg_size 64
		.amdhsa_user_sgpr_count 2
		.amdhsa_user_sgpr_dispatch_ptr 0
		.amdhsa_user_sgpr_queue_ptr 0
		.amdhsa_user_sgpr_kernarg_segment_ptr 1
		.amdhsa_user_sgpr_dispatch_id 0
		.amdhsa_user_sgpr_kernarg_preload_length 0
		.amdhsa_user_sgpr_kernarg_preload_offset 0
		.amdhsa_user_sgpr_private_segment_size 0
		.amdhsa_uses_dynamic_stack 0
		.amdhsa_enable_private_segment 0
		.amdhsa_system_sgpr_workgroup_id_x 1
		.amdhsa_system_sgpr_workgroup_id_y 0
		.amdhsa_system_sgpr_workgroup_id_z 0
		.amdhsa_system_sgpr_workgroup_info 0
		.amdhsa_system_vgpr_workitem_id 0
		.amdhsa_next_free_vgpr 1
		.amdhsa_next_free_sgpr 0
		.amdhsa_accum_offset 4
		.amdhsa_reserve_vcc 0
		.amdhsa_float_round_mode_32 0
		.amdhsa_float_round_mode_16_64 0
		.amdhsa_float_denorm_mode_32 3
		.amdhsa_float_denorm_mode_16_64 3
		.amdhsa_dx10_clamp 1
		.amdhsa_ieee_mode 1
		.amdhsa_fp16_overflow 0
		.amdhsa_tg_split 0
		.amdhsa_exception_fp_ieee_invalid_op 0
		.amdhsa_exception_fp_denorm_src 0
		.amdhsa_exception_fp_ieee_div_zero 0
		.amdhsa_exception_fp_ieee_overflow 0
		.amdhsa_exception_fp_ieee_underflow 0
		.amdhsa_exception_fp_ieee_inexact 0
		.amdhsa_exception_int_div_zero 0
	.end_amdhsa_kernel
	.section	.text._ZN7rocprim17ROCPRIM_400000_NS6detail17trampoline_kernelINS0_14default_configENS1_22reduce_config_selectorIxEEZNS1_11reduce_implILb1ES3_N6thrust23THRUST_200600_302600_NS6detail15normal_iteratorINS8_10device_ptrIxEEEEPxx9plus_mod3IxEEE10hipError_tPvRmT1_T2_T3_mT4_P12ihipStream_tbEUlT_E0_NS1_11comp_targetILNS1_3genE4ELNS1_11target_archE910ELNS1_3gpuE8ELNS1_3repE0EEENS1_30default_config_static_selectorELNS0_4arch9wavefront6targetE1EEEvSK_,"axG",@progbits,_ZN7rocprim17ROCPRIM_400000_NS6detail17trampoline_kernelINS0_14default_configENS1_22reduce_config_selectorIxEEZNS1_11reduce_implILb1ES3_N6thrust23THRUST_200600_302600_NS6detail15normal_iteratorINS8_10device_ptrIxEEEEPxx9plus_mod3IxEEE10hipError_tPvRmT1_T2_T3_mT4_P12ihipStream_tbEUlT_E0_NS1_11comp_targetILNS1_3genE4ELNS1_11target_archE910ELNS1_3gpuE8ELNS1_3repE0EEENS1_30default_config_static_selectorELNS0_4arch9wavefront6targetE1EEEvSK_,comdat
.Lfunc_end895:
	.size	_ZN7rocprim17ROCPRIM_400000_NS6detail17trampoline_kernelINS0_14default_configENS1_22reduce_config_selectorIxEEZNS1_11reduce_implILb1ES3_N6thrust23THRUST_200600_302600_NS6detail15normal_iteratorINS8_10device_ptrIxEEEEPxx9plus_mod3IxEEE10hipError_tPvRmT1_T2_T3_mT4_P12ihipStream_tbEUlT_E0_NS1_11comp_targetILNS1_3genE4ELNS1_11target_archE910ELNS1_3gpuE8ELNS1_3repE0EEENS1_30default_config_static_selectorELNS0_4arch9wavefront6targetE1EEEvSK_, .Lfunc_end895-_ZN7rocprim17ROCPRIM_400000_NS6detail17trampoline_kernelINS0_14default_configENS1_22reduce_config_selectorIxEEZNS1_11reduce_implILb1ES3_N6thrust23THRUST_200600_302600_NS6detail15normal_iteratorINS8_10device_ptrIxEEEEPxx9plus_mod3IxEEE10hipError_tPvRmT1_T2_T3_mT4_P12ihipStream_tbEUlT_E0_NS1_11comp_targetILNS1_3genE4ELNS1_11target_archE910ELNS1_3gpuE8ELNS1_3repE0EEENS1_30default_config_static_selectorELNS0_4arch9wavefront6targetE1EEEvSK_
                                        ; -- End function
	.set _ZN7rocprim17ROCPRIM_400000_NS6detail17trampoline_kernelINS0_14default_configENS1_22reduce_config_selectorIxEEZNS1_11reduce_implILb1ES3_N6thrust23THRUST_200600_302600_NS6detail15normal_iteratorINS8_10device_ptrIxEEEEPxx9plus_mod3IxEEE10hipError_tPvRmT1_T2_T3_mT4_P12ihipStream_tbEUlT_E0_NS1_11comp_targetILNS1_3genE4ELNS1_11target_archE910ELNS1_3gpuE8ELNS1_3repE0EEENS1_30default_config_static_selectorELNS0_4arch9wavefront6targetE1EEEvSK_.num_vgpr, 0
	.set _ZN7rocprim17ROCPRIM_400000_NS6detail17trampoline_kernelINS0_14default_configENS1_22reduce_config_selectorIxEEZNS1_11reduce_implILb1ES3_N6thrust23THRUST_200600_302600_NS6detail15normal_iteratorINS8_10device_ptrIxEEEEPxx9plus_mod3IxEEE10hipError_tPvRmT1_T2_T3_mT4_P12ihipStream_tbEUlT_E0_NS1_11comp_targetILNS1_3genE4ELNS1_11target_archE910ELNS1_3gpuE8ELNS1_3repE0EEENS1_30default_config_static_selectorELNS0_4arch9wavefront6targetE1EEEvSK_.num_agpr, 0
	.set _ZN7rocprim17ROCPRIM_400000_NS6detail17trampoline_kernelINS0_14default_configENS1_22reduce_config_selectorIxEEZNS1_11reduce_implILb1ES3_N6thrust23THRUST_200600_302600_NS6detail15normal_iteratorINS8_10device_ptrIxEEEEPxx9plus_mod3IxEEE10hipError_tPvRmT1_T2_T3_mT4_P12ihipStream_tbEUlT_E0_NS1_11comp_targetILNS1_3genE4ELNS1_11target_archE910ELNS1_3gpuE8ELNS1_3repE0EEENS1_30default_config_static_selectorELNS0_4arch9wavefront6targetE1EEEvSK_.numbered_sgpr, 0
	.set _ZN7rocprim17ROCPRIM_400000_NS6detail17trampoline_kernelINS0_14default_configENS1_22reduce_config_selectorIxEEZNS1_11reduce_implILb1ES3_N6thrust23THRUST_200600_302600_NS6detail15normal_iteratorINS8_10device_ptrIxEEEEPxx9plus_mod3IxEEE10hipError_tPvRmT1_T2_T3_mT4_P12ihipStream_tbEUlT_E0_NS1_11comp_targetILNS1_3genE4ELNS1_11target_archE910ELNS1_3gpuE8ELNS1_3repE0EEENS1_30default_config_static_selectorELNS0_4arch9wavefront6targetE1EEEvSK_.num_named_barrier, 0
	.set _ZN7rocprim17ROCPRIM_400000_NS6detail17trampoline_kernelINS0_14default_configENS1_22reduce_config_selectorIxEEZNS1_11reduce_implILb1ES3_N6thrust23THRUST_200600_302600_NS6detail15normal_iteratorINS8_10device_ptrIxEEEEPxx9plus_mod3IxEEE10hipError_tPvRmT1_T2_T3_mT4_P12ihipStream_tbEUlT_E0_NS1_11comp_targetILNS1_3genE4ELNS1_11target_archE910ELNS1_3gpuE8ELNS1_3repE0EEENS1_30default_config_static_selectorELNS0_4arch9wavefront6targetE1EEEvSK_.private_seg_size, 0
	.set _ZN7rocprim17ROCPRIM_400000_NS6detail17trampoline_kernelINS0_14default_configENS1_22reduce_config_selectorIxEEZNS1_11reduce_implILb1ES3_N6thrust23THRUST_200600_302600_NS6detail15normal_iteratorINS8_10device_ptrIxEEEEPxx9plus_mod3IxEEE10hipError_tPvRmT1_T2_T3_mT4_P12ihipStream_tbEUlT_E0_NS1_11comp_targetILNS1_3genE4ELNS1_11target_archE910ELNS1_3gpuE8ELNS1_3repE0EEENS1_30default_config_static_selectorELNS0_4arch9wavefront6targetE1EEEvSK_.uses_vcc, 0
	.set _ZN7rocprim17ROCPRIM_400000_NS6detail17trampoline_kernelINS0_14default_configENS1_22reduce_config_selectorIxEEZNS1_11reduce_implILb1ES3_N6thrust23THRUST_200600_302600_NS6detail15normal_iteratorINS8_10device_ptrIxEEEEPxx9plus_mod3IxEEE10hipError_tPvRmT1_T2_T3_mT4_P12ihipStream_tbEUlT_E0_NS1_11comp_targetILNS1_3genE4ELNS1_11target_archE910ELNS1_3gpuE8ELNS1_3repE0EEENS1_30default_config_static_selectorELNS0_4arch9wavefront6targetE1EEEvSK_.uses_flat_scratch, 0
	.set _ZN7rocprim17ROCPRIM_400000_NS6detail17trampoline_kernelINS0_14default_configENS1_22reduce_config_selectorIxEEZNS1_11reduce_implILb1ES3_N6thrust23THRUST_200600_302600_NS6detail15normal_iteratorINS8_10device_ptrIxEEEEPxx9plus_mod3IxEEE10hipError_tPvRmT1_T2_T3_mT4_P12ihipStream_tbEUlT_E0_NS1_11comp_targetILNS1_3genE4ELNS1_11target_archE910ELNS1_3gpuE8ELNS1_3repE0EEENS1_30default_config_static_selectorELNS0_4arch9wavefront6targetE1EEEvSK_.has_dyn_sized_stack, 0
	.set _ZN7rocprim17ROCPRIM_400000_NS6detail17trampoline_kernelINS0_14default_configENS1_22reduce_config_selectorIxEEZNS1_11reduce_implILb1ES3_N6thrust23THRUST_200600_302600_NS6detail15normal_iteratorINS8_10device_ptrIxEEEEPxx9plus_mod3IxEEE10hipError_tPvRmT1_T2_T3_mT4_P12ihipStream_tbEUlT_E0_NS1_11comp_targetILNS1_3genE4ELNS1_11target_archE910ELNS1_3gpuE8ELNS1_3repE0EEENS1_30default_config_static_selectorELNS0_4arch9wavefront6targetE1EEEvSK_.has_recursion, 0
	.set _ZN7rocprim17ROCPRIM_400000_NS6detail17trampoline_kernelINS0_14default_configENS1_22reduce_config_selectorIxEEZNS1_11reduce_implILb1ES3_N6thrust23THRUST_200600_302600_NS6detail15normal_iteratorINS8_10device_ptrIxEEEEPxx9plus_mod3IxEEE10hipError_tPvRmT1_T2_T3_mT4_P12ihipStream_tbEUlT_E0_NS1_11comp_targetILNS1_3genE4ELNS1_11target_archE910ELNS1_3gpuE8ELNS1_3repE0EEENS1_30default_config_static_selectorELNS0_4arch9wavefront6targetE1EEEvSK_.has_indirect_call, 0
	.section	.AMDGPU.csdata,"",@progbits
; Kernel info:
; codeLenInByte = 0
; TotalNumSgprs: 6
; NumVgprs: 0
; NumAgprs: 0
; TotalNumVgprs: 0
; ScratchSize: 0
; MemoryBound: 0
; FloatMode: 240
; IeeeMode: 1
; LDSByteSize: 0 bytes/workgroup (compile time only)
; SGPRBlocks: 0
; VGPRBlocks: 0
; NumSGPRsForWavesPerEU: 6
; NumVGPRsForWavesPerEU: 1
; AccumOffset: 4
; Occupancy: 8
; WaveLimiterHint : 0
; COMPUTE_PGM_RSRC2:SCRATCH_EN: 0
; COMPUTE_PGM_RSRC2:USER_SGPR: 2
; COMPUTE_PGM_RSRC2:TRAP_HANDLER: 0
; COMPUTE_PGM_RSRC2:TGID_X_EN: 1
; COMPUTE_PGM_RSRC2:TGID_Y_EN: 0
; COMPUTE_PGM_RSRC2:TGID_Z_EN: 0
; COMPUTE_PGM_RSRC2:TIDIG_COMP_CNT: 0
; COMPUTE_PGM_RSRC3_GFX90A:ACCUM_OFFSET: 0
; COMPUTE_PGM_RSRC3_GFX90A:TG_SPLIT: 0
	.section	.text._ZN7rocprim17ROCPRIM_400000_NS6detail17trampoline_kernelINS0_14default_configENS1_22reduce_config_selectorIxEEZNS1_11reduce_implILb1ES3_N6thrust23THRUST_200600_302600_NS6detail15normal_iteratorINS8_10device_ptrIxEEEEPxx9plus_mod3IxEEE10hipError_tPvRmT1_T2_T3_mT4_P12ihipStream_tbEUlT_E0_NS1_11comp_targetILNS1_3genE3ELNS1_11target_archE908ELNS1_3gpuE7ELNS1_3repE0EEENS1_30default_config_static_selectorELNS0_4arch9wavefront6targetE1EEEvSK_,"axG",@progbits,_ZN7rocprim17ROCPRIM_400000_NS6detail17trampoline_kernelINS0_14default_configENS1_22reduce_config_selectorIxEEZNS1_11reduce_implILb1ES3_N6thrust23THRUST_200600_302600_NS6detail15normal_iteratorINS8_10device_ptrIxEEEEPxx9plus_mod3IxEEE10hipError_tPvRmT1_T2_T3_mT4_P12ihipStream_tbEUlT_E0_NS1_11comp_targetILNS1_3genE3ELNS1_11target_archE908ELNS1_3gpuE7ELNS1_3repE0EEENS1_30default_config_static_selectorELNS0_4arch9wavefront6targetE1EEEvSK_,comdat
	.protected	_ZN7rocprim17ROCPRIM_400000_NS6detail17trampoline_kernelINS0_14default_configENS1_22reduce_config_selectorIxEEZNS1_11reduce_implILb1ES3_N6thrust23THRUST_200600_302600_NS6detail15normal_iteratorINS8_10device_ptrIxEEEEPxx9plus_mod3IxEEE10hipError_tPvRmT1_T2_T3_mT4_P12ihipStream_tbEUlT_E0_NS1_11comp_targetILNS1_3genE3ELNS1_11target_archE908ELNS1_3gpuE7ELNS1_3repE0EEENS1_30default_config_static_selectorELNS0_4arch9wavefront6targetE1EEEvSK_ ; -- Begin function _ZN7rocprim17ROCPRIM_400000_NS6detail17trampoline_kernelINS0_14default_configENS1_22reduce_config_selectorIxEEZNS1_11reduce_implILb1ES3_N6thrust23THRUST_200600_302600_NS6detail15normal_iteratorINS8_10device_ptrIxEEEEPxx9plus_mod3IxEEE10hipError_tPvRmT1_T2_T3_mT4_P12ihipStream_tbEUlT_E0_NS1_11comp_targetILNS1_3genE3ELNS1_11target_archE908ELNS1_3gpuE7ELNS1_3repE0EEENS1_30default_config_static_selectorELNS0_4arch9wavefront6targetE1EEEvSK_
	.globl	_ZN7rocprim17ROCPRIM_400000_NS6detail17trampoline_kernelINS0_14default_configENS1_22reduce_config_selectorIxEEZNS1_11reduce_implILb1ES3_N6thrust23THRUST_200600_302600_NS6detail15normal_iteratorINS8_10device_ptrIxEEEEPxx9plus_mod3IxEEE10hipError_tPvRmT1_T2_T3_mT4_P12ihipStream_tbEUlT_E0_NS1_11comp_targetILNS1_3genE3ELNS1_11target_archE908ELNS1_3gpuE7ELNS1_3repE0EEENS1_30default_config_static_selectorELNS0_4arch9wavefront6targetE1EEEvSK_
	.p2align	8
	.type	_ZN7rocprim17ROCPRIM_400000_NS6detail17trampoline_kernelINS0_14default_configENS1_22reduce_config_selectorIxEEZNS1_11reduce_implILb1ES3_N6thrust23THRUST_200600_302600_NS6detail15normal_iteratorINS8_10device_ptrIxEEEEPxx9plus_mod3IxEEE10hipError_tPvRmT1_T2_T3_mT4_P12ihipStream_tbEUlT_E0_NS1_11comp_targetILNS1_3genE3ELNS1_11target_archE908ELNS1_3gpuE7ELNS1_3repE0EEENS1_30default_config_static_selectorELNS0_4arch9wavefront6targetE1EEEvSK_,@function
_ZN7rocprim17ROCPRIM_400000_NS6detail17trampoline_kernelINS0_14default_configENS1_22reduce_config_selectorIxEEZNS1_11reduce_implILb1ES3_N6thrust23THRUST_200600_302600_NS6detail15normal_iteratorINS8_10device_ptrIxEEEEPxx9plus_mod3IxEEE10hipError_tPvRmT1_T2_T3_mT4_P12ihipStream_tbEUlT_E0_NS1_11comp_targetILNS1_3genE3ELNS1_11target_archE908ELNS1_3gpuE7ELNS1_3repE0EEENS1_30default_config_static_selectorELNS0_4arch9wavefront6targetE1EEEvSK_: ; @_ZN7rocprim17ROCPRIM_400000_NS6detail17trampoline_kernelINS0_14default_configENS1_22reduce_config_selectorIxEEZNS1_11reduce_implILb1ES3_N6thrust23THRUST_200600_302600_NS6detail15normal_iteratorINS8_10device_ptrIxEEEEPxx9plus_mod3IxEEE10hipError_tPvRmT1_T2_T3_mT4_P12ihipStream_tbEUlT_E0_NS1_11comp_targetILNS1_3genE3ELNS1_11target_archE908ELNS1_3gpuE7ELNS1_3repE0EEENS1_30default_config_static_selectorELNS0_4arch9wavefront6targetE1EEEvSK_
; %bb.0:
	.section	.rodata,"a",@progbits
	.p2align	6, 0x0
	.amdhsa_kernel _ZN7rocprim17ROCPRIM_400000_NS6detail17trampoline_kernelINS0_14default_configENS1_22reduce_config_selectorIxEEZNS1_11reduce_implILb1ES3_N6thrust23THRUST_200600_302600_NS6detail15normal_iteratorINS8_10device_ptrIxEEEEPxx9plus_mod3IxEEE10hipError_tPvRmT1_T2_T3_mT4_P12ihipStream_tbEUlT_E0_NS1_11comp_targetILNS1_3genE3ELNS1_11target_archE908ELNS1_3gpuE7ELNS1_3repE0EEENS1_30default_config_static_selectorELNS0_4arch9wavefront6targetE1EEEvSK_
		.amdhsa_group_segment_fixed_size 0
		.amdhsa_private_segment_fixed_size 0
		.amdhsa_kernarg_size 64
		.amdhsa_user_sgpr_count 2
		.amdhsa_user_sgpr_dispatch_ptr 0
		.amdhsa_user_sgpr_queue_ptr 0
		.amdhsa_user_sgpr_kernarg_segment_ptr 1
		.amdhsa_user_sgpr_dispatch_id 0
		.amdhsa_user_sgpr_kernarg_preload_length 0
		.amdhsa_user_sgpr_kernarg_preload_offset 0
		.amdhsa_user_sgpr_private_segment_size 0
		.amdhsa_uses_dynamic_stack 0
		.amdhsa_enable_private_segment 0
		.amdhsa_system_sgpr_workgroup_id_x 1
		.amdhsa_system_sgpr_workgroup_id_y 0
		.amdhsa_system_sgpr_workgroup_id_z 0
		.amdhsa_system_sgpr_workgroup_info 0
		.amdhsa_system_vgpr_workitem_id 0
		.amdhsa_next_free_vgpr 1
		.amdhsa_next_free_sgpr 0
		.amdhsa_accum_offset 4
		.amdhsa_reserve_vcc 0
		.amdhsa_float_round_mode_32 0
		.amdhsa_float_round_mode_16_64 0
		.amdhsa_float_denorm_mode_32 3
		.amdhsa_float_denorm_mode_16_64 3
		.amdhsa_dx10_clamp 1
		.amdhsa_ieee_mode 1
		.amdhsa_fp16_overflow 0
		.amdhsa_tg_split 0
		.amdhsa_exception_fp_ieee_invalid_op 0
		.amdhsa_exception_fp_denorm_src 0
		.amdhsa_exception_fp_ieee_div_zero 0
		.amdhsa_exception_fp_ieee_overflow 0
		.amdhsa_exception_fp_ieee_underflow 0
		.amdhsa_exception_fp_ieee_inexact 0
		.amdhsa_exception_int_div_zero 0
	.end_amdhsa_kernel
	.section	.text._ZN7rocprim17ROCPRIM_400000_NS6detail17trampoline_kernelINS0_14default_configENS1_22reduce_config_selectorIxEEZNS1_11reduce_implILb1ES3_N6thrust23THRUST_200600_302600_NS6detail15normal_iteratorINS8_10device_ptrIxEEEEPxx9plus_mod3IxEEE10hipError_tPvRmT1_T2_T3_mT4_P12ihipStream_tbEUlT_E0_NS1_11comp_targetILNS1_3genE3ELNS1_11target_archE908ELNS1_3gpuE7ELNS1_3repE0EEENS1_30default_config_static_selectorELNS0_4arch9wavefront6targetE1EEEvSK_,"axG",@progbits,_ZN7rocprim17ROCPRIM_400000_NS6detail17trampoline_kernelINS0_14default_configENS1_22reduce_config_selectorIxEEZNS1_11reduce_implILb1ES3_N6thrust23THRUST_200600_302600_NS6detail15normal_iteratorINS8_10device_ptrIxEEEEPxx9plus_mod3IxEEE10hipError_tPvRmT1_T2_T3_mT4_P12ihipStream_tbEUlT_E0_NS1_11comp_targetILNS1_3genE3ELNS1_11target_archE908ELNS1_3gpuE7ELNS1_3repE0EEENS1_30default_config_static_selectorELNS0_4arch9wavefront6targetE1EEEvSK_,comdat
.Lfunc_end896:
	.size	_ZN7rocprim17ROCPRIM_400000_NS6detail17trampoline_kernelINS0_14default_configENS1_22reduce_config_selectorIxEEZNS1_11reduce_implILb1ES3_N6thrust23THRUST_200600_302600_NS6detail15normal_iteratorINS8_10device_ptrIxEEEEPxx9plus_mod3IxEEE10hipError_tPvRmT1_T2_T3_mT4_P12ihipStream_tbEUlT_E0_NS1_11comp_targetILNS1_3genE3ELNS1_11target_archE908ELNS1_3gpuE7ELNS1_3repE0EEENS1_30default_config_static_selectorELNS0_4arch9wavefront6targetE1EEEvSK_, .Lfunc_end896-_ZN7rocprim17ROCPRIM_400000_NS6detail17trampoline_kernelINS0_14default_configENS1_22reduce_config_selectorIxEEZNS1_11reduce_implILb1ES3_N6thrust23THRUST_200600_302600_NS6detail15normal_iteratorINS8_10device_ptrIxEEEEPxx9plus_mod3IxEEE10hipError_tPvRmT1_T2_T3_mT4_P12ihipStream_tbEUlT_E0_NS1_11comp_targetILNS1_3genE3ELNS1_11target_archE908ELNS1_3gpuE7ELNS1_3repE0EEENS1_30default_config_static_selectorELNS0_4arch9wavefront6targetE1EEEvSK_
                                        ; -- End function
	.set _ZN7rocprim17ROCPRIM_400000_NS6detail17trampoline_kernelINS0_14default_configENS1_22reduce_config_selectorIxEEZNS1_11reduce_implILb1ES3_N6thrust23THRUST_200600_302600_NS6detail15normal_iteratorINS8_10device_ptrIxEEEEPxx9plus_mod3IxEEE10hipError_tPvRmT1_T2_T3_mT4_P12ihipStream_tbEUlT_E0_NS1_11comp_targetILNS1_3genE3ELNS1_11target_archE908ELNS1_3gpuE7ELNS1_3repE0EEENS1_30default_config_static_selectorELNS0_4arch9wavefront6targetE1EEEvSK_.num_vgpr, 0
	.set _ZN7rocprim17ROCPRIM_400000_NS6detail17trampoline_kernelINS0_14default_configENS1_22reduce_config_selectorIxEEZNS1_11reduce_implILb1ES3_N6thrust23THRUST_200600_302600_NS6detail15normal_iteratorINS8_10device_ptrIxEEEEPxx9plus_mod3IxEEE10hipError_tPvRmT1_T2_T3_mT4_P12ihipStream_tbEUlT_E0_NS1_11comp_targetILNS1_3genE3ELNS1_11target_archE908ELNS1_3gpuE7ELNS1_3repE0EEENS1_30default_config_static_selectorELNS0_4arch9wavefront6targetE1EEEvSK_.num_agpr, 0
	.set _ZN7rocprim17ROCPRIM_400000_NS6detail17trampoline_kernelINS0_14default_configENS1_22reduce_config_selectorIxEEZNS1_11reduce_implILb1ES3_N6thrust23THRUST_200600_302600_NS6detail15normal_iteratorINS8_10device_ptrIxEEEEPxx9plus_mod3IxEEE10hipError_tPvRmT1_T2_T3_mT4_P12ihipStream_tbEUlT_E0_NS1_11comp_targetILNS1_3genE3ELNS1_11target_archE908ELNS1_3gpuE7ELNS1_3repE0EEENS1_30default_config_static_selectorELNS0_4arch9wavefront6targetE1EEEvSK_.numbered_sgpr, 0
	.set _ZN7rocprim17ROCPRIM_400000_NS6detail17trampoline_kernelINS0_14default_configENS1_22reduce_config_selectorIxEEZNS1_11reduce_implILb1ES3_N6thrust23THRUST_200600_302600_NS6detail15normal_iteratorINS8_10device_ptrIxEEEEPxx9plus_mod3IxEEE10hipError_tPvRmT1_T2_T3_mT4_P12ihipStream_tbEUlT_E0_NS1_11comp_targetILNS1_3genE3ELNS1_11target_archE908ELNS1_3gpuE7ELNS1_3repE0EEENS1_30default_config_static_selectorELNS0_4arch9wavefront6targetE1EEEvSK_.num_named_barrier, 0
	.set _ZN7rocprim17ROCPRIM_400000_NS6detail17trampoline_kernelINS0_14default_configENS1_22reduce_config_selectorIxEEZNS1_11reduce_implILb1ES3_N6thrust23THRUST_200600_302600_NS6detail15normal_iteratorINS8_10device_ptrIxEEEEPxx9plus_mod3IxEEE10hipError_tPvRmT1_T2_T3_mT4_P12ihipStream_tbEUlT_E0_NS1_11comp_targetILNS1_3genE3ELNS1_11target_archE908ELNS1_3gpuE7ELNS1_3repE0EEENS1_30default_config_static_selectorELNS0_4arch9wavefront6targetE1EEEvSK_.private_seg_size, 0
	.set _ZN7rocprim17ROCPRIM_400000_NS6detail17trampoline_kernelINS0_14default_configENS1_22reduce_config_selectorIxEEZNS1_11reduce_implILb1ES3_N6thrust23THRUST_200600_302600_NS6detail15normal_iteratorINS8_10device_ptrIxEEEEPxx9plus_mod3IxEEE10hipError_tPvRmT1_T2_T3_mT4_P12ihipStream_tbEUlT_E0_NS1_11comp_targetILNS1_3genE3ELNS1_11target_archE908ELNS1_3gpuE7ELNS1_3repE0EEENS1_30default_config_static_selectorELNS0_4arch9wavefront6targetE1EEEvSK_.uses_vcc, 0
	.set _ZN7rocprim17ROCPRIM_400000_NS6detail17trampoline_kernelINS0_14default_configENS1_22reduce_config_selectorIxEEZNS1_11reduce_implILb1ES3_N6thrust23THRUST_200600_302600_NS6detail15normal_iteratorINS8_10device_ptrIxEEEEPxx9plus_mod3IxEEE10hipError_tPvRmT1_T2_T3_mT4_P12ihipStream_tbEUlT_E0_NS1_11comp_targetILNS1_3genE3ELNS1_11target_archE908ELNS1_3gpuE7ELNS1_3repE0EEENS1_30default_config_static_selectorELNS0_4arch9wavefront6targetE1EEEvSK_.uses_flat_scratch, 0
	.set _ZN7rocprim17ROCPRIM_400000_NS6detail17trampoline_kernelINS0_14default_configENS1_22reduce_config_selectorIxEEZNS1_11reduce_implILb1ES3_N6thrust23THRUST_200600_302600_NS6detail15normal_iteratorINS8_10device_ptrIxEEEEPxx9plus_mod3IxEEE10hipError_tPvRmT1_T2_T3_mT4_P12ihipStream_tbEUlT_E0_NS1_11comp_targetILNS1_3genE3ELNS1_11target_archE908ELNS1_3gpuE7ELNS1_3repE0EEENS1_30default_config_static_selectorELNS0_4arch9wavefront6targetE1EEEvSK_.has_dyn_sized_stack, 0
	.set _ZN7rocprim17ROCPRIM_400000_NS6detail17trampoline_kernelINS0_14default_configENS1_22reduce_config_selectorIxEEZNS1_11reduce_implILb1ES3_N6thrust23THRUST_200600_302600_NS6detail15normal_iteratorINS8_10device_ptrIxEEEEPxx9plus_mod3IxEEE10hipError_tPvRmT1_T2_T3_mT4_P12ihipStream_tbEUlT_E0_NS1_11comp_targetILNS1_3genE3ELNS1_11target_archE908ELNS1_3gpuE7ELNS1_3repE0EEENS1_30default_config_static_selectorELNS0_4arch9wavefront6targetE1EEEvSK_.has_recursion, 0
	.set _ZN7rocprim17ROCPRIM_400000_NS6detail17trampoline_kernelINS0_14default_configENS1_22reduce_config_selectorIxEEZNS1_11reduce_implILb1ES3_N6thrust23THRUST_200600_302600_NS6detail15normal_iteratorINS8_10device_ptrIxEEEEPxx9plus_mod3IxEEE10hipError_tPvRmT1_T2_T3_mT4_P12ihipStream_tbEUlT_E0_NS1_11comp_targetILNS1_3genE3ELNS1_11target_archE908ELNS1_3gpuE7ELNS1_3repE0EEENS1_30default_config_static_selectorELNS0_4arch9wavefront6targetE1EEEvSK_.has_indirect_call, 0
	.section	.AMDGPU.csdata,"",@progbits
; Kernel info:
; codeLenInByte = 0
; TotalNumSgprs: 6
; NumVgprs: 0
; NumAgprs: 0
; TotalNumVgprs: 0
; ScratchSize: 0
; MemoryBound: 0
; FloatMode: 240
; IeeeMode: 1
; LDSByteSize: 0 bytes/workgroup (compile time only)
; SGPRBlocks: 0
; VGPRBlocks: 0
; NumSGPRsForWavesPerEU: 6
; NumVGPRsForWavesPerEU: 1
; AccumOffset: 4
; Occupancy: 8
; WaveLimiterHint : 0
; COMPUTE_PGM_RSRC2:SCRATCH_EN: 0
; COMPUTE_PGM_RSRC2:USER_SGPR: 2
; COMPUTE_PGM_RSRC2:TRAP_HANDLER: 0
; COMPUTE_PGM_RSRC2:TGID_X_EN: 1
; COMPUTE_PGM_RSRC2:TGID_Y_EN: 0
; COMPUTE_PGM_RSRC2:TGID_Z_EN: 0
; COMPUTE_PGM_RSRC2:TIDIG_COMP_CNT: 0
; COMPUTE_PGM_RSRC3_GFX90A:ACCUM_OFFSET: 0
; COMPUTE_PGM_RSRC3_GFX90A:TG_SPLIT: 0
	.section	.text._ZN7rocprim17ROCPRIM_400000_NS6detail17trampoline_kernelINS0_14default_configENS1_22reduce_config_selectorIxEEZNS1_11reduce_implILb1ES3_N6thrust23THRUST_200600_302600_NS6detail15normal_iteratorINS8_10device_ptrIxEEEEPxx9plus_mod3IxEEE10hipError_tPvRmT1_T2_T3_mT4_P12ihipStream_tbEUlT_E0_NS1_11comp_targetILNS1_3genE2ELNS1_11target_archE906ELNS1_3gpuE6ELNS1_3repE0EEENS1_30default_config_static_selectorELNS0_4arch9wavefront6targetE1EEEvSK_,"axG",@progbits,_ZN7rocprim17ROCPRIM_400000_NS6detail17trampoline_kernelINS0_14default_configENS1_22reduce_config_selectorIxEEZNS1_11reduce_implILb1ES3_N6thrust23THRUST_200600_302600_NS6detail15normal_iteratorINS8_10device_ptrIxEEEEPxx9plus_mod3IxEEE10hipError_tPvRmT1_T2_T3_mT4_P12ihipStream_tbEUlT_E0_NS1_11comp_targetILNS1_3genE2ELNS1_11target_archE906ELNS1_3gpuE6ELNS1_3repE0EEENS1_30default_config_static_selectorELNS0_4arch9wavefront6targetE1EEEvSK_,comdat
	.protected	_ZN7rocprim17ROCPRIM_400000_NS6detail17trampoline_kernelINS0_14default_configENS1_22reduce_config_selectorIxEEZNS1_11reduce_implILb1ES3_N6thrust23THRUST_200600_302600_NS6detail15normal_iteratorINS8_10device_ptrIxEEEEPxx9plus_mod3IxEEE10hipError_tPvRmT1_T2_T3_mT4_P12ihipStream_tbEUlT_E0_NS1_11comp_targetILNS1_3genE2ELNS1_11target_archE906ELNS1_3gpuE6ELNS1_3repE0EEENS1_30default_config_static_selectorELNS0_4arch9wavefront6targetE1EEEvSK_ ; -- Begin function _ZN7rocprim17ROCPRIM_400000_NS6detail17trampoline_kernelINS0_14default_configENS1_22reduce_config_selectorIxEEZNS1_11reduce_implILb1ES3_N6thrust23THRUST_200600_302600_NS6detail15normal_iteratorINS8_10device_ptrIxEEEEPxx9plus_mod3IxEEE10hipError_tPvRmT1_T2_T3_mT4_P12ihipStream_tbEUlT_E0_NS1_11comp_targetILNS1_3genE2ELNS1_11target_archE906ELNS1_3gpuE6ELNS1_3repE0EEENS1_30default_config_static_selectorELNS0_4arch9wavefront6targetE1EEEvSK_
	.globl	_ZN7rocprim17ROCPRIM_400000_NS6detail17trampoline_kernelINS0_14default_configENS1_22reduce_config_selectorIxEEZNS1_11reduce_implILb1ES3_N6thrust23THRUST_200600_302600_NS6detail15normal_iteratorINS8_10device_ptrIxEEEEPxx9plus_mod3IxEEE10hipError_tPvRmT1_T2_T3_mT4_P12ihipStream_tbEUlT_E0_NS1_11comp_targetILNS1_3genE2ELNS1_11target_archE906ELNS1_3gpuE6ELNS1_3repE0EEENS1_30default_config_static_selectorELNS0_4arch9wavefront6targetE1EEEvSK_
	.p2align	8
	.type	_ZN7rocprim17ROCPRIM_400000_NS6detail17trampoline_kernelINS0_14default_configENS1_22reduce_config_selectorIxEEZNS1_11reduce_implILb1ES3_N6thrust23THRUST_200600_302600_NS6detail15normal_iteratorINS8_10device_ptrIxEEEEPxx9plus_mod3IxEEE10hipError_tPvRmT1_T2_T3_mT4_P12ihipStream_tbEUlT_E0_NS1_11comp_targetILNS1_3genE2ELNS1_11target_archE906ELNS1_3gpuE6ELNS1_3repE0EEENS1_30default_config_static_selectorELNS0_4arch9wavefront6targetE1EEEvSK_,@function
_ZN7rocprim17ROCPRIM_400000_NS6detail17trampoline_kernelINS0_14default_configENS1_22reduce_config_selectorIxEEZNS1_11reduce_implILb1ES3_N6thrust23THRUST_200600_302600_NS6detail15normal_iteratorINS8_10device_ptrIxEEEEPxx9plus_mod3IxEEE10hipError_tPvRmT1_T2_T3_mT4_P12ihipStream_tbEUlT_E0_NS1_11comp_targetILNS1_3genE2ELNS1_11target_archE906ELNS1_3gpuE6ELNS1_3repE0EEENS1_30default_config_static_selectorELNS0_4arch9wavefront6targetE1EEEvSK_: ; @_ZN7rocprim17ROCPRIM_400000_NS6detail17trampoline_kernelINS0_14default_configENS1_22reduce_config_selectorIxEEZNS1_11reduce_implILb1ES3_N6thrust23THRUST_200600_302600_NS6detail15normal_iteratorINS8_10device_ptrIxEEEEPxx9plus_mod3IxEEE10hipError_tPvRmT1_T2_T3_mT4_P12ihipStream_tbEUlT_E0_NS1_11comp_targetILNS1_3genE2ELNS1_11target_archE906ELNS1_3gpuE6ELNS1_3repE0EEENS1_30default_config_static_selectorELNS0_4arch9wavefront6targetE1EEEvSK_
; %bb.0:
	.section	.rodata,"a",@progbits
	.p2align	6, 0x0
	.amdhsa_kernel _ZN7rocprim17ROCPRIM_400000_NS6detail17trampoline_kernelINS0_14default_configENS1_22reduce_config_selectorIxEEZNS1_11reduce_implILb1ES3_N6thrust23THRUST_200600_302600_NS6detail15normal_iteratorINS8_10device_ptrIxEEEEPxx9plus_mod3IxEEE10hipError_tPvRmT1_T2_T3_mT4_P12ihipStream_tbEUlT_E0_NS1_11comp_targetILNS1_3genE2ELNS1_11target_archE906ELNS1_3gpuE6ELNS1_3repE0EEENS1_30default_config_static_selectorELNS0_4arch9wavefront6targetE1EEEvSK_
		.amdhsa_group_segment_fixed_size 0
		.amdhsa_private_segment_fixed_size 0
		.amdhsa_kernarg_size 64
		.amdhsa_user_sgpr_count 2
		.amdhsa_user_sgpr_dispatch_ptr 0
		.amdhsa_user_sgpr_queue_ptr 0
		.amdhsa_user_sgpr_kernarg_segment_ptr 1
		.amdhsa_user_sgpr_dispatch_id 0
		.amdhsa_user_sgpr_kernarg_preload_length 0
		.amdhsa_user_sgpr_kernarg_preload_offset 0
		.amdhsa_user_sgpr_private_segment_size 0
		.amdhsa_uses_dynamic_stack 0
		.amdhsa_enable_private_segment 0
		.amdhsa_system_sgpr_workgroup_id_x 1
		.amdhsa_system_sgpr_workgroup_id_y 0
		.amdhsa_system_sgpr_workgroup_id_z 0
		.amdhsa_system_sgpr_workgroup_info 0
		.amdhsa_system_vgpr_workitem_id 0
		.amdhsa_next_free_vgpr 1
		.amdhsa_next_free_sgpr 0
		.amdhsa_accum_offset 4
		.amdhsa_reserve_vcc 0
		.amdhsa_float_round_mode_32 0
		.amdhsa_float_round_mode_16_64 0
		.amdhsa_float_denorm_mode_32 3
		.amdhsa_float_denorm_mode_16_64 3
		.amdhsa_dx10_clamp 1
		.amdhsa_ieee_mode 1
		.amdhsa_fp16_overflow 0
		.amdhsa_tg_split 0
		.amdhsa_exception_fp_ieee_invalid_op 0
		.amdhsa_exception_fp_denorm_src 0
		.amdhsa_exception_fp_ieee_div_zero 0
		.amdhsa_exception_fp_ieee_overflow 0
		.amdhsa_exception_fp_ieee_underflow 0
		.amdhsa_exception_fp_ieee_inexact 0
		.amdhsa_exception_int_div_zero 0
	.end_amdhsa_kernel
	.section	.text._ZN7rocprim17ROCPRIM_400000_NS6detail17trampoline_kernelINS0_14default_configENS1_22reduce_config_selectorIxEEZNS1_11reduce_implILb1ES3_N6thrust23THRUST_200600_302600_NS6detail15normal_iteratorINS8_10device_ptrIxEEEEPxx9plus_mod3IxEEE10hipError_tPvRmT1_T2_T3_mT4_P12ihipStream_tbEUlT_E0_NS1_11comp_targetILNS1_3genE2ELNS1_11target_archE906ELNS1_3gpuE6ELNS1_3repE0EEENS1_30default_config_static_selectorELNS0_4arch9wavefront6targetE1EEEvSK_,"axG",@progbits,_ZN7rocprim17ROCPRIM_400000_NS6detail17trampoline_kernelINS0_14default_configENS1_22reduce_config_selectorIxEEZNS1_11reduce_implILb1ES3_N6thrust23THRUST_200600_302600_NS6detail15normal_iteratorINS8_10device_ptrIxEEEEPxx9plus_mod3IxEEE10hipError_tPvRmT1_T2_T3_mT4_P12ihipStream_tbEUlT_E0_NS1_11comp_targetILNS1_3genE2ELNS1_11target_archE906ELNS1_3gpuE6ELNS1_3repE0EEENS1_30default_config_static_selectorELNS0_4arch9wavefront6targetE1EEEvSK_,comdat
.Lfunc_end897:
	.size	_ZN7rocprim17ROCPRIM_400000_NS6detail17trampoline_kernelINS0_14default_configENS1_22reduce_config_selectorIxEEZNS1_11reduce_implILb1ES3_N6thrust23THRUST_200600_302600_NS6detail15normal_iteratorINS8_10device_ptrIxEEEEPxx9plus_mod3IxEEE10hipError_tPvRmT1_T2_T3_mT4_P12ihipStream_tbEUlT_E0_NS1_11comp_targetILNS1_3genE2ELNS1_11target_archE906ELNS1_3gpuE6ELNS1_3repE0EEENS1_30default_config_static_selectorELNS0_4arch9wavefront6targetE1EEEvSK_, .Lfunc_end897-_ZN7rocprim17ROCPRIM_400000_NS6detail17trampoline_kernelINS0_14default_configENS1_22reduce_config_selectorIxEEZNS1_11reduce_implILb1ES3_N6thrust23THRUST_200600_302600_NS6detail15normal_iteratorINS8_10device_ptrIxEEEEPxx9plus_mod3IxEEE10hipError_tPvRmT1_T2_T3_mT4_P12ihipStream_tbEUlT_E0_NS1_11comp_targetILNS1_3genE2ELNS1_11target_archE906ELNS1_3gpuE6ELNS1_3repE0EEENS1_30default_config_static_selectorELNS0_4arch9wavefront6targetE1EEEvSK_
                                        ; -- End function
	.set _ZN7rocprim17ROCPRIM_400000_NS6detail17trampoline_kernelINS0_14default_configENS1_22reduce_config_selectorIxEEZNS1_11reduce_implILb1ES3_N6thrust23THRUST_200600_302600_NS6detail15normal_iteratorINS8_10device_ptrIxEEEEPxx9plus_mod3IxEEE10hipError_tPvRmT1_T2_T3_mT4_P12ihipStream_tbEUlT_E0_NS1_11comp_targetILNS1_3genE2ELNS1_11target_archE906ELNS1_3gpuE6ELNS1_3repE0EEENS1_30default_config_static_selectorELNS0_4arch9wavefront6targetE1EEEvSK_.num_vgpr, 0
	.set _ZN7rocprim17ROCPRIM_400000_NS6detail17trampoline_kernelINS0_14default_configENS1_22reduce_config_selectorIxEEZNS1_11reduce_implILb1ES3_N6thrust23THRUST_200600_302600_NS6detail15normal_iteratorINS8_10device_ptrIxEEEEPxx9plus_mod3IxEEE10hipError_tPvRmT1_T2_T3_mT4_P12ihipStream_tbEUlT_E0_NS1_11comp_targetILNS1_3genE2ELNS1_11target_archE906ELNS1_3gpuE6ELNS1_3repE0EEENS1_30default_config_static_selectorELNS0_4arch9wavefront6targetE1EEEvSK_.num_agpr, 0
	.set _ZN7rocprim17ROCPRIM_400000_NS6detail17trampoline_kernelINS0_14default_configENS1_22reduce_config_selectorIxEEZNS1_11reduce_implILb1ES3_N6thrust23THRUST_200600_302600_NS6detail15normal_iteratorINS8_10device_ptrIxEEEEPxx9plus_mod3IxEEE10hipError_tPvRmT1_T2_T3_mT4_P12ihipStream_tbEUlT_E0_NS1_11comp_targetILNS1_3genE2ELNS1_11target_archE906ELNS1_3gpuE6ELNS1_3repE0EEENS1_30default_config_static_selectorELNS0_4arch9wavefront6targetE1EEEvSK_.numbered_sgpr, 0
	.set _ZN7rocprim17ROCPRIM_400000_NS6detail17trampoline_kernelINS0_14default_configENS1_22reduce_config_selectorIxEEZNS1_11reduce_implILb1ES3_N6thrust23THRUST_200600_302600_NS6detail15normal_iteratorINS8_10device_ptrIxEEEEPxx9plus_mod3IxEEE10hipError_tPvRmT1_T2_T3_mT4_P12ihipStream_tbEUlT_E0_NS1_11comp_targetILNS1_3genE2ELNS1_11target_archE906ELNS1_3gpuE6ELNS1_3repE0EEENS1_30default_config_static_selectorELNS0_4arch9wavefront6targetE1EEEvSK_.num_named_barrier, 0
	.set _ZN7rocprim17ROCPRIM_400000_NS6detail17trampoline_kernelINS0_14default_configENS1_22reduce_config_selectorIxEEZNS1_11reduce_implILb1ES3_N6thrust23THRUST_200600_302600_NS6detail15normal_iteratorINS8_10device_ptrIxEEEEPxx9plus_mod3IxEEE10hipError_tPvRmT1_T2_T3_mT4_P12ihipStream_tbEUlT_E0_NS1_11comp_targetILNS1_3genE2ELNS1_11target_archE906ELNS1_3gpuE6ELNS1_3repE0EEENS1_30default_config_static_selectorELNS0_4arch9wavefront6targetE1EEEvSK_.private_seg_size, 0
	.set _ZN7rocprim17ROCPRIM_400000_NS6detail17trampoline_kernelINS0_14default_configENS1_22reduce_config_selectorIxEEZNS1_11reduce_implILb1ES3_N6thrust23THRUST_200600_302600_NS6detail15normal_iteratorINS8_10device_ptrIxEEEEPxx9plus_mod3IxEEE10hipError_tPvRmT1_T2_T3_mT4_P12ihipStream_tbEUlT_E0_NS1_11comp_targetILNS1_3genE2ELNS1_11target_archE906ELNS1_3gpuE6ELNS1_3repE0EEENS1_30default_config_static_selectorELNS0_4arch9wavefront6targetE1EEEvSK_.uses_vcc, 0
	.set _ZN7rocprim17ROCPRIM_400000_NS6detail17trampoline_kernelINS0_14default_configENS1_22reduce_config_selectorIxEEZNS1_11reduce_implILb1ES3_N6thrust23THRUST_200600_302600_NS6detail15normal_iteratorINS8_10device_ptrIxEEEEPxx9plus_mod3IxEEE10hipError_tPvRmT1_T2_T3_mT4_P12ihipStream_tbEUlT_E0_NS1_11comp_targetILNS1_3genE2ELNS1_11target_archE906ELNS1_3gpuE6ELNS1_3repE0EEENS1_30default_config_static_selectorELNS0_4arch9wavefront6targetE1EEEvSK_.uses_flat_scratch, 0
	.set _ZN7rocprim17ROCPRIM_400000_NS6detail17trampoline_kernelINS0_14default_configENS1_22reduce_config_selectorIxEEZNS1_11reduce_implILb1ES3_N6thrust23THRUST_200600_302600_NS6detail15normal_iteratorINS8_10device_ptrIxEEEEPxx9plus_mod3IxEEE10hipError_tPvRmT1_T2_T3_mT4_P12ihipStream_tbEUlT_E0_NS1_11comp_targetILNS1_3genE2ELNS1_11target_archE906ELNS1_3gpuE6ELNS1_3repE0EEENS1_30default_config_static_selectorELNS0_4arch9wavefront6targetE1EEEvSK_.has_dyn_sized_stack, 0
	.set _ZN7rocprim17ROCPRIM_400000_NS6detail17trampoline_kernelINS0_14default_configENS1_22reduce_config_selectorIxEEZNS1_11reduce_implILb1ES3_N6thrust23THRUST_200600_302600_NS6detail15normal_iteratorINS8_10device_ptrIxEEEEPxx9plus_mod3IxEEE10hipError_tPvRmT1_T2_T3_mT4_P12ihipStream_tbEUlT_E0_NS1_11comp_targetILNS1_3genE2ELNS1_11target_archE906ELNS1_3gpuE6ELNS1_3repE0EEENS1_30default_config_static_selectorELNS0_4arch9wavefront6targetE1EEEvSK_.has_recursion, 0
	.set _ZN7rocprim17ROCPRIM_400000_NS6detail17trampoline_kernelINS0_14default_configENS1_22reduce_config_selectorIxEEZNS1_11reduce_implILb1ES3_N6thrust23THRUST_200600_302600_NS6detail15normal_iteratorINS8_10device_ptrIxEEEEPxx9plus_mod3IxEEE10hipError_tPvRmT1_T2_T3_mT4_P12ihipStream_tbEUlT_E0_NS1_11comp_targetILNS1_3genE2ELNS1_11target_archE906ELNS1_3gpuE6ELNS1_3repE0EEENS1_30default_config_static_selectorELNS0_4arch9wavefront6targetE1EEEvSK_.has_indirect_call, 0
	.section	.AMDGPU.csdata,"",@progbits
; Kernel info:
; codeLenInByte = 0
; TotalNumSgprs: 6
; NumVgprs: 0
; NumAgprs: 0
; TotalNumVgprs: 0
; ScratchSize: 0
; MemoryBound: 0
; FloatMode: 240
; IeeeMode: 1
; LDSByteSize: 0 bytes/workgroup (compile time only)
; SGPRBlocks: 0
; VGPRBlocks: 0
; NumSGPRsForWavesPerEU: 6
; NumVGPRsForWavesPerEU: 1
; AccumOffset: 4
; Occupancy: 8
; WaveLimiterHint : 0
; COMPUTE_PGM_RSRC2:SCRATCH_EN: 0
; COMPUTE_PGM_RSRC2:USER_SGPR: 2
; COMPUTE_PGM_RSRC2:TRAP_HANDLER: 0
; COMPUTE_PGM_RSRC2:TGID_X_EN: 1
; COMPUTE_PGM_RSRC2:TGID_Y_EN: 0
; COMPUTE_PGM_RSRC2:TGID_Z_EN: 0
; COMPUTE_PGM_RSRC2:TIDIG_COMP_CNT: 0
; COMPUTE_PGM_RSRC3_GFX90A:ACCUM_OFFSET: 0
; COMPUTE_PGM_RSRC3_GFX90A:TG_SPLIT: 0
	.section	.text._ZN7rocprim17ROCPRIM_400000_NS6detail17trampoline_kernelINS0_14default_configENS1_22reduce_config_selectorIxEEZNS1_11reduce_implILb1ES3_N6thrust23THRUST_200600_302600_NS6detail15normal_iteratorINS8_10device_ptrIxEEEEPxx9plus_mod3IxEEE10hipError_tPvRmT1_T2_T3_mT4_P12ihipStream_tbEUlT_E0_NS1_11comp_targetILNS1_3genE10ELNS1_11target_archE1201ELNS1_3gpuE5ELNS1_3repE0EEENS1_30default_config_static_selectorELNS0_4arch9wavefront6targetE1EEEvSK_,"axG",@progbits,_ZN7rocprim17ROCPRIM_400000_NS6detail17trampoline_kernelINS0_14default_configENS1_22reduce_config_selectorIxEEZNS1_11reduce_implILb1ES3_N6thrust23THRUST_200600_302600_NS6detail15normal_iteratorINS8_10device_ptrIxEEEEPxx9plus_mod3IxEEE10hipError_tPvRmT1_T2_T3_mT4_P12ihipStream_tbEUlT_E0_NS1_11comp_targetILNS1_3genE10ELNS1_11target_archE1201ELNS1_3gpuE5ELNS1_3repE0EEENS1_30default_config_static_selectorELNS0_4arch9wavefront6targetE1EEEvSK_,comdat
	.protected	_ZN7rocprim17ROCPRIM_400000_NS6detail17trampoline_kernelINS0_14default_configENS1_22reduce_config_selectorIxEEZNS1_11reduce_implILb1ES3_N6thrust23THRUST_200600_302600_NS6detail15normal_iteratorINS8_10device_ptrIxEEEEPxx9plus_mod3IxEEE10hipError_tPvRmT1_T2_T3_mT4_P12ihipStream_tbEUlT_E0_NS1_11comp_targetILNS1_3genE10ELNS1_11target_archE1201ELNS1_3gpuE5ELNS1_3repE0EEENS1_30default_config_static_selectorELNS0_4arch9wavefront6targetE1EEEvSK_ ; -- Begin function _ZN7rocprim17ROCPRIM_400000_NS6detail17trampoline_kernelINS0_14default_configENS1_22reduce_config_selectorIxEEZNS1_11reduce_implILb1ES3_N6thrust23THRUST_200600_302600_NS6detail15normal_iteratorINS8_10device_ptrIxEEEEPxx9plus_mod3IxEEE10hipError_tPvRmT1_T2_T3_mT4_P12ihipStream_tbEUlT_E0_NS1_11comp_targetILNS1_3genE10ELNS1_11target_archE1201ELNS1_3gpuE5ELNS1_3repE0EEENS1_30default_config_static_selectorELNS0_4arch9wavefront6targetE1EEEvSK_
	.globl	_ZN7rocprim17ROCPRIM_400000_NS6detail17trampoline_kernelINS0_14default_configENS1_22reduce_config_selectorIxEEZNS1_11reduce_implILb1ES3_N6thrust23THRUST_200600_302600_NS6detail15normal_iteratorINS8_10device_ptrIxEEEEPxx9plus_mod3IxEEE10hipError_tPvRmT1_T2_T3_mT4_P12ihipStream_tbEUlT_E0_NS1_11comp_targetILNS1_3genE10ELNS1_11target_archE1201ELNS1_3gpuE5ELNS1_3repE0EEENS1_30default_config_static_selectorELNS0_4arch9wavefront6targetE1EEEvSK_
	.p2align	8
	.type	_ZN7rocprim17ROCPRIM_400000_NS6detail17trampoline_kernelINS0_14default_configENS1_22reduce_config_selectorIxEEZNS1_11reduce_implILb1ES3_N6thrust23THRUST_200600_302600_NS6detail15normal_iteratorINS8_10device_ptrIxEEEEPxx9plus_mod3IxEEE10hipError_tPvRmT1_T2_T3_mT4_P12ihipStream_tbEUlT_E0_NS1_11comp_targetILNS1_3genE10ELNS1_11target_archE1201ELNS1_3gpuE5ELNS1_3repE0EEENS1_30default_config_static_selectorELNS0_4arch9wavefront6targetE1EEEvSK_,@function
_ZN7rocprim17ROCPRIM_400000_NS6detail17trampoline_kernelINS0_14default_configENS1_22reduce_config_selectorIxEEZNS1_11reduce_implILb1ES3_N6thrust23THRUST_200600_302600_NS6detail15normal_iteratorINS8_10device_ptrIxEEEEPxx9plus_mod3IxEEE10hipError_tPvRmT1_T2_T3_mT4_P12ihipStream_tbEUlT_E0_NS1_11comp_targetILNS1_3genE10ELNS1_11target_archE1201ELNS1_3gpuE5ELNS1_3repE0EEENS1_30default_config_static_selectorELNS0_4arch9wavefront6targetE1EEEvSK_: ; @_ZN7rocprim17ROCPRIM_400000_NS6detail17trampoline_kernelINS0_14default_configENS1_22reduce_config_selectorIxEEZNS1_11reduce_implILb1ES3_N6thrust23THRUST_200600_302600_NS6detail15normal_iteratorINS8_10device_ptrIxEEEEPxx9plus_mod3IxEEE10hipError_tPvRmT1_T2_T3_mT4_P12ihipStream_tbEUlT_E0_NS1_11comp_targetILNS1_3genE10ELNS1_11target_archE1201ELNS1_3gpuE5ELNS1_3repE0EEENS1_30default_config_static_selectorELNS0_4arch9wavefront6targetE1EEEvSK_
; %bb.0:
	.section	.rodata,"a",@progbits
	.p2align	6, 0x0
	.amdhsa_kernel _ZN7rocprim17ROCPRIM_400000_NS6detail17trampoline_kernelINS0_14default_configENS1_22reduce_config_selectorIxEEZNS1_11reduce_implILb1ES3_N6thrust23THRUST_200600_302600_NS6detail15normal_iteratorINS8_10device_ptrIxEEEEPxx9plus_mod3IxEEE10hipError_tPvRmT1_T2_T3_mT4_P12ihipStream_tbEUlT_E0_NS1_11comp_targetILNS1_3genE10ELNS1_11target_archE1201ELNS1_3gpuE5ELNS1_3repE0EEENS1_30default_config_static_selectorELNS0_4arch9wavefront6targetE1EEEvSK_
		.amdhsa_group_segment_fixed_size 0
		.amdhsa_private_segment_fixed_size 0
		.amdhsa_kernarg_size 64
		.amdhsa_user_sgpr_count 2
		.amdhsa_user_sgpr_dispatch_ptr 0
		.amdhsa_user_sgpr_queue_ptr 0
		.amdhsa_user_sgpr_kernarg_segment_ptr 1
		.amdhsa_user_sgpr_dispatch_id 0
		.amdhsa_user_sgpr_kernarg_preload_length 0
		.amdhsa_user_sgpr_kernarg_preload_offset 0
		.amdhsa_user_sgpr_private_segment_size 0
		.amdhsa_uses_dynamic_stack 0
		.amdhsa_enable_private_segment 0
		.amdhsa_system_sgpr_workgroup_id_x 1
		.amdhsa_system_sgpr_workgroup_id_y 0
		.amdhsa_system_sgpr_workgroup_id_z 0
		.amdhsa_system_sgpr_workgroup_info 0
		.amdhsa_system_vgpr_workitem_id 0
		.amdhsa_next_free_vgpr 1
		.amdhsa_next_free_sgpr 0
		.amdhsa_accum_offset 4
		.amdhsa_reserve_vcc 0
		.amdhsa_float_round_mode_32 0
		.amdhsa_float_round_mode_16_64 0
		.amdhsa_float_denorm_mode_32 3
		.amdhsa_float_denorm_mode_16_64 3
		.amdhsa_dx10_clamp 1
		.amdhsa_ieee_mode 1
		.amdhsa_fp16_overflow 0
		.amdhsa_tg_split 0
		.amdhsa_exception_fp_ieee_invalid_op 0
		.amdhsa_exception_fp_denorm_src 0
		.amdhsa_exception_fp_ieee_div_zero 0
		.amdhsa_exception_fp_ieee_overflow 0
		.amdhsa_exception_fp_ieee_underflow 0
		.amdhsa_exception_fp_ieee_inexact 0
		.amdhsa_exception_int_div_zero 0
	.end_amdhsa_kernel
	.section	.text._ZN7rocprim17ROCPRIM_400000_NS6detail17trampoline_kernelINS0_14default_configENS1_22reduce_config_selectorIxEEZNS1_11reduce_implILb1ES3_N6thrust23THRUST_200600_302600_NS6detail15normal_iteratorINS8_10device_ptrIxEEEEPxx9plus_mod3IxEEE10hipError_tPvRmT1_T2_T3_mT4_P12ihipStream_tbEUlT_E0_NS1_11comp_targetILNS1_3genE10ELNS1_11target_archE1201ELNS1_3gpuE5ELNS1_3repE0EEENS1_30default_config_static_selectorELNS0_4arch9wavefront6targetE1EEEvSK_,"axG",@progbits,_ZN7rocprim17ROCPRIM_400000_NS6detail17trampoline_kernelINS0_14default_configENS1_22reduce_config_selectorIxEEZNS1_11reduce_implILb1ES3_N6thrust23THRUST_200600_302600_NS6detail15normal_iteratorINS8_10device_ptrIxEEEEPxx9plus_mod3IxEEE10hipError_tPvRmT1_T2_T3_mT4_P12ihipStream_tbEUlT_E0_NS1_11comp_targetILNS1_3genE10ELNS1_11target_archE1201ELNS1_3gpuE5ELNS1_3repE0EEENS1_30default_config_static_selectorELNS0_4arch9wavefront6targetE1EEEvSK_,comdat
.Lfunc_end898:
	.size	_ZN7rocprim17ROCPRIM_400000_NS6detail17trampoline_kernelINS0_14default_configENS1_22reduce_config_selectorIxEEZNS1_11reduce_implILb1ES3_N6thrust23THRUST_200600_302600_NS6detail15normal_iteratorINS8_10device_ptrIxEEEEPxx9plus_mod3IxEEE10hipError_tPvRmT1_T2_T3_mT4_P12ihipStream_tbEUlT_E0_NS1_11comp_targetILNS1_3genE10ELNS1_11target_archE1201ELNS1_3gpuE5ELNS1_3repE0EEENS1_30default_config_static_selectorELNS0_4arch9wavefront6targetE1EEEvSK_, .Lfunc_end898-_ZN7rocprim17ROCPRIM_400000_NS6detail17trampoline_kernelINS0_14default_configENS1_22reduce_config_selectorIxEEZNS1_11reduce_implILb1ES3_N6thrust23THRUST_200600_302600_NS6detail15normal_iteratorINS8_10device_ptrIxEEEEPxx9plus_mod3IxEEE10hipError_tPvRmT1_T2_T3_mT4_P12ihipStream_tbEUlT_E0_NS1_11comp_targetILNS1_3genE10ELNS1_11target_archE1201ELNS1_3gpuE5ELNS1_3repE0EEENS1_30default_config_static_selectorELNS0_4arch9wavefront6targetE1EEEvSK_
                                        ; -- End function
	.set _ZN7rocprim17ROCPRIM_400000_NS6detail17trampoline_kernelINS0_14default_configENS1_22reduce_config_selectorIxEEZNS1_11reduce_implILb1ES3_N6thrust23THRUST_200600_302600_NS6detail15normal_iteratorINS8_10device_ptrIxEEEEPxx9plus_mod3IxEEE10hipError_tPvRmT1_T2_T3_mT4_P12ihipStream_tbEUlT_E0_NS1_11comp_targetILNS1_3genE10ELNS1_11target_archE1201ELNS1_3gpuE5ELNS1_3repE0EEENS1_30default_config_static_selectorELNS0_4arch9wavefront6targetE1EEEvSK_.num_vgpr, 0
	.set _ZN7rocprim17ROCPRIM_400000_NS6detail17trampoline_kernelINS0_14default_configENS1_22reduce_config_selectorIxEEZNS1_11reduce_implILb1ES3_N6thrust23THRUST_200600_302600_NS6detail15normal_iteratorINS8_10device_ptrIxEEEEPxx9plus_mod3IxEEE10hipError_tPvRmT1_T2_T3_mT4_P12ihipStream_tbEUlT_E0_NS1_11comp_targetILNS1_3genE10ELNS1_11target_archE1201ELNS1_3gpuE5ELNS1_3repE0EEENS1_30default_config_static_selectorELNS0_4arch9wavefront6targetE1EEEvSK_.num_agpr, 0
	.set _ZN7rocprim17ROCPRIM_400000_NS6detail17trampoline_kernelINS0_14default_configENS1_22reduce_config_selectorIxEEZNS1_11reduce_implILb1ES3_N6thrust23THRUST_200600_302600_NS6detail15normal_iteratorINS8_10device_ptrIxEEEEPxx9plus_mod3IxEEE10hipError_tPvRmT1_T2_T3_mT4_P12ihipStream_tbEUlT_E0_NS1_11comp_targetILNS1_3genE10ELNS1_11target_archE1201ELNS1_3gpuE5ELNS1_3repE0EEENS1_30default_config_static_selectorELNS0_4arch9wavefront6targetE1EEEvSK_.numbered_sgpr, 0
	.set _ZN7rocprim17ROCPRIM_400000_NS6detail17trampoline_kernelINS0_14default_configENS1_22reduce_config_selectorIxEEZNS1_11reduce_implILb1ES3_N6thrust23THRUST_200600_302600_NS6detail15normal_iteratorINS8_10device_ptrIxEEEEPxx9plus_mod3IxEEE10hipError_tPvRmT1_T2_T3_mT4_P12ihipStream_tbEUlT_E0_NS1_11comp_targetILNS1_3genE10ELNS1_11target_archE1201ELNS1_3gpuE5ELNS1_3repE0EEENS1_30default_config_static_selectorELNS0_4arch9wavefront6targetE1EEEvSK_.num_named_barrier, 0
	.set _ZN7rocprim17ROCPRIM_400000_NS6detail17trampoline_kernelINS0_14default_configENS1_22reduce_config_selectorIxEEZNS1_11reduce_implILb1ES3_N6thrust23THRUST_200600_302600_NS6detail15normal_iteratorINS8_10device_ptrIxEEEEPxx9plus_mod3IxEEE10hipError_tPvRmT1_T2_T3_mT4_P12ihipStream_tbEUlT_E0_NS1_11comp_targetILNS1_3genE10ELNS1_11target_archE1201ELNS1_3gpuE5ELNS1_3repE0EEENS1_30default_config_static_selectorELNS0_4arch9wavefront6targetE1EEEvSK_.private_seg_size, 0
	.set _ZN7rocprim17ROCPRIM_400000_NS6detail17trampoline_kernelINS0_14default_configENS1_22reduce_config_selectorIxEEZNS1_11reduce_implILb1ES3_N6thrust23THRUST_200600_302600_NS6detail15normal_iteratorINS8_10device_ptrIxEEEEPxx9plus_mod3IxEEE10hipError_tPvRmT1_T2_T3_mT4_P12ihipStream_tbEUlT_E0_NS1_11comp_targetILNS1_3genE10ELNS1_11target_archE1201ELNS1_3gpuE5ELNS1_3repE0EEENS1_30default_config_static_selectorELNS0_4arch9wavefront6targetE1EEEvSK_.uses_vcc, 0
	.set _ZN7rocprim17ROCPRIM_400000_NS6detail17trampoline_kernelINS0_14default_configENS1_22reduce_config_selectorIxEEZNS1_11reduce_implILb1ES3_N6thrust23THRUST_200600_302600_NS6detail15normal_iteratorINS8_10device_ptrIxEEEEPxx9plus_mod3IxEEE10hipError_tPvRmT1_T2_T3_mT4_P12ihipStream_tbEUlT_E0_NS1_11comp_targetILNS1_3genE10ELNS1_11target_archE1201ELNS1_3gpuE5ELNS1_3repE0EEENS1_30default_config_static_selectorELNS0_4arch9wavefront6targetE1EEEvSK_.uses_flat_scratch, 0
	.set _ZN7rocprim17ROCPRIM_400000_NS6detail17trampoline_kernelINS0_14default_configENS1_22reduce_config_selectorIxEEZNS1_11reduce_implILb1ES3_N6thrust23THRUST_200600_302600_NS6detail15normal_iteratorINS8_10device_ptrIxEEEEPxx9plus_mod3IxEEE10hipError_tPvRmT1_T2_T3_mT4_P12ihipStream_tbEUlT_E0_NS1_11comp_targetILNS1_3genE10ELNS1_11target_archE1201ELNS1_3gpuE5ELNS1_3repE0EEENS1_30default_config_static_selectorELNS0_4arch9wavefront6targetE1EEEvSK_.has_dyn_sized_stack, 0
	.set _ZN7rocprim17ROCPRIM_400000_NS6detail17trampoline_kernelINS0_14default_configENS1_22reduce_config_selectorIxEEZNS1_11reduce_implILb1ES3_N6thrust23THRUST_200600_302600_NS6detail15normal_iteratorINS8_10device_ptrIxEEEEPxx9plus_mod3IxEEE10hipError_tPvRmT1_T2_T3_mT4_P12ihipStream_tbEUlT_E0_NS1_11comp_targetILNS1_3genE10ELNS1_11target_archE1201ELNS1_3gpuE5ELNS1_3repE0EEENS1_30default_config_static_selectorELNS0_4arch9wavefront6targetE1EEEvSK_.has_recursion, 0
	.set _ZN7rocprim17ROCPRIM_400000_NS6detail17trampoline_kernelINS0_14default_configENS1_22reduce_config_selectorIxEEZNS1_11reduce_implILb1ES3_N6thrust23THRUST_200600_302600_NS6detail15normal_iteratorINS8_10device_ptrIxEEEEPxx9plus_mod3IxEEE10hipError_tPvRmT1_T2_T3_mT4_P12ihipStream_tbEUlT_E0_NS1_11comp_targetILNS1_3genE10ELNS1_11target_archE1201ELNS1_3gpuE5ELNS1_3repE0EEENS1_30default_config_static_selectorELNS0_4arch9wavefront6targetE1EEEvSK_.has_indirect_call, 0
	.section	.AMDGPU.csdata,"",@progbits
; Kernel info:
; codeLenInByte = 0
; TotalNumSgprs: 6
; NumVgprs: 0
; NumAgprs: 0
; TotalNumVgprs: 0
; ScratchSize: 0
; MemoryBound: 0
; FloatMode: 240
; IeeeMode: 1
; LDSByteSize: 0 bytes/workgroup (compile time only)
; SGPRBlocks: 0
; VGPRBlocks: 0
; NumSGPRsForWavesPerEU: 6
; NumVGPRsForWavesPerEU: 1
; AccumOffset: 4
; Occupancy: 8
; WaveLimiterHint : 0
; COMPUTE_PGM_RSRC2:SCRATCH_EN: 0
; COMPUTE_PGM_RSRC2:USER_SGPR: 2
; COMPUTE_PGM_RSRC2:TRAP_HANDLER: 0
; COMPUTE_PGM_RSRC2:TGID_X_EN: 1
; COMPUTE_PGM_RSRC2:TGID_Y_EN: 0
; COMPUTE_PGM_RSRC2:TGID_Z_EN: 0
; COMPUTE_PGM_RSRC2:TIDIG_COMP_CNT: 0
; COMPUTE_PGM_RSRC3_GFX90A:ACCUM_OFFSET: 0
; COMPUTE_PGM_RSRC3_GFX90A:TG_SPLIT: 0
	.section	.text._ZN7rocprim17ROCPRIM_400000_NS6detail17trampoline_kernelINS0_14default_configENS1_22reduce_config_selectorIxEEZNS1_11reduce_implILb1ES3_N6thrust23THRUST_200600_302600_NS6detail15normal_iteratorINS8_10device_ptrIxEEEEPxx9plus_mod3IxEEE10hipError_tPvRmT1_T2_T3_mT4_P12ihipStream_tbEUlT_E0_NS1_11comp_targetILNS1_3genE10ELNS1_11target_archE1200ELNS1_3gpuE4ELNS1_3repE0EEENS1_30default_config_static_selectorELNS0_4arch9wavefront6targetE1EEEvSK_,"axG",@progbits,_ZN7rocprim17ROCPRIM_400000_NS6detail17trampoline_kernelINS0_14default_configENS1_22reduce_config_selectorIxEEZNS1_11reduce_implILb1ES3_N6thrust23THRUST_200600_302600_NS6detail15normal_iteratorINS8_10device_ptrIxEEEEPxx9plus_mod3IxEEE10hipError_tPvRmT1_T2_T3_mT4_P12ihipStream_tbEUlT_E0_NS1_11comp_targetILNS1_3genE10ELNS1_11target_archE1200ELNS1_3gpuE4ELNS1_3repE0EEENS1_30default_config_static_selectorELNS0_4arch9wavefront6targetE1EEEvSK_,comdat
	.protected	_ZN7rocprim17ROCPRIM_400000_NS6detail17trampoline_kernelINS0_14default_configENS1_22reduce_config_selectorIxEEZNS1_11reduce_implILb1ES3_N6thrust23THRUST_200600_302600_NS6detail15normal_iteratorINS8_10device_ptrIxEEEEPxx9plus_mod3IxEEE10hipError_tPvRmT1_T2_T3_mT4_P12ihipStream_tbEUlT_E0_NS1_11comp_targetILNS1_3genE10ELNS1_11target_archE1200ELNS1_3gpuE4ELNS1_3repE0EEENS1_30default_config_static_selectorELNS0_4arch9wavefront6targetE1EEEvSK_ ; -- Begin function _ZN7rocprim17ROCPRIM_400000_NS6detail17trampoline_kernelINS0_14default_configENS1_22reduce_config_selectorIxEEZNS1_11reduce_implILb1ES3_N6thrust23THRUST_200600_302600_NS6detail15normal_iteratorINS8_10device_ptrIxEEEEPxx9plus_mod3IxEEE10hipError_tPvRmT1_T2_T3_mT4_P12ihipStream_tbEUlT_E0_NS1_11comp_targetILNS1_3genE10ELNS1_11target_archE1200ELNS1_3gpuE4ELNS1_3repE0EEENS1_30default_config_static_selectorELNS0_4arch9wavefront6targetE1EEEvSK_
	.globl	_ZN7rocprim17ROCPRIM_400000_NS6detail17trampoline_kernelINS0_14default_configENS1_22reduce_config_selectorIxEEZNS1_11reduce_implILb1ES3_N6thrust23THRUST_200600_302600_NS6detail15normal_iteratorINS8_10device_ptrIxEEEEPxx9plus_mod3IxEEE10hipError_tPvRmT1_T2_T3_mT4_P12ihipStream_tbEUlT_E0_NS1_11comp_targetILNS1_3genE10ELNS1_11target_archE1200ELNS1_3gpuE4ELNS1_3repE0EEENS1_30default_config_static_selectorELNS0_4arch9wavefront6targetE1EEEvSK_
	.p2align	8
	.type	_ZN7rocprim17ROCPRIM_400000_NS6detail17trampoline_kernelINS0_14default_configENS1_22reduce_config_selectorIxEEZNS1_11reduce_implILb1ES3_N6thrust23THRUST_200600_302600_NS6detail15normal_iteratorINS8_10device_ptrIxEEEEPxx9plus_mod3IxEEE10hipError_tPvRmT1_T2_T3_mT4_P12ihipStream_tbEUlT_E0_NS1_11comp_targetILNS1_3genE10ELNS1_11target_archE1200ELNS1_3gpuE4ELNS1_3repE0EEENS1_30default_config_static_selectorELNS0_4arch9wavefront6targetE1EEEvSK_,@function
_ZN7rocprim17ROCPRIM_400000_NS6detail17trampoline_kernelINS0_14default_configENS1_22reduce_config_selectorIxEEZNS1_11reduce_implILb1ES3_N6thrust23THRUST_200600_302600_NS6detail15normal_iteratorINS8_10device_ptrIxEEEEPxx9plus_mod3IxEEE10hipError_tPvRmT1_T2_T3_mT4_P12ihipStream_tbEUlT_E0_NS1_11comp_targetILNS1_3genE10ELNS1_11target_archE1200ELNS1_3gpuE4ELNS1_3repE0EEENS1_30default_config_static_selectorELNS0_4arch9wavefront6targetE1EEEvSK_: ; @_ZN7rocprim17ROCPRIM_400000_NS6detail17trampoline_kernelINS0_14default_configENS1_22reduce_config_selectorIxEEZNS1_11reduce_implILb1ES3_N6thrust23THRUST_200600_302600_NS6detail15normal_iteratorINS8_10device_ptrIxEEEEPxx9plus_mod3IxEEE10hipError_tPvRmT1_T2_T3_mT4_P12ihipStream_tbEUlT_E0_NS1_11comp_targetILNS1_3genE10ELNS1_11target_archE1200ELNS1_3gpuE4ELNS1_3repE0EEENS1_30default_config_static_selectorELNS0_4arch9wavefront6targetE1EEEvSK_
; %bb.0:
	.section	.rodata,"a",@progbits
	.p2align	6, 0x0
	.amdhsa_kernel _ZN7rocprim17ROCPRIM_400000_NS6detail17trampoline_kernelINS0_14default_configENS1_22reduce_config_selectorIxEEZNS1_11reduce_implILb1ES3_N6thrust23THRUST_200600_302600_NS6detail15normal_iteratorINS8_10device_ptrIxEEEEPxx9plus_mod3IxEEE10hipError_tPvRmT1_T2_T3_mT4_P12ihipStream_tbEUlT_E0_NS1_11comp_targetILNS1_3genE10ELNS1_11target_archE1200ELNS1_3gpuE4ELNS1_3repE0EEENS1_30default_config_static_selectorELNS0_4arch9wavefront6targetE1EEEvSK_
		.amdhsa_group_segment_fixed_size 0
		.amdhsa_private_segment_fixed_size 0
		.amdhsa_kernarg_size 64
		.amdhsa_user_sgpr_count 2
		.amdhsa_user_sgpr_dispatch_ptr 0
		.amdhsa_user_sgpr_queue_ptr 0
		.amdhsa_user_sgpr_kernarg_segment_ptr 1
		.amdhsa_user_sgpr_dispatch_id 0
		.amdhsa_user_sgpr_kernarg_preload_length 0
		.amdhsa_user_sgpr_kernarg_preload_offset 0
		.amdhsa_user_sgpr_private_segment_size 0
		.amdhsa_uses_dynamic_stack 0
		.amdhsa_enable_private_segment 0
		.amdhsa_system_sgpr_workgroup_id_x 1
		.amdhsa_system_sgpr_workgroup_id_y 0
		.amdhsa_system_sgpr_workgroup_id_z 0
		.amdhsa_system_sgpr_workgroup_info 0
		.amdhsa_system_vgpr_workitem_id 0
		.amdhsa_next_free_vgpr 1
		.amdhsa_next_free_sgpr 0
		.amdhsa_accum_offset 4
		.amdhsa_reserve_vcc 0
		.amdhsa_float_round_mode_32 0
		.amdhsa_float_round_mode_16_64 0
		.amdhsa_float_denorm_mode_32 3
		.amdhsa_float_denorm_mode_16_64 3
		.amdhsa_dx10_clamp 1
		.amdhsa_ieee_mode 1
		.amdhsa_fp16_overflow 0
		.amdhsa_tg_split 0
		.amdhsa_exception_fp_ieee_invalid_op 0
		.amdhsa_exception_fp_denorm_src 0
		.amdhsa_exception_fp_ieee_div_zero 0
		.amdhsa_exception_fp_ieee_overflow 0
		.amdhsa_exception_fp_ieee_underflow 0
		.amdhsa_exception_fp_ieee_inexact 0
		.amdhsa_exception_int_div_zero 0
	.end_amdhsa_kernel
	.section	.text._ZN7rocprim17ROCPRIM_400000_NS6detail17trampoline_kernelINS0_14default_configENS1_22reduce_config_selectorIxEEZNS1_11reduce_implILb1ES3_N6thrust23THRUST_200600_302600_NS6detail15normal_iteratorINS8_10device_ptrIxEEEEPxx9plus_mod3IxEEE10hipError_tPvRmT1_T2_T3_mT4_P12ihipStream_tbEUlT_E0_NS1_11comp_targetILNS1_3genE10ELNS1_11target_archE1200ELNS1_3gpuE4ELNS1_3repE0EEENS1_30default_config_static_selectorELNS0_4arch9wavefront6targetE1EEEvSK_,"axG",@progbits,_ZN7rocprim17ROCPRIM_400000_NS6detail17trampoline_kernelINS0_14default_configENS1_22reduce_config_selectorIxEEZNS1_11reduce_implILb1ES3_N6thrust23THRUST_200600_302600_NS6detail15normal_iteratorINS8_10device_ptrIxEEEEPxx9plus_mod3IxEEE10hipError_tPvRmT1_T2_T3_mT4_P12ihipStream_tbEUlT_E0_NS1_11comp_targetILNS1_3genE10ELNS1_11target_archE1200ELNS1_3gpuE4ELNS1_3repE0EEENS1_30default_config_static_selectorELNS0_4arch9wavefront6targetE1EEEvSK_,comdat
.Lfunc_end899:
	.size	_ZN7rocprim17ROCPRIM_400000_NS6detail17trampoline_kernelINS0_14default_configENS1_22reduce_config_selectorIxEEZNS1_11reduce_implILb1ES3_N6thrust23THRUST_200600_302600_NS6detail15normal_iteratorINS8_10device_ptrIxEEEEPxx9plus_mod3IxEEE10hipError_tPvRmT1_T2_T3_mT4_P12ihipStream_tbEUlT_E0_NS1_11comp_targetILNS1_3genE10ELNS1_11target_archE1200ELNS1_3gpuE4ELNS1_3repE0EEENS1_30default_config_static_selectorELNS0_4arch9wavefront6targetE1EEEvSK_, .Lfunc_end899-_ZN7rocprim17ROCPRIM_400000_NS6detail17trampoline_kernelINS0_14default_configENS1_22reduce_config_selectorIxEEZNS1_11reduce_implILb1ES3_N6thrust23THRUST_200600_302600_NS6detail15normal_iteratorINS8_10device_ptrIxEEEEPxx9plus_mod3IxEEE10hipError_tPvRmT1_T2_T3_mT4_P12ihipStream_tbEUlT_E0_NS1_11comp_targetILNS1_3genE10ELNS1_11target_archE1200ELNS1_3gpuE4ELNS1_3repE0EEENS1_30default_config_static_selectorELNS0_4arch9wavefront6targetE1EEEvSK_
                                        ; -- End function
	.set _ZN7rocprim17ROCPRIM_400000_NS6detail17trampoline_kernelINS0_14default_configENS1_22reduce_config_selectorIxEEZNS1_11reduce_implILb1ES3_N6thrust23THRUST_200600_302600_NS6detail15normal_iteratorINS8_10device_ptrIxEEEEPxx9plus_mod3IxEEE10hipError_tPvRmT1_T2_T3_mT4_P12ihipStream_tbEUlT_E0_NS1_11comp_targetILNS1_3genE10ELNS1_11target_archE1200ELNS1_3gpuE4ELNS1_3repE0EEENS1_30default_config_static_selectorELNS0_4arch9wavefront6targetE1EEEvSK_.num_vgpr, 0
	.set _ZN7rocprim17ROCPRIM_400000_NS6detail17trampoline_kernelINS0_14default_configENS1_22reduce_config_selectorIxEEZNS1_11reduce_implILb1ES3_N6thrust23THRUST_200600_302600_NS6detail15normal_iteratorINS8_10device_ptrIxEEEEPxx9plus_mod3IxEEE10hipError_tPvRmT1_T2_T3_mT4_P12ihipStream_tbEUlT_E0_NS1_11comp_targetILNS1_3genE10ELNS1_11target_archE1200ELNS1_3gpuE4ELNS1_3repE0EEENS1_30default_config_static_selectorELNS0_4arch9wavefront6targetE1EEEvSK_.num_agpr, 0
	.set _ZN7rocprim17ROCPRIM_400000_NS6detail17trampoline_kernelINS0_14default_configENS1_22reduce_config_selectorIxEEZNS1_11reduce_implILb1ES3_N6thrust23THRUST_200600_302600_NS6detail15normal_iteratorINS8_10device_ptrIxEEEEPxx9plus_mod3IxEEE10hipError_tPvRmT1_T2_T3_mT4_P12ihipStream_tbEUlT_E0_NS1_11comp_targetILNS1_3genE10ELNS1_11target_archE1200ELNS1_3gpuE4ELNS1_3repE0EEENS1_30default_config_static_selectorELNS0_4arch9wavefront6targetE1EEEvSK_.numbered_sgpr, 0
	.set _ZN7rocprim17ROCPRIM_400000_NS6detail17trampoline_kernelINS0_14default_configENS1_22reduce_config_selectorIxEEZNS1_11reduce_implILb1ES3_N6thrust23THRUST_200600_302600_NS6detail15normal_iteratorINS8_10device_ptrIxEEEEPxx9plus_mod3IxEEE10hipError_tPvRmT1_T2_T3_mT4_P12ihipStream_tbEUlT_E0_NS1_11comp_targetILNS1_3genE10ELNS1_11target_archE1200ELNS1_3gpuE4ELNS1_3repE0EEENS1_30default_config_static_selectorELNS0_4arch9wavefront6targetE1EEEvSK_.num_named_barrier, 0
	.set _ZN7rocprim17ROCPRIM_400000_NS6detail17trampoline_kernelINS0_14default_configENS1_22reduce_config_selectorIxEEZNS1_11reduce_implILb1ES3_N6thrust23THRUST_200600_302600_NS6detail15normal_iteratorINS8_10device_ptrIxEEEEPxx9plus_mod3IxEEE10hipError_tPvRmT1_T2_T3_mT4_P12ihipStream_tbEUlT_E0_NS1_11comp_targetILNS1_3genE10ELNS1_11target_archE1200ELNS1_3gpuE4ELNS1_3repE0EEENS1_30default_config_static_selectorELNS0_4arch9wavefront6targetE1EEEvSK_.private_seg_size, 0
	.set _ZN7rocprim17ROCPRIM_400000_NS6detail17trampoline_kernelINS0_14default_configENS1_22reduce_config_selectorIxEEZNS1_11reduce_implILb1ES3_N6thrust23THRUST_200600_302600_NS6detail15normal_iteratorINS8_10device_ptrIxEEEEPxx9plus_mod3IxEEE10hipError_tPvRmT1_T2_T3_mT4_P12ihipStream_tbEUlT_E0_NS1_11comp_targetILNS1_3genE10ELNS1_11target_archE1200ELNS1_3gpuE4ELNS1_3repE0EEENS1_30default_config_static_selectorELNS0_4arch9wavefront6targetE1EEEvSK_.uses_vcc, 0
	.set _ZN7rocprim17ROCPRIM_400000_NS6detail17trampoline_kernelINS0_14default_configENS1_22reduce_config_selectorIxEEZNS1_11reduce_implILb1ES3_N6thrust23THRUST_200600_302600_NS6detail15normal_iteratorINS8_10device_ptrIxEEEEPxx9plus_mod3IxEEE10hipError_tPvRmT1_T2_T3_mT4_P12ihipStream_tbEUlT_E0_NS1_11comp_targetILNS1_3genE10ELNS1_11target_archE1200ELNS1_3gpuE4ELNS1_3repE0EEENS1_30default_config_static_selectorELNS0_4arch9wavefront6targetE1EEEvSK_.uses_flat_scratch, 0
	.set _ZN7rocprim17ROCPRIM_400000_NS6detail17trampoline_kernelINS0_14default_configENS1_22reduce_config_selectorIxEEZNS1_11reduce_implILb1ES3_N6thrust23THRUST_200600_302600_NS6detail15normal_iteratorINS8_10device_ptrIxEEEEPxx9plus_mod3IxEEE10hipError_tPvRmT1_T2_T3_mT4_P12ihipStream_tbEUlT_E0_NS1_11comp_targetILNS1_3genE10ELNS1_11target_archE1200ELNS1_3gpuE4ELNS1_3repE0EEENS1_30default_config_static_selectorELNS0_4arch9wavefront6targetE1EEEvSK_.has_dyn_sized_stack, 0
	.set _ZN7rocprim17ROCPRIM_400000_NS6detail17trampoline_kernelINS0_14default_configENS1_22reduce_config_selectorIxEEZNS1_11reduce_implILb1ES3_N6thrust23THRUST_200600_302600_NS6detail15normal_iteratorINS8_10device_ptrIxEEEEPxx9plus_mod3IxEEE10hipError_tPvRmT1_T2_T3_mT4_P12ihipStream_tbEUlT_E0_NS1_11comp_targetILNS1_3genE10ELNS1_11target_archE1200ELNS1_3gpuE4ELNS1_3repE0EEENS1_30default_config_static_selectorELNS0_4arch9wavefront6targetE1EEEvSK_.has_recursion, 0
	.set _ZN7rocprim17ROCPRIM_400000_NS6detail17trampoline_kernelINS0_14default_configENS1_22reduce_config_selectorIxEEZNS1_11reduce_implILb1ES3_N6thrust23THRUST_200600_302600_NS6detail15normal_iteratorINS8_10device_ptrIxEEEEPxx9plus_mod3IxEEE10hipError_tPvRmT1_T2_T3_mT4_P12ihipStream_tbEUlT_E0_NS1_11comp_targetILNS1_3genE10ELNS1_11target_archE1200ELNS1_3gpuE4ELNS1_3repE0EEENS1_30default_config_static_selectorELNS0_4arch9wavefront6targetE1EEEvSK_.has_indirect_call, 0
	.section	.AMDGPU.csdata,"",@progbits
; Kernel info:
; codeLenInByte = 0
; TotalNumSgprs: 6
; NumVgprs: 0
; NumAgprs: 0
; TotalNumVgprs: 0
; ScratchSize: 0
; MemoryBound: 0
; FloatMode: 240
; IeeeMode: 1
; LDSByteSize: 0 bytes/workgroup (compile time only)
; SGPRBlocks: 0
; VGPRBlocks: 0
; NumSGPRsForWavesPerEU: 6
; NumVGPRsForWavesPerEU: 1
; AccumOffset: 4
; Occupancy: 8
; WaveLimiterHint : 0
; COMPUTE_PGM_RSRC2:SCRATCH_EN: 0
; COMPUTE_PGM_RSRC2:USER_SGPR: 2
; COMPUTE_PGM_RSRC2:TRAP_HANDLER: 0
; COMPUTE_PGM_RSRC2:TGID_X_EN: 1
; COMPUTE_PGM_RSRC2:TGID_Y_EN: 0
; COMPUTE_PGM_RSRC2:TGID_Z_EN: 0
; COMPUTE_PGM_RSRC2:TIDIG_COMP_CNT: 0
; COMPUTE_PGM_RSRC3_GFX90A:ACCUM_OFFSET: 0
; COMPUTE_PGM_RSRC3_GFX90A:TG_SPLIT: 0
	.section	.text._ZN7rocprim17ROCPRIM_400000_NS6detail17trampoline_kernelINS0_14default_configENS1_22reduce_config_selectorIxEEZNS1_11reduce_implILb1ES3_N6thrust23THRUST_200600_302600_NS6detail15normal_iteratorINS8_10device_ptrIxEEEEPxx9plus_mod3IxEEE10hipError_tPvRmT1_T2_T3_mT4_P12ihipStream_tbEUlT_E0_NS1_11comp_targetILNS1_3genE9ELNS1_11target_archE1100ELNS1_3gpuE3ELNS1_3repE0EEENS1_30default_config_static_selectorELNS0_4arch9wavefront6targetE1EEEvSK_,"axG",@progbits,_ZN7rocprim17ROCPRIM_400000_NS6detail17trampoline_kernelINS0_14default_configENS1_22reduce_config_selectorIxEEZNS1_11reduce_implILb1ES3_N6thrust23THRUST_200600_302600_NS6detail15normal_iteratorINS8_10device_ptrIxEEEEPxx9plus_mod3IxEEE10hipError_tPvRmT1_T2_T3_mT4_P12ihipStream_tbEUlT_E0_NS1_11comp_targetILNS1_3genE9ELNS1_11target_archE1100ELNS1_3gpuE3ELNS1_3repE0EEENS1_30default_config_static_selectorELNS0_4arch9wavefront6targetE1EEEvSK_,comdat
	.protected	_ZN7rocprim17ROCPRIM_400000_NS6detail17trampoline_kernelINS0_14default_configENS1_22reduce_config_selectorIxEEZNS1_11reduce_implILb1ES3_N6thrust23THRUST_200600_302600_NS6detail15normal_iteratorINS8_10device_ptrIxEEEEPxx9plus_mod3IxEEE10hipError_tPvRmT1_T2_T3_mT4_P12ihipStream_tbEUlT_E0_NS1_11comp_targetILNS1_3genE9ELNS1_11target_archE1100ELNS1_3gpuE3ELNS1_3repE0EEENS1_30default_config_static_selectorELNS0_4arch9wavefront6targetE1EEEvSK_ ; -- Begin function _ZN7rocprim17ROCPRIM_400000_NS6detail17trampoline_kernelINS0_14default_configENS1_22reduce_config_selectorIxEEZNS1_11reduce_implILb1ES3_N6thrust23THRUST_200600_302600_NS6detail15normal_iteratorINS8_10device_ptrIxEEEEPxx9plus_mod3IxEEE10hipError_tPvRmT1_T2_T3_mT4_P12ihipStream_tbEUlT_E0_NS1_11comp_targetILNS1_3genE9ELNS1_11target_archE1100ELNS1_3gpuE3ELNS1_3repE0EEENS1_30default_config_static_selectorELNS0_4arch9wavefront6targetE1EEEvSK_
	.globl	_ZN7rocprim17ROCPRIM_400000_NS6detail17trampoline_kernelINS0_14default_configENS1_22reduce_config_selectorIxEEZNS1_11reduce_implILb1ES3_N6thrust23THRUST_200600_302600_NS6detail15normal_iteratorINS8_10device_ptrIxEEEEPxx9plus_mod3IxEEE10hipError_tPvRmT1_T2_T3_mT4_P12ihipStream_tbEUlT_E0_NS1_11comp_targetILNS1_3genE9ELNS1_11target_archE1100ELNS1_3gpuE3ELNS1_3repE0EEENS1_30default_config_static_selectorELNS0_4arch9wavefront6targetE1EEEvSK_
	.p2align	8
	.type	_ZN7rocprim17ROCPRIM_400000_NS6detail17trampoline_kernelINS0_14default_configENS1_22reduce_config_selectorIxEEZNS1_11reduce_implILb1ES3_N6thrust23THRUST_200600_302600_NS6detail15normal_iteratorINS8_10device_ptrIxEEEEPxx9plus_mod3IxEEE10hipError_tPvRmT1_T2_T3_mT4_P12ihipStream_tbEUlT_E0_NS1_11comp_targetILNS1_3genE9ELNS1_11target_archE1100ELNS1_3gpuE3ELNS1_3repE0EEENS1_30default_config_static_selectorELNS0_4arch9wavefront6targetE1EEEvSK_,@function
_ZN7rocprim17ROCPRIM_400000_NS6detail17trampoline_kernelINS0_14default_configENS1_22reduce_config_selectorIxEEZNS1_11reduce_implILb1ES3_N6thrust23THRUST_200600_302600_NS6detail15normal_iteratorINS8_10device_ptrIxEEEEPxx9plus_mod3IxEEE10hipError_tPvRmT1_T2_T3_mT4_P12ihipStream_tbEUlT_E0_NS1_11comp_targetILNS1_3genE9ELNS1_11target_archE1100ELNS1_3gpuE3ELNS1_3repE0EEENS1_30default_config_static_selectorELNS0_4arch9wavefront6targetE1EEEvSK_: ; @_ZN7rocprim17ROCPRIM_400000_NS6detail17trampoline_kernelINS0_14default_configENS1_22reduce_config_selectorIxEEZNS1_11reduce_implILb1ES3_N6thrust23THRUST_200600_302600_NS6detail15normal_iteratorINS8_10device_ptrIxEEEEPxx9plus_mod3IxEEE10hipError_tPvRmT1_T2_T3_mT4_P12ihipStream_tbEUlT_E0_NS1_11comp_targetILNS1_3genE9ELNS1_11target_archE1100ELNS1_3gpuE3ELNS1_3repE0EEENS1_30default_config_static_selectorELNS0_4arch9wavefront6targetE1EEEvSK_
; %bb.0:
	.section	.rodata,"a",@progbits
	.p2align	6, 0x0
	.amdhsa_kernel _ZN7rocprim17ROCPRIM_400000_NS6detail17trampoline_kernelINS0_14default_configENS1_22reduce_config_selectorIxEEZNS1_11reduce_implILb1ES3_N6thrust23THRUST_200600_302600_NS6detail15normal_iteratorINS8_10device_ptrIxEEEEPxx9plus_mod3IxEEE10hipError_tPvRmT1_T2_T3_mT4_P12ihipStream_tbEUlT_E0_NS1_11comp_targetILNS1_3genE9ELNS1_11target_archE1100ELNS1_3gpuE3ELNS1_3repE0EEENS1_30default_config_static_selectorELNS0_4arch9wavefront6targetE1EEEvSK_
		.amdhsa_group_segment_fixed_size 0
		.amdhsa_private_segment_fixed_size 0
		.amdhsa_kernarg_size 64
		.amdhsa_user_sgpr_count 2
		.amdhsa_user_sgpr_dispatch_ptr 0
		.amdhsa_user_sgpr_queue_ptr 0
		.amdhsa_user_sgpr_kernarg_segment_ptr 1
		.amdhsa_user_sgpr_dispatch_id 0
		.amdhsa_user_sgpr_kernarg_preload_length 0
		.amdhsa_user_sgpr_kernarg_preload_offset 0
		.amdhsa_user_sgpr_private_segment_size 0
		.amdhsa_uses_dynamic_stack 0
		.amdhsa_enable_private_segment 0
		.amdhsa_system_sgpr_workgroup_id_x 1
		.amdhsa_system_sgpr_workgroup_id_y 0
		.amdhsa_system_sgpr_workgroup_id_z 0
		.amdhsa_system_sgpr_workgroup_info 0
		.amdhsa_system_vgpr_workitem_id 0
		.amdhsa_next_free_vgpr 1
		.amdhsa_next_free_sgpr 0
		.amdhsa_accum_offset 4
		.amdhsa_reserve_vcc 0
		.amdhsa_float_round_mode_32 0
		.amdhsa_float_round_mode_16_64 0
		.amdhsa_float_denorm_mode_32 3
		.amdhsa_float_denorm_mode_16_64 3
		.amdhsa_dx10_clamp 1
		.amdhsa_ieee_mode 1
		.amdhsa_fp16_overflow 0
		.amdhsa_tg_split 0
		.amdhsa_exception_fp_ieee_invalid_op 0
		.amdhsa_exception_fp_denorm_src 0
		.amdhsa_exception_fp_ieee_div_zero 0
		.amdhsa_exception_fp_ieee_overflow 0
		.amdhsa_exception_fp_ieee_underflow 0
		.amdhsa_exception_fp_ieee_inexact 0
		.amdhsa_exception_int_div_zero 0
	.end_amdhsa_kernel
	.section	.text._ZN7rocprim17ROCPRIM_400000_NS6detail17trampoline_kernelINS0_14default_configENS1_22reduce_config_selectorIxEEZNS1_11reduce_implILb1ES3_N6thrust23THRUST_200600_302600_NS6detail15normal_iteratorINS8_10device_ptrIxEEEEPxx9plus_mod3IxEEE10hipError_tPvRmT1_T2_T3_mT4_P12ihipStream_tbEUlT_E0_NS1_11comp_targetILNS1_3genE9ELNS1_11target_archE1100ELNS1_3gpuE3ELNS1_3repE0EEENS1_30default_config_static_selectorELNS0_4arch9wavefront6targetE1EEEvSK_,"axG",@progbits,_ZN7rocprim17ROCPRIM_400000_NS6detail17trampoline_kernelINS0_14default_configENS1_22reduce_config_selectorIxEEZNS1_11reduce_implILb1ES3_N6thrust23THRUST_200600_302600_NS6detail15normal_iteratorINS8_10device_ptrIxEEEEPxx9plus_mod3IxEEE10hipError_tPvRmT1_T2_T3_mT4_P12ihipStream_tbEUlT_E0_NS1_11comp_targetILNS1_3genE9ELNS1_11target_archE1100ELNS1_3gpuE3ELNS1_3repE0EEENS1_30default_config_static_selectorELNS0_4arch9wavefront6targetE1EEEvSK_,comdat
.Lfunc_end900:
	.size	_ZN7rocprim17ROCPRIM_400000_NS6detail17trampoline_kernelINS0_14default_configENS1_22reduce_config_selectorIxEEZNS1_11reduce_implILb1ES3_N6thrust23THRUST_200600_302600_NS6detail15normal_iteratorINS8_10device_ptrIxEEEEPxx9plus_mod3IxEEE10hipError_tPvRmT1_T2_T3_mT4_P12ihipStream_tbEUlT_E0_NS1_11comp_targetILNS1_3genE9ELNS1_11target_archE1100ELNS1_3gpuE3ELNS1_3repE0EEENS1_30default_config_static_selectorELNS0_4arch9wavefront6targetE1EEEvSK_, .Lfunc_end900-_ZN7rocprim17ROCPRIM_400000_NS6detail17trampoline_kernelINS0_14default_configENS1_22reduce_config_selectorIxEEZNS1_11reduce_implILb1ES3_N6thrust23THRUST_200600_302600_NS6detail15normal_iteratorINS8_10device_ptrIxEEEEPxx9plus_mod3IxEEE10hipError_tPvRmT1_T2_T3_mT4_P12ihipStream_tbEUlT_E0_NS1_11comp_targetILNS1_3genE9ELNS1_11target_archE1100ELNS1_3gpuE3ELNS1_3repE0EEENS1_30default_config_static_selectorELNS0_4arch9wavefront6targetE1EEEvSK_
                                        ; -- End function
	.set _ZN7rocprim17ROCPRIM_400000_NS6detail17trampoline_kernelINS0_14default_configENS1_22reduce_config_selectorIxEEZNS1_11reduce_implILb1ES3_N6thrust23THRUST_200600_302600_NS6detail15normal_iteratorINS8_10device_ptrIxEEEEPxx9plus_mod3IxEEE10hipError_tPvRmT1_T2_T3_mT4_P12ihipStream_tbEUlT_E0_NS1_11comp_targetILNS1_3genE9ELNS1_11target_archE1100ELNS1_3gpuE3ELNS1_3repE0EEENS1_30default_config_static_selectorELNS0_4arch9wavefront6targetE1EEEvSK_.num_vgpr, 0
	.set _ZN7rocprim17ROCPRIM_400000_NS6detail17trampoline_kernelINS0_14default_configENS1_22reduce_config_selectorIxEEZNS1_11reduce_implILb1ES3_N6thrust23THRUST_200600_302600_NS6detail15normal_iteratorINS8_10device_ptrIxEEEEPxx9plus_mod3IxEEE10hipError_tPvRmT1_T2_T3_mT4_P12ihipStream_tbEUlT_E0_NS1_11comp_targetILNS1_3genE9ELNS1_11target_archE1100ELNS1_3gpuE3ELNS1_3repE0EEENS1_30default_config_static_selectorELNS0_4arch9wavefront6targetE1EEEvSK_.num_agpr, 0
	.set _ZN7rocprim17ROCPRIM_400000_NS6detail17trampoline_kernelINS0_14default_configENS1_22reduce_config_selectorIxEEZNS1_11reduce_implILb1ES3_N6thrust23THRUST_200600_302600_NS6detail15normal_iteratorINS8_10device_ptrIxEEEEPxx9plus_mod3IxEEE10hipError_tPvRmT1_T2_T3_mT4_P12ihipStream_tbEUlT_E0_NS1_11comp_targetILNS1_3genE9ELNS1_11target_archE1100ELNS1_3gpuE3ELNS1_3repE0EEENS1_30default_config_static_selectorELNS0_4arch9wavefront6targetE1EEEvSK_.numbered_sgpr, 0
	.set _ZN7rocprim17ROCPRIM_400000_NS6detail17trampoline_kernelINS0_14default_configENS1_22reduce_config_selectorIxEEZNS1_11reduce_implILb1ES3_N6thrust23THRUST_200600_302600_NS6detail15normal_iteratorINS8_10device_ptrIxEEEEPxx9plus_mod3IxEEE10hipError_tPvRmT1_T2_T3_mT4_P12ihipStream_tbEUlT_E0_NS1_11comp_targetILNS1_3genE9ELNS1_11target_archE1100ELNS1_3gpuE3ELNS1_3repE0EEENS1_30default_config_static_selectorELNS0_4arch9wavefront6targetE1EEEvSK_.num_named_barrier, 0
	.set _ZN7rocprim17ROCPRIM_400000_NS6detail17trampoline_kernelINS0_14default_configENS1_22reduce_config_selectorIxEEZNS1_11reduce_implILb1ES3_N6thrust23THRUST_200600_302600_NS6detail15normal_iteratorINS8_10device_ptrIxEEEEPxx9plus_mod3IxEEE10hipError_tPvRmT1_T2_T3_mT4_P12ihipStream_tbEUlT_E0_NS1_11comp_targetILNS1_3genE9ELNS1_11target_archE1100ELNS1_3gpuE3ELNS1_3repE0EEENS1_30default_config_static_selectorELNS0_4arch9wavefront6targetE1EEEvSK_.private_seg_size, 0
	.set _ZN7rocprim17ROCPRIM_400000_NS6detail17trampoline_kernelINS0_14default_configENS1_22reduce_config_selectorIxEEZNS1_11reduce_implILb1ES3_N6thrust23THRUST_200600_302600_NS6detail15normal_iteratorINS8_10device_ptrIxEEEEPxx9plus_mod3IxEEE10hipError_tPvRmT1_T2_T3_mT4_P12ihipStream_tbEUlT_E0_NS1_11comp_targetILNS1_3genE9ELNS1_11target_archE1100ELNS1_3gpuE3ELNS1_3repE0EEENS1_30default_config_static_selectorELNS0_4arch9wavefront6targetE1EEEvSK_.uses_vcc, 0
	.set _ZN7rocprim17ROCPRIM_400000_NS6detail17trampoline_kernelINS0_14default_configENS1_22reduce_config_selectorIxEEZNS1_11reduce_implILb1ES3_N6thrust23THRUST_200600_302600_NS6detail15normal_iteratorINS8_10device_ptrIxEEEEPxx9plus_mod3IxEEE10hipError_tPvRmT1_T2_T3_mT4_P12ihipStream_tbEUlT_E0_NS1_11comp_targetILNS1_3genE9ELNS1_11target_archE1100ELNS1_3gpuE3ELNS1_3repE0EEENS1_30default_config_static_selectorELNS0_4arch9wavefront6targetE1EEEvSK_.uses_flat_scratch, 0
	.set _ZN7rocprim17ROCPRIM_400000_NS6detail17trampoline_kernelINS0_14default_configENS1_22reduce_config_selectorIxEEZNS1_11reduce_implILb1ES3_N6thrust23THRUST_200600_302600_NS6detail15normal_iteratorINS8_10device_ptrIxEEEEPxx9plus_mod3IxEEE10hipError_tPvRmT1_T2_T3_mT4_P12ihipStream_tbEUlT_E0_NS1_11comp_targetILNS1_3genE9ELNS1_11target_archE1100ELNS1_3gpuE3ELNS1_3repE0EEENS1_30default_config_static_selectorELNS0_4arch9wavefront6targetE1EEEvSK_.has_dyn_sized_stack, 0
	.set _ZN7rocprim17ROCPRIM_400000_NS6detail17trampoline_kernelINS0_14default_configENS1_22reduce_config_selectorIxEEZNS1_11reduce_implILb1ES3_N6thrust23THRUST_200600_302600_NS6detail15normal_iteratorINS8_10device_ptrIxEEEEPxx9plus_mod3IxEEE10hipError_tPvRmT1_T2_T3_mT4_P12ihipStream_tbEUlT_E0_NS1_11comp_targetILNS1_3genE9ELNS1_11target_archE1100ELNS1_3gpuE3ELNS1_3repE0EEENS1_30default_config_static_selectorELNS0_4arch9wavefront6targetE1EEEvSK_.has_recursion, 0
	.set _ZN7rocprim17ROCPRIM_400000_NS6detail17trampoline_kernelINS0_14default_configENS1_22reduce_config_selectorIxEEZNS1_11reduce_implILb1ES3_N6thrust23THRUST_200600_302600_NS6detail15normal_iteratorINS8_10device_ptrIxEEEEPxx9plus_mod3IxEEE10hipError_tPvRmT1_T2_T3_mT4_P12ihipStream_tbEUlT_E0_NS1_11comp_targetILNS1_3genE9ELNS1_11target_archE1100ELNS1_3gpuE3ELNS1_3repE0EEENS1_30default_config_static_selectorELNS0_4arch9wavefront6targetE1EEEvSK_.has_indirect_call, 0
	.section	.AMDGPU.csdata,"",@progbits
; Kernel info:
; codeLenInByte = 0
; TotalNumSgprs: 6
; NumVgprs: 0
; NumAgprs: 0
; TotalNumVgprs: 0
; ScratchSize: 0
; MemoryBound: 0
; FloatMode: 240
; IeeeMode: 1
; LDSByteSize: 0 bytes/workgroup (compile time only)
; SGPRBlocks: 0
; VGPRBlocks: 0
; NumSGPRsForWavesPerEU: 6
; NumVGPRsForWavesPerEU: 1
; AccumOffset: 4
; Occupancy: 8
; WaveLimiterHint : 0
; COMPUTE_PGM_RSRC2:SCRATCH_EN: 0
; COMPUTE_PGM_RSRC2:USER_SGPR: 2
; COMPUTE_PGM_RSRC2:TRAP_HANDLER: 0
; COMPUTE_PGM_RSRC2:TGID_X_EN: 1
; COMPUTE_PGM_RSRC2:TGID_Y_EN: 0
; COMPUTE_PGM_RSRC2:TGID_Z_EN: 0
; COMPUTE_PGM_RSRC2:TIDIG_COMP_CNT: 0
; COMPUTE_PGM_RSRC3_GFX90A:ACCUM_OFFSET: 0
; COMPUTE_PGM_RSRC3_GFX90A:TG_SPLIT: 0
	.section	.text._ZN7rocprim17ROCPRIM_400000_NS6detail17trampoline_kernelINS0_14default_configENS1_22reduce_config_selectorIxEEZNS1_11reduce_implILb1ES3_N6thrust23THRUST_200600_302600_NS6detail15normal_iteratorINS8_10device_ptrIxEEEEPxx9plus_mod3IxEEE10hipError_tPvRmT1_T2_T3_mT4_P12ihipStream_tbEUlT_E0_NS1_11comp_targetILNS1_3genE8ELNS1_11target_archE1030ELNS1_3gpuE2ELNS1_3repE0EEENS1_30default_config_static_selectorELNS0_4arch9wavefront6targetE1EEEvSK_,"axG",@progbits,_ZN7rocprim17ROCPRIM_400000_NS6detail17trampoline_kernelINS0_14default_configENS1_22reduce_config_selectorIxEEZNS1_11reduce_implILb1ES3_N6thrust23THRUST_200600_302600_NS6detail15normal_iteratorINS8_10device_ptrIxEEEEPxx9plus_mod3IxEEE10hipError_tPvRmT1_T2_T3_mT4_P12ihipStream_tbEUlT_E0_NS1_11comp_targetILNS1_3genE8ELNS1_11target_archE1030ELNS1_3gpuE2ELNS1_3repE0EEENS1_30default_config_static_selectorELNS0_4arch9wavefront6targetE1EEEvSK_,comdat
	.protected	_ZN7rocprim17ROCPRIM_400000_NS6detail17trampoline_kernelINS0_14default_configENS1_22reduce_config_selectorIxEEZNS1_11reduce_implILb1ES3_N6thrust23THRUST_200600_302600_NS6detail15normal_iteratorINS8_10device_ptrIxEEEEPxx9plus_mod3IxEEE10hipError_tPvRmT1_T2_T3_mT4_P12ihipStream_tbEUlT_E0_NS1_11comp_targetILNS1_3genE8ELNS1_11target_archE1030ELNS1_3gpuE2ELNS1_3repE0EEENS1_30default_config_static_selectorELNS0_4arch9wavefront6targetE1EEEvSK_ ; -- Begin function _ZN7rocprim17ROCPRIM_400000_NS6detail17trampoline_kernelINS0_14default_configENS1_22reduce_config_selectorIxEEZNS1_11reduce_implILb1ES3_N6thrust23THRUST_200600_302600_NS6detail15normal_iteratorINS8_10device_ptrIxEEEEPxx9plus_mod3IxEEE10hipError_tPvRmT1_T2_T3_mT4_P12ihipStream_tbEUlT_E0_NS1_11comp_targetILNS1_3genE8ELNS1_11target_archE1030ELNS1_3gpuE2ELNS1_3repE0EEENS1_30default_config_static_selectorELNS0_4arch9wavefront6targetE1EEEvSK_
	.globl	_ZN7rocprim17ROCPRIM_400000_NS6detail17trampoline_kernelINS0_14default_configENS1_22reduce_config_selectorIxEEZNS1_11reduce_implILb1ES3_N6thrust23THRUST_200600_302600_NS6detail15normal_iteratorINS8_10device_ptrIxEEEEPxx9plus_mod3IxEEE10hipError_tPvRmT1_T2_T3_mT4_P12ihipStream_tbEUlT_E0_NS1_11comp_targetILNS1_3genE8ELNS1_11target_archE1030ELNS1_3gpuE2ELNS1_3repE0EEENS1_30default_config_static_selectorELNS0_4arch9wavefront6targetE1EEEvSK_
	.p2align	8
	.type	_ZN7rocprim17ROCPRIM_400000_NS6detail17trampoline_kernelINS0_14default_configENS1_22reduce_config_selectorIxEEZNS1_11reduce_implILb1ES3_N6thrust23THRUST_200600_302600_NS6detail15normal_iteratorINS8_10device_ptrIxEEEEPxx9plus_mod3IxEEE10hipError_tPvRmT1_T2_T3_mT4_P12ihipStream_tbEUlT_E0_NS1_11comp_targetILNS1_3genE8ELNS1_11target_archE1030ELNS1_3gpuE2ELNS1_3repE0EEENS1_30default_config_static_selectorELNS0_4arch9wavefront6targetE1EEEvSK_,@function
_ZN7rocprim17ROCPRIM_400000_NS6detail17trampoline_kernelINS0_14default_configENS1_22reduce_config_selectorIxEEZNS1_11reduce_implILb1ES3_N6thrust23THRUST_200600_302600_NS6detail15normal_iteratorINS8_10device_ptrIxEEEEPxx9plus_mod3IxEEE10hipError_tPvRmT1_T2_T3_mT4_P12ihipStream_tbEUlT_E0_NS1_11comp_targetILNS1_3genE8ELNS1_11target_archE1030ELNS1_3gpuE2ELNS1_3repE0EEENS1_30default_config_static_selectorELNS0_4arch9wavefront6targetE1EEEvSK_: ; @_ZN7rocprim17ROCPRIM_400000_NS6detail17trampoline_kernelINS0_14default_configENS1_22reduce_config_selectorIxEEZNS1_11reduce_implILb1ES3_N6thrust23THRUST_200600_302600_NS6detail15normal_iteratorINS8_10device_ptrIxEEEEPxx9plus_mod3IxEEE10hipError_tPvRmT1_T2_T3_mT4_P12ihipStream_tbEUlT_E0_NS1_11comp_targetILNS1_3genE8ELNS1_11target_archE1030ELNS1_3gpuE2ELNS1_3repE0EEENS1_30default_config_static_selectorELNS0_4arch9wavefront6targetE1EEEvSK_
; %bb.0:
	.section	.rodata,"a",@progbits
	.p2align	6, 0x0
	.amdhsa_kernel _ZN7rocprim17ROCPRIM_400000_NS6detail17trampoline_kernelINS0_14default_configENS1_22reduce_config_selectorIxEEZNS1_11reduce_implILb1ES3_N6thrust23THRUST_200600_302600_NS6detail15normal_iteratorINS8_10device_ptrIxEEEEPxx9plus_mod3IxEEE10hipError_tPvRmT1_T2_T3_mT4_P12ihipStream_tbEUlT_E0_NS1_11comp_targetILNS1_3genE8ELNS1_11target_archE1030ELNS1_3gpuE2ELNS1_3repE0EEENS1_30default_config_static_selectorELNS0_4arch9wavefront6targetE1EEEvSK_
		.amdhsa_group_segment_fixed_size 0
		.amdhsa_private_segment_fixed_size 0
		.amdhsa_kernarg_size 64
		.amdhsa_user_sgpr_count 2
		.amdhsa_user_sgpr_dispatch_ptr 0
		.amdhsa_user_sgpr_queue_ptr 0
		.amdhsa_user_sgpr_kernarg_segment_ptr 1
		.amdhsa_user_sgpr_dispatch_id 0
		.amdhsa_user_sgpr_kernarg_preload_length 0
		.amdhsa_user_sgpr_kernarg_preload_offset 0
		.amdhsa_user_sgpr_private_segment_size 0
		.amdhsa_uses_dynamic_stack 0
		.amdhsa_enable_private_segment 0
		.amdhsa_system_sgpr_workgroup_id_x 1
		.amdhsa_system_sgpr_workgroup_id_y 0
		.amdhsa_system_sgpr_workgroup_id_z 0
		.amdhsa_system_sgpr_workgroup_info 0
		.amdhsa_system_vgpr_workitem_id 0
		.amdhsa_next_free_vgpr 1
		.amdhsa_next_free_sgpr 0
		.amdhsa_accum_offset 4
		.amdhsa_reserve_vcc 0
		.amdhsa_float_round_mode_32 0
		.amdhsa_float_round_mode_16_64 0
		.amdhsa_float_denorm_mode_32 3
		.amdhsa_float_denorm_mode_16_64 3
		.amdhsa_dx10_clamp 1
		.amdhsa_ieee_mode 1
		.amdhsa_fp16_overflow 0
		.amdhsa_tg_split 0
		.amdhsa_exception_fp_ieee_invalid_op 0
		.amdhsa_exception_fp_denorm_src 0
		.amdhsa_exception_fp_ieee_div_zero 0
		.amdhsa_exception_fp_ieee_overflow 0
		.amdhsa_exception_fp_ieee_underflow 0
		.amdhsa_exception_fp_ieee_inexact 0
		.amdhsa_exception_int_div_zero 0
	.end_amdhsa_kernel
	.section	.text._ZN7rocprim17ROCPRIM_400000_NS6detail17trampoline_kernelINS0_14default_configENS1_22reduce_config_selectorIxEEZNS1_11reduce_implILb1ES3_N6thrust23THRUST_200600_302600_NS6detail15normal_iteratorINS8_10device_ptrIxEEEEPxx9plus_mod3IxEEE10hipError_tPvRmT1_T2_T3_mT4_P12ihipStream_tbEUlT_E0_NS1_11comp_targetILNS1_3genE8ELNS1_11target_archE1030ELNS1_3gpuE2ELNS1_3repE0EEENS1_30default_config_static_selectorELNS0_4arch9wavefront6targetE1EEEvSK_,"axG",@progbits,_ZN7rocprim17ROCPRIM_400000_NS6detail17trampoline_kernelINS0_14default_configENS1_22reduce_config_selectorIxEEZNS1_11reduce_implILb1ES3_N6thrust23THRUST_200600_302600_NS6detail15normal_iteratorINS8_10device_ptrIxEEEEPxx9plus_mod3IxEEE10hipError_tPvRmT1_T2_T3_mT4_P12ihipStream_tbEUlT_E0_NS1_11comp_targetILNS1_3genE8ELNS1_11target_archE1030ELNS1_3gpuE2ELNS1_3repE0EEENS1_30default_config_static_selectorELNS0_4arch9wavefront6targetE1EEEvSK_,comdat
.Lfunc_end901:
	.size	_ZN7rocprim17ROCPRIM_400000_NS6detail17trampoline_kernelINS0_14default_configENS1_22reduce_config_selectorIxEEZNS1_11reduce_implILb1ES3_N6thrust23THRUST_200600_302600_NS6detail15normal_iteratorINS8_10device_ptrIxEEEEPxx9plus_mod3IxEEE10hipError_tPvRmT1_T2_T3_mT4_P12ihipStream_tbEUlT_E0_NS1_11comp_targetILNS1_3genE8ELNS1_11target_archE1030ELNS1_3gpuE2ELNS1_3repE0EEENS1_30default_config_static_selectorELNS0_4arch9wavefront6targetE1EEEvSK_, .Lfunc_end901-_ZN7rocprim17ROCPRIM_400000_NS6detail17trampoline_kernelINS0_14default_configENS1_22reduce_config_selectorIxEEZNS1_11reduce_implILb1ES3_N6thrust23THRUST_200600_302600_NS6detail15normal_iteratorINS8_10device_ptrIxEEEEPxx9plus_mod3IxEEE10hipError_tPvRmT1_T2_T3_mT4_P12ihipStream_tbEUlT_E0_NS1_11comp_targetILNS1_3genE8ELNS1_11target_archE1030ELNS1_3gpuE2ELNS1_3repE0EEENS1_30default_config_static_selectorELNS0_4arch9wavefront6targetE1EEEvSK_
                                        ; -- End function
	.set _ZN7rocprim17ROCPRIM_400000_NS6detail17trampoline_kernelINS0_14default_configENS1_22reduce_config_selectorIxEEZNS1_11reduce_implILb1ES3_N6thrust23THRUST_200600_302600_NS6detail15normal_iteratorINS8_10device_ptrIxEEEEPxx9plus_mod3IxEEE10hipError_tPvRmT1_T2_T3_mT4_P12ihipStream_tbEUlT_E0_NS1_11comp_targetILNS1_3genE8ELNS1_11target_archE1030ELNS1_3gpuE2ELNS1_3repE0EEENS1_30default_config_static_selectorELNS0_4arch9wavefront6targetE1EEEvSK_.num_vgpr, 0
	.set _ZN7rocprim17ROCPRIM_400000_NS6detail17trampoline_kernelINS0_14default_configENS1_22reduce_config_selectorIxEEZNS1_11reduce_implILb1ES3_N6thrust23THRUST_200600_302600_NS6detail15normal_iteratorINS8_10device_ptrIxEEEEPxx9plus_mod3IxEEE10hipError_tPvRmT1_T2_T3_mT4_P12ihipStream_tbEUlT_E0_NS1_11comp_targetILNS1_3genE8ELNS1_11target_archE1030ELNS1_3gpuE2ELNS1_3repE0EEENS1_30default_config_static_selectorELNS0_4arch9wavefront6targetE1EEEvSK_.num_agpr, 0
	.set _ZN7rocprim17ROCPRIM_400000_NS6detail17trampoline_kernelINS0_14default_configENS1_22reduce_config_selectorIxEEZNS1_11reduce_implILb1ES3_N6thrust23THRUST_200600_302600_NS6detail15normal_iteratorINS8_10device_ptrIxEEEEPxx9plus_mod3IxEEE10hipError_tPvRmT1_T2_T3_mT4_P12ihipStream_tbEUlT_E0_NS1_11comp_targetILNS1_3genE8ELNS1_11target_archE1030ELNS1_3gpuE2ELNS1_3repE0EEENS1_30default_config_static_selectorELNS0_4arch9wavefront6targetE1EEEvSK_.numbered_sgpr, 0
	.set _ZN7rocprim17ROCPRIM_400000_NS6detail17trampoline_kernelINS0_14default_configENS1_22reduce_config_selectorIxEEZNS1_11reduce_implILb1ES3_N6thrust23THRUST_200600_302600_NS6detail15normal_iteratorINS8_10device_ptrIxEEEEPxx9plus_mod3IxEEE10hipError_tPvRmT1_T2_T3_mT4_P12ihipStream_tbEUlT_E0_NS1_11comp_targetILNS1_3genE8ELNS1_11target_archE1030ELNS1_3gpuE2ELNS1_3repE0EEENS1_30default_config_static_selectorELNS0_4arch9wavefront6targetE1EEEvSK_.num_named_barrier, 0
	.set _ZN7rocprim17ROCPRIM_400000_NS6detail17trampoline_kernelINS0_14default_configENS1_22reduce_config_selectorIxEEZNS1_11reduce_implILb1ES3_N6thrust23THRUST_200600_302600_NS6detail15normal_iteratorINS8_10device_ptrIxEEEEPxx9plus_mod3IxEEE10hipError_tPvRmT1_T2_T3_mT4_P12ihipStream_tbEUlT_E0_NS1_11comp_targetILNS1_3genE8ELNS1_11target_archE1030ELNS1_3gpuE2ELNS1_3repE0EEENS1_30default_config_static_selectorELNS0_4arch9wavefront6targetE1EEEvSK_.private_seg_size, 0
	.set _ZN7rocprim17ROCPRIM_400000_NS6detail17trampoline_kernelINS0_14default_configENS1_22reduce_config_selectorIxEEZNS1_11reduce_implILb1ES3_N6thrust23THRUST_200600_302600_NS6detail15normal_iteratorINS8_10device_ptrIxEEEEPxx9plus_mod3IxEEE10hipError_tPvRmT1_T2_T3_mT4_P12ihipStream_tbEUlT_E0_NS1_11comp_targetILNS1_3genE8ELNS1_11target_archE1030ELNS1_3gpuE2ELNS1_3repE0EEENS1_30default_config_static_selectorELNS0_4arch9wavefront6targetE1EEEvSK_.uses_vcc, 0
	.set _ZN7rocprim17ROCPRIM_400000_NS6detail17trampoline_kernelINS0_14default_configENS1_22reduce_config_selectorIxEEZNS1_11reduce_implILb1ES3_N6thrust23THRUST_200600_302600_NS6detail15normal_iteratorINS8_10device_ptrIxEEEEPxx9plus_mod3IxEEE10hipError_tPvRmT1_T2_T3_mT4_P12ihipStream_tbEUlT_E0_NS1_11comp_targetILNS1_3genE8ELNS1_11target_archE1030ELNS1_3gpuE2ELNS1_3repE0EEENS1_30default_config_static_selectorELNS0_4arch9wavefront6targetE1EEEvSK_.uses_flat_scratch, 0
	.set _ZN7rocprim17ROCPRIM_400000_NS6detail17trampoline_kernelINS0_14default_configENS1_22reduce_config_selectorIxEEZNS1_11reduce_implILb1ES3_N6thrust23THRUST_200600_302600_NS6detail15normal_iteratorINS8_10device_ptrIxEEEEPxx9plus_mod3IxEEE10hipError_tPvRmT1_T2_T3_mT4_P12ihipStream_tbEUlT_E0_NS1_11comp_targetILNS1_3genE8ELNS1_11target_archE1030ELNS1_3gpuE2ELNS1_3repE0EEENS1_30default_config_static_selectorELNS0_4arch9wavefront6targetE1EEEvSK_.has_dyn_sized_stack, 0
	.set _ZN7rocprim17ROCPRIM_400000_NS6detail17trampoline_kernelINS0_14default_configENS1_22reduce_config_selectorIxEEZNS1_11reduce_implILb1ES3_N6thrust23THRUST_200600_302600_NS6detail15normal_iteratorINS8_10device_ptrIxEEEEPxx9plus_mod3IxEEE10hipError_tPvRmT1_T2_T3_mT4_P12ihipStream_tbEUlT_E0_NS1_11comp_targetILNS1_3genE8ELNS1_11target_archE1030ELNS1_3gpuE2ELNS1_3repE0EEENS1_30default_config_static_selectorELNS0_4arch9wavefront6targetE1EEEvSK_.has_recursion, 0
	.set _ZN7rocprim17ROCPRIM_400000_NS6detail17trampoline_kernelINS0_14default_configENS1_22reduce_config_selectorIxEEZNS1_11reduce_implILb1ES3_N6thrust23THRUST_200600_302600_NS6detail15normal_iteratorINS8_10device_ptrIxEEEEPxx9plus_mod3IxEEE10hipError_tPvRmT1_T2_T3_mT4_P12ihipStream_tbEUlT_E0_NS1_11comp_targetILNS1_3genE8ELNS1_11target_archE1030ELNS1_3gpuE2ELNS1_3repE0EEENS1_30default_config_static_selectorELNS0_4arch9wavefront6targetE1EEEvSK_.has_indirect_call, 0
	.section	.AMDGPU.csdata,"",@progbits
; Kernel info:
; codeLenInByte = 0
; TotalNumSgprs: 6
; NumVgprs: 0
; NumAgprs: 0
; TotalNumVgprs: 0
; ScratchSize: 0
; MemoryBound: 0
; FloatMode: 240
; IeeeMode: 1
; LDSByteSize: 0 bytes/workgroup (compile time only)
; SGPRBlocks: 0
; VGPRBlocks: 0
; NumSGPRsForWavesPerEU: 6
; NumVGPRsForWavesPerEU: 1
; AccumOffset: 4
; Occupancy: 8
; WaveLimiterHint : 0
; COMPUTE_PGM_RSRC2:SCRATCH_EN: 0
; COMPUTE_PGM_RSRC2:USER_SGPR: 2
; COMPUTE_PGM_RSRC2:TRAP_HANDLER: 0
; COMPUTE_PGM_RSRC2:TGID_X_EN: 1
; COMPUTE_PGM_RSRC2:TGID_Y_EN: 0
; COMPUTE_PGM_RSRC2:TGID_Z_EN: 0
; COMPUTE_PGM_RSRC2:TIDIG_COMP_CNT: 0
; COMPUTE_PGM_RSRC3_GFX90A:ACCUM_OFFSET: 0
; COMPUTE_PGM_RSRC3_GFX90A:TG_SPLIT: 0
	.section	.text._ZN7rocprim17ROCPRIM_400000_NS6detail17trampoline_kernelINS0_14default_configENS1_22reduce_config_selectorIxEEZNS1_11reduce_implILb1ES3_N6thrust23THRUST_200600_302600_NS6detail15normal_iteratorINS8_10device_ptrIxEEEEPxx9plus_mod3IxEEE10hipError_tPvRmT1_T2_T3_mT4_P12ihipStream_tbEUlT_E1_NS1_11comp_targetILNS1_3genE0ELNS1_11target_archE4294967295ELNS1_3gpuE0ELNS1_3repE0EEENS1_30default_config_static_selectorELNS0_4arch9wavefront6targetE1EEEvSK_,"axG",@progbits,_ZN7rocprim17ROCPRIM_400000_NS6detail17trampoline_kernelINS0_14default_configENS1_22reduce_config_selectorIxEEZNS1_11reduce_implILb1ES3_N6thrust23THRUST_200600_302600_NS6detail15normal_iteratorINS8_10device_ptrIxEEEEPxx9plus_mod3IxEEE10hipError_tPvRmT1_T2_T3_mT4_P12ihipStream_tbEUlT_E1_NS1_11comp_targetILNS1_3genE0ELNS1_11target_archE4294967295ELNS1_3gpuE0ELNS1_3repE0EEENS1_30default_config_static_selectorELNS0_4arch9wavefront6targetE1EEEvSK_,comdat
	.protected	_ZN7rocprim17ROCPRIM_400000_NS6detail17trampoline_kernelINS0_14default_configENS1_22reduce_config_selectorIxEEZNS1_11reduce_implILb1ES3_N6thrust23THRUST_200600_302600_NS6detail15normal_iteratorINS8_10device_ptrIxEEEEPxx9plus_mod3IxEEE10hipError_tPvRmT1_T2_T3_mT4_P12ihipStream_tbEUlT_E1_NS1_11comp_targetILNS1_3genE0ELNS1_11target_archE4294967295ELNS1_3gpuE0ELNS1_3repE0EEENS1_30default_config_static_selectorELNS0_4arch9wavefront6targetE1EEEvSK_ ; -- Begin function _ZN7rocprim17ROCPRIM_400000_NS6detail17trampoline_kernelINS0_14default_configENS1_22reduce_config_selectorIxEEZNS1_11reduce_implILb1ES3_N6thrust23THRUST_200600_302600_NS6detail15normal_iteratorINS8_10device_ptrIxEEEEPxx9plus_mod3IxEEE10hipError_tPvRmT1_T2_T3_mT4_P12ihipStream_tbEUlT_E1_NS1_11comp_targetILNS1_3genE0ELNS1_11target_archE4294967295ELNS1_3gpuE0ELNS1_3repE0EEENS1_30default_config_static_selectorELNS0_4arch9wavefront6targetE1EEEvSK_
	.globl	_ZN7rocprim17ROCPRIM_400000_NS6detail17trampoline_kernelINS0_14default_configENS1_22reduce_config_selectorIxEEZNS1_11reduce_implILb1ES3_N6thrust23THRUST_200600_302600_NS6detail15normal_iteratorINS8_10device_ptrIxEEEEPxx9plus_mod3IxEEE10hipError_tPvRmT1_T2_T3_mT4_P12ihipStream_tbEUlT_E1_NS1_11comp_targetILNS1_3genE0ELNS1_11target_archE4294967295ELNS1_3gpuE0ELNS1_3repE0EEENS1_30default_config_static_selectorELNS0_4arch9wavefront6targetE1EEEvSK_
	.p2align	8
	.type	_ZN7rocprim17ROCPRIM_400000_NS6detail17trampoline_kernelINS0_14default_configENS1_22reduce_config_selectorIxEEZNS1_11reduce_implILb1ES3_N6thrust23THRUST_200600_302600_NS6detail15normal_iteratorINS8_10device_ptrIxEEEEPxx9plus_mod3IxEEE10hipError_tPvRmT1_T2_T3_mT4_P12ihipStream_tbEUlT_E1_NS1_11comp_targetILNS1_3genE0ELNS1_11target_archE4294967295ELNS1_3gpuE0ELNS1_3repE0EEENS1_30default_config_static_selectorELNS0_4arch9wavefront6targetE1EEEvSK_,@function
_ZN7rocprim17ROCPRIM_400000_NS6detail17trampoline_kernelINS0_14default_configENS1_22reduce_config_selectorIxEEZNS1_11reduce_implILb1ES3_N6thrust23THRUST_200600_302600_NS6detail15normal_iteratorINS8_10device_ptrIxEEEEPxx9plus_mod3IxEEE10hipError_tPvRmT1_T2_T3_mT4_P12ihipStream_tbEUlT_E1_NS1_11comp_targetILNS1_3genE0ELNS1_11target_archE4294967295ELNS1_3gpuE0ELNS1_3repE0EEENS1_30default_config_static_selectorELNS0_4arch9wavefront6targetE1EEEvSK_: ; @_ZN7rocprim17ROCPRIM_400000_NS6detail17trampoline_kernelINS0_14default_configENS1_22reduce_config_selectorIxEEZNS1_11reduce_implILb1ES3_N6thrust23THRUST_200600_302600_NS6detail15normal_iteratorINS8_10device_ptrIxEEEEPxx9plus_mod3IxEEE10hipError_tPvRmT1_T2_T3_mT4_P12ihipStream_tbEUlT_E1_NS1_11comp_targetILNS1_3genE0ELNS1_11target_archE4294967295ELNS1_3gpuE0ELNS1_3repE0EEENS1_30default_config_static_selectorELNS0_4arch9wavefront6targetE1EEEvSK_
; %bb.0:
	s_load_dword s33, s[0:1], 0x4
	s_load_dwordx8 s[36:43], s[0:1], 0x8
	s_load_dwordx2 s[30:31], s[0:1], 0x28
	s_waitcnt lgkmcnt(0)
	s_cmp_lt_i32 s33, 4
	s_cbranch_scc1 .LBB902_10
; %bb.1:
	s_cmp_gt_i32 s33, 7
	s_cbranch_scc0 .LBB902_11
; %bb.2:
	s_cmp_gt_i32 s33, 15
	s_cbranch_scc0 .LBB902_12
; %bb.3:
	s_mov_b64 s[34:35], 0
	s_cmp_eq_u32 s33, 16
	s_mov_b64 s[16:17], 0
	s_mov_b64 s[14:15], 0
                                        ; implicit-def: $vgpr2_vgpr3
	s_cbranch_scc0 .LBB902_13
; %bb.4:
	s_mov_b32 s3, 0
	s_lshl_b32 s0, s2, 12
	s_mov_b32 s1, s3
	s_lshr_b64 s[4:5], s[38:39], 12
	s_lshl_b64 s[6:7], s[0:1], 3
	s_add_u32 s46, s36, s6
	s_addc_u32 s47, s37, s7
	s_cmp_lg_u64 s[4:5], s[2:3]
	s_cbranch_scc0 .LBB902_22
; %bb.5:
	v_lshlrev_b32_e32 v2, 3, v0
	global_load_dword v1, v2, s[46:47]
	global_load_dword v7, v2, s[46:47] offset:2048
	v_mov_b32_e32 v3, 0
	v_lshl_add_u64 v[4:5], s[46:47], 0, v[2:3]
	v_mov_b32_e32 v6, v3
	v_add_co_u32_e32 v8, vcc, 0x1000, v4
	s_waitcnt vmcnt(0)
	v_add_u32_e32 v7, v7, v1
	v_ashrrev_i64 v[6:7], 29, v[6:7]
	v_addc_co_u32_e32 v9, vcc, 0, v5, vcc
	v_lshl_add_u64 v[6:7], s[30:31], 0, v[6:7]
	global_load_dword v2, v[8:9], off
	global_load_dword v1, v[6:7], off
	v_add_co_u32_e32 v10, vcc, 0x2000, v4
	v_mov_b32_e32 v6, v3
	s_nop 0
	v_addc_co_u32_e32 v11, vcc, 0, v5, vcc
	v_add_co_u32_e32 v12, vcc, 0x3000, v4
	s_waitcnt vmcnt(0)
	v_add_u32_e32 v7, v1, v2
	v_addc_co_u32_e32 v13, vcc, 0, v5, vcc
	v_ashrrev_i64 v[6:7], 29, v[6:7]
	v_add_co_u32_e32 v14, vcc, 0x4000, v4
	v_lshl_add_u64 v[6:7], s[30:31], 0, v[6:7]
	s_nop 0
	v_addc_co_u32_e32 v15, vcc, 0, v5, vcc
	global_load_dword v16, v[8:9], off offset:2048
	global_load_dword v17, v[10:11], off
	global_load_dword v18, v[10:11], off offset:2048
	global_load_dword v19, v[12:13], off
	;; [unrolled: 2-line block ×4, first 2 shown]
	v_mov_b32_e32 v6, v3
	v_add_co_u32_e32 v8, vcc, 0x5000, v4
	s_waitcnt vmcnt(0)
	v_add_u32_e32 v7, v1, v16
	v_ashrrev_i64 v[6:7], 29, v[6:7]
	v_lshl_add_u64 v[6:7], s[30:31], 0, v[6:7]
	global_load_dword v1, v[6:7], off
	v_mov_b32_e32 v6, v3
	v_addc_co_u32_e32 v9, vcc, 0, v5, vcc
	global_load_dword v2, v[8:9], off
	v_add_co_u32_e32 v10, vcc, 0x6000, v4
	s_waitcnt vmcnt(1)
	v_add_u32_e32 v7, v1, v17
	v_ashrrev_i64 v[6:7], 29, v[6:7]
	v_lshl_add_u64 v[6:7], s[30:31], 0, v[6:7]
	global_load_dword v1, v[6:7], off
	v_mov_b32_e32 v6, v3
	v_addc_co_u32_e32 v11, vcc, 0, v5, vcc
	v_add_co_u32_e32 v4, vcc, 0x7000, v4
	s_waitcnt vmcnt(0)
	v_add_u32_e32 v7, v1, v18
	v_ashrrev_i64 v[6:7], 29, v[6:7]
	v_lshl_add_u64 v[6:7], s[30:31], 0, v[6:7]
	global_load_dword v1, v[6:7], off
	v_mov_b32_e32 v6, v3
	v_addc_co_u32_e32 v5, vcc, 0, v5, vcc
	s_waitcnt vmcnt(0)
	v_add_u32_e32 v7, v1, v19
	v_ashrrev_i64 v[6:7], 29, v[6:7]
	v_lshl_add_u64 v[6:7], s[30:31], 0, v[6:7]
	global_load_dword v1, v[6:7], off
	v_mov_b32_e32 v6, v3
	s_waitcnt vmcnt(0)
	v_add_u32_e32 v7, v1, v20
	v_ashrrev_i64 v[6:7], 29, v[6:7]
	v_lshl_add_u64 v[6:7], s[30:31], 0, v[6:7]
	global_load_dword v1, v[6:7], off
	v_mov_b32_e32 v6, v3
	;; [unrolled: 6-line block ×4, first 2 shown]
	global_load_dword v12, v[8:9], off offset:2048
	global_load_dword v13, v[10:11], off
	global_load_dword v14, v[10:11], off offset:2048
	global_load_dword v15, v[4:5], off
	global_load_dword v16, v[4:5], off offset:2048
	s_waitcnt vmcnt(5)
	v_add_u32_e32 v7, v1, v2
	v_ashrrev_i64 v[4:5], 29, v[6:7]
	v_lshl_add_u64 v[4:5], s[30:31], 0, v[4:5]
	global_load_dword v1, v[4:5], off
	v_mov_b32_e32 v4, v3
	v_mov_b32_e32 v2, v3
	s_waitcnt vmcnt(0)
	v_add_u32_e32 v5, v1, v12
	v_ashrrev_i64 v[4:5], 29, v[4:5]
	v_lshl_add_u64 v[4:5], s[30:31], 0, v[4:5]
	global_load_dword v1, v[4:5], off
	v_mov_b32_e32 v4, v3
	s_waitcnt vmcnt(0)
	v_add_u32_e32 v5, v1, v13
	v_ashrrev_i64 v[4:5], 29, v[4:5]
	v_lshl_add_u64 v[4:5], s[30:31], 0, v[4:5]
	global_load_dword v1, v[4:5], off
	;; [unrolled: 6-line block ×5, first 2 shown]
	v_mov_b32_e32 v4, v3
	s_waitcnt vmcnt(0)
	v_add_u32_dpp v5, v1, v1 quad_perm:[1,0,3,2] row_mask:0xf bank_mask:0xf bound_ctrl:1
	v_ashrrev_i64 v[4:5], 29, v[4:5]
	v_lshl_add_u64 v[4:5], s[30:31], 0, v[4:5]
	global_load_dword v1, v[4:5], off
	v_mov_b32_e32 v4, v3
	s_waitcnt vmcnt(0)
	v_add_u32_dpp v5, v1, v1 quad_perm:[2,3,0,1] row_mask:0xf bank_mask:0xf bound_ctrl:1
	v_ashrrev_i64 v[4:5], 29, v[4:5]
	v_lshl_add_u64 v[4:5], s[30:31], 0, v[4:5]
	global_load_dword v1, v[4:5], off
	v_mov_b32_e32 v4, v3
	s_waitcnt vmcnt(0)
	v_add_u32_dpp v5, v1, v1 row_ror:4 row_mask:0xf bank_mask:0xf bound_ctrl:1
	v_ashrrev_i64 v[4:5], 29, v[4:5]
	v_lshl_add_u64 v[4:5], s[30:31], 0, v[4:5]
	global_load_dword v1, v[4:5], off
	v_mov_b32_e32 v4, v3
	s_waitcnt vmcnt(0)
	v_add_u32_dpp v5, v1, v1 row_ror:8 row_mask:0xf bank_mask:0xf bound_ctrl:1
	v_ashrrev_i64 v[4:5], 29, v[4:5]
	v_lshl_add_u64 v[4:5], s[30:31], 0, v[4:5]
	global_load_dword v1, v[4:5], off
	v_mov_b32_e32 v4, v3
	s_waitcnt vmcnt(0)
	v_add_u32_dpp v5, v1, v1 row_bcast:15 row_mask:0xf bank_mask:0xf bound_ctrl:1
	v_ashrrev_i64 v[4:5], 29, v[4:5]
	v_lshl_add_u64 v[4:5], s[30:31], 0, v[4:5]
	global_load_dword v1, v[4:5], off
	s_waitcnt vmcnt(0)
	s_nop 0
	v_add_u32_dpp v3, v1, v1 row_bcast:31 row_mask:0xf bank_mask:0xf bound_ctrl:1
	v_ashrrev_i64 v[2:3], 29, v[2:3]
	v_lshl_add_u64 v[2:3], s[30:31], 0, v[2:3]
	global_load_dwordx2 v[2:3], v[2:3], off
	v_mbcnt_lo_u32_b32 v1, -1, 0
	v_mbcnt_hi_u32_b32 v5, -1, v1
	v_lshlrev_b32_e32 v1, 2, v5
	v_or_b32_e32 v4, 0xfc, v1
	v_cmp_eq_u32_e32 vcc, 0, v5
	s_waitcnt vmcnt(0)
	ds_bpermute_b32 v2, v4, v2
	ds_bpermute_b32 v3, v4, v3
	s_and_saveexec_b64 s[4:5], vcc
	s_cbranch_execz .LBB902_7
; %bb.6:
	v_lshrrev_b32_e32 v4, 3, v0
	v_and_b32_e32 v4, 24, v4
	s_waitcnt lgkmcnt(0)
	ds_write_b64 v4, v[2:3] offset:32
.LBB902_7:
	s_or_b64 exec, exec, s[4:5]
	v_cmp_gt_u32_e32 vcc, 64, v0
	s_mov_b64 s[4:5], 0
	s_mov_b64 s[44:45], 0
	s_waitcnt lgkmcnt(0)
	s_barrier
                                        ; implicit-def: $vgpr4
	s_and_saveexec_b64 s[6:7], vcc
	s_xor_b64 s[6:7], exec, s[6:7]
	s_cbranch_execz .LBB902_9
; %bb.8:
	v_and_b32_e32 v2, 3, v5
	v_lshlrev_b32_e32 v3, 3, v2
	ds_read_b32 v3, v3 offset:32
	v_cmp_ne_u32_e32 vcc, 3, v2
	v_or_b32_e32 v1, 8, v1
	s_mov_b64 s[44:45], exec
	v_addc_co_u32_e32 v2, vcc, 0, v5, vcc
	v_lshlrev_b32_e32 v2, 2, v2
	s_waitcnt lgkmcnt(0)
	ds_bpermute_b32 v2, v2, v3
	s_waitcnt lgkmcnt(0)
	v_add_u32_e32 v3, v3, v2
	v_mov_b32_e32 v2, 0
	v_ashrrev_i64 v[2:3], 29, v[2:3]
	v_lshl_add_u64 v[2:3], s[30:31], 0, v[2:3]
	global_load_dwordx2 v[2:3], v[2:3], off
	s_waitcnt vmcnt(0)
	ds_bpermute_b32 v4, v1, v2
.LBB902_9:
	s_or_b64 exec, exec, s[6:7]
	s_branch .LBB902_23
.LBB902_10:
	s_mov_b64 s[16:17], 0
	s_mov_b64 s[14:15], 0
                                        ; implicit-def: $vgpr2_vgpr3
	s_cbranch_execnz .LBB902_190
	s_branch .LBB902_239
.LBB902_11:
	s_mov_b64 s[16:17], 0
	s_mov_b64 s[14:15], 0
                                        ; implicit-def: $vgpr2_vgpr3
	s_cbranch_execnz .LBB902_145
	s_branch .LBB902_153
.LBB902_12:
	s_mov_b64 s[34:35], -1
	s_mov_b64 s[16:17], 0
	s_mov_b64 s[14:15], 0
                                        ; implicit-def: $vgpr2_vgpr3
.LBB902_13:
	s_and_b64 vcc, exec, s[34:35]
	s_cbranch_vccz .LBB902_95
.LBB902_14:
	s_cmp_eq_u32 s33, 8
	s_cbranch_scc0 .LBB902_21
; %bb.15:
	s_mov_b32 s3, 0
	s_lshl_b32 s0, s2, 11
	s_mov_b32 s1, s3
	s_lshr_b64 s[4:5], s[38:39], 11
	s_lshl_b64 s[6:7], s[0:1], 3
	s_add_u32 s20, s36, s6
	s_addc_u32 s21, s37, s7
	s_cmp_lg_u64 s[4:5], s[2:3]
	s_cbranch_scc0 .LBB902_96
; %bb.16:
	s_waitcnt vmcnt(0)
	v_lshlrev_b32_e32 v2, 3, v0
	global_load_dword v1, v2, s[20:21]
	global_load_dword v7, v2, s[20:21] offset:2048
	v_mov_b32_e32 v3, 0
	s_waitcnt lgkmcnt(0)
	v_lshl_add_u64 v[4:5], s[20:21], 0, v[2:3]
	v_mov_b32_e32 v6, v3
	v_add_co_u32_e32 v8, vcc, 0x1000, v4
	s_waitcnt vmcnt(0)
	v_add_u32_e32 v7, v7, v1
	v_ashrrev_i64 v[6:7], 29, v[6:7]
	v_addc_co_u32_e32 v9, vcc, 0, v5, vcc
	v_lshl_add_u64 v[6:7], s[30:31], 0, v[6:7]
	global_load_dword v2, v[8:9], off
	global_load_dword v1, v[6:7], off
	v_add_co_u32_e32 v10, vcc, 0x2000, v4
	v_mov_b32_e32 v6, v3
	s_nop 0
	v_addc_co_u32_e32 v11, vcc, 0, v5, vcc
	v_add_co_u32_e32 v4, vcc, 0x3000, v4
	s_waitcnt vmcnt(0)
	v_add_u32_e32 v7, v1, v2
	v_addc_co_u32_e32 v5, vcc, 0, v5, vcc
	global_load_dword v12, v[8:9], off offset:2048
	global_load_dword v13, v[10:11], off
	global_load_dword v14, v[10:11], off offset:2048
	global_load_dword v15, v[4:5], off
	global_load_dword v16, v[4:5], off offset:2048
	v_ashrrev_i64 v[4:5], 29, v[6:7]
	v_lshl_add_u64 v[4:5], s[30:31], 0, v[4:5]
	global_load_dword v1, v[4:5], off
	v_mov_b32_e32 v4, v3
	v_mov_b32_e32 v2, v3
	s_waitcnt vmcnt(0)
	v_add_u32_e32 v5, v1, v12
	v_ashrrev_i64 v[4:5], 29, v[4:5]
	v_lshl_add_u64 v[4:5], s[30:31], 0, v[4:5]
	global_load_dword v1, v[4:5], off
	v_mov_b32_e32 v4, v3
	s_waitcnt vmcnt(0)
	v_add_u32_e32 v5, v1, v13
	v_ashrrev_i64 v[4:5], 29, v[4:5]
	v_lshl_add_u64 v[4:5], s[30:31], 0, v[4:5]
	global_load_dword v1, v[4:5], off
	;; [unrolled: 6-line block ×5, first 2 shown]
	v_mov_b32_e32 v4, v3
	s_waitcnt vmcnt(0)
	v_add_u32_dpp v5, v1, v1 quad_perm:[1,0,3,2] row_mask:0xf bank_mask:0xf bound_ctrl:1
	v_ashrrev_i64 v[4:5], 29, v[4:5]
	v_lshl_add_u64 v[4:5], s[30:31], 0, v[4:5]
	global_load_dword v1, v[4:5], off
	v_mov_b32_e32 v4, v3
	s_waitcnt vmcnt(0)
	v_add_u32_dpp v5, v1, v1 quad_perm:[2,3,0,1] row_mask:0xf bank_mask:0xf bound_ctrl:1
	v_ashrrev_i64 v[4:5], 29, v[4:5]
	v_lshl_add_u64 v[4:5], s[30:31], 0, v[4:5]
	global_load_dword v1, v[4:5], off
	v_mov_b32_e32 v4, v3
	s_waitcnt vmcnt(0)
	v_add_u32_dpp v5, v1, v1 row_ror:4 row_mask:0xf bank_mask:0xf bound_ctrl:1
	v_ashrrev_i64 v[4:5], 29, v[4:5]
	v_lshl_add_u64 v[4:5], s[30:31], 0, v[4:5]
	global_load_dword v1, v[4:5], off
	v_mov_b32_e32 v4, v3
	s_waitcnt vmcnt(0)
	v_add_u32_dpp v5, v1, v1 row_ror:8 row_mask:0xf bank_mask:0xf bound_ctrl:1
	v_ashrrev_i64 v[4:5], 29, v[4:5]
	v_lshl_add_u64 v[4:5], s[30:31], 0, v[4:5]
	global_load_dword v1, v[4:5], off
	v_mov_b32_e32 v4, v3
	s_waitcnt vmcnt(0)
	v_add_u32_dpp v5, v1, v1 row_bcast:15 row_mask:0xf bank_mask:0xf bound_ctrl:1
	v_ashrrev_i64 v[4:5], 29, v[4:5]
	v_lshl_add_u64 v[4:5], s[30:31], 0, v[4:5]
	global_load_dword v1, v[4:5], off
	s_waitcnt vmcnt(0)
	s_nop 0
	v_add_u32_dpp v3, v1, v1 row_bcast:31 row_mask:0xf bank_mask:0xf bound_ctrl:1
	v_ashrrev_i64 v[2:3], 29, v[2:3]
	v_lshl_add_u64 v[2:3], s[30:31], 0, v[2:3]
	global_load_dwordx2 v[2:3], v[2:3], off
	v_mbcnt_lo_u32_b32 v1, -1, 0
	v_mbcnt_hi_u32_b32 v5, -1, v1
	v_lshlrev_b32_e32 v1, 2, v5
	v_or_b32_e32 v4, 0xfc, v1
	v_cmp_eq_u32_e32 vcc, 0, v5
	s_waitcnt vmcnt(0)
	ds_bpermute_b32 v2, v4, v2
	ds_bpermute_b32 v3, v4, v3
	s_and_saveexec_b64 s[4:5], vcc
	s_cbranch_execz .LBB902_18
; %bb.17:
	v_lshrrev_b32_e32 v4, 3, v0
	v_and_b32_e32 v4, 24, v4
	s_waitcnt lgkmcnt(0)
	ds_write_b64 v4, v[2:3] offset:160
.LBB902_18:
	s_or_b64 exec, exec, s[4:5]
	v_cmp_gt_u32_e32 vcc, 64, v0
	s_mov_b64 s[4:5], 0
	s_mov_b64 s[18:19], 0
	s_waitcnt lgkmcnt(0)
	s_barrier
                                        ; implicit-def: $vgpr4
	s_and_saveexec_b64 s[6:7], vcc
	s_xor_b64 s[6:7], exec, s[6:7]
	s_cbranch_execz .LBB902_20
; %bb.19:
	v_and_b32_e32 v2, 3, v5
	v_lshlrev_b32_e32 v3, 3, v2
	ds_read_b32 v3, v3 offset:160
	v_cmp_ne_u32_e32 vcc, 3, v2
	v_or_b32_e32 v1, 8, v1
	s_mov_b64 s[18:19], exec
	v_addc_co_u32_e32 v2, vcc, 0, v5, vcc
	v_lshlrev_b32_e32 v2, 2, v2
	s_waitcnt lgkmcnt(0)
	ds_bpermute_b32 v2, v2, v3
	s_waitcnt lgkmcnt(0)
	v_add_u32_e32 v3, v3, v2
	v_mov_b32_e32 v2, 0
	v_ashrrev_i64 v[2:3], 29, v[2:3]
	v_lshl_add_u64 v[2:3], s[30:31], 0, v[2:3]
	global_load_dwordx2 v[2:3], v[2:3], off
	s_waitcnt vmcnt(0)
	ds_bpermute_b32 v4, v1, v2
.LBB902_20:
	s_or_b64 exec, exec, s[6:7]
	s_branch .LBB902_97
.LBB902_21:
                                        ; implicit-def: $vgpr2_vgpr3
	s_branch .LBB902_153
.LBB902_22:
	s_mov_b64 s[4:5], -1
	s_mov_b64 s[44:45], 0
                                        ; implicit-def: $vgpr4
                                        ; implicit-def: $vgpr2_vgpr3
.LBB902_23:
	s_and_b64 vcc, exec, s[4:5]
	s_cbranch_vccz .LBB902_90
; %bb.24:
	s_sub_i32 s50, s38, s0
	v_mov_b32_e32 v2, 0
	v_cmp_gt_u32_e32 vcc, s50, v0
	v_mov_b32_e32 v3, v2
	s_waitcnt lgkmcnt(0)
	v_mov_b32_e32 v4, v2
	v_mov_b32_e32 v6, v2
	;; [unrolled: 1-line block ×15, first 2 shown]
	s_and_saveexec_b64 s[0:1], vcc
	s_cbranch_execz .LBB902_26
; %bb.25:
	v_lshlrev_b32_e32 v1, 3, v0
	global_load_dwordx2 v[4:5], v1, s[46:47]
	v_mov_b32_e32 v6, v2
	v_mov_b32_e32 v8, v2
	;; [unrolled: 1-line block ×15, first 2 shown]
	s_waitcnt vmcnt(0)
	v_mov_b64_e32 v[2:3], v[4:5]
	v_mov_b64_e32 v[4:5], v[6:7]
	;; [unrolled: 1-line block ×16, first 2 shown]
.LBB902_26:
	s_or_b64 exec, exec, s[0:1]
	v_or_b32_e32 v1, 0x100, v0
	v_cmp_gt_u32_e32 vcc, s50, v1
	s_and_saveexec_b64 s[0:1], vcc
	s_cbranch_execz .LBB902_28
; %bb.27:
	v_lshlrev_b32_e32 v1, 3, v0
	global_load_dwordx2 v[4:5], v1, s[46:47] offset:2048
.LBB902_28:
	s_or_b64 exec, exec, s[0:1]
	v_or_b32_e32 v1, 0x200, v0
	v_cmp_gt_u32_e64 s[0:1], s50, v1
	s_and_saveexec_b64 s[4:5], s[0:1]
	s_cbranch_execz .LBB902_30
; %bb.29:
	v_lshlrev_b32_e32 v1, 3, v1
	global_load_dwordx2 v[6:7], v1, s[46:47]
.LBB902_30:
	s_or_b64 exec, exec, s[4:5]
	v_or_b32_e32 v1, 0x300, v0
	v_cmp_gt_u32_e64 s[4:5], s50, v1
	s_and_saveexec_b64 s[6:7], s[4:5]
	s_cbranch_execz .LBB902_32
; %bb.31:
	v_lshlrev_b32_e32 v1, 3, v1
	global_load_dwordx2 v[8:9], v1, s[46:47]
.LBB902_32:
	;; [unrolled: 9-line block ×13, first 2 shown]
	s_or_b64 exec, exec, s[28:29]
	v_or_b32_e32 v1, 0xf00, v0
	v_cmp_gt_u32_e64 s[28:29], s50, v1
	s_and_saveexec_b64 s[48:49], s[28:29]
	s_cbranch_execnz .LBB902_274
; %bb.55:
	s_or_b64 exec, exec, s[48:49]
	s_and_saveexec_b64 s[46:47], vcc
	s_cbranch_execnz .LBB902_275
.LBB902_56:
	s_or_b64 exec, exec, s[46:47]
	s_and_saveexec_b64 s[46:47], s[0:1]
	s_cbranch_execnz .LBB902_276
.LBB902_57:
	s_or_b64 exec, exec, s[46:47]
	s_and_saveexec_b64 s[0:1], s[4:5]
	s_cbranch_execnz .LBB902_277
.LBB902_58:
	s_or_b64 exec, exec, s[0:1]
	s_and_saveexec_b64 s[0:1], s[6:7]
	s_cbranch_execnz .LBB902_278
.LBB902_59:
	s_or_b64 exec, exec, s[0:1]
	s_and_saveexec_b64 s[0:1], s[8:9]
	s_cbranch_execnz .LBB902_279
.LBB902_60:
	s_or_b64 exec, exec, s[0:1]
	s_and_saveexec_b64 s[0:1], s[10:11]
	s_cbranch_execnz .LBB902_280
.LBB902_61:
	s_or_b64 exec, exec, s[0:1]
	s_and_saveexec_b64 s[0:1], s[12:13]
	s_cbranch_execnz .LBB902_281
.LBB902_62:
	s_or_b64 exec, exec, s[0:1]
	s_and_saveexec_b64 s[0:1], s[14:15]
	s_cbranch_execnz .LBB902_282
.LBB902_63:
	s_or_b64 exec, exec, s[0:1]
	s_and_saveexec_b64 s[0:1], s[16:17]
	s_cbranch_execnz .LBB902_283
.LBB902_64:
	s_or_b64 exec, exec, s[0:1]
	s_and_saveexec_b64 s[0:1], s[18:19]
	s_cbranch_execnz .LBB902_284
.LBB902_65:
	s_or_b64 exec, exec, s[0:1]
	s_and_saveexec_b64 s[0:1], s[20:21]
	s_cbranch_execnz .LBB902_285
.LBB902_66:
	s_or_b64 exec, exec, s[0:1]
	s_and_saveexec_b64 s[0:1], s[22:23]
	s_cbranch_execnz .LBB902_286
.LBB902_67:
	s_or_b64 exec, exec, s[0:1]
	s_and_saveexec_b64 s[0:1], s[24:25]
	s_cbranch_execnz .LBB902_287
.LBB902_68:
	s_or_b64 exec, exec, s[0:1]
	s_and_saveexec_b64 s[0:1], s[26:27]
	s_cbranch_execnz .LBB902_288
.LBB902_69:
	s_or_b64 exec, exec, s[0:1]
	s_and_saveexec_b64 s[0:1], s[28:29]
	s_cbranch_execz .LBB902_71
.LBB902_70:
	s_waitcnt vmcnt(0)
	v_add_u32_e32 v3, v2, v32
	v_mov_b32_e32 v2, 0
	v_ashrrev_i64 v[2:3], 29, v[2:3]
	v_lshl_add_u64 v[2:3], s[30:31], 0, v[2:3]
	global_load_dwordx2 v[2:3], v[2:3], off
.LBB902_71:
	s_or_b64 exec, exec, s[0:1]
	v_mbcnt_lo_u32_b32 v1, -1, 0
	v_mbcnt_hi_u32_b32 v1, -1, v1
	s_waitcnt vmcnt(0)
	v_and_b32_e32 v4, 63, v1
	v_cmp_ne_u32_e32 vcc, 63, v4
	s_min_u32 s4, s50, 0x100
	v_add_u32_e32 v7, 1, v4
	v_addc_co_u32_e32 v5, vcc, 0, v1, vcc
	v_lshlrev_b32_e32 v5, 2, v5
	ds_bpermute_b32 v6, v5, v2
	v_and_b32_e32 v5, 0xc0, v0
	v_sub_u32_e64 v5, s4, v5 clamp
	v_cmp_lt_u32_e32 vcc, v7, v5
	s_and_saveexec_b64 s[0:1], vcc
	s_xor_b64 s[0:1], exec, s[0:1]
	s_cbranch_execz .LBB902_73
; %bb.72:
	s_waitcnt lgkmcnt(0)
	v_add_u32_e32 v3, v2, v6
	v_mov_b32_e32 v2, 0
	v_ashrrev_i64 v[2:3], 29, v[2:3]
	v_lshl_add_u64 v[2:3], s[30:31], 0, v[2:3]
	global_load_dwordx2 v[2:3], v[2:3], off
.LBB902_73:
	s_or_b64 exec, exec, s[0:1]
	v_cmp_gt_u32_e32 vcc, 62, v4
	v_add_u32_e32 v7, 2, v4
	s_waitcnt lgkmcnt(0)
	v_cndmask_b32_e64 v6, 0, 2, vcc
	v_add_lshl_u32 v6, v6, v1, 2
	s_waitcnt vmcnt(0)
	ds_bpermute_b32 v6, v6, v2
	v_cmp_lt_u32_e32 vcc, v7, v5
	s_and_saveexec_b64 s[0:1], vcc
	s_cbranch_execz .LBB902_75
; %bb.74:
	s_waitcnt lgkmcnt(0)
	v_add_u32_e32 v3, v2, v6
	v_mov_b32_e32 v2, 0
	v_ashrrev_i64 v[2:3], 29, v[2:3]
	v_lshl_add_u64 v[2:3], s[30:31], 0, v[2:3]
	global_load_dwordx2 v[2:3], v[2:3], off
.LBB902_75:
	s_or_b64 exec, exec, s[0:1]
	v_cmp_gt_u32_e32 vcc, 60, v4
	v_add_u32_e32 v7, 4, v4
	s_waitcnt lgkmcnt(0)
	v_cndmask_b32_e64 v6, 0, 4, vcc
	v_add_lshl_u32 v6, v6, v1, 2
	s_waitcnt vmcnt(0)
	ds_bpermute_b32 v6, v6, v2
	v_cmp_lt_u32_e32 vcc, v7, v5
	s_and_saveexec_b64 s[0:1], vcc
	;; [unrolled: 19-line block ×4, first 2 shown]
	s_cbranch_execz .LBB902_81
; %bb.80:
	s_waitcnt lgkmcnt(0)
	v_add_u32_e32 v3, v2, v6
	v_mov_b32_e32 v2, 0
	v_ashrrev_i64 v[2:3], 29, v[2:3]
	v_lshl_add_u64 v[2:3], s[30:31], 0, v[2:3]
	global_load_dwordx2 v[2:3], v[2:3], off
.LBB902_81:
	s_or_b64 exec, exec, s[0:1]
	s_waitcnt lgkmcnt(0)
	v_lshlrev_b32_e32 v6, 2, v1
	v_or_b32_e32 v7, 0x80, v6
	s_waitcnt vmcnt(0)
	ds_bpermute_b32 v7, v7, v2
	v_add_u32_e32 v4, 32, v4
	v_cmp_lt_u32_e32 vcc, v4, v5
	s_and_saveexec_b64 s[0:1], vcc
	s_cbranch_execz .LBB902_83
; %bb.82:
	s_waitcnt lgkmcnt(0)
	v_add_u32_e32 v3, v2, v7
	v_mov_b32_e32 v2, 0
	v_ashrrev_i64 v[2:3], 29, v[2:3]
	v_lshl_add_u64 v[2:3], s[30:31], 0, v[2:3]
	global_load_dwordx2 v[2:3], v[2:3], off
.LBB902_83:
	s_or_b64 exec, exec, s[0:1]
	v_cmp_eq_u32_e32 vcc, 0, v1
	s_and_saveexec_b64 s[0:1], vcc
	s_cbranch_execz .LBB902_85
; %bb.84:
	v_lshrrev_b32_e32 v4, 3, v0
	v_and_b32_e32 v4, 24, v4
	s_waitcnt vmcnt(0)
	ds_write_b64 v4, v[2:3]
.LBB902_85:
	s_or_b64 exec, exec, s[0:1]
	v_cmp_gt_u32_e32 vcc, 4, v0
	s_waitcnt lgkmcnt(0)
	s_barrier
                                        ; implicit-def: $vgpr4
	s_and_saveexec_b64 s[0:1], vcc
	s_cbranch_execz .LBB902_89
; %bb.86:
	s_waitcnt vmcnt(0)
	v_lshlrev_b32_e32 v2, 3, v1
	ds_read_b64 v[2:3], v2
	v_and_b32_e32 v4, 3, v1
	v_cmp_ne_u32_e32 vcc, 3, v4
	s_add_i32 s4, s4, 63
	s_lshr_b32 s6, s4, 6
	v_addc_co_u32_e32 v1, vcc, 0, v1, vcc
	v_lshlrev_b32_e32 v1, 2, v1
	s_waitcnt lgkmcnt(0)
	ds_bpermute_b32 v1, v1, v2
	v_add_u32_e32 v3, 1, v4
	v_cmp_gt_u32_e32 vcc, s6, v3
	s_and_saveexec_b64 s[4:5], vcc
	s_cbranch_execz .LBB902_88
; %bb.87:
	s_waitcnt lgkmcnt(0)
	v_add_u32_e32 v3, v2, v1
	v_mov_b32_e32 v2, 0
	v_ashrrev_i64 v[2:3], 29, v[2:3]
	v_lshl_add_u64 v[2:3], s[30:31], 0, v[2:3]
	global_load_dwordx2 v[2:3], v[2:3], off
.LBB902_88:
	s_or_b64 exec, exec, s[4:5]
	s_waitcnt vmcnt(0)
	v_or_b32_e32 v3, 8, v6
	s_waitcnt lgkmcnt(0)
	v_add_u32_e32 v1, 2, v4
	ds_bpermute_b32 v4, v3, v2
	v_cmp_gt_u32_e32 vcc, s6, v1
	s_andn2_b64 s[4:5], s[44:45], exec
	s_and_b64 s[6:7], vcc, exec
	s_or_b64 s[44:45], s[4:5], s[6:7]
.LBB902_89:
	s_or_b64 exec, exec, s[0:1]
.LBB902_90:
	s_and_saveexec_b64 s[0:1], s[44:45]
	s_cbranch_execz .LBB902_92
; %bb.91:
	s_waitcnt vmcnt(0) lgkmcnt(0)
	v_add_u32_e32 v3, v2, v4
	v_mov_b32_e32 v2, 0
	v_ashrrev_i64 v[2:3], 29, v[2:3]
	v_lshl_add_u64 v[2:3], s[30:31], 0, v[2:3]
	global_load_dwordx2 v[2:3], v[2:3], off
.LBB902_92:
	s_or_b64 exec, exec, s[0:1]
	v_cmp_eq_u32_e32 vcc, 0, v0
	s_mov_b64 s[16:17], 0
	s_mov_b64 s[14:15], 0
	s_and_saveexec_b64 s[0:1], vcc
	s_xor_b64 s[0:1], exec, s[0:1]
; %bb.93:
	s_cmp_eq_u64 s[38:39], 0
	s_cselect_b64 s[4:5], -1, 0
	s_cmp_lg_u64 s[38:39], 0
	s_cselect_b64 s[6:7], -1, 0
	s_and_b64 s[14:15], s[4:5], exec
	s_and_b64 s[16:17], s[6:7], exec
; %bb.94:
	s_or_b64 exec, exec, s[0:1]
	s_and_b64 vcc, exec, s[34:35]
	s_cbranch_vccnz .LBB902_14
.LBB902_95:
	s_branch .LBB902_153
.LBB902_96:
	s_mov_b64 s[4:5], -1
	s_mov_b64 s[18:19], 0
                                        ; implicit-def: $vgpr4
                                        ; implicit-def: $vgpr2_vgpr3
.LBB902_97:
	s_and_b64 vcc, exec, s[4:5]
	s_cbranch_vccz .LBB902_140
; %bb.98:
	s_sub_i32 s24, s38, s0
	s_waitcnt vmcnt(0)
	v_mov_b32_e32 v2, 0
	v_cmp_gt_u32_e32 vcc, s24, v0
	v_mov_b32_e32 v3, v2
	s_waitcnt lgkmcnt(0)
	v_mov_b32_e32 v4, v2
	v_mov_b32_e32 v6, v2
	;; [unrolled: 1-line block ×7, first 2 shown]
	s_and_saveexec_b64 s[0:1], vcc
	s_cbranch_execz .LBB902_100
; %bb.99:
	v_lshlrev_b32_e32 v1, 3, v0
	global_load_dwordx2 v[4:5], v1, s[20:21]
	v_mov_b32_e32 v6, v2
	v_mov_b32_e32 v8, v2
	;; [unrolled: 1-line block ×7, first 2 shown]
	s_waitcnt vmcnt(0)
	v_mov_b64_e32 v[2:3], v[4:5]
	v_mov_b64_e32 v[4:5], v[6:7]
	;; [unrolled: 1-line block ×8, first 2 shown]
.LBB902_100:
	s_or_b64 exec, exec, s[0:1]
	v_or_b32_e32 v1, 0x100, v0
	v_cmp_gt_u32_e32 vcc, s24, v1
	s_and_saveexec_b64 s[0:1], vcc
	s_cbranch_execz .LBB902_102
; %bb.101:
	v_lshlrev_b32_e32 v1, 3, v0
	global_load_dwordx2 v[4:5], v1, s[20:21] offset:2048
.LBB902_102:
	s_or_b64 exec, exec, s[0:1]
	v_or_b32_e32 v1, 0x200, v0
	v_cmp_gt_u32_e64 s[0:1], s24, v1
	s_and_saveexec_b64 s[4:5], s[0:1]
	s_cbranch_execz .LBB902_104
; %bb.103:
	v_lshlrev_b32_e32 v1, 3, v1
	global_load_dwordx2 v[6:7], v1, s[20:21]
.LBB902_104:
	s_or_b64 exec, exec, s[4:5]
	v_or_b32_e32 v1, 0x300, v0
	v_cmp_gt_u32_e64 s[4:5], s24, v1
	s_and_saveexec_b64 s[6:7], s[4:5]
	s_cbranch_execz .LBB902_106
; %bb.105:
	v_lshlrev_b32_e32 v1, 3, v1
	global_load_dwordx2 v[8:9], v1, s[20:21]
.LBB902_106:
	;; [unrolled: 9-line block ×5, first 2 shown]
	s_or_b64 exec, exec, s[12:13]
	v_or_b32_e32 v1, 0x700, v0
	v_cmp_gt_u32_e64 s[12:13], s24, v1
	s_and_saveexec_b64 s[22:23], s[12:13]
	s_cbranch_execnz .LBB902_289
; %bb.113:
	s_or_b64 exec, exec, s[22:23]
	s_and_saveexec_b64 s[20:21], vcc
	s_cbranch_execnz .LBB902_290
.LBB902_114:
	s_or_b64 exec, exec, s[20:21]
	s_and_saveexec_b64 s[20:21], s[0:1]
	s_cbranch_execnz .LBB902_291
.LBB902_115:
	s_or_b64 exec, exec, s[20:21]
	s_and_saveexec_b64 s[0:1], s[4:5]
	s_cbranch_execnz .LBB902_292
.LBB902_116:
	s_or_b64 exec, exec, s[0:1]
	s_and_saveexec_b64 s[0:1], s[6:7]
	s_cbranch_execnz .LBB902_293
.LBB902_117:
	s_or_b64 exec, exec, s[0:1]
	s_and_saveexec_b64 s[0:1], s[8:9]
	s_cbranch_execnz .LBB902_294
.LBB902_118:
	s_or_b64 exec, exec, s[0:1]
	s_and_saveexec_b64 s[0:1], s[10:11]
	s_cbranch_execnz .LBB902_295
.LBB902_119:
	s_or_b64 exec, exec, s[0:1]
	s_and_saveexec_b64 s[0:1], s[12:13]
	s_cbranch_execz .LBB902_121
.LBB902_120:
	s_waitcnt vmcnt(0)
	v_add_u32_e32 v3, v2, v16
	v_mov_b32_e32 v2, 0
	v_ashrrev_i64 v[2:3], 29, v[2:3]
	v_lshl_add_u64 v[2:3], s[30:31], 0, v[2:3]
	global_load_dwordx2 v[2:3], v[2:3], off
.LBB902_121:
	s_or_b64 exec, exec, s[0:1]
	v_mbcnt_lo_u32_b32 v1, -1, 0
	v_mbcnt_hi_u32_b32 v1, -1, v1
	s_waitcnt vmcnt(0)
	v_and_b32_e32 v4, 63, v1
	v_cmp_ne_u32_e32 vcc, 63, v4
	s_min_u32 s4, s24, 0x100
	v_add_u32_e32 v7, 1, v4
	v_addc_co_u32_e32 v5, vcc, 0, v1, vcc
	v_lshlrev_b32_e32 v5, 2, v5
	ds_bpermute_b32 v6, v5, v2
	v_and_b32_e32 v5, 0xc0, v0
	v_sub_u32_e64 v5, s4, v5 clamp
	v_cmp_lt_u32_e32 vcc, v7, v5
	s_and_saveexec_b64 s[0:1], vcc
	s_xor_b64 s[0:1], exec, s[0:1]
	s_cbranch_execz .LBB902_123
; %bb.122:
	s_waitcnt lgkmcnt(0)
	v_add_u32_e32 v3, v2, v6
	v_mov_b32_e32 v2, 0
	v_ashrrev_i64 v[2:3], 29, v[2:3]
	v_lshl_add_u64 v[2:3], s[30:31], 0, v[2:3]
	global_load_dwordx2 v[2:3], v[2:3], off
.LBB902_123:
	s_or_b64 exec, exec, s[0:1]
	v_cmp_gt_u32_e32 vcc, 62, v4
	v_add_u32_e32 v7, 2, v4
	s_waitcnt lgkmcnt(0)
	v_cndmask_b32_e64 v6, 0, 2, vcc
	v_add_lshl_u32 v6, v6, v1, 2
	s_waitcnt vmcnt(0)
	ds_bpermute_b32 v6, v6, v2
	v_cmp_lt_u32_e32 vcc, v7, v5
	s_and_saveexec_b64 s[0:1], vcc
	s_cbranch_execz .LBB902_125
; %bb.124:
	s_waitcnt lgkmcnt(0)
	v_add_u32_e32 v3, v2, v6
	v_mov_b32_e32 v2, 0
	v_ashrrev_i64 v[2:3], 29, v[2:3]
	v_lshl_add_u64 v[2:3], s[30:31], 0, v[2:3]
	global_load_dwordx2 v[2:3], v[2:3], off
.LBB902_125:
	s_or_b64 exec, exec, s[0:1]
	v_cmp_gt_u32_e32 vcc, 60, v4
	v_add_u32_e32 v7, 4, v4
	s_waitcnt lgkmcnt(0)
	v_cndmask_b32_e64 v6, 0, 4, vcc
	v_add_lshl_u32 v6, v6, v1, 2
	s_waitcnt vmcnt(0)
	ds_bpermute_b32 v6, v6, v2
	v_cmp_lt_u32_e32 vcc, v7, v5
	s_and_saveexec_b64 s[0:1], vcc
	;; [unrolled: 19-line block ×4, first 2 shown]
	s_cbranch_execz .LBB902_131
; %bb.130:
	s_waitcnt lgkmcnt(0)
	v_add_u32_e32 v3, v2, v6
	v_mov_b32_e32 v2, 0
	v_ashrrev_i64 v[2:3], 29, v[2:3]
	v_lshl_add_u64 v[2:3], s[30:31], 0, v[2:3]
	global_load_dwordx2 v[2:3], v[2:3], off
.LBB902_131:
	s_or_b64 exec, exec, s[0:1]
	s_waitcnt lgkmcnt(0)
	v_lshlrev_b32_e32 v6, 2, v1
	v_or_b32_e32 v7, 0x80, v6
	s_waitcnt vmcnt(0)
	ds_bpermute_b32 v7, v7, v2
	v_add_u32_e32 v4, 32, v4
	v_cmp_lt_u32_e32 vcc, v4, v5
	s_and_saveexec_b64 s[0:1], vcc
	s_cbranch_execz .LBB902_133
; %bb.132:
	s_waitcnt lgkmcnt(0)
	v_add_u32_e32 v3, v2, v7
	v_mov_b32_e32 v2, 0
	v_ashrrev_i64 v[2:3], 29, v[2:3]
	v_lshl_add_u64 v[2:3], s[30:31], 0, v[2:3]
	global_load_dwordx2 v[2:3], v[2:3], off
.LBB902_133:
	s_or_b64 exec, exec, s[0:1]
	v_cmp_eq_u32_e32 vcc, 0, v1
	s_and_saveexec_b64 s[0:1], vcc
	s_cbranch_execz .LBB902_135
; %bb.134:
	v_lshrrev_b32_e32 v4, 3, v0
	v_and_b32_e32 v4, 24, v4
	s_waitcnt vmcnt(0)
	ds_write_b64 v4, v[2:3]
.LBB902_135:
	s_or_b64 exec, exec, s[0:1]
	v_cmp_gt_u32_e32 vcc, 4, v0
	s_waitcnt lgkmcnt(0)
	s_barrier
                                        ; implicit-def: $vgpr4
	s_and_saveexec_b64 s[0:1], vcc
	s_cbranch_execz .LBB902_139
; %bb.136:
	s_waitcnt vmcnt(0)
	v_lshlrev_b32_e32 v2, 3, v1
	ds_read_b64 v[2:3], v2
	v_and_b32_e32 v4, 3, v1
	v_cmp_ne_u32_e32 vcc, 3, v4
	s_add_i32 s4, s4, 63
	s_lshr_b32 s6, s4, 6
	v_addc_co_u32_e32 v1, vcc, 0, v1, vcc
	v_lshlrev_b32_e32 v1, 2, v1
	s_waitcnt lgkmcnt(0)
	ds_bpermute_b32 v1, v1, v2
	v_add_u32_e32 v3, 1, v4
	v_cmp_gt_u32_e32 vcc, s6, v3
	s_and_saveexec_b64 s[4:5], vcc
	s_cbranch_execz .LBB902_138
; %bb.137:
	s_waitcnt lgkmcnt(0)
	v_add_u32_e32 v3, v2, v1
	v_mov_b32_e32 v2, 0
	v_ashrrev_i64 v[2:3], 29, v[2:3]
	v_lshl_add_u64 v[2:3], s[30:31], 0, v[2:3]
	global_load_dwordx2 v[2:3], v[2:3], off
.LBB902_138:
	s_or_b64 exec, exec, s[4:5]
	s_waitcnt vmcnt(0)
	v_or_b32_e32 v3, 8, v6
	s_waitcnt lgkmcnt(0)
	v_add_u32_e32 v1, 2, v4
	ds_bpermute_b32 v4, v3, v2
	v_cmp_gt_u32_e32 vcc, s6, v1
	s_andn2_b64 s[4:5], s[18:19], exec
	s_and_b64 s[6:7], vcc, exec
	s_or_b64 s[18:19], s[4:5], s[6:7]
.LBB902_139:
	s_or_b64 exec, exec, s[0:1]
.LBB902_140:
	s_and_saveexec_b64 s[0:1], s[18:19]
	s_cbranch_execz .LBB902_142
; %bb.141:
	s_waitcnt vmcnt(0) lgkmcnt(0)
	v_add_u32_e32 v3, v2, v4
	v_mov_b32_e32 v2, 0
	v_ashrrev_i64 v[2:3], 29, v[2:3]
	v_lshl_add_u64 v[2:3], s[30:31], 0, v[2:3]
	global_load_dwordx2 v[2:3], v[2:3], off
.LBB902_142:
	s_or_b64 exec, exec, s[0:1]
	v_cmp_eq_u32_e32 vcc, 0, v0
	s_and_saveexec_b64 s[0:1], vcc
	s_xor_b64 s[0:1], exec, s[0:1]
	s_cbranch_execz .LBB902_144
; %bb.143:
	s_cmp_eq_u64 s[38:39], 0
	s_cselect_b64 s[4:5], -1, 0
	s_cmp_lg_u64 s[38:39], 0
	s_cselect_b64 s[6:7], -1, 0
	s_andn2_b64 s[8:9], s[14:15], exec
	s_and_b64 s[4:5], s[4:5], exec
	s_or_b64 s[14:15], s[8:9], s[4:5]
	s_andn2_b64 s[4:5], s[16:17], exec
	s_and_b64 s[6:7], s[6:7], exec
	s_or_b64 s[16:17], s[4:5], s[6:7]
.LBB902_144:
	s_or_b64 exec, exec, s[0:1]
	s_branch .LBB902_153
.LBB902_145:
	s_cmp_eq_u32 s33, 4
	s_cbranch_scc0 .LBB902_152
; %bb.146:
	s_mov_b32 s3, 0
	s_lshl_b32 s0, s2, 10
	s_mov_b32 s1, s3
	s_lshr_b64 s[4:5], s[38:39], 10
	s_lshl_b64 s[6:7], s[0:1], 3
	s_add_u32 s8, s36, s6
	s_addc_u32 s9, s37, s7
	s_cmp_lg_u64 s[4:5], s[2:3]
	s_cbranch_scc0 .LBB902_154
; %bb.147:
	s_waitcnt vmcnt(0)
	v_lshlrev_b32_e32 v2, 3, v0
	global_load_dword v1, v2, s[8:9]
	global_load_dword v7, v2, s[8:9] offset:2048
	v_mov_b32_e32 v3, 0
	s_waitcnt lgkmcnt(0)
	v_lshl_add_u64 v[4:5], s[8:9], 0, v[2:3]
	v_mov_b32_e32 v6, v3
	v_add_co_u32_e32 v4, vcc, 0x1000, v4
	s_waitcnt vmcnt(0)
	v_add_u32_e32 v7, v7, v1
	v_ashrrev_i64 v[6:7], 29, v[6:7]
	v_addc_co_u32_e32 v5, vcc, 0, v5, vcc
	v_lshl_add_u64 v[6:7], s[30:31], 0, v[6:7]
	global_load_dword v2, v[4:5], off
	global_load_dword v8, v[4:5], off offset:2048
	global_load_dword v1, v[6:7], off
	v_mov_b32_e32 v6, v3
	s_waitcnt vmcnt(0)
	v_add_u32_e32 v7, v1, v2
	v_ashrrev_i64 v[4:5], 29, v[6:7]
	v_lshl_add_u64 v[4:5], s[30:31], 0, v[4:5]
	global_load_dword v1, v[4:5], off
	v_mov_b32_e32 v4, v3
	v_mov_b32_e32 v2, v3
	s_waitcnt vmcnt(0)
	v_add_u32_e32 v5, v1, v8
	v_ashrrev_i64 v[4:5], 29, v[4:5]
	v_lshl_add_u64 v[4:5], s[30:31], 0, v[4:5]
	global_load_dword v1, v[4:5], off
	v_mov_b32_e32 v4, v3
	s_waitcnt vmcnt(0)
	v_add_u32_dpp v5, v1, v1 quad_perm:[1,0,3,2] row_mask:0xf bank_mask:0xf bound_ctrl:1
	v_ashrrev_i64 v[4:5], 29, v[4:5]
	v_lshl_add_u64 v[4:5], s[30:31], 0, v[4:5]
	global_load_dword v1, v[4:5], off
	v_mov_b32_e32 v4, v3
	s_waitcnt vmcnt(0)
	v_add_u32_dpp v5, v1, v1 quad_perm:[2,3,0,1] row_mask:0xf bank_mask:0xf bound_ctrl:1
	v_ashrrev_i64 v[4:5], 29, v[4:5]
	v_lshl_add_u64 v[4:5], s[30:31], 0, v[4:5]
	global_load_dword v1, v[4:5], off
	v_mov_b32_e32 v4, v3
	s_waitcnt vmcnt(0)
	v_add_u32_dpp v5, v1, v1 row_ror:4 row_mask:0xf bank_mask:0xf bound_ctrl:1
	v_ashrrev_i64 v[4:5], 29, v[4:5]
	v_lshl_add_u64 v[4:5], s[30:31], 0, v[4:5]
	global_load_dword v1, v[4:5], off
	v_mov_b32_e32 v4, v3
	s_waitcnt vmcnt(0)
	v_add_u32_dpp v5, v1, v1 row_ror:8 row_mask:0xf bank_mask:0xf bound_ctrl:1
	v_ashrrev_i64 v[4:5], 29, v[4:5]
	v_lshl_add_u64 v[4:5], s[30:31], 0, v[4:5]
	global_load_dword v1, v[4:5], off
	v_mov_b32_e32 v4, v3
	s_waitcnt vmcnt(0)
	v_add_u32_dpp v5, v1, v1 row_bcast:15 row_mask:0xf bank_mask:0xf bound_ctrl:1
	v_ashrrev_i64 v[4:5], 29, v[4:5]
	v_lshl_add_u64 v[4:5], s[30:31], 0, v[4:5]
	global_load_dword v1, v[4:5], off
	s_waitcnt vmcnt(0)
	s_nop 0
	v_add_u32_dpp v3, v1, v1 row_bcast:31 row_mask:0xf bank_mask:0xf bound_ctrl:1
	v_ashrrev_i64 v[2:3], 29, v[2:3]
	v_lshl_add_u64 v[2:3], s[30:31], 0, v[2:3]
	global_load_dwordx2 v[2:3], v[2:3], off
	v_mbcnt_lo_u32_b32 v1, -1, 0
	v_mbcnt_hi_u32_b32 v5, -1, v1
	v_lshlrev_b32_e32 v1, 2, v5
	v_or_b32_e32 v4, 0xfc, v1
	v_cmp_eq_u32_e32 vcc, 0, v5
	s_waitcnt vmcnt(0)
	ds_bpermute_b32 v2, v4, v2
	ds_bpermute_b32 v3, v4, v3
	s_and_saveexec_b64 s[4:5], vcc
	s_cbranch_execz .LBB902_149
; %bb.148:
	v_lshrrev_b32_e32 v4, 3, v0
	v_and_b32_e32 v4, 24, v4
	s_waitcnt lgkmcnt(0)
	ds_write_b64 v4, v[2:3] offset:128
.LBB902_149:
	s_or_b64 exec, exec, s[4:5]
	v_cmp_gt_u32_e32 vcc, 64, v0
	s_mov_b64 s[4:5], 0
	s_mov_b64 s[6:7], 0
	s_waitcnt lgkmcnt(0)
	s_barrier
                                        ; implicit-def: $vgpr4
	s_and_saveexec_b64 s[10:11], vcc
	s_xor_b64 s[10:11], exec, s[10:11]
	s_cbranch_execz .LBB902_151
; %bb.150:
	v_and_b32_e32 v2, 3, v5
	v_lshlrev_b32_e32 v3, 3, v2
	ds_read_b32 v3, v3 offset:128
	v_cmp_ne_u32_e32 vcc, 3, v2
	v_or_b32_e32 v1, 8, v1
	s_mov_b64 s[6:7], exec
	v_addc_co_u32_e32 v2, vcc, 0, v5, vcc
	v_lshlrev_b32_e32 v2, 2, v2
	s_waitcnt lgkmcnt(0)
	ds_bpermute_b32 v2, v2, v3
	s_waitcnt lgkmcnt(0)
	v_add_u32_e32 v3, v3, v2
	v_mov_b32_e32 v2, 0
	v_ashrrev_i64 v[2:3], 29, v[2:3]
	v_lshl_add_u64 v[2:3], s[30:31], 0, v[2:3]
	global_load_dwordx2 v[2:3], v[2:3], off
	s_waitcnt vmcnt(0)
	ds_bpermute_b32 v4, v1, v2
.LBB902_151:
	s_or_b64 exec, exec, s[10:11]
	s_and_b64 vcc, exec, s[4:5]
	s_cbranch_vccnz .LBB902_155
	s_branch .LBB902_185
.LBB902_152:
                                        ; implicit-def: $vgpr2_vgpr3
.LBB902_153:
	s_branch .LBB902_239
.LBB902_154:
	s_mov_b64 s[6:7], 0
                                        ; implicit-def: $vgpr4
                                        ; implicit-def: $vgpr2_vgpr3
	s_cbranch_execz .LBB902_185
.LBB902_155:
	s_sub_i32 s12, s38, s0
	s_waitcnt vmcnt(0)
	v_mov_b32_e32 v2, 0
	v_cmp_gt_u32_e32 vcc, s12, v0
	v_mov_b32_e32 v3, v2
	s_waitcnt lgkmcnt(0)
	v_mov_b32_e32 v4, v2
	v_mov_b32_e32 v6, v2
	v_mov_b32_e32 v8, v2
	s_and_saveexec_b64 s[0:1], vcc
	s_cbranch_execz .LBB902_157
; %bb.156:
	v_lshlrev_b32_e32 v1, 3, v0
	global_load_dwordx2 v[4:5], v1, s[8:9]
	v_mov_b32_e32 v6, v2
	v_mov_b32_e32 v8, v2
	;; [unrolled: 1-line block ×3, first 2 shown]
	s_waitcnt vmcnt(0)
	v_mov_b64_e32 v[2:3], v[4:5]
	v_mov_b64_e32 v[4:5], v[6:7]
	;; [unrolled: 1-line block ×4, first 2 shown]
.LBB902_157:
	s_or_b64 exec, exec, s[0:1]
	v_or_b32_e32 v1, 0x100, v0
	v_cmp_gt_u32_e32 vcc, s12, v1
	s_and_saveexec_b64 s[0:1], vcc
	s_cbranch_execz .LBB902_159
; %bb.158:
	v_lshlrev_b32_e32 v1, 3, v0
	global_load_dwordx2 v[4:5], v1, s[8:9] offset:2048
.LBB902_159:
	s_or_b64 exec, exec, s[0:1]
	v_or_b32_e32 v1, 0x200, v0
	v_cmp_gt_u32_e64 s[0:1], s12, v1
	s_and_saveexec_b64 s[4:5], s[0:1]
	s_cbranch_execz .LBB902_161
; %bb.160:
	v_lshlrev_b32_e32 v1, 3, v1
	global_load_dwordx2 v[6:7], v1, s[8:9]
.LBB902_161:
	s_or_b64 exec, exec, s[4:5]
	v_or_b32_e32 v1, 0x300, v0
	v_cmp_gt_u32_e64 s[4:5], s12, v1
	s_and_saveexec_b64 s[10:11], s[4:5]
	s_cbranch_execnz .LBB902_271
; %bb.162:
	s_or_b64 exec, exec, s[10:11]
	s_and_saveexec_b64 s[8:9], vcc
	s_cbranch_execnz .LBB902_272
.LBB902_163:
	s_or_b64 exec, exec, s[8:9]
	s_and_saveexec_b64 s[8:9], s[0:1]
	s_cbranch_execnz .LBB902_273
.LBB902_164:
	s_or_b64 exec, exec, s[8:9]
	s_and_saveexec_b64 s[0:1], s[4:5]
	s_cbranch_execz .LBB902_166
.LBB902_165:
	s_waitcnt vmcnt(0)
	v_add_u32_e32 v3, v2, v8
	v_mov_b32_e32 v2, 0
	v_ashrrev_i64 v[2:3], 29, v[2:3]
	v_lshl_add_u64 v[2:3], s[30:31], 0, v[2:3]
	global_load_dwordx2 v[2:3], v[2:3], off
.LBB902_166:
	s_or_b64 exec, exec, s[0:1]
	v_mbcnt_lo_u32_b32 v1, -1, 0
	v_mbcnt_hi_u32_b32 v1, -1, v1
	s_waitcnt vmcnt(0)
	v_and_b32_e32 v4, 63, v1
	v_cmp_ne_u32_e32 vcc, 63, v4
	s_min_u32 s4, s12, 0x100
	v_add_u32_e32 v7, 1, v4
	v_addc_co_u32_e32 v5, vcc, 0, v1, vcc
	v_lshlrev_b32_e32 v5, 2, v5
	ds_bpermute_b32 v6, v5, v2
	v_and_b32_e32 v5, 0xc0, v0
	v_sub_u32_e64 v5, s4, v5 clamp
	v_cmp_lt_u32_e32 vcc, v7, v5
	s_and_saveexec_b64 s[0:1], vcc
	s_xor_b64 s[0:1], exec, s[0:1]
	s_cbranch_execz .LBB902_168
; %bb.167:
	s_waitcnt lgkmcnt(0)
	v_add_u32_e32 v3, v2, v6
	v_mov_b32_e32 v2, 0
	v_ashrrev_i64 v[2:3], 29, v[2:3]
	v_lshl_add_u64 v[2:3], s[30:31], 0, v[2:3]
	global_load_dwordx2 v[2:3], v[2:3], off
.LBB902_168:
	s_or_b64 exec, exec, s[0:1]
	v_cmp_gt_u32_e32 vcc, 62, v4
	v_add_u32_e32 v7, 2, v4
	s_waitcnt lgkmcnt(0)
	v_cndmask_b32_e64 v6, 0, 2, vcc
	v_add_lshl_u32 v6, v6, v1, 2
	s_waitcnt vmcnt(0)
	ds_bpermute_b32 v6, v6, v2
	v_cmp_lt_u32_e32 vcc, v7, v5
	s_and_saveexec_b64 s[0:1], vcc
	s_cbranch_execz .LBB902_170
; %bb.169:
	s_waitcnt lgkmcnt(0)
	v_add_u32_e32 v3, v2, v6
	v_mov_b32_e32 v2, 0
	v_ashrrev_i64 v[2:3], 29, v[2:3]
	v_lshl_add_u64 v[2:3], s[30:31], 0, v[2:3]
	global_load_dwordx2 v[2:3], v[2:3], off
.LBB902_170:
	s_or_b64 exec, exec, s[0:1]
	v_cmp_gt_u32_e32 vcc, 60, v4
	v_add_u32_e32 v7, 4, v4
	s_waitcnt lgkmcnt(0)
	v_cndmask_b32_e64 v6, 0, 4, vcc
	v_add_lshl_u32 v6, v6, v1, 2
	s_waitcnt vmcnt(0)
	ds_bpermute_b32 v6, v6, v2
	v_cmp_lt_u32_e32 vcc, v7, v5
	s_and_saveexec_b64 s[0:1], vcc
	;; [unrolled: 19-line block ×4, first 2 shown]
	s_cbranch_execz .LBB902_176
; %bb.175:
	s_waitcnt lgkmcnt(0)
	v_add_u32_e32 v3, v2, v6
	v_mov_b32_e32 v2, 0
	v_ashrrev_i64 v[2:3], 29, v[2:3]
	v_lshl_add_u64 v[2:3], s[30:31], 0, v[2:3]
	global_load_dwordx2 v[2:3], v[2:3], off
.LBB902_176:
	s_or_b64 exec, exec, s[0:1]
	s_waitcnt lgkmcnt(0)
	v_lshlrev_b32_e32 v6, 2, v1
	v_or_b32_e32 v7, 0x80, v6
	s_waitcnt vmcnt(0)
	ds_bpermute_b32 v7, v7, v2
	v_add_u32_e32 v4, 32, v4
	v_cmp_lt_u32_e32 vcc, v4, v5
	s_and_saveexec_b64 s[0:1], vcc
	s_cbranch_execz .LBB902_178
; %bb.177:
	s_waitcnt lgkmcnt(0)
	v_add_u32_e32 v3, v2, v7
	v_mov_b32_e32 v2, 0
	v_ashrrev_i64 v[2:3], 29, v[2:3]
	v_lshl_add_u64 v[2:3], s[30:31], 0, v[2:3]
	global_load_dwordx2 v[2:3], v[2:3], off
.LBB902_178:
	s_or_b64 exec, exec, s[0:1]
	v_cmp_eq_u32_e32 vcc, 0, v1
	s_and_saveexec_b64 s[0:1], vcc
	s_cbranch_execz .LBB902_180
; %bb.179:
	v_lshrrev_b32_e32 v4, 3, v0
	v_and_b32_e32 v4, 24, v4
	s_waitcnt vmcnt(0)
	ds_write_b64 v4, v[2:3]
.LBB902_180:
	s_or_b64 exec, exec, s[0:1]
	v_cmp_gt_u32_e32 vcc, 4, v0
	s_waitcnt lgkmcnt(0)
	s_barrier
                                        ; implicit-def: $vgpr4
	s_and_saveexec_b64 s[0:1], vcc
	s_cbranch_execz .LBB902_184
; %bb.181:
	s_waitcnt vmcnt(0)
	v_lshlrev_b32_e32 v2, 3, v1
	ds_read_b64 v[2:3], v2
	v_and_b32_e32 v4, 3, v1
	v_cmp_ne_u32_e32 vcc, 3, v4
	s_add_i32 s4, s4, 63
	s_lshr_b32 s8, s4, 6
	v_addc_co_u32_e32 v1, vcc, 0, v1, vcc
	v_lshlrev_b32_e32 v1, 2, v1
	s_waitcnt lgkmcnt(0)
	ds_bpermute_b32 v1, v1, v2
	v_add_u32_e32 v3, 1, v4
	v_cmp_gt_u32_e32 vcc, s8, v3
	s_and_saveexec_b64 s[4:5], vcc
	s_cbranch_execz .LBB902_183
; %bb.182:
	s_waitcnt lgkmcnt(0)
	v_add_u32_e32 v3, v2, v1
	v_mov_b32_e32 v2, 0
	v_ashrrev_i64 v[2:3], 29, v[2:3]
	v_lshl_add_u64 v[2:3], s[30:31], 0, v[2:3]
	global_load_dwordx2 v[2:3], v[2:3], off
.LBB902_183:
	s_or_b64 exec, exec, s[4:5]
	s_waitcnt vmcnt(0)
	v_or_b32_e32 v3, 8, v6
	s_waitcnt lgkmcnt(0)
	v_add_u32_e32 v1, 2, v4
	ds_bpermute_b32 v4, v3, v2
	v_cmp_gt_u32_e32 vcc, s8, v1
	s_andn2_b64 s[4:5], s[6:7], exec
	s_and_b64 s[6:7], vcc, exec
	s_or_b64 s[6:7], s[4:5], s[6:7]
.LBB902_184:
	s_or_b64 exec, exec, s[0:1]
.LBB902_185:
	s_and_saveexec_b64 s[0:1], s[6:7]
	s_cbranch_execz .LBB902_187
; %bb.186:
	s_waitcnt vmcnt(0) lgkmcnt(0)
	v_add_u32_e32 v3, v2, v4
	v_mov_b32_e32 v2, 0
	v_ashrrev_i64 v[2:3], 29, v[2:3]
	v_lshl_add_u64 v[2:3], s[30:31], 0, v[2:3]
	global_load_dwordx2 v[2:3], v[2:3], off
.LBB902_187:
	s_or_b64 exec, exec, s[0:1]
	v_cmp_eq_u32_e32 vcc, 0, v0
	s_and_saveexec_b64 s[0:1], vcc
	s_xor_b64 s[0:1], exec, s[0:1]
	s_cbranch_execz .LBB902_189
; %bb.188:
	s_cmp_eq_u64 s[38:39], 0
	s_cselect_b64 s[4:5], -1, 0
	s_cmp_lg_u64 s[38:39], 0
	s_cselect_b64 s[6:7], -1, 0
	s_andn2_b64 s[8:9], s[14:15], exec
	s_and_b64 s[4:5], s[4:5], exec
	s_or_b64 s[14:15], s[8:9], s[4:5]
	s_andn2_b64 s[4:5], s[16:17], exec
	s_and_b64 s[6:7], s[6:7], exec
	s_or_b64 s[16:17], s[4:5], s[6:7]
.LBB902_189:
	s_or_b64 exec, exec, s[0:1]
	s_branch .LBB902_239
.LBB902_190:
	s_cmp_gt_i32 s33, 1
	s_cbranch_scc0 .LBB902_198
; %bb.191:
	s_cmp_eq_u32 s33, 2
	s_cbranch_scc0 .LBB902_199
; %bb.192:
	s_mov_b32 s3, 0
	s_lshl_b32 s6, s2, 9
	s_mov_b32 s7, s3
	s_lshr_b64 s[0:1], s[38:39], 9
	s_lshl_b64 s[4:5], s[6:7], 3
	s_add_u32 s4, s36, s4
	s_addc_u32 s5, s37, s5
	s_cmp_lg_u64 s[0:1], s[2:3]
	s_cbranch_scc0 .LBB902_200
; %bb.193:
	v_lshlrev_b32_e32 v1, 3, v0
	global_load_dword v3, v1, s[4:5]
	s_waitcnt lgkmcnt(0)
	global_load_dword v4, v1, s[4:5] offset:2048
	s_waitcnt vmcnt(2)
	v_mov_b32_e32 v2, 0
	s_waitcnt vmcnt(0)
	v_add_u32_e32 v3, v4, v3
	v_ashrrev_i64 v[4:5], 29, v[2:3]
	v_lshl_add_u64 v[4:5], s[30:31], 0, v[4:5]
	global_load_dword v1, v[4:5], off
	s_waitcnt vmcnt(0)
	s_nop 0
	v_add_u32_dpp v3, v1, v1 quad_perm:[1,0,3,2] row_mask:0xf bank_mask:0xf bound_ctrl:1
	v_ashrrev_i64 v[4:5], 29, v[2:3]
	v_lshl_add_u64 v[4:5], s[30:31], 0, v[4:5]
	global_load_dword v1, v[4:5], off
	s_waitcnt vmcnt(0)
	s_nop 0
	v_add_u32_dpp v3, v1, v1 quad_perm:[2,3,0,1] row_mask:0xf bank_mask:0xf bound_ctrl:1
	v_ashrrev_i64 v[4:5], 29, v[2:3]
	v_lshl_add_u64 v[4:5], s[30:31], 0, v[4:5]
	global_load_dword v1, v[4:5], off
	s_waitcnt vmcnt(0)
	s_nop 0
	v_add_u32_dpp v3, v1, v1 row_ror:4 row_mask:0xf bank_mask:0xf bound_ctrl:1
	v_ashrrev_i64 v[4:5], 29, v[2:3]
	v_lshl_add_u64 v[4:5], s[30:31], 0, v[4:5]
	global_load_dword v1, v[4:5], off
	s_waitcnt vmcnt(0)
	s_nop 0
	v_add_u32_dpp v3, v1, v1 row_ror:8 row_mask:0xf bank_mask:0xf bound_ctrl:1
	v_ashrrev_i64 v[4:5], 29, v[2:3]
	v_lshl_add_u64 v[4:5], s[30:31], 0, v[4:5]
	global_load_dword v1, v[4:5], off
	s_waitcnt vmcnt(0)
	s_nop 0
	v_add_u32_dpp v3, v1, v1 row_bcast:15 row_mask:0xf bank_mask:0xf bound_ctrl:1
	v_ashrrev_i64 v[4:5], 29, v[2:3]
	v_lshl_add_u64 v[4:5], s[30:31], 0, v[4:5]
	global_load_dword v1, v[4:5], off
	s_waitcnt vmcnt(0)
	s_nop 0
	v_add_u32_dpp v3, v1, v1 row_bcast:31 row_mask:0xf bank_mask:0xf bound_ctrl:1
	v_ashrrev_i64 v[2:3], 29, v[2:3]
	v_lshl_add_u64 v[2:3], s[30:31], 0, v[2:3]
	global_load_dwordx2 v[2:3], v[2:3], off
	v_mbcnt_lo_u32_b32 v1, -1, 0
	v_mbcnt_hi_u32_b32 v5, -1, v1
	v_lshlrev_b32_e32 v1, 2, v5
	v_or_b32_e32 v4, 0xfc, v1
	v_cmp_eq_u32_e32 vcc, 0, v5
	s_waitcnt vmcnt(0)
	ds_bpermute_b32 v2, v4, v2
	ds_bpermute_b32 v3, v4, v3
	s_and_saveexec_b64 s[0:1], vcc
	s_cbranch_execz .LBB902_195
; %bb.194:
	v_lshrrev_b32_e32 v4, 3, v0
	v_and_b32_e32 v4, 24, v4
	s_waitcnt lgkmcnt(0)
	ds_write_b64 v4, v[2:3] offset:96
.LBB902_195:
	s_or_b64 exec, exec, s[0:1]
	v_cmp_gt_u32_e32 vcc, 64, v0
	s_mov_b64 s[8:9], 0
	s_mov_b64 s[0:1], 0
	s_waitcnt lgkmcnt(0)
	s_barrier
                                        ; implicit-def: $vgpr4
	s_and_saveexec_b64 s[10:11], vcc
	s_xor_b64 s[10:11], exec, s[10:11]
	s_cbranch_execz .LBB902_197
; %bb.196:
	v_and_b32_e32 v2, 3, v5
	v_lshlrev_b32_e32 v3, 3, v2
	ds_read_b32 v3, v3 offset:96
	v_cmp_ne_u32_e32 vcc, 3, v2
	v_or_b32_e32 v1, 8, v1
	s_mov_b64 s[0:1], exec
	v_addc_co_u32_e32 v2, vcc, 0, v5, vcc
	v_lshlrev_b32_e32 v2, 2, v2
	s_waitcnt lgkmcnt(0)
	ds_bpermute_b32 v2, v2, v3
	s_waitcnt lgkmcnt(0)
	v_add_u32_e32 v3, v3, v2
	v_mov_b32_e32 v2, 0
	v_ashrrev_i64 v[2:3], 29, v[2:3]
	v_lshl_add_u64 v[2:3], s[30:31], 0, v[2:3]
	global_load_dwordx2 v[2:3], v[2:3], off
	s_waitcnt vmcnt(0)
	ds_bpermute_b32 v4, v1, v2
.LBB902_197:
	s_or_b64 exec, exec, s[10:11]
	s_and_b64 vcc, exec, s[8:9]
	s_cbranch_vccnz .LBB902_201
	s_branch .LBB902_226
.LBB902_198:
                                        ; implicit-def: $vgpr2_vgpr3
	s_cbranch_execnz .LBB902_231
	s_branch .LBB902_239
.LBB902_199:
                                        ; implicit-def: $vgpr2_vgpr3
	s_branch .LBB902_239
.LBB902_200:
	s_mov_b64 s[0:1], 0
                                        ; implicit-def: $vgpr4
                                        ; implicit-def: $vgpr2_vgpr3
	s_cbranch_execz .LBB902_226
.LBB902_201:
	s_sub_i32 s8, s38, s6
	s_waitcnt vmcnt(0)
	v_mov_b32_e32 v2, 0
	v_cmp_gt_u32_e32 vcc, s8, v0
	v_mov_b32_e32 v3, v2
	s_waitcnt lgkmcnt(0)
	v_mov_b32_e32 v4, v2
	s_and_saveexec_b64 s[6:7], vcc
	s_cbranch_execz .LBB902_203
; %bb.202:
	v_lshlrev_b32_e32 v1, 3, v0
	global_load_dwordx2 v[4:5], v1, s[4:5]
	v_mov_b32_e32 v6, v2
	s_waitcnt vmcnt(0)
	v_mov_b64_e32 v[2:3], v[4:5]
	v_mov_b64_e32 v[4:5], v[6:7]
.LBB902_203:
	s_or_b64 exec, exec, s[6:7]
	v_or_b32_e32 v1, 0x100, v0
	v_cmp_gt_u32_e32 vcc, s8, v1
	s_and_saveexec_b64 s[6:7], vcc
	s_cbranch_execz .LBB902_205
; %bb.204:
	v_lshlrev_b32_e32 v1, 3, v0
	global_load_dwordx2 v[4:5], v1, s[4:5] offset:2048
.LBB902_205:
	s_or_b64 exec, exec, s[6:7]
	s_and_saveexec_b64 s[4:5], vcc
	s_cbranch_execz .LBB902_207
; %bb.206:
	s_waitcnt vmcnt(0)
	v_add_u32_e32 v3, v2, v4
	v_mov_b32_e32 v2, 0
	v_ashrrev_i64 v[2:3], 29, v[2:3]
	v_lshl_add_u64 v[2:3], s[30:31], 0, v[2:3]
	global_load_dwordx2 v[2:3], v[2:3], off
.LBB902_207:
	s_or_b64 exec, exec, s[4:5]
	v_mbcnt_lo_u32_b32 v1, -1, 0
	v_mbcnt_hi_u32_b32 v1, -1, v1
	s_waitcnt vmcnt(0)
	v_and_b32_e32 v4, 63, v1
	v_cmp_ne_u32_e32 vcc, 63, v4
	s_min_u32 s6, s8, 0x100
	v_add_u32_e32 v7, 1, v4
	v_addc_co_u32_e32 v5, vcc, 0, v1, vcc
	v_lshlrev_b32_e32 v5, 2, v5
	ds_bpermute_b32 v6, v5, v2
	v_and_b32_e32 v5, 0xc0, v0
	v_sub_u32_e64 v5, s6, v5 clamp
	v_cmp_lt_u32_e32 vcc, v7, v5
	s_and_saveexec_b64 s[4:5], vcc
	s_xor_b64 s[4:5], exec, s[4:5]
	s_cbranch_execz .LBB902_209
; %bb.208:
	s_waitcnt lgkmcnt(0)
	v_add_u32_e32 v3, v2, v6
	v_mov_b32_e32 v2, 0
	v_ashrrev_i64 v[2:3], 29, v[2:3]
	v_lshl_add_u64 v[2:3], s[30:31], 0, v[2:3]
	global_load_dwordx2 v[2:3], v[2:3], off
.LBB902_209:
	s_or_b64 exec, exec, s[4:5]
	v_cmp_gt_u32_e32 vcc, 62, v4
	v_add_u32_e32 v7, 2, v4
	s_waitcnt lgkmcnt(0)
	v_cndmask_b32_e64 v6, 0, 2, vcc
	v_add_lshl_u32 v6, v6, v1, 2
	s_waitcnt vmcnt(0)
	ds_bpermute_b32 v6, v6, v2
	v_cmp_lt_u32_e32 vcc, v7, v5
	s_and_saveexec_b64 s[4:5], vcc
	s_cbranch_execz .LBB902_211
; %bb.210:
	s_waitcnt lgkmcnt(0)
	v_add_u32_e32 v3, v2, v6
	v_mov_b32_e32 v2, 0
	v_ashrrev_i64 v[2:3], 29, v[2:3]
	v_lshl_add_u64 v[2:3], s[30:31], 0, v[2:3]
	global_load_dwordx2 v[2:3], v[2:3], off
.LBB902_211:
	s_or_b64 exec, exec, s[4:5]
	v_cmp_gt_u32_e32 vcc, 60, v4
	v_add_u32_e32 v7, 4, v4
	s_waitcnt lgkmcnt(0)
	v_cndmask_b32_e64 v6, 0, 4, vcc
	v_add_lshl_u32 v6, v6, v1, 2
	s_waitcnt vmcnt(0)
	ds_bpermute_b32 v6, v6, v2
	v_cmp_lt_u32_e32 vcc, v7, v5
	s_and_saveexec_b64 s[4:5], vcc
	;; [unrolled: 19-line block ×4, first 2 shown]
	s_cbranch_execz .LBB902_217
; %bb.216:
	s_waitcnt lgkmcnt(0)
	v_add_u32_e32 v3, v2, v6
	v_mov_b32_e32 v2, 0
	v_ashrrev_i64 v[2:3], 29, v[2:3]
	v_lshl_add_u64 v[2:3], s[30:31], 0, v[2:3]
	global_load_dwordx2 v[2:3], v[2:3], off
.LBB902_217:
	s_or_b64 exec, exec, s[4:5]
	s_waitcnt lgkmcnt(0)
	v_lshlrev_b32_e32 v6, 2, v1
	v_or_b32_e32 v7, 0x80, v6
	s_waitcnt vmcnt(0)
	ds_bpermute_b32 v7, v7, v2
	v_add_u32_e32 v4, 32, v4
	v_cmp_lt_u32_e32 vcc, v4, v5
	s_and_saveexec_b64 s[4:5], vcc
	s_cbranch_execz .LBB902_219
; %bb.218:
	s_waitcnt lgkmcnt(0)
	v_add_u32_e32 v3, v2, v7
	v_mov_b32_e32 v2, 0
	v_ashrrev_i64 v[2:3], 29, v[2:3]
	v_lshl_add_u64 v[2:3], s[30:31], 0, v[2:3]
	global_load_dwordx2 v[2:3], v[2:3], off
.LBB902_219:
	s_or_b64 exec, exec, s[4:5]
	v_cmp_eq_u32_e32 vcc, 0, v1
	s_and_saveexec_b64 s[4:5], vcc
	s_cbranch_execz .LBB902_221
; %bb.220:
	v_lshrrev_b32_e32 v4, 3, v0
	v_and_b32_e32 v4, 24, v4
	s_waitcnt vmcnt(0)
	ds_write_b64 v4, v[2:3]
.LBB902_221:
	s_or_b64 exec, exec, s[4:5]
	v_cmp_gt_u32_e32 vcc, 4, v0
	s_waitcnt lgkmcnt(0)
	s_barrier
                                        ; implicit-def: $vgpr4
	s_and_saveexec_b64 s[4:5], vcc
	s_cbranch_execz .LBB902_225
; %bb.222:
	s_waitcnt vmcnt(0)
	v_lshlrev_b32_e32 v2, 3, v1
	ds_read_b64 v[2:3], v2
	v_and_b32_e32 v4, 3, v1
	v_cmp_ne_u32_e32 vcc, 3, v4
	s_add_i32 s6, s6, 63
	s_lshr_b32 s8, s6, 6
	v_addc_co_u32_e32 v1, vcc, 0, v1, vcc
	v_lshlrev_b32_e32 v1, 2, v1
	s_waitcnt lgkmcnt(0)
	ds_bpermute_b32 v1, v1, v2
	v_add_u32_e32 v3, 1, v4
	v_cmp_gt_u32_e32 vcc, s8, v3
	s_and_saveexec_b64 s[6:7], vcc
	s_cbranch_execz .LBB902_224
; %bb.223:
	s_waitcnt lgkmcnt(0)
	v_add_u32_e32 v3, v2, v1
	v_mov_b32_e32 v2, 0
	v_ashrrev_i64 v[2:3], 29, v[2:3]
	v_lshl_add_u64 v[2:3], s[30:31], 0, v[2:3]
	global_load_dwordx2 v[2:3], v[2:3], off
.LBB902_224:
	s_or_b64 exec, exec, s[6:7]
	s_waitcnt vmcnt(0)
	v_or_b32_e32 v3, 8, v6
	s_waitcnt lgkmcnt(0)
	v_add_u32_e32 v1, 2, v4
	ds_bpermute_b32 v4, v3, v2
	v_cmp_gt_u32_e32 vcc, s8, v1
	s_andn2_b64 s[0:1], s[0:1], exec
	s_and_b64 s[6:7], vcc, exec
	s_or_b64 s[0:1], s[0:1], s[6:7]
.LBB902_225:
	s_or_b64 exec, exec, s[4:5]
.LBB902_226:
	s_and_saveexec_b64 s[4:5], s[0:1]
	s_cbranch_execz .LBB902_228
; %bb.227:
	s_waitcnt vmcnt(0) lgkmcnt(0)
	v_add_u32_e32 v3, v2, v4
	v_mov_b32_e32 v2, 0
	v_ashrrev_i64 v[2:3], 29, v[2:3]
	v_lshl_add_u64 v[2:3], s[30:31], 0, v[2:3]
	global_load_dwordx2 v[2:3], v[2:3], off
.LBB902_228:
	s_or_b64 exec, exec, s[4:5]
	v_cmp_eq_u32_e32 vcc, 0, v0
	s_and_saveexec_b64 s[0:1], vcc
	s_xor_b64 s[0:1], exec, s[0:1]
	s_cbranch_execz .LBB902_230
; %bb.229:
	s_cmp_eq_u64 s[38:39], 0
	s_cselect_b64 s[4:5], -1, 0
	s_cmp_lg_u64 s[38:39], 0
	s_cselect_b64 s[6:7], -1, 0
	s_andn2_b64 s[8:9], s[14:15], exec
	s_and_b64 s[4:5], s[4:5], exec
	s_or_b64 s[14:15], s[8:9], s[4:5]
	s_andn2_b64 s[4:5], s[16:17], exec
	s_and_b64 s[6:7], s[6:7], exec
	s_or_b64 s[16:17], s[4:5], s[6:7]
.LBB902_230:
	s_or_b64 exec, exec, s[0:1]
	s_branch .LBB902_239
.LBB902_231:
	s_cmp_eq_u32 s33, 1
	s_cbranch_scc0 .LBB902_238
; %bb.232:
	s_mov_b32 s5, 0
	s_lshl_b32 s4, s2, 8
	s_mov_b32 s3, s5
	s_lshr_b64 s[0:1], s[38:39], 8
	s_cmp_lg_u64 s[0:1], s[2:3]
	v_mbcnt_lo_u32_b32 v1, -1, 0
	s_cbranch_scc0 .LBB902_242
; %bb.233:
	s_lshl_b64 s[0:1], s[4:5], 3
	s_add_u32 s0, s36, s0
	s_addc_u32 s1, s37, s1
	s_waitcnt vmcnt(0)
	v_lshlrev_b32_e32 v2, 3, v0
	global_load_dword v3, v2, s[0:1]
	v_mov_b32_e32 v2, 0
	v_mbcnt_hi_u32_b32 v6, -1, v1
	v_cmp_eq_u32_e32 vcc, 0, v6
	s_waitcnt vmcnt(0)
	v_add_u32_dpp v3, v3, v3 quad_perm:[1,0,3,2] row_mask:0xf bank_mask:0xf bound_ctrl:1
	s_waitcnt lgkmcnt(0)
	v_ashrrev_i64 v[4:5], 29, v[2:3]
	v_lshl_add_u64 v[4:5], s[30:31], 0, v[4:5]
	global_load_dword v3, v[4:5], off
	s_waitcnt vmcnt(0)
	s_nop 0
	v_add_u32_dpp v3, v3, v3 quad_perm:[2,3,0,1] row_mask:0xf bank_mask:0xf bound_ctrl:1
	v_ashrrev_i64 v[4:5], 29, v[2:3]
	v_lshl_add_u64 v[4:5], s[30:31], 0, v[4:5]
	global_load_dword v3, v[4:5], off
	s_waitcnt vmcnt(0)
	s_nop 0
	v_add_u32_dpp v3, v3, v3 row_ror:4 row_mask:0xf bank_mask:0xf bound_ctrl:1
	v_ashrrev_i64 v[4:5], 29, v[2:3]
	v_lshl_add_u64 v[4:5], s[30:31], 0, v[4:5]
	global_load_dword v3, v[4:5], off
	s_waitcnt vmcnt(0)
	s_nop 0
	v_add_u32_dpp v3, v3, v3 row_ror:8 row_mask:0xf bank_mask:0xf bound_ctrl:1
	v_ashrrev_i64 v[4:5], 29, v[2:3]
	v_lshl_add_u64 v[4:5], s[30:31], 0, v[4:5]
	global_load_dword v3, v[4:5], off
	s_waitcnt vmcnt(0)
	s_nop 0
	v_add_u32_dpp v3, v3, v3 row_bcast:15 row_mask:0xf bank_mask:0xf bound_ctrl:1
	v_ashrrev_i64 v[4:5], 29, v[2:3]
	v_lshl_add_u64 v[4:5], s[30:31], 0, v[4:5]
	global_load_dword v3, v[4:5], off
	v_lshlrev_b32_e32 v5, 2, v6
	v_or_b32_e32 v4, 0xfc, v5
	s_waitcnt vmcnt(0)
	v_add_u32_dpp v3, v3, v3 row_bcast:31 row_mask:0xf bank_mask:0xf bound_ctrl:1
	v_ashrrev_i64 v[2:3], 29, v[2:3]
	v_lshl_add_u64 v[2:3], s[30:31], 0, v[2:3]
	global_load_dwordx2 v[2:3], v[2:3], off
	s_waitcnt vmcnt(0)
	ds_bpermute_b32 v2, v4, v2
	ds_bpermute_b32 v3, v4, v3
	s_and_saveexec_b64 s[0:1], vcc
	s_cbranch_execz .LBB902_235
; %bb.234:
	v_lshrrev_b32_e32 v4, 3, v0
	v_and_b32_e32 v4, 24, v4
	s_waitcnt lgkmcnt(0)
	ds_write_b64 v4, v[2:3] offset:64
.LBB902_235:
	s_or_b64 exec, exec, s[0:1]
	v_cmp_gt_u32_e32 vcc, 64, v0
	s_mov_b64 s[6:7], 0
	s_mov_b64 s[0:1], 0
	s_waitcnt lgkmcnt(0)
	s_barrier
                                        ; implicit-def: $vgpr4
	s_and_saveexec_b64 s[8:9], vcc
	s_xor_b64 s[8:9], exec, s[8:9]
	s_cbranch_execz .LBB902_237
; %bb.236:
	v_and_b32_e32 v2, 3, v6
	v_lshlrev_b32_e32 v3, 3, v2
	ds_read_b32 v3, v3 offset:64
	v_cmp_ne_u32_e32 vcc, 3, v2
	s_mov_b64 s[0:1], exec
	s_nop 0
	v_addc_co_u32_e32 v2, vcc, 0, v6, vcc
	v_lshlrev_b32_e32 v2, 2, v2
	s_waitcnt lgkmcnt(0)
	ds_bpermute_b32 v2, v2, v3
	s_waitcnt lgkmcnt(0)
	v_add_u32_e32 v3, v3, v2
	v_mov_b32_e32 v2, 0
	v_ashrrev_i64 v[2:3], 29, v[2:3]
	v_lshl_add_u64 v[2:3], s[30:31], 0, v[2:3]
	global_load_dwordx2 v[2:3], v[2:3], off
	s_waitcnt vmcnt(0)
	v_or_b32_e32 v3, 8, v5
	ds_bpermute_b32 v4, v3, v2
.LBB902_237:
	s_or_b64 exec, exec, s[8:9]
	s_and_b64 vcc, exec, s[6:7]
	s_cbranch_vccnz .LBB902_243
	s_branch .LBB902_264
.LBB902_238:
                                        ; implicit-def: $sgpr2_sgpr3
                                        ; implicit-def: $vgpr2_vgpr3
.LBB902_239:
	v_mov_b64_e32 v[0:1], s[42:43]
	s_and_saveexec_b64 s[0:1], s[16:17]
	s_cbranch_execnz .LBB902_269
.LBB902_240:
	s_or_b64 exec, exec, s[0:1]
	s_and_saveexec_b64 s[0:1], s[14:15]
	s_cbranch_execnz .LBB902_270
.LBB902_241:
	s_endpgm
.LBB902_242:
	s_mov_b64 s[0:1], 0
                                        ; implicit-def: $vgpr4
                                        ; implicit-def: $vgpr2_vgpr3
	s_cbranch_execz .LBB902_264
.LBB902_243:
	s_sub_i32 s8, s38, s4
	v_cmp_gt_u32_e32 vcc, s8, v0
                                        ; implicit-def: $vgpr2_vgpr3
	s_and_saveexec_b64 s[6:7], vcc
	s_cbranch_execz .LBB902_245
; %bb.244:
	s_lshl_b64 s[4:5], s[4:5], 3
	s_add_u32 s4, s36, s4
	s_addc_u32 s5, s37, s5
	s_waitcnt vmcnt(0)
	v_lshlrev_b32_e32 v2, 3, v0
	global_load_dwordx2 v[2:3], v2, s[4:5]
.LBB902_245:
	s_or_b64 exec, exec, s[6:7]
	v_mbcnt_hi_u32_b32 v1, -1, v1
	s_waitcnt lgkmcnt(0)
	v_and_b32_e32 v4, 63, v1
	v_cmp_ne_u32_e32 vcc, 63, v4
	s_min_u32 s6, s8, 0x100
	v_add_u32_e32 v7, 1, v4
	v_addc_co_u32_e32 v5, vcc, 0, v1, vcc
	v_lshlrev_b32_e32 v5, 2, v5
	s_waitcnt vmcnt(0)
	ds_bpermute_b32 v6, v5, v2
	v_and_b32_e32 v5, 0xc0, v0
	v_sub_u32_e64 v5, s6, v5 clamp
	v_cmp_lt_u32_e32 vcc, v7, v5
	s_and_saveexec_b64 s[4:5], vcc
	s_cbranch_execz .LBB902_247
; %bb.246:
	s_waitcnt lgkmcnt(0)
	v_add_u32_e32 v3, v2, v6
	v_mov_b32_e32 v2, 0
	v_ashrrev_i64 v[2:3], 29, v[2:3]
	v_lshl_add_u64 v[2:3], s[30:31], 0, v[2:3]
	global_load_dwordx2 v[2:3], v[2:3], off
.LBB902_247:
	s_or_b64 exec, exec, s[4:5]
	v_cmp_gt_u32_e32 vcc, 62, v4
	v_add_u32_e32 v7, 2, v4
	s_waitcnt lgkmcnt(0)
	v_cndmask_b32_e64 v6, 0, 2, vcc
	v_add_lshl_u32 v6, v6, v1, 2
	s_waitcnt vmcnt(0)
	ds_bpermute_b32 v6, v6, v2
	v_cmp_lt_u32_e32 vcc, v7, v5
	s_and_saveexec_b64 s[4:5], vcc
	s_cbranch_execz .LBB902_249
; %bb.248:
	s_waitcnt lgkmcnt(0)
	v_add_u32_e32 v3, v2, v6
	v_mov_b32_e32 v2, 0
	v_ashrrev_i64 v[2:3], 29, v[2:3]
	v_lshl_add_u64 v[2:3], s[30:31], 0, v[2:3]
	global_load_dwordx2 v[2:3], v[2:3], off
.LBB902_249:
	s_or_b64 exec, exec, s[4:5]
	v_cmp_gt_u32_e32 vcc, 60, v4
	v_add_u32_e32 v7, 4, v4
	s_waitcnt lgkmcnt(0)
	v_cndmask_b32_e64 v6, 0, 4, vcc
	v_add_lshl_u32 v6, v6, v1, 2
	s_waitcnt vmcnt(0)
	ds_bpermute_b32 v6, v6, v2
	;; [unrolled: 19-line block ×4, first 2 shown]
	v_cmp_lt_u32_e32 vcc, v7, v5
	s_and_saveexec_b64 s[4:5], vcc
	s_cbranch_execz .LBB902_255
; %bb.254:
	s_waitcnt lgkmcnt(0)
	v_add_u32_e32 v3, v2, v6
	v_mov_b32_e32 v2, 0
	v_ashrrev_i64 v[2:3], 29, v[2:3]
	v_lshl_add_u64 v[2:3], s[30:31], 0, v[2:3]
	global_load_dwordx2 v[2:3], v[2:3], off
.LBB902_255:
	s_or_b64 exec, exec, s[4:5]
	s_waitcnt lgkmcnt(0)
	v_lshlrev_b32_e32 v6, 2, v1
	v_or_b32_e32 v7, 0x80, v6
	s_waitcnt vmcnt(0)
	ds_bpermute_b32 v7, v7, v2
	v_add_u32_e32 v4, 32, v4
	v_cmp_lt_u32_e32 vcc, v4, v5
	s_and_saveexec_b64 s[4:5], vcc
	s_cbranch_execz .LBB902_257
; %bb.256:
	s_waitcnt lgkmcnt(0)
	v_add_u32_e32 v3, v2, v7
	v_mov_b32_e32 v2, 0
	v_ashrrev_i64 v[2:3], 29, v[2:3]
	v_lshl_add_u64 v[2:3], s[30:31], 0, v[2:3]
	global_load_dwordx2 v[2:3], v[2:3], off
.LBB902_257:
	s_or_b64 exec, exec, s[4:5]
	v_cmp_eq_u32_e32 vcc, 0, v1
	s_and_saveexec_b64 s[4:5], vcc
	s_cbranch_execz .LBB902_259
; %bb.258:
	v_lshrrev_b32_e32 v4, 3, v0
	v_and_b32_e32 v4, 24, v4
	s_waitcnt vmcnt(0)
	ds_write_b64 v4, v[2:3]
.LBB902_259:
	s_or_b64 exec, exec, s[4:5]
	v_cmp_gt_u32_e32 vcc, 4, v0
	s_waitcnt lgkmcnt(0)
	s_barrier
                                        ; implicit-def: $vgpr4
	s_and_saveexec_b64 s[4:5], vcc
	s_cbranch_execz .LBB902_263
; %bb.260:
	s_waitcnt vmcnt(0)
	v_lshlrev_b32_e32 v2, 3, v1
	ds_read_b64 v[2:3], v2
	v_and_b32_e32 v4, 3, v1
	v_cmp_ne_u32_e32 vcc, 3, v4
	s_add_i32 s6, s6, 63
	s_lshr_b32 s8, s6, 6
	v_addc_co_u32_e32 v1, vcc, 0, v1, vcc
	v_lshlrev_b32_e32 v1, 2, v1
	s_waitcnt lgkmcnt(0)
	ds_bpermute_b32 v1, v1, v2
	v_add_u32_e32 v3, 1, v4
	v_cmp_gt_u32_e32 vcc, s8, v3
	s_and_saveexec_b64 s[6:7], vcc
	s_cbranch_execz .LBB902_262
; %bb.261:
	s_waitcnt lgkmcnt(0)
	v_add_u32_e32 v3, v2, v1
	v_mov_b32_e32 v2, 0
	v_ashrrev_i64 v[2:3], 29, v[2:3]
	v_lshl_add_u64 v[2:3], s[30:31], 0, v[2:3]
	global_load_dwordx2 v[2:3], v[2:3], off
.LBB902_262:
	s_or_b64 exec, exec, s[6:7]
	s_waitcnt vmcnt(0)
	v_or_b32_e32 v3, 8, v6
	s_waitcnt lgkmcnt(0)
	v_add_u32_e32 v1, 2, v4
	ds_bpermute_b32 v4, v3, v2
	v_cmp_gt_u32_e32 vcc, s8, v1
	s_andn2_b64 s[0:1], s[0:1], exec
	s_and_b64 s[6:7], vcc, exec
	s_or_b64 s[0:1], s[0:1], s[6:7]
.LBB902_263:
	s_or_b64 exec, exec, s[4:5]
.LBB902_264:
	s_and_saveexec_b64 s[4:5], s[0:1]
	s_cbranch_execz .LBB902_266
; %bb.265:
	s_waitcnt vmcnt(0) lgkmcnt(0)
	v_add_u32_e32 v3, v2, v4
	v_mov_b32_e32 v2, 0
	v_ashrrev_i64 v[2:3], 29, v[2:3]
	v_lshl_add_u64 v[2:3], s[30:31], 0, v[2:3]
	global_load_dwordx2 v[2:3], v[2:3], off
.LBB902_266:
	s_or_b64 exec, exec, s[4:5]
	v_cmp_eq_u32_e32 vcc, 0, v0
	s_and_saveexec_b64 s[0:1], vcc
	s_cbranch_execz .LBB902_268
; %bb.267:
	s_cmp_eq_u64 s[38:39], 0
	s_cselect_b64 s[4:5], -1, 0
	s_cmp_lg_u64 s[38:39], 0
	s_cselect_b64 s[6:7], -1, 0
	s_andn2_b64 s[8:9], s[14:15], exec
	s_and_b64 s[4:5], s[4:5], exec
	s_or_b64 s[14:15], s[8:9], s[4:5]
	s_andn2_b64 s[4:5], s[16:17], exec
	s_and_b64 s[6:7], s[6:7], exec
	s_or_b64 s[16:17], s[4:5], s[6:7]
.LBB902_268:
	s_or_b64 exec, exec, s[0:1]
	v_mov_b64_e32 v[0:1], s[42:43]
	s_and_saveexec_b64 s[0:1], s[16:17]
	s_cbranch_execz .LBB902_240
.LBB902_269:
	s_waitcnt vmcnt(0)
	v_add_u32_e32 v1, s42, v2
	v_mov_b32_e32 v0, 0
	v_ashrrev_i64 v[0:1], 29, v[0:1]
	v_lshl_add_u64 v[0:1], s[30:31], 0, v[0:1]
	global_load_dwordx2 v[0:1], v[0:1], off
	s_or_b64 s[14:15], s[14:15], exec
	s_or_b64 exec, exec, s[0:1]
	s_and_saveexec_b64 s[0:1], s[14:15]
	s_cbranch_execz .LBB902_241
.LBB902_270:
	s_lshl_b64 s[0:1], s[2:3], 3
	s_add_u32 s0, s40, s0
	s_addc_u32 s1, s41, s1
	s_waitcnt vmcnt(0)
	v_mov_b32_e32 v2, 0
	global_store_dwordx2 v2, v[0:1], s[0:1]
	s_endpgm
.LBB902_271:
	v_lshlrev_b32_e32 v1, 3, v1
	global_load_dwordx2 v[8:9], v1, s[8:9]
	s_or_b64 exec, exec, s[10:11]
	s_and_saveexec_b64 s[8:9], vcc
	s_cbranch_execz .LBB902_163
.LBB902_272:
	s_waitcnt vmcnt(0)
	v_add_u32_e32 v3, v4, v2
	v_mov_b32_e32 v2, 0
	v_ashrrev_i64 v[2:3], 29, v[2:3]
	v_lshl_add_u64 v[2:3], s[30:31], 0, v[2:3]
	global_load_dwordx2 v[2:3], v[2:3], off
	s_or_b64 exec, exec, s[8:9]
	s_and_saveexec_b64 s[8:9], s[0:1]
	s_cbranch_execz .LBB902_164
.LBB902_273:
	s_waitcnt vmcnt(0)
	v_add_u32_e32 v3, v2, v6
	v_mov_b32_e32 v2, 0
	v_ashrrev_i64 v[2:3], 29, v[2:3]
	v_lshl_add_u64 v[2:3], s[30:31], 0, v[2:3]
	global_load_dwordx2 v[2:3], v[2:3], off
	s_or_b64 exec, exec, s[8:9]
	s_and_saveexec_b64 s[0:1], s[4:5]
	s_cbranch_execnz .LBB902_165
	s_branch .LBB902_166
.LBB902_274:
	v_lshlrev_b32_e32 v1, 3, v1
	global_load_dwordx2 v[32:33], v1, s[46:47]
	s_or_b64 exec, exec, s[48:49]
	s_and_saveexec_b64 s[46:47], vcc
	s_cbranch_execz .LBB902_56
.LBB902_275:
	s_waitcnt vmcnt(0)
	v_add_u32_e32 v3, v4, v2
	v_mov_b32_e32 v2, 0
	v_ashrrev_i64 v[2:3], 29, v[2:3]
	v_lshl_add_u64 v[2:3], s[30:31], 0, v[2:3]
	global_load_dwordx2 v[2:3], v[2:3], off
	s_or_b64 exec, exec, s[46:47]
	s_and_saveexec_b64 s[46:47], s[0:1]
	s_cbranch_execz .LBB902_57
.LBB902_276:
	s_waitcnt vmcnt(0)
	v_add_u32_e32 v3, v2, v6
	v_mov_b32_e32 v2, 0
	v_ashrrev_i64 v[2:3], 29, v[2:3]
	v_lshl_add_u64 v[2:3], s[30:31], 0, v[2:3]
	global_load_dwordx2 v[2:3], v[2:3], off
	s_or_b64 exec, exec, s[46:47]
	s_and_saveexec_b64 s[0:1], s[4:5]
	s_cbranch_execz .LBB902_58
.LBB902_277:
	s_waitcnt vmcnt(0)
	v_add_u32_e32 v3, v2, v8
	v_mov_b32_e32 v2, 0
	v_ashrrev_i64 v[2:3], 29, v[2:3]
	v_lshl_add_u64 v[2:3], s[30:31], 0, v[2:3]
	global_load_dwordx2 v[2:3], v[2:3], off
	s_or_b64 exec, exec, s[0:1]
	s_and_saveexec_b64 s[0:1], s[6:7]
	s_cbranch_execz .LBB902_59
.LBB902_278:
	s_waitcnt vmcnt(0)
	v_add_u32_e32 v3, v2, v10
	v_mov_b32_e32 v2, 0
	v_ashrrev_i64 v[2:3], 29, v[2:3]
	v_lshl_add_u64 v[2:3], s[30:31], 0, v[2:3]
	global_load_dwordx2 v[2:3], v[2:3], off
	s_or_b64 exec, exec, s[0:1]
	s_and_saveexec_b64 s[0:1], s[8:9]
	s_cbranch_execz .LBB902_60
.LBB902_279:
	s_waitcnt vmcnt(0)
	v_add_u32_e32 v3, v2, v12
	v_mov_b32_e32 v2, 0
	v_ashrrev_i64 v[2:3], 29, v[2:3]
	v_lshl_add_u64 v[2:3], s[30:31], 0, v[2:3]
	global_load_dwordx2 v[2:3], v[2:3], off
	s_or_b64 exec, exec, s[0:1]
	s_and_saveexec_b64 s[0:1], s[10:11]
	s_cbranch_execz .LBB902_61
.LBB902_280:
	s_waitcnt vmcnt(0)
	v_add_u32_e32 v3, v2, v14
	v_mov_b32_e32 v2, 0
	v_ashrrev_i64 v[2:3], 29, v[2:3]
	v_lshl_add_u64 v[2:3], s[30:31], 0, v[2:3]
	global_load_dwordx2 v[2:3], v[2:3], off
	s_or_b64 exec, exec, s[0:1]
	s_and_saveexec_b64 s[0:1], s[12:13]
	s_cbranch_execz .LBB902_62
.LBB902_281:
	s_waitcnt vmcnt(0)
	v_add_u32_e32 v3, v2, v16
	v_mov_b32_e32 v2, 0
	v_ashrrev_i64 v[2:3], 29, v[2:3]
	v_lshl_add_u64 v[2:3], s[30:31], 0, v[2:3]
	global_load_dwordx2 v[2:3], v[2:3], off
	s_or_b64 exec, exec, s[0:1]
	s_and_saveexec_b64 s[0:1], s[14:15]
	s_cbranch_execz .LBB902_63
.LBB902_282:
	s_waitcnt vmcnt(0)
	v_add_u32_e32 v3, v2, v18
	v_mov_b32_e32 v2, 0
	v_ashrrev_i64 v[2:3], 29, v[2:3]
	v_lshl_add_u64 v[2:3], s[30:31], 0, v[2:3]
	global_load_dwordx2 v[2:3], v[2:3], off
	s_or_b64 exec, exec, s[0:1]
	s_and_saveexec_b64 s[0:1], s[16:17]
	s_cbranch_execz .LBB902_64
.LBB902_283:
	s_waitcnt vmcnt(0)
	v_add_u32_e32 v3, v2, v20
	v_mov_b32_e32 v2, 0
	v_ashrrev_i64 v[2:3], 29, v[2:3]
	v_lshl_add_u64 v[2:3], s[30:31], 0, v[2:3]
	global_load_dwordx2 v[2:3], v[2:3], off
	s_or_b64 exec, exec, s[0:1]
	s_and_saveexec_b64 s[0:1], s[18:19]
	s_cbranch_execz .LBB902_65
.LBB902_284:
	s_waitcnt vmcnt(0)
	v_add_u32_e32 v3, v2, v22
	v_mov_b32_e32 v2, 0
	v_ashrrev_i64 v[2:3], 29, v[2:3]
	v_lshl_add_u64 v[2:3], s[30:31], 0, v[2:3]
	global_load_dwordx2 v[2:3], v[2:3], off
	s_or_b64 exec, exec, s[0:1]
	s_and_saveexec_b64 s[0:1], s[20:21]
	s_cbranch_execz .LBB902_66
.LBB902_285:
	s_waitcnt vmcnt(0)
	v_add_u32_e32 v3, v2, v24
	v_mov_b32_e32 v2, 0
	v_ashrrev_i64 v[2:3], 29, v[2:3]
	v_lshl_add_u64 v[2:3], s[30:31], 0, v[2:3]
	global_load_dwordx2 v[2:3], v[2:3], off
	s_or_b64 exec, exec, s[0:1]
	s_and_saveexec_b64 s[0:1], s[22:23]
	s_cbranch_execz .LBB902_67
.LBB902_286:
	s_waitcnt vmcnt(0)
	v_add_u32_e32 v3, v2, v26
	v_mov_b32_e32 v2, 0
	v_ashrrev_i64 v[2:3], 29, v[2:3]
	v_lshl_add_u64 v[2:3], s[30:31], 0, v[2:3]
	global_load_dwordx2 v[2:3], v[2:3], off
	s_or_b64 exec, exec, s[0:1]
	s_and_saveexec_b64 s[0:1], s[24:25]
	s_cbranch_execz .LBB902_68
.LBB902_287:
	s_waitcnt vmcnt(0)
	v_add_u32_e32 v3, v2, v28
	v_mov_b32_e32 v2, 0
	v_ashrrev_i64 v[2:3], 29, v[2:3]
	v_lshl_add_u64 v[2:3], s[30:31], 0, v[2:3]
	global_load_dwordx2 v[2:3], v[2:3], off
	s_or_b64 exec, exec, s[0:1]
	s_and_saveexec_b64 s[0:1], s[26:27]
	s_cbranch_execz .LBB902_69
.LBB902_288:
	s_waitcnt vmcnt(0)
	v_add_u32_e32 v3, v2, v30
	v_mov_b32_e32 v2, 0
	v_ashrrev_i64 v[2:3], 29, v[2:3]
	v_lshl_add_u64 v[2:3], s[30:31], 0, v[2:3]
	global_load_dwordx2 v[2:3], v[2:3], off
	s_or_b64 exec, exec, s[0:1]
	s_and_saveexec_b64 s[0:1], s[28:29]
	s_cbranch_execnz .LBB902_70
	s_branch .LBB902_71
.LBB902_289:
	v_lshlrev_b32_e32 v1, 3, v1
	global_load_dwordx2 v[16:17], v1, s[20:21]
	s_or_b64 exec, exec, s[22:23]
	s_and_saveexec_b64 s[20:21], vcc
	s_cbranch_execz .LBB902_114
.LBB902_290:
	s_waitcnt vmcnt(0)
	v_add_u32_e32 v3, v4, v2
	v_mov_b32_e32 v2, 0
	v_ashrrev_i64 v[2:3], 29, v[2:3]
	v_lshl_add_u64 v[2:3], s[30:31], 0, v[2:3]
	global_load_dwordx2 v[2:3], v[2:3], off
	s_or_b64 exec, exec, s[20:21]
	s_and_saveexec_b64 s[20:21], s[0:1]
	s_cbranch_execz .LBB902_115
.LBB902_291:
	s_waitcnt vmcnt(0)
	v_add_u32_e32 v3, v2, v6
	v_mov_b32_e32 v2, 0
	v_ashrrev_i64 v[2:3], 29, v[2:3]
	v_lshl_add_u64 v[2:3], s[30:31], 0, v[2:3]
	global_load_dwordx2 v[2:3], v[2:3], off
	s_or_b64 exec, exec, s[20:21]
	s_and_saveexec_b64 s[0:1], s[4:5]
	s_cbranch_execz .LBB902_116
.LBB902_292:
	s_waitcnt vmcnt(0)
	v_add_u32_e32 v3, v2, v8
	v_mov_b32_e32 v2, 0
	v_ashrrev_i64 v[2:3], 29, v[2:3]
	v_lshl_add_u64 v[2:3], s[30:31], 0, v[2:3]
	global_load_dwordx2 v[2:3], v[2:3], off
	s_or_b64 exec, exec, s[0:1]
	s_and_saveexec_b64 s[0:1], s[6:7]
	s_cbranch_execz .LBB902_117
.LBB902_293:
	s_waitcnt vmcnt(0)
	v_add_u32_e32 v3, v2, v10
	v_mov_b32_e32 v2, 0
	v_ashrrev_i64 v[2:3], 29, v[2:3]
	v_lshl_add_u64 v[2:3], s[30:31], 0, v[2:3]
	global_load_dwordx2 v[2:3], v[2:3], off
	s_or_b64 exec, exec, s[0:1]
	s_and_saveexec_b64 s[0:1], s[8:9]
	s_cbranch_execz .LBB902_118
.LBB902_294:
	s_waitcnt vmcnt(0)
	v_add_u32_e32 v3, v2, v12
	v_mov_b32_e32 v2, 0
	v_ashrrev_i64 v[2:3], 29, v[2:3]
	v_lshl_add_u64 v[2:3], s[30:31], 0, v[2:3]
	global_load_dwordx2 v[2:3], v[2:3], off
	s_or_b64 exec, exec, s[0:1]
	s_and_saveexec_b64 s[0:1], s[10:11]
	s_cbranch_execz .LBB902_119
.LBB902_295:
	s_waitcnt vmcnt(0)
	v_add_u32_e32 v3, v2, v14
	v_mov_b32_e32 v2, 0
	v_ashrrev_i64 v[2:3], 29, v[2:3]
	v_lshl_add_u64 v[2:3], s[30:31], 0, v[2:3]
	global_load_dwordx2 v[2:3], v[2:3], off
	s_or_b64 exec, exec, s[0:1]
	s_and_saveexec_b64 s[0:1], s[12:13]
	s_cbranch_execnz .LBB902_120
	s_branch .LBB902_121
	.section	.rodata,"a",@progbits
	.p2align	6, 0x0
	.amdhsa_kernel _ZN7rocprim17ROCPRIM_400000_NS6detail17trampoline_kernelINS0_14default_configENS1_22reduce_config_selectorIxEEZNS1_11reduce_implILb1ES3_N6thrust23THRUST_200600_302600_NS6detail15normal_iteratorINS8_10device_ptrIxEEEEPxx9plus_mod3IxEEE10hipError_tPvRmT1_T2_T3_mT4_P12ihipStream_tbEUlT_E1_NS1_11comp_targetILNS1_3genE0ELNS1_11target_archE4294967295ELNS1_3gpuE0ELNS1_3repE0EEENS1_30default_config_static_selectorELNS0_4arch9wavefront6targetE1EEEvSK_
		.amdhsa_group_segment_fixed_size 192
		.amdhsa_private_segment_fixed_size 0
		.amdhsa_kernarg_size 48
		.amdhsa_user_sgpr_count 2
		.amdhsa_user_sgpr_dispatch_ptr 0
		.amdhsa_user_sgpr_queue_ptr 0
		.amdhsa_user_sgpr_kernarg_segment_ptr 1
		.amdhsa_user_sgpr_dispatch_id 0
		.amdhsa_user_sgpr_kernarg_preload_length 0
		.amdhsa_user_sgpr_kernarg_preload_offset 0
		.amdhsa_user_sgpr_private_segment_size 0
		.amdhsa_uses_dynamic_stack 0
		.amdhsa_enable_private_segment 0
		.amdhsa_system_sgpr_workgroup_id_x 1
		.amdhsa_system_sgpr_workgroup_id_y 0
		.amdhsa_system_sgpr_workgroup_id_z 0
		.amdhsa_system_sgpr_workgroup_info 0
		.amdhsa_system_vgpr_workitem_id 0
		.amdhsa_next_free_vgpr 36
		.amdhsa_next_free_sgpr 51
		.amdhsa_accum_offset 36
		.amdhsa_reserve_vcc 1
		.amdhsa_float_round_mode_32 0
		.amdhsa_float_round_mode_16_64 0
		.amdhsa_float_denorm_mode_32 3
		.amdhsa_float_denorm_mode_16_64 3
		.amdhsa_dx10_clamp 1
		.amdhsa_ieee_mode 1
		.amdhsa_fp16_overflow 0
		.amdhsa_tg_split 0
		.amdhsa_exception_fp_ieee_invalid_op 0
		.amdhsa_exception_fp_denorm_src 0
		.amdhsa_exception_fp_ieee_div_zero 0
		.amdhsa_exception_fp_ieee_overflow 0
		.amdhsa_exception_fp_ieee_underflow 0
		.amdhsa_exception_fp_ieee_inexact 0
		.amdhsa_exception_int_div_zero 0
	.end_amdhsa_kernel
	.section	.text._ZN7rocprim17ROCPRIM_400000_NS6detail17trampoline_kernelINS0_14default_configENS1_22reduce_config_selectorIxEEZNS1_11reduce_implILb1ES3_N6thrust23THRUST_200600_302600_NS6detail15normal_iteratorINS8_10device_ptrIxEEEEPxx9plus_mod3IxEEE10hipError_tPvRmT1_T2_T3_mT4_P12ihipStream_tbEUlT_E1_NS1_11comp_targetILNS1_3genE0ELNS1_11target_archE4294967295ELNS1_3gpuE0ELNS1_3repE0EEENS1_30default_config_static_selectorELNS0_4arch9wavefront6targetE1EEEvSK_,"axG",@progbits,_ZN7rocprim17ROCPRIM_400000_NS6detail17trampoline_kernelINS0_14default_configENS1_22reduce_config_selectorIxEEZNS1_11reduce_implILb1ES3_N6thrust23THRUST_200600_302600_NS6detail15normal_iteratorINS8_10device_ptrIxEEEEPxx9plus_mod3IxEEE10hipError_tPvRmT1_T2_T3_mT4_P12ihipStream_tbEUlT_E1_NS1_11comp_targetILNS1_3genE0ELNS1_11target_archE4294967295ELNS1_3gpuE0ELNS1_3repE0EEENS1_30default_config_static_selectorELNS0_4arch9wavefront6targetE1EEEvSK_,comdat
.Lfunc_end902:
	.size	_ZN7rocprim17ROCPRIM_400000_NS6detail17trampoline_kernelINS0_14default_configENS1_22reduce_config_selectorIxEEZNS1_11reduce_implILb1ES3_N6thrust23THRUST_200600_302600_NS6detail15normal_iteratorINS8_10device_ptrIxEEEEPxx9plus_mod3IxEEE10hipError_tPvRmT1_T2_T3_mT4_P12ihipStream_tbEUlT_E1_NS1_11comp_targetILNS1_3genE0ELNS1_11target_archE4294967295ELNS1_3gpuE0ELNS1_3repE0EEENS1_30default_config_static_selectorELNS0_4arch9wavefront6targetE1EEEvSK_, .Lfunc_end902-_ZN7rocprim17ROCPRIM_400000_NS6detail17trampoline_kernelINS0_14default_configENS1_22reduce_config_selectorIxEEZNS1_11reduce_implILb1ES3_N6thrust23THRUST_200600_302600_NS6detail15normal_iteratorINS8_10device_ptrIxEEEEPxx9plus_mod3IxEEE10hipError_tPvRmT1_T2_T3_mT4_P12ihipStream_tbEUlT_E1_NS1_11comp_targetILNS1_3genE0ELNS1_11target_archE4294967295ELNS1_3gpuE0ELNS1_3repE0EEENS1_30default_config_static_selectorELNS0_4arch9wavefront6targetE1EEEvSK_
                                        ; -- End function
	.set _ZN7rocprim17ROCPRIM_400000_NS6detail17trampoline_kernelINS0_14default_configENS1_22reduce_config_selectorIxEEZNS1_11reduce_implILb1ES3_N6thrust23THRUST_200600_302600_NS6detail15normal_iteratorINS8_10device_ptrIxEEEEPxx9plus_mod3IxEEE10hipError_tPvRmT1_T2_T3_mT4_P12ihipStream_tbEUlT_E1_NS1_11comp_targetILNS1_3genE0ELNS1_11target_archE4294967295ELNS1_3gpuE0ELNS1_3repE0EEENS1_30default_config_static_selectorELNS0_4arch9wavefront6targetE1EEEvSK_.num_vgpr, 36
	.set _ZN7rocprim17ROCPRIM_400000_NS6detail17trampoline_kernelINS0_14default_configENS1_22reduce_config_selectorIxEEZNS1_11reduce_implILb1ES3_N6thrust23THRUST_200600_302600_NS6detail15normal_iteratorINS8_10device_ptrIxEEEEPxx9plus_mod3IxEEE10hipError_tPvRmT1_T2_T3_mT4_P12ihipStream_tbEUlT_E1_NS1_11comp_targetILNS1_3genE0ELNS1_11target_archE4294967295ELNS1_3gpuE0ELNS1_3repE0EEENS1_30default_config_static_selectorELNS0_4arch9wavefront6targetE1EEEvSK_.num_agpr, 0
	.set _ZN7rocprim17ROCPRIM_400000_NS6detail17trampoline_kernelINS0_14default_configENS1_22reduce_config_selectorIxEEZNS1_11reduce_implILb1ES3_N6thrust23THRUST_200600_302600_NS6detail15normal_iteratorINS8_10device_ptrIxEEEEPxx9plus_mod3IxEEE10hipError_tPvRmT1_T2_T3_mT4_P12ihipStream_tbEUlT_E1_NS1_11comp_targetILNS1_3genE0ELNS1_11target_archE4294967295ELNS1_3gpuE0ELNS1_3repE0EEENS1_30default_config_static_selectorELNS0_4arch9wavefront6targetE1EEEvSK_.numbered_sgpr, 51
	.set _ZN7rocprim17ROCPRIM_400000_NS6detail17trampoline_kernelINS0_14default_configENS1_22reduce_config_selectorIxEEZNS1_11reduce_implILb1ES3_N6thrust23THRUST_200600_302600_NS6detail15normal_iteratorINS8_10device_ptrIxEEEEPxx9plus_mod3IxEEE10hipError_tPvRmT1_T2_T3_mT4_P12ihipStream_tbEUlT_E1_NS1_11comp_targetILNS1_3genE0ELNS1_11target_archE4294967295ELNS1_3gpuE0ELNS1_3repE0EEENS1_30default_config_static_selectorELNS0_4arch9wavefront6targetE1EEEvSK_.num_named_barrier, 0
	.set _ZN7rocprim17ROCPRIM_400000_NS6detail17trampoline_kernelINS0_14default_configENS1_22reduce_config_selectorIxEEZNS1_11reduce_implILb1ES3_N6thrust23THRUST_200600_302600_NS6detail15normal_iteratorINS8_10device_ptrIxEEEEPxx9plus_mod3IxEEE10hipError_tPvRmT1_T2_T3_mT4_P12ihipStream_tbEUlT_E1_NS1_11comp_targetILNS1_3genE0ELNS1_11target_archE4294967295ELNS1_3gpuE0ELNS1_3repE0EEENS1_30default_config_static_selectorELNS0_4arch9wavefront6targetE1EEEvSK_.private_seg_size, 0
	.set _ZN7rocprim17ROCPRIM_400000_NS6detail17trampoline_kernelINS0_14default_configENS1_22reduce_config_selectorIxEEZNS1_11reduce_implILb1ES3_N6thrust23THRUST_200600_302600_NS6detail15normal_iteratorINS8_10device_ptrIxEEEEPxx9plus_mod3IxEEE10hipError_tPvRmT1_T2_T3_mT4_P12ihipStream_tbEUlT_E1_NS1_11comp_targetILNS1_3genE0ELNS1_11target_archE4294967295ELNS1_3gpuE0ELNS1_3repE0EEENS1_30default_config_static_selectorELNS0_4arch9wavefront6targetE1EEEvSK_.uses_vcc, 1
	.set _ZN7rocprim17ROCPRIM_400000_NS6detail17trampoline_kernelINS0_14default_configENS1_22reduce_config_selectorIxEEZNS1_11reduce_implILb1ES3_N6thrust23THRUST_200600_302600_NS6detail15normal_iteratorINS8_10device_ptrIxEEEEPxx9plus_mod3IxEEE10hipError_tPvRmT1_T2_T3_mT4_P12ihipStream_tbEUlT_E1_NS1_11comp_targetILNS1_3genE0ELNS1_11target_archE4294967295ELNS1_3gpuE0ELNS1_3repE0EEENS1_30default_config_static_selectorELNS0_4arch9wavefront6targetE1EEEvSK_.uses_flat_scratch, 0
	.set _ZN7rocprim17ROCPRIM_400000_NS6detail17trampoline_kernelINS0_14default_configENS1_22reduce_config_selectorIxEEZNS1_11reduce_implILb1ES3_N6thrust23THRUST_200600_302600_NS6detail15normal_iteratorINS8_10device_ptrIxEEEEPxx9plus_mod3IxEEE10hipError_tPvRmT1_T2_T3_mT4_P12ihipStream_tbEUlT_E1_NS1_11comp_targetILNS1_3genE0ELNS1_11target_archE4294967295ELNS1_3gpuE0ELNS1_3repE0EEENS1_30default_config_static_selectorELNS0_4arch9wavefront6targetE1EEEvSK_.has_dyn_sized_stack, 0
	.set _ZN7rocprim17ROCPRIM_400000_NS6detail17trampoline_kernelINS0_14default_configENS1_22reduce_config_selectorIxEEZNS1_11reduce_implILb1ES3_N6thrust23THRUST_200600_302600_NS6detail15normal_iteratorINS8_10device_ptrIxEEEEPxx9plus_mod3IxEEE10hipError_tPvRmT1_T2_T3_mT4_P12ihipStream_tbEUlT_E1_NS1_11comp_targetILNS1_3genE0ELNS1_11target_archE4294967295ELNS1_3gpuE0ELNS1_3repE0EEENS1_30default_config_static_selectorELNS0_4arch9wavefront6targetE1EEEvSK_.has_recursion, 0
	.set _ZN7rocprim17ROCPRIM_400000_NS6detail17trampoline_kernelINS0_14default_configENS1_22reduce_config_selectorIxEEZNS1_11reduce_implILb1ES3_N6thrust23THRUST_200600_302600_NS6detail15normal_iteratorINS8_10device_ptrIxEEEEPxx9plus_mod3IxEEE10hipError_tPvRmT1_T2_T3_mT4_P12ihipStream_tbEUlT_E1_NS1_11comp_targetILNS1_3genE0ELNS1_11target_archE4294967295ELNS1_3gpuE0ELNS1_3repE0EEENS1_30default_config_static_selectorELNS0_4arch9wavefront6targetE1EEEvSK_.has_indirect_call, 0
	.section	.AMDGPU.csdata,"",@progbits
; Kernel info:
; codeLenInByte = 11940
; TotalNumSgprs: 57
; NumVgprs: 36
; NumAgprs: 0
; TotalNumVgprs: 36
; ScratchSize: 0
; MemoryBound: 0
; FloatMode: 240
; IeeeMode: 1
; LDSByteSize: 192 bytes/workgroup (compile time only)
; SGPRBlocks: 7
; VGPRBlocks: 4
; NumSGPRsForWavesPerEU: 57
; NumVGPRsForWavesPerEU: 36
; AccumOffset: 36
; Occupancy: 8
; WaveLimiterHint : 1
; COMPUTE_PGM_RSRC2:SCRATCH_EN: 0
; COMPUTE_PGM_RSRC2:USER_SGPR: 2
; COMPUTE_PGM_RSRC2:TRAP_HANDLER: 0
; COMPUTE_PGM_RSRC2:TGID_X_EN: 1
; COMPUTE_PGM_RSRC2:TGID_Y_EN: 0
; COMPUTE_PGM_RSRC2:TGID_Z_EN: 0
; COMPUTE_PGM_RSRC2:TIDIG_COMP_CNT: 0
; COMPUTE_PGM_RSRC3_GFX90A:ACCUM_OFFSET: 8
; COMPUTE_PGM_RSRC3_GFX90A:TG_SPLIT: 0
	.section	.text._ZN7rocprim17ROCPRIM_400000_NS6detail17trampoline_kernelINS0_14default_configENS1_22reduce_config_selectorIxEEZNS1_11reduce_implILb1ES3_N6thrust23THRUST_200600_302600_NS6detail15normal_iteratorINS8_10device_ptrIxEEEEPxx9plus_mod3IxEEE10hipError_tPvRmT1_T2_T3_mT4_P12ihipStream_tbEUlT_E1_NS1_11comp_targetILNS1_3genE5ELNS1_11target_archE942ELNS1_3gpuE9ELNS1_3repE0EEENS1_30default_config_static_selectorELNS0_4arch9wavefront6targetE1EEEvSK_,"axG",@progbits,_ZN7rocprim17ROCPRIM_400000_NS6detail17trampoline_kernelINS0_14default_configENS1_22reduce_config_selectorIxEEZNS1_11reduce_implILb1ES3_N6thrust23THRUST_200600_302600_NS6detail15normal_iteratorINS8_10device_ptrIxEEEEPxx9plus_mod3IxEEE10hipError_tPvRmT1_T2_T3_mT4_P12ihipStream_tbEUlT_E1_NS1_11comp_targetILNS1_3genE5ELNS1_11target_archE942ELNS1_3gpuE9ELNS1_3repE0EEENS1_30default_config_static_selectorELNS0_4arch9wavefront6targetE1EEEvSK_,comdat
	.protected	_ZN7rocprim17ROCPRIM_400000_NS6detail17trampoline_kernelINS0_14default_configENS1_22reduce_config_selectorIxEEZNS1_11reduce_implILb1ES3_N6thrust23THRUST_200600_302600_NS6detail15normal_iteratorINS8_10device_ptrIxEEEEPxx9plus_mod3IxEEE10hipError_tPvRmT1_T2_T3_mT4_P12ihipStream_tbEUlT_E1_NS1_11comp_targetILNS1_3genE5ELNS1_11target_archE942ELNS1_3gpuE9ELNS1_3repE0EEENS1_30default_config_static_selectorELNS0_4arch9wavefront6targetE1EEEvSK_ ; -- Begin function _ZN7rocprim17ROCPRIM_400000_NS6detail17trampoline_kernelINS0_14default_configENS1_22reduce_config_selectorIxEEZNS1_11reduce_implILb1ES3_N6thrust23THRUST_200600_302600_NS6detail15normal_iteratorINS8_10device_ptrIxEEEEPxx9plus_mod3IxEEE10hipError_tPvRmT1_T2_T3_mT4_P12ihipStream_tbEUlT_E1_NS1_11comp_targetILNS1_3genE5ELNS1_11target_archE942ELNS1_3gpuE9ELNS1_3repE0EEENS1_30default_config_static_selectorELNS0_4arch9wavefront6targetE1EEEvSK_
	.globl	_ZN7rocprim17ROCPRIM_400000_NS6detail17trampoline_kernelINS0_14default_configENS1_22reduce_config_selectorIxEEZNS1_11reduce_implILb1ES3_N6thrust23THRUST_200600_302600_NS6detail15normal_iteratorINS8_10device_ptrIxEEEEPxx9plus_mod3IxEEE10hipError_tPvRmT1_T2_T3_mT4_P12ihipStream_tbEUlT_E1_NS1_11comp_targetILNS1_3genE5ELNS1_11target_archE942ELNS1_3gpuE9ELNS1_3repE0EEENS1_30default_config_static_selectorELNS0_4arch9wavefront6targetE1EEEvSK_
	.p2align	8
	.type	_ZN7rocprim17ROCPRIM_400000_NS6detail17trampoline_kernelINS0_14default_configENS1_22reduce_config_selectorIxEEZNS1_11reduce_implILb1ES3_N6thrust23THRUST_200600_302600_NS6detail15normal_iteratorINS8_10device_ptrIxEEEEPxx9plus_mod3IxEEE10hipError_tPvRmT1_T2_T3_mT4_P12ihipStream_tbEUlT_E1_NS1_11comp_targetILNS1_3genE5ELNS1_11target_archE942ELNS1_3gpuE9ELNS1_3repE0EEENS1_30default_config_static_selectorELNS0_4arch9wavefront6targetE1EEEvSK_,@function
_ZN7rocprim17ROCPRIM_400000_NS6detail17trampoline_kernelINS0_14default_configENS1_22reduce_config_selectorIxEEZNS1_11reduce_implILb1ES3_N6thrust23THRUST_200600_302600_NS6detail15normal_iteratorINS8_10device_ptrIxEEEEPxx9plus_mod3IxEEE10hipError_tPvRmT1_T2_T3_mT4_P12ihipStream_tbEUlT_E1_NS1_11comp_targetILNS1_3genE5ELNS1_11target_archE942ELNS1_3gpuE9ELNS1_3repE0EEENS1_30default_config_static_selectorELNS0_4arch9wavefront6targetE1EEEvSK_: ; @_ZN7rocprim17ROCPRIM_400000_NS6detail17trampoline_kernelINS0_14default_configENS1_22reduce_config_selectorIxEEZNS1_11reduce_implILb1ES3_N6thrust23THRUST_200600_302600_NS6detail15normal_iteratorINS8_10device_ptrIxEEEEPxx9plus_mod3IxEEE10hipError_tPvRmT1_T2_T3_mT4_P12ihipStream_tbEUlT_E1_NS1_11comp_targetILNS1_3genE5ELNS1_11target_archE942ELNS1_3gpuE9ELNS1_3repE0EEENS1_30default_config_static_selectorELNS0_4arch9wavefront6targetE1EEEvSK_
; %bb.0:
	.section	.rodata,"a",@progbits
	.p2align	6, 0x0
	.amdhsa_kernel _ZN7rocprim17ROCPRIM_400000_NS6detail17trampoline_kernelINS0_14default_configENS1_22reduce_config_selectorIxEEZNS1_11reduce_implILb1ES3_N6thrust23THRUST_200600_302600_NS6detail15normal_iteratorINS8_10device_ptrIxEEEEPxx9plus_mod3IxEEE10hipError_tPvRmT1_T2_T3_mT4_P12ihipStream_tbEUlT_E1_NS1_11comp_targetILNS1_3genE5ELNS1_11target_archE942ELNS1_3gpuE9ELNS1_3repE0EEENS1_30default_config_static_selectorELNS0_4arch9wavefront6targetE1EEEvSK_
		.amdhsa_group_segment_fixed_size 0
		.amdhsa_private_segment_fixed_size 0
		.amdhsa_kernarg_size 48
		.amdhsa_user_sgpr_count 2
		.amdhsa_user_sgpr_dispatch_ptr 0
		.amdhsa_user_sgpr_queue_ptr 0
		.amdhsa_user_sgpr_kernarg_segment_ptr 1
		.amdhsa_user_sgpr_dispatch_id 0
		.amdhsa_user_sgpr_kernarg_preload_length 0
		.amdhsa_user_sgpr_kernarg_preload_offset 0
		.amdhsa_user_sgpr_private_segment_size 0
		.amdhsa_uses_dynamic_stack 0
		.amdhsa_enable_private_segment 0
		.amdhsa_system_sgpr_workgroup_id_x 1
		.amdhsa_system_sgpr_workgroup_id_y 0
		.amdhsa_system_sgpr_workgroup_id_z 0
		.amdhsa_system_sgpr_workgroup_info 0
		.amdhsa_system_vgpr_workitem_id 0
		.amdhsa_next_free_vgpr 1
		.amdhsa_next_free_sgpr 0
		.amdhsa_accum_offset 4
		.amdhsa_reserve_vcc 0
		.amdhsa_float_round_mode_32 0
		.amdhsa_float_round_mode_16_64 0
		.amdhsa_float_denorm_mode_32 3
		.amdhsa_float_denorm_mode_16_64 3
		.amdhsa_dx10_clamp 1
		.amdhsa_ieee_mode 1
		.amdhsa_fp16_overflow 0
		.amdhsa_tg_split 0
		.amdhsa_exception_fp_ieee_invalid_op 0
		.amdhsa_exception_fp_denorm_src 0
		.amdhsa_exception_fp_ieee_div_zero 0
		.amdhsa_exception_fp_ieee_overflow 0
		.amdhsa_exception_fp_ieee_underflow 0
		.amdhsa_exception_fp_ieee_inexact 0
		.amdhsa_exception_int_div_zero 0
	.end_amdhsa_kernel
	.section	.text._ZN7rocprim17ROCPRIM_400000_NS6detail17trampoline_kernelINS0_14default_configENS1_22reduce_config_selectorIxEEZNS1_11reduce_implILb1ES3_N6thrust23THRUST_200600_302600_NS6detail15normal_iteratorINS8_10device_ptrIxEEEEPxx9plus_mod3IxEEE10hipError_tPvRmT1_T2_T3_mT4_P12ihipStream_tbEUlT_E1_NS1_11comp_targetILNS1_3genE5ELNS1_11target_archE942ELNS1_3gpuE9ELNS1_3repE0EEENS1_30default_config_static_selectorELNS0_4arch9wavefront6targetE1EEEvSK_,"axG",@progbits,_ZN7rocprim17ROCPRIM_400000_NS6detail17trampoline_kernelINS0_14default_configENS1_22reduce_config_selectorIxEEZNS1_11reduce_implILb1ES3_N6thrust23THRUST_200600_302600_NS6detail15normal_iteratorINS8_10device_ptrIxEEEEPxx9plus_mod3IxEEE10hipError_tPvRmT1_T2_T3_mT4_P12ihipStream_tbEUlT_E1_NS1_11comp_targetILNS1_3genE5ELNS1_11target_archE942ELNS1_3gpuE9ELNS1_3repE0EEENS1_30default_config_static_selectorELNS0_4arch9wavefront6targetE1EEEvSK_,comdat
.Lfunc_end903:
	.size	_ZN7rocprim17ROCPRIM_400000_NS6detail17trampoline_kernelINS0_14default_configENS1_22reduce_config_selectorIxEEZNS1_11reduce_implILb1ES3_N6thrust23THRUST_200600_302600_NS6detail15normal_iteratorINS8_10device_ptrIxEEEEPxx9plus_mod3IxEEE10hipError_tPvRmT1_T2_T3_mT4_P12ihipStream_tbEUlT_E1_NS1_11comp_targetILNS1_3genE5ELNS1_11target_archE942ELNS1_3gpuE9ELNS1_3repE0EEENS1_30default_config_static_selectorELNS0_4arch9wavefront6targetE1EEEvSK_, .Lfunc_end903-_ZN7rocprim17ROCPRIM_400000_NS6detail17trampoline_kernelINS0_14default_configENS1_22reduce_config_selectorIxEEZNS1_11reduce_implILb1ES3_N6thrust23THRUST_200600_302600_NS6detail15normal_iteratorINS8_10device_ptrIxEEEEPxx9plus_mod3IxEEE10hipError_tPvRmT1_T2_T3_mT4_P12ihipStream_tbEUlT_E1_NS1_11comp_targetILNS1_3genE5ELNS1_11target_archE942ELNS1_3gpuE9ELNS1_3repE0EEENS1_30default_config_static_selectorELNS0_4arch9wavefront6targetE1EEEvSK_
                                        ; -- End function
	.set _ZN7rocprim17ROCPRIM_400000_NS6detail17trampoline_kernelINS0_14default_configENS1_22reduce_config_selectorIxEEZNS1_11reduce_implILb1ES3_N6thrust23THRUST_200600_302600_NS6detail15normal_iteratorINS8_10device_ptrIxEEEEPxx9plus_mod3IxEEE10hipError_tPvRmT1_T2_T3_mT4_P12ihipStream_tbEUlT_E1_NS1_11comp_targetILNS1_3genE5ELNS1_11target_archE942ELNS1_3gpuE9ELNS1_3repE0EEENS1_30default_config_static_selectorELNS0_4arch9wavefront6targetE1EEEvSK_.num_vgpr, 0
	.set _ZN7rocprim17ROCPRIM_400000_NS6detail17trampoline_kernelINS0_14default_configENS1_22reduce_config_selectorIxEEZNS1_11reduce_implILb1ES3_N6thrust23THRUST_200600_302600_NS6detail15normal_iteratorINS8_10device_ptrIxEEEEPxx9plus_mod3IxEEE10hipError_tPvRmT1_T2_T3_mT4_P12ihipStream_tbEUlT_E1_NS1_11comp_targetILNS1_3genE5ELNS1_11target_archE942ELNS1_3gpuE9ELNS1_3repE0EEENS1_30default_config_static_selectorELNS0_4arch9wavefront6targetE1EEEvSK_.num_agpr, 0
	.set _ZN7rocprim17ROCPRIM_400000_NS6detail17trampoline_kernelINS0_14default_configENS1_22reduce_config_selectorIxEEZNS1_11reduce_implILb1ES3_N6thrust23THRUST_200600_302600_NS6detail15normal_iteratorINS8_10device_ptrIxEEEEPxx9plus_mod3IxEEE10hipError_tPvRmT1_T2_T3_mT4_P12ihipStream_tbEUlT_E1_NS1_11comp_targetILNS1_3genE5ELNS1_11target_archE942ELNS1_3gpuE9ELNS1_3repE0EEENS1_30default_config_static_selectorELNS0_4arch9wavefront6targetE1EEEvSK_.numbered_sgpr, 0
	.set _ZN7rocprim17ROCPRIM_400000_NS6detail17trampoline_kernelINS0_14default_configENS1_22reduce_config_selectorIxEEZNS1_11reduce_implILb1ES3_N6thrust23THRUST_200600_302600_NS6detail15normal_iteratorINS8_10device_ptrIxEEEEPxx9plus_mod3IxEEE10hipError_tPvRmT1_T2_T3_mT4_P12ihipStream_tbEUlT_E1_NS1_11comp_targetILNS1_3genE5ELNS1_11target_archE942ELNS1_3gpuE9ELNS1_3repE0EEENS1_30default_config_static_selectorELNS0_4arch9wavefront6targetE1EEEvSK_.num_named_barrier, 0
	.set _ZN7rocprim17ROCPRIM_400000_NS6detail17trampoline_kernelINS0_14default_configENS1_22reduce_config_selectorIxEEZNS1_11reduce_implILb1ES3_N6thrust23THRUST_200600_302600_NS6detail15normal_iteratorINS8_10device_ptrIxEEEEPxx9plus_mod3IxEEE10hipError_tPvRmT1_T2_T3_mT4_P12ihipStream_tbEUlT_E1_NS1_11comp_targetILNS1_3genE5ELNS1_11target_archE942ELNS1_3gpuE9ELNS1_3repE0EEENS1_30default_config_static_selectorELNS0_4arch9wavefront6targetE1EEEvSK_.private_seg_size, 0
	.set _ZN7rocprim17ROCPRIM_400000_NS6detail17trampoline_kernelINS0_14default_configENS1_22reduce_config_selectorIxEEZNS1_11reduce_implILb1ES3_N6thrust23THRUST_200600_302600_NS6detail15normal_iteratorINS8_10device_ptrIxEEEEPxx9plus_mod3IxEEE10hipError_tPvRmT1_T2_T3_mT4_P12ihipStream_tbEUlT_E1_NS1_11comp_targetILNS1_3genE5ELNS1_11target_archE942ELNS1_3gpuE9ELNS1_3repE0EEENS1_30default_config_static_selectorELNS0_4arch9wavefront6targetE1EEEvSK_.uses_vcc, 0
	.set _ZN7rocprim17ROCPRIM_400000_NS6detail17trampoline_kernelINS0_14default_configENS1_22reduce_config_selectorIxEEZNS1_11reduce_implILb1ES3_N6thrust23THRUST_200600_302600_NS6detail15normal_iteratorINS8_10device_ptrIxEEEEPxx9plus_mod3IxEEE10hipError_tPvRmT1_T2_T3_mT4_P12ihipStream_tbEUlT_E1_NS1_11comp_targetILNS1_3genE5ELNS1_11target_archE942ELNS1_3gpuE9ELNS1_3repE0EEENS1_30default_config_static_selectorELNS0_4arch9wavefront6targetE1EEEvSK_.uses_flat_scratch, 0
	.set _ZN7rocprim17ROCPRIM_400000_NS6detail17trampoline_kernelINS0_14default_configENS1_22reduce_config_selectorIxEEZNS1_11reduce_implILb1ES3_N6thrust23THRUST_200600_302600_NS6detail15normal_iteratorINS8_10device_ptrIxEEEEPxx9plus_mod3IxEEE10hipError_tPvRmT1_T2_T3_mT4_P12ihipStream_tbEUlT_E1_NS1_11comp_targetILNS1_3genE5ELNS1_11target_archE942ELNS1_3gpuE9ELNS1_3repE0EEENS1_30default_config_static_selectorELNS0_4arch9wavefront6targetE1EEEvSK_.has_dyn_sized_stack, 0
	.set _ZN7rocprim17ROCPRIM_400000_NS6detail17trampoline_kernelINS0_14default_configENS1_22reduce_config_selectorIxEEZNS1_11reduce_implILb1ES3_N6thrust23THRUST_200600_302600_NS6detail15normal_iteratorINS8_10device_ptrIxEEEEPxx9plus_mod3IxEEE10hipError_tPvRmT1_T2_T3_mT4_P12ihipStream_tbEUlT_E1_NS1_11comp_targetILNS1_3genE5ELNS1_11target_archE942ELNS1_3gpuE9ELNS1_3repE0EEENS1_30default_config_static_selectorELNS0_4arch9wavefront6targetE1EEEvSK_.has_recursion, 0
	.set _ZN7rocprim17ROCPRIM_400000_NS6detail17trampoline_kernelINS0_14default_configENS1_22reduce_config_selectorIxEEZNS1_11reduce_implILb1ES3_N6thrust23THRUST_200600_302600_NS6detail15normal_iteratorINS8_10device_ptrIxEEEEPxx9plus_mod3IxEEE10hipError_tPvRmT1_T2_T3_mT4_P12ihipStream_tbEUlT_E1_NS1_11comp_targetILNS1_3genE5ELNS1_11target_archE942ELNS1_3gpuE9ELNS1_3repE0EEENS1_30default_config_static_selectorELNS0_4arch9wavefront6targetE1EEEvSK_.has_indirect_call, 0
	.section	.AMDGPU.csdata,"",@progbits
; Kernel info:
; codeLenInByte = 0
; TotalNumSgprs: 6
; NumVgprs: 0
; NumAgprs: 0
; TotalNumVgprs: 0
; ScratchSize: 0
; MemoryBound: 0
; FloatMode: 240
; IeeeMode: 1
; LDSByteSize: 0 bytes/workgroup (compile time only)
; SGPRBlocks: 0
; VGPRBlocks: 0
; NumSGPRsForWavesPerEU: 6
; NumVGPRsForWavesPerEU: 1
; AccumOffset: 4
; Occupancy: 8
; WaveLimiterHint : 0
; COMPUTE_PGM_RSRC2:SCRATCH_EN: 0
; COMPUTE_PGM_RSRC2:USER_SGPR: 2
; COMPUTE_PGM_RSRC2:TRAP_HANDLER: 0
; COMPUTE_PGM_RSRC2:TGID_X_EN: 1
; COMPUTE_PGM_RSRC2:TGID_Y_EN: 0
; COMPUTE_PGM_RSRC2:TGID_Z_EN: 0
; COMPUTE_PGM_RSRC2:TIDIG_COMP_CNT: 0
; COMPUTE_PGM_RSRC3_GFX90A:ACCUM_OFFSET: 0
; COMPUTE_PGM_RSRC3_GFX90A:TG_SPLIT: 0
	.section	.text._ZN7rocprim17ROCPRIM_400000_NS6detail17trampoline_kernelINS0_14default_configENS1_22reduce_config_selectorIxEEZNS1_11reduce_implILb1ES3_N6thrust23THRUST_200600_302600_NS6detail15normal_iteratorINS8_10device_ptrIxEEEEPxx9plus_mod3IxEEE10hipError_tPvRmT1_T2_T3_mT4_P12ihipStream_tbEUlT_E1_NS1_11comp_targetILNS1_3genE4ELNS1_11target_archE910ELNS1_3gpuE8ELNS1_3repE0EEENS1_30default_config_static_selectorELNS0_4arch9wavefront6targetE1EEEvSK_,"axG",@progbits,_ZN7rocprim17ROCPRIM_400000_NS6detail17trampoline_kernelINS0_14default_configENS1_22reduce_config_selectorIxEEZNS1_11reduce_implILb1ES3_N6thrust23THRUST_200600_302600_NS6detail15normal_iteratorINS8_10device_ptrIxEEEEPxx9plus_mod3IxEEE10hipError_tPvRmT1_T2_T3_mT4_P12ihipStream_tbEUlT_E1_NS1_11comp_targetILNS1_3genE4ELNS1_11target_archE910ELNS1_3gpuE8ELNS1_3repE0EEENS1_30default_config_static_selectorELNS0_4arch9wavefront6targetE1EEEvSK_,comdat
	.protected	_ZN7rocprim17ROCPRIM_400000_NS6detail17trampoline_kernelINS0_14default_configENS1_22reduce_config_selectorIxEEZNS1_11reduce_implILb1ES3_N6thrust23THRUST_200600_302600_NS6detail15normal_iteratorINS8_10device_ptrIxEEEEPxx9plus_mod3IxEEE10hipError_tPvRmT1_T2_T3_mT4_P12ihipStream_tbEUlT_E1_NS1_11comp_targetILNS1_3genE4ELNS1_11target_archE910ELNS1_3gpuE8ELNS1_3repE0EEENS1_30default_config_static_selectorELNS0_4arch9wavefront6targetE1EEEvSK_ ; -- Begin function _ZN7rocprim17ROCPRIM_400000_NS6detail17trampoline_kernelINS0_14default_configENS1_22reduce_config_selectorIxEEZNS1_11reduce_implILb1ES3_N6thrust23THRUST_200600_302600_NS6detail15normal_iteratorINS8_10device_ptrIxEEEEPxx9plus_mod3IxEEE10hipError_tPvRmT1_T2_T3_mT4_P12ihipStream_tbEUlT_E1_NS1_11comp_targetILNS1_3genE4ELNS1_11target_archE910ELNS1_3gpuE8ELNS1_3repE0EEENS1_30default_config_static_selectorELNS0_4arch9wavefront6targetE1EEEvSK_
	.globl	_ZN7rocprim17ROCPRIM_400000_NS6detail17trampoline_kernelINS0_14default_configENS1_22reduce_config_selectorIxEEZNS1_11reduce_implILb1ES3_N6thrust23THRUST_200600_302600_NS6detail15normal_iteratorINS8_10device_ptrIxEEEEPxx9plus_mod3IxEEE10hipError_tPvRmT1_T2_T3_mT4_P12ihipStream_tbEUlT_E1_NS1_11comp_targetILNS1_3genE4ELNS1_11target_archE910ELNS1_3gpuE8ELNS1_3repE0EEENS1_30default_config_static_selectorELNS0_4arch9wavefront6targetE1EEEvSK_
	.p2align	8
	.type	_ZN7rocprim17ROCPRIM_400000_NS6detail17trampoline_kernelINS0_14default_configENS1_22reduce_config_selectorIxEEZNS1_11reduce_implILb1ES3_N6thrust23THRUST_200600_302600_NS6detail15normal_iteratorINS8_10device_ptrIxEEEEPxx9plus_mod3IxEEE10hipError_tPvRmT1_T2_T3_mT4_P12ihipStream_tbEUlT_E1_NS1_11comp_targetILNS1_3genE4ELNS1_11target_archE910ELNS1_3gpuE8ELNS1_3repE0EEENS1_30default_config_static_selectorELNS0_4arch9wavefront6targetE1EEEvSK_,@function
_ZN7rocprim17ROCPRIM_400000_NS6detail17trampoline_kernelINS0_14default_configENS1_22reduce_config_selectorIxEEZNS1_11reduce_implILb1ES3_N6thrust23THRUST_200600_302600_NS6detail15normal_iteratorINS8_10device_ptrIxEEEEPxx9plus_mod3IxEEE10hipError_tPvRmT1_T2_T3_mT4_P12ihipStream_tbEUlT_E1_NS1_11comp_targetILNS1_3genE4ELNS1_11target_archE910ELNS1_3gpuE8ELNS1_3repE0EEENS1_30default_config_static_selectorELNS0_4arch9wavefront6targetE1EEEvSK_: ; @_ZN7rocprim17ROCPRIM_400000_NS6detail17trampoline_kernelINS0_14default_configENS1_22reduce_config_selectorIxEEZNS1_11reduce_implILb1ES3_N6thrust23THRUST_200600_302600_NS6detail15normal_iteratorINS8_10device_ptrIxEEEEPxx9plus_mod3IxEEE10hipError_tPvRmT1_T2_T3_mT4_P12ihipStream_tbEUlT_E1_NS1_11comp_targetILNS1_3genE4ELNS1_11target_archE910ELNS1_3gpuE8ELNS1_3repE0EEENS1_30default_config_static_selectorELNS0_4arch9wavefront6targetE1EEEvSK_
; %bb.0:
	.section	.rodata,"a",@progbits
	.p2align	6, 0x0
	.amdhsa_kernel _ZN7rocprim17ROCPRIM_400000_NS6detail17trampoline_kernelINS0_14default_configENS1_22reduce_config_selectorIxEEZNS1_11reduce_implILb1ES3_N6thrust23THRUST_200600_302600_NS6detail15normal_iteratorINS8_10device_ptrIxEEEEPxx9plus_mod3IxEEE10hipError_tPvRmT1_T2_T3_mT4_P12ihipStream_tbEUlT_E1_NS1_11comp_targetILNS1_3genE4ELNS1_11target_archE910ELNS1_3gpuE8ELNS1_3repE0EEENS1_30default_config_static_selectorELNS0_4arch9wavefront6targetE1EEEvSK_
		.amdhsa_group_segment_fixed_size 0
		.amdhsa_private_segment_fixed_size 0
		.amdhsa_kernarg_size 48
		.amdhsa_user_sgpr_count 2
		.amdhsa_user_sgpr_dispatch_ptr 0
		.amdhsa_user_sgpr_queue_ptr 0
		.amdhsa_user_sgpr_kernarg_segment_ptr 1
		.amdhsa_user_sgpr_dispatch_id 0
		.amdhsa_user_sgpr_kernarg_preload_length 0
		.amdhsa_user_sgpr_kernarg_preload_offset 0
		.amdhsa_user_sgpr_private_segment_size 0
		.amdhsa_uses_dynamic_stack 0
		.amdhsa_enable_private_segment 0
		.amdhsa_system_sgpr_workgroup_id_x 1
		.amdhsa_system_sgpr_workgroup_id_y 0
		.amdhsa_system_sgpr_workgroup_id_z 0
		.amdhsa_system_sgpr_workgroup_info 0
		.amdhsa_system_vgpr_workitem_id 0
		.amdhsa_next_free_vgpr 1
		.amdhsa_next_free_sgpr 0
		.amdhsa_accum_offset 4
		.amdhsa_reserve_vcc 0
		.amdhsa_float_round_mode_32 0
		.amdhsa_float_round_mode_16_64 0
		.amdhsa_float_denorm_mode_32 3
		.amdhsa_float_denorm_mode_16_64 3
		.amdhsa_dx10_clamp 1
		.amdhsa_ieee_mode 1
		.amdhsa_fp16_overflow 0
		.amdhsa_tg_split 0
		.amdhsa_exception_fp_ieee_invalid_op 0
		.amdhsa_exception_fp_denorm_src 0
		.amdhsa_exception_fp_ieee_div_zero 0
		.amdhsa_exception_fp_ieee_overflow 0
		.amdhsa_exception_fp_ieee_underflow 0
		.amdhsa_exception_fp_ieee_inexact 0
		.amdhsa_exception_int_div_zero 0
	.end_amdhsa_kernel
	.section	.text._ZN7rocprim17ROCPRIM_400000_NS6detail17trampoline_kernelINS0_14default_configENS1_22reduce_config_selectorIxEEZNS1_11reduce_implILb1ES3_N6thrust23THRUST_200600_302600_NS6detail15normal_iteratorINS8_10device_ptrIxEEEEPxx9plus_mod3IxEEE10hipError_tPvRmT1_T2_T3_mT4_P12ihipStream_tbEUlT_E1_NS1_11comp_targetILNS1_3genE4ELNS1_11target_archE910ELNS1_3gpuE8ELNS1_3repE0EEENS1_30default_config_static_selectorELNS0_4arch9wavefront6targetE1EEEvSK_,"axG",@progbits,_ZN7rocprim17ROCPRIM_400000_NS6detail17trampoline_kernelINS0_14default_configENS1_22reduce_config_selectorIxEEZNS1_11reduce_implILb1ES3_N6thrust23THRUST_200600_302600_NS6detail15normal_iteratorINS8_10device_ptrIxEEEEPxx9plus_mod3IxEEE10hipError_tPvRmT1_T2_T3_mT4_P12ihipStream_tbEUlT_E1_NS1_11comp_targetILNS1_3genE4ELNS1_11target_archE910ELNS1_3gpuE8ELNS1_3repE0EEENS1_30default_config_static_selectorELNS0_4arch9wavefront6targetE1EEEvSK_,comdat
.Lfunc_end904:
	.size	_ZN7rocprim17ROCPRIM_400000_NS6detail17trampoline_kernelINS0_14default_configENS1_22reduce_config_selectorIxEEZNS1_11reduce_implILb1ES3_N6thrust23THRUST_200600_302600_NS6detail15normal_iteratorINS8_10device_ptrIxEEEEPxx9plus_mod3IxEEE10hipError_tPvRmT1_T2_T3_mT4_P12ihipStream_tbEUlT_E1_NS1_11comp_targetILNS1_3genE4ELNS1_11target_archE910ELNS1_3gpuE8ELNS1_3repE0EEENS1_30default_config_static_selectorELNS0_4arch9wavefront6targetE1EEEvSK_, .Lfunc_end904-_ZN7rocprim17ROCPRIM_400000_NS6detail17trampoline_kernelINS0_14default_configENS1_22reduce_config_selectorIxEEZNS1_11reduce_implILb1ES3_N6thrust23THRUST_200600_302600_NS6detail15normal_iteratorINS8_10device_ptrIxEEEEPxx9plus_mod3IxEEE10hipError_tPvRmT1_T2_T3_mT4_P12ihipStream_tbEUlT_E1_NS1_11comp_targetILNS1_3genE4ELNS1_11target_archE910ELNS1_3gpuE8ELNS1_3repE0EEENS1_30default_config_static_selectorELNS0_4arch9wavefront6targetE1EEEvSK_
                                        ; -- End function
	.set _ZN7rocprim17ROCPRIM_400000_NS6detail17trampoline_kernelINS0_14default_configENS1_22reduce_config_selectorIxEEZNS1_11reduce_implILb1ES3_N6thrust23THRUST_200600_302600_NS6detail15normal_iteratorINS8_10device_ptrIxEEEEPxx9plus_mod3IxEEE10hipError_tPvRmT1_T2_T3_mT4_P12ihipStream_tbEUlT_E1_NS1_11comp_targetILNS1_3genE4ELNS1_11target_archE910ELNS1_3gpuE8ELNS1_3repE0EEENS1_30default_config_static_selectorELNS0_4arch9wavefront6targetE1EEEvSK_.num_vgpr, 0
	.set _ZN7rocprim17ROCPRIM_400000_NS6detail17trampoline_kernelINS0_14default_configENS1_22reduce_config_selectorIxEEZNS1_11reduce_implILb1ES3_N6thrust23THRUST_200600_302600_NS6detail15normal_iteratorINS8_10device_ptrIxEEEEPxx9plus_mod3IxEEE10hipError_tPvRmT1_T2_T3_mT4_P12ihipStream_tbEUlT_E1_NS1_11comp_targetILNS1_3genE4ELNS1_11target_archE910ELNS1_3gpuE8ELNS1_3repE0EEENS1_30default_config_static_selectorELNS0_4arch9wavefront6targetE1EEEvSK_.num_agpr, 0
	.set _ZN7rocprim17ROCPRIM_400000_NS6detail17trampoline_kernelINS0_14default_configENS1_22reduce_config_selectorIxEEZNS1_11reduce_implILb1ES3_N6thrust23THRUST_200600_302600_NS6detail15normal_iteratorINS8_10device_ptrIxEEEEPxx9plus_mod3IxEEE10hipError_tPvRmT1_T2_T3_mT4_P12ihipStream_tbEUlT_E1_NS1_11comp_targetILNS1_3genE4ELNS1_11target_archE910ELNS1_3gpuE8ELNS1_3repE0EEENS1_30default_config_static_selectorELNS0_4arch9wavefront6targetE1EEEvSK_.numbered_sgpr, 0
	.set _ZN7rocprim17ROCPRIM_400000_NS6detail17trampoline_kernelINS0_14default_configENS1_22reduce_config_selectorIxEEZNS1_11reduce_implILb1ES3_N6thrust23THRUST_200600_302600_NS6detail15normal_iteratorINS8_10device_ptrIxEEEEPxx9plus_mod3IxEEE10hipError_tPvRmT1_T2_T3_mT4_P12ihipStream_tbEUlT_E1_NS1_11comp_targetILNS1_3genE4ELNS1_11target_archE910ELNS1_3gpuE8ELNS1_3repE0EEENS1_30default_config_static_selectorELNS0_4arch9wavefront6targetE1EEEvSK_.num_named_barrier, 0
	.set _ZN7rocprim17ROCPRIM_400000_NS6detail17trampoline_kernelINS0_14default_configENS1_22reduce_config_selectorIxEEZNS1_11reduce_implILb1ES3_N6thrust23THRUST_200600_302600_NS6detail15normal_iteratorINS8_10device_ptrIxEEEEPxx9plus_mod3IxEEE10hipError_tPvRmT1_T2_T3_mT4_P12ihipStream_tbEUlT_E1_NS1_11comp_targetILNS1_3genE4ELNS1_11target_archE910ELNS1_3gpuE8ELNS1_3repE0EEENS1_30default_config_static_selectorELNS0_4arch9wavefront6targetE1EEEvSK_.private_seg_size, 0
	.set _ZN7rocprim17ROCPRIM_400000_NS6detail17trampoline_kernelINS0_14default_configENS1_22reduce_config_selectorIxEEZNS1_11reduce_implILb1ES3_N6thrust23THRUST_200600_302600_NS6detail15normal_iteratorINS8_10device_ptrIxEEEEPxx9plus_mod3IxEEE10hipError_tPvRmT1_T2_T3_mT4_P12ihipStream_tbEUlT_E1_NS1_11comp_targetILNS1_3genE4ELNS1_11target_archE910ELNS1_3gpuE8ELNS1_3repE0EEENS1_30default_config_static_selectorELNS0_4arch9wavefront6targetE1EEEvSK_.uses_vcc, 0
	.set _ZN7rocprim17ROCPRIM_400000_NS6detail17trampoline_kernelINS0_14default_configENS1_22reduce_config_selectorIxEEZNS1_11reduce_implILb1ES3_N6thrust23THRUST_200600_302600_NS6detail15normal_iteratorINS8_10device_ptrIxEEEEPxx9plus_mod3IxEEE10hipError_tPvRmT1_T2_T3_mT4_P12ihipStream_tbEUlT_E1_NS1_11comp_targetILNS1_3genE4ELNS1_11target_archE910ELNS1_3gpuE8ELNS1_3repE0EEENS1_30default_config_static_selectorELNS0_4arch9wavefront6targetE1EEEvSK_.uses_flat_scratch, 0
	.set _ZN7rocprim17ROCPRIM_400000_NS6detail17trampoline_kernelINS0_14default_configENS1_22reduce_config_selectorIxEEZNS1_11reduce_implILb1ES3_N6thrust23THRUST_200600_302600_NS6detail15normal_iteratorINS8_10device_ptrIxEEEEPxx9plus_mod3IxEEE10hipError_tPvRmT1_T2_T3_mT4_P12ihipStream_tbEUlT_E1_NS1_11comp_targetILNS1_3genE4ELNS1_11target_archE910ELNS1_3gpuE8ELNS1_3repE0EEENS1_30default_config_static_selectorELNS0_4arch9wavefront6targetE1EEEvSK_.has_dyn_sized_stack, 0
	.set _ZN7rocprim17ROCPRIM_400000_NS6detail17trampoline_kernelINS0_14default_configENS1_22reduce_config_selectorIxEEZNS1_11reduce_implILb1ES3_N6thrust23THRUST_200600_302600_NS6detail15normal_iteratorINS8_10device_ptrIxEEEEPxx9plus_mod3IxEEE10hipError_tPvRmT1_T2_T3_mT4_P12ihipStream_tbEUlT_E1_NS1_11comp_targetILNS1_3genE4ELNS1_11target_archE910ELNS1_3gpuE8ELNS1_3repE0EEENS1_30default_config_static_selectorELNS0_4arch9wavefront6targetE1EEEvSK_.has_recursion, 0
	.set _ZN7rocprim17ROCPRIM_400000_NS6detail17trampoline_kernelINS0_14default_configENS1_22reduce_config_selectorIxEEZNS1_11reduce_implILb1ES3_N6thrust23THRUST_200600_302600_NS6detail15normal_iteratorINS8_10device_ptrIxEEEEPxx9plus_mod3IxEEE10hipError_tPvRmT1_T2_T3_mT4_P12ihipStream_tbEUlT_E1_NS1_11comp_targetILNS1_3genE4ELNS1_11target_archE910ELNS1_3gpuE8ELNS1_3repE0EEENS1_30default_config_static_selectorELNS0_4arch9wavefront6targetE1EEEvSK_.has_indirect_call, 0
	.section	.AMDGPU.csdata,"",@progbits
; Kernel info:
; codeLenInByte = 0
; TotalNumSgprs: 6
; NumVgprs: 0
; NumAgprs: 0
; TotalNumVgprs: 0
; ScratchSize: 0
; MemoryBound: 0
; FloatMode: 240
; IeeeMode: 1
; LDSByteSize: 0 bytes/workgroup (compile time only)
; SGPRBlocks: 0
; VGPRBlocks: 0
; NumSGPRsForWavesPerEU: 6
; NumVGPRsForWavesPerEU: 1
; AccumOffset: 4
; Occupancy: 8
; WaveLimiterHint : 0
; COMPUTE_PGM_RSRC2:SCRATCH_EN: 0
; COMPUTE_PGM_RSRC2:USER_SGPR: 2
; COMPUTE_PGM_RSRC2:TRAP_HANDLER: 0
; COMPUTE_PGM_RSRC2:TGID_X_EN: 1
; COMPUTE_PGM_RSRC2:TGID_Y_EN: 0
; COMPUTE_PGM_RSRC2:TGID_Z_EN: 0
; COMPUTE_PGM_RSRC2:TIDIG_COMP_CNT: 0
; COMPUTE_PGM_RSRC3_GFX90A:ACCUM_OFFSET: 0
; COMPUTE_PGM_RSRC3_GFX90A:TG_SPLIT: 0
	.section	.text._ZN7rocprim17ROCPRIM_400000_NS6detail17trampoline_kernelINS0_14default_configENS1_22reduce_config_selectorIxEEZNS1_11reduce_implILb1ES3_N6thrust23THRUST_200600_302600_NS6detail15normal_iteratorINS8_10device_ptrIxEEEEPxx9plus_mod3IxEEE10hipError_tPvRmT1_T2_T3_mT4_P12ihipStream_tbEUlT_E1_NS1_11comp_targetILNS1_3genE3ELNS1_11target_archE908ELNS1_3gpuE7ELNS1_3repE0EEENS1_30default_config_static_selectorELNS0_4arch9wavefront6targetE1EEEvSK_,"axG",@progbits,_ZN7rocprim17ROCPRIM_400000_NS6detail17trampoline_kernelINS0_14default_configENS1_22reduce_config_selectorIxEEZNS1_11reduce_implILb1ES3_N6thrust23THRUST_200600_302600_NS6detail15normal_iteratorINS8_10device_ptrIxEEEEPxx9plus_mod3IxEEE10hipError_tPvRmT1_T2_T3_mT4_P12ihipStream_tbEUlT_E1_NS1_11comp_targetILNS1_3genE3ELNS1_11target_archE908ELNS1_3gpuE7ELNS1_3repE0EEENS1_30default_config_static_selectorELNS0_4arch9wavefront6targetE1EEEvSK_,comdat
	.protected	_ZN7rocprim17ROCPRIM_400000_NS6detail17trampoline_kernelINS0_14default_configENS1_22reduce_config_selectorIxEEZNS1_11reduce_implILb1ES3_N6thrust23THRUST_200600_302600_NS6detail15normal_iteratorINS8_10device_ptrIxEEEEPxx9plus_mod3IxEEE10hipError_tPvRmT1_T2_T3_mT4_P12ihipStream_tbEUlT_E1_NS1_11comp_targetILNS1_3genE3ELNS1_11target_archE908ELNS1_3gpuE7ELNS1_3repE0EEENS1_30default_config_static_selectorELNS0_4arch9wavefront6targetE1EEEvSK_ ; -- Begin function _ZN7rocprim17ROCPRIM_400000_NS6detail17trampoline_kernelINS0_14default_configENS1_22reduce_config_selectorIxEEZNS1_11reduce_implILb1ES3_N6thrust23THRUST_200600_302600_NS6detail15normal_iteratorINS8_10device_ptrIxEEEEPxx9plus_mod3IxEEE10hipError_tPvRmT1_T2_T3_mT4_P12ihipStream_tbEUlT_E1_NS1_11comp_targetILNS1_3genE3ELNS1_11target_archE908ELNS1_3gpuE7ELNS1_3repE0EEENS1_30default_config_static_selectorELNS0_4arch9wavefront6targetE1EEEvSK_
	.globl	_ZN7rocprim17ROCPRIM_400000_NS6detail17trampoline_kernelINS0_14default_configENS1_22reduce_config_selectorIxEEZNS1_11reduce_implILb1ES3_N6thrust23THRUST_200600_302600_NS6detail15normal_iteratorINS8_10device_ptrIxEEEEPxx9plus_mod3IxEEE10hipError_tPvRmT1_T2_T3_mT4_P12ihipStream_tbEUlT_E1_NS1_11comp_targetILNS1_3genE3ELNS1_11target_archE908ELNS1_3gpuE7ELNS1_3repE0EEENS1_30default_config_static_selectorELNS0_4arch9wavefront6targetE1EEEvSK_
	.p2align	8
	.type	_ZN7rocprim17ROCPRIM_400000_NS6detail17trampoline_kernelINS0_14default_configENS1_22reduce_config_selectorIxEEZNS1_11reduce_implILb1ES3_N6thrust23THRUST_200600_302600_NS6detail15normal_iteratorINS8_10device_ptrIxEEEEPxx9plus_mod3IxEEE10hipError_tPvRmT1_T2_T3_mT4_P12ihipStream_tbEUlT_E1_NS1_11comp_targetILNS1_3genE3ELNS1_11target_archE908ELNS1_3gpuE7ELNS1_3repE0EEENS1_30default_config_static_selectorELNS0_4arch9wavefront6targetE1EEEvSK_,@function
_ZN7rocprim17ROCPRIM_400000_NS6detail17trampoline_kernelINS0_14default_configENS1_22reduce_config_selectorIxEEZNS1_11reduce_implILb1ES3_N6thrust23THRUST_200600_302600_NS6detail15normal_iteratorINS8_10device_ptrIxEEEEPxx9plus_mod3IxEEE10hipError_tPvRmT1_T2_T3_mT4_P12ihipStream_tbEUlT_E1_NS1_11comp_targetILNS1_3genE3ELNS1_11target_archE908ELNS1_3gpuE7ELNS1_3repE0EEENS1_30default_config_static_selectorELNS0_4arch9wavefront6targetE1EEEvSK_: ; @_ZN7rocprim17ROCPRIM_400000_NS6detail17trampoline_kernelINS0_14default_configENS1_22reduce_config_selectorIxEEZNS1_11reduce_implILb1ES3_N6thrust23THRUST_200600_302600_NS6detail15normal_iteratorINS8_10device_ptrIxEEEEPxx9plus_mod3IxEEE10hipError_tPvRmT1_T2_T3_mT4_P12ihipStream_tbEUlT_E1_NS1_11comp_targetILNS1_3genE3ELNS1_11target_archE908ELNS1_3gpuE7ELNS1_3repE0EEENS1_30default_config_static_selectorELNS0_4arch9wavefront6targetE1EEEvSK_
; %bb.0:
	.section	.rodata,"a",@progbits
	.p2align	6, 0x0
	.amdhsa_kernel _ZN7rocprim17ROCPRIM_400000_NS6detail17trampoline_kernelINS0_14default_configENS1_22reduce_config_selectorIxEEZNS1_11reduce_implILb1ES3_N6thrust23THRUST_200600_302600_NS6detail15normal_iteratorINS8_10device_ptrIxEEEEPxx9plus_mod3IxEEE10hipError_tPvRmT1_T2_T3_mT4_P12ihipStream_tbEUlT_E1_NS1_11comp_targetILNS1_3genE3ELNS1_11target_archE908ELNS1_3gpuE7ELNS1_3repE0EEENS1_30default_config_static_selectorELNS0_4arch9wavefront6targetE1EEEvSK_
		.amdhsa_group_segment_fixed_size 0
		.amdhsa_private_segment_fixed_size 0
		.amdhsa_kernarg_size 48
		.amdhsa_user_sgpr_count 2
		.amdhsa_user_sgpr_dispatch_ptr 0
		.amdhsa_user_sgpr_queue_ptr 0
		.amdhsa_user_sgpr_kernarg_segment_ptr 1
		.amdhsa_user_sgpr_dispatch_id 0
		.amdhsa_user_sgpr_kernarg_preload_length 0
		.amdhsa_user_sgpr_kernarg_preload_offset 0
		.amdhsa_user_sgpr_private_segment_size 0
		.amdhsa_uses_dynamic_stack 0
		.amdhsa_enable_private_segment 0
		.amdhsa_system_sgpr_workgroup_id_x 1
		.amdhsa_system_sgpr_workgroup_id_y 0
		.amdhsa_system_sgpr_workgroup_id_z 0
		.amdhsa_system_sgpr_workgroup_info 0
		.amdhsa_system_vgpr_workitem_id 0
		.amdhsa_next_free_vgpr 1
		.amdhsa_next_free_sgpr 0
		.amdhsa_accum_offset 4
		.amdhsa_reserve_vcc 0
		.amdhsa_float_round_mode_32 0
		.amdhsa_float_round_mode_16_64 0
		.amdhsa_float_denorm_mode_32 3
		.amdhsa_float_denorm_mode_16_64 3
		.amdhsa_dx10_clamp 1
		.amdhsa_ieee_mode 1
		.amdhsa_fp16_overflow 0
		.amdhsa_tg_split 0
		.amdhsa_exception_fp_ieee_invalid_op 0
		.amdhsa_exception_fp_denorm_src 0
		.amdhsa_exception_fp_ieee_div_zero 0
		.amdhsa_exception_fp_ieee_overflow 0
		.amdhsa_exception_fp_ieee_underflow 0
		.amdhsa_exception_fp_ieee_inexact 0
		.amdhsa_exception_int_div_zero 0
	.end_amdhsa_kernel
	.section	.text._ZN7rocprim17ROCPRIM_400000_NS6detail17trampoline_kernelINS0_14default_configENS1_22reduce_config_selectorIxEEZNS1_11reduce_implILb1ES3_N6thrust23THRUST_200600_302600_NS6detail15normal_iteratorINS8_10device_ptrIxEEEEPxx9plus_mod3IxEEE10hipError_tPvRmT1_T2_T3_mT4_P12ihipStream_tbEUlT_E1_NS1_11comp_targetILNS1_3genE3ELNS1_11target_archE908ELNS1_3gpuE7ELNS1_3repE0EEENS1_30default_config_static_selectorELNS0_4arch9wavefront6targetE1EEEvSK_,"axG",@progbits,_ZN7rocprim17ROCPRIM_400000_NS6detail17trampoline_kernelINS0_14default_configENS1_22reduce_config_selectorIxEEZNS1_11reduce_implILb1ES3_N6thrust23THRUST_200600_302600_NS6detail15normal_iteratorINS8_10device_ptrIxEEEEPxx9plus_mod3IxEEE10hipError_tPvRmT1_T2_T3_mT4_P12ihipStream_tbEUlT_E1_NS1_11comp_targetILNS1_3genE3ELNS1_11target_archE908ELNS1_3gpuE7ELNS1_3repE0EEENS1_30default_config_static_selectorELNS0_4arch9wavefront6targetE1EEEvSK_,comdat
.Lfunc_end905:
	.size	_ZN7rocprim17ROCPRIM_400000_NS6detail17trampoline_kernelINS0_14default_configENS1_22reduce_config_selectorIxEEZNS1_11reduce_implILb1ES3_N6thrust23THRUST_200600_302600_NS6detail15normal_iteratorINS8_10device_ptrIxEEEEPxx9plus_mod3IxEEE10hipError_tPvRmT1_T2_T3_mT4_P12ihipStream_tbEUlT_E1_NS1_11comp_targetILNS1_3genE3ELNS1_11target_archE908ELNS1_3gpuE7ELNS1_3repE0EEENS1_30default_config_static_selectorELNS0_4arch9wavefront6targetE1EEEvSK_, .Lfunc_end905-_ZN7rocprim17ROCPRIM_400000_NS6detail17trampoline_kernelINS0_14default_configENS1_22reduce_config_selectorIxEEZNS1_11reduce_implILb1ES3_N6thrust23THRUST_200600_302600_NS6detail15normal_iteratorINS8_10device_ptrIxEEEEPxx9plus_mod3IxEEE10hipError_tPvRmT1_T2_T3_mT4_P12ihipStream_tbEUlT_E1_NS1_11comp_targetILNS1_3genE3ELNS1_11target_archE908ELNS1_3gpuE7ELNS1_3repE0EEENS1_30default_config_static_selectorELNS0_4arch9wavefront6targetE1EEEvSK_
                                        ; -- End function
	.set _ZN7rocprim17ROCPRIM_400000_NS6detail17trampoline_kernelINS0_14default_configENS1_22reduce_config_selectorIxEEZNS1_11reduce_implILb1ES3_N6thrust23THRUST_200600_302600_NS6detail15normal_iteratorINS8_10device_ptrIxEEEEPxx9plus_mod3IxEEE10hipError_tPvRmT1_T2_T3_mT4_P12ihipStream_tbEUlT_E1_NS1_11comp_targetILNS1_3genE3ELNS1_11target_archE908ELNS1_3gpuE7ELNS1_3repE0EEENS1_30default_config_static_selectorELNS0_4arch9wavefront6targetE1EEEvSK_.num_vgpr, 0
	.set _ZN7rocprim17ROCPRIM_400000_NS6detail17trampoline_kernelINS0_14default_configENS1_22reduce_config_selectorIxEEZNS1_11reduce_implILb1ES3_N6thrust23THRUST_200600_302600_NS6detail15normal_iteratorINS8_10device_ptrIxEEEEPxx9plus_mod3IxEEE10hipError_tPvRmT1_T2_T3_mT4_P12ihipStream_tbEUlT_E1_NS1_11comp_targetILNS1_3genE3ELNS1_11target_archE908ELNS1_3gpuE7ELNS1_3repE0EEENS1_30default_config_static_selectorELNS0_4arch9wavefront6targetE1EEEvSK_.num_agpr, 0
	.set _ZN7rocprim17ROCPRIM_400000_NS6detail17trampoline_kernelINS0_14default_configENS1_22reduce_config_selectorIxEEZNS1_11reduce_implILb1ES3_N6thrust23THRUST_200600_302600_NS6detail15normal_iteratorINS8_10device_ptrIxEEEEPxx9plus_mod3IxEEE10hipError_tPvRmT1_T2_T3_mT4_P12ihipStream_tbEUlT_E1_NS1_11comp_targetILNS1_3genE3ELNS1_11target_archE908ELNS1_3gpuE7ELNS1_3repE0EEENS1_30default_config_static_selectorELNS0_4arch9wavefront6targetE1EEEvSK_.numbered_sgpr, 0
	.set _ZN7rocprim17ROCPRIM_400000_NS6detail17trampoline_kernelINS0_14default_configENS1_22reduce_config_selectorIxEEZNS1_11reduce_implILb1ES3_N6thrust23THRUST_200600_302600_NS6detail15normal_iteratorINS8_10device_ptrIxEEEEPxx9plus_mod3IxEEE10hipError_tPvRmT1_T2_T3_mT4_P12ihipStream_tbEUlT_E1_NS1_11comp_targetILNS1_3genE3ELNS1_11target_archE908ELNS1_3gpuE7ELNS1_3repE0EEENS1_30default_config_static_selectorELNS0_4arch9wavefront6targetE1EEEvSK_.num_named_barrier, 0
	.set _ZN7rocprim17ROCPRIM_400000_NS6detail17trampoline_kernelINS0_14default_configENS1_22reduce_config_selectorIxEEZNS1_11reduce_implILb1ES3_N6thrust23THRUST_200600_302600_NS6detail15normal_iteratorINS8_10device_ptrIxEEEEPxx9plus_mod3IxEEE10hipError_tPvRmT1_T2_T3_mT4_P12ihipStream_tbEUlT_E1_NS1_11comp_targetILNS1_3genE3ELNS1_11target_archE908ELNS1_3gpuE7ELNS1_3repE0EEENS1_30default_config_static_selectorELNS0_4arch9wavefront6targetE1EEEvSK_.private_seg_size, 0
	.set _ZN7rocprim17ROCPRIM_400000_NS6detail17trampoline_kernelINS0_14default_configENS1_22reduce_config_selectorIxEEZNS1_11reduce_implILb1ES3_N6thrust23THRUST_200600_302600_NS6detail15normal_iteratorINS8_10device_ptrIxEEEEPxx9plus_mod3IxEEE10hipError_tPvRmT1_T2_T3_mT4_P12ihipStream_tbEUlT_E1_NS1_11comp_targetILNS1_3genE3ELNS1_11target_archE908ELNS1_3gpuE7ELNS1_3repE0EEENS1_30default_config_static_selectorELNS0_4arch9wavefront6targetE1EEEvSK_.uses_vcc, 0
	.set _ZN7rocprim17ROCPRIM_400000_NS6detail17trampoline_kernelINS0_14default_configENS1_22reduce_config_selectorIxEEZNS1_11reduce_implILb1ES3_N6thrust23THRUST_200600_302600_NS6detail15normal_iteratorINS8_10device_ptrIxEEEEPxx9plus_mod3IxEEE10hipError_tPvRmT1_T2_T3_mT4_P12ihipStream_tbEUlT_E1_NS1_11comp_targetILNS1_3genE3ELNS1_11target_archE908ELNS1_3gpuE7ELNS1_3repE0EEENS1_30default_config_static_selectorELNS0_4arch9wavefront6targetE1EEEvSK_.uses_flat_scratch, 0
	.set _ZN7rocprim17ROCPRIM_400000_NS6detail17trampoline_kernelINS0_14default_configENS1_22reduce_config_selectorIxEEZNS1_11reduce_implILb1ES3_N6thrust23THRUST_200600_302600_NS6detail15normal_iteratorINS8_10device_ptrIxEEEEPxx9plus_mod3IxEEE10hipError_tPvRmT1_T2_T3_mT4_P12ihipStream_tbEUlT_E1_NS1_11comp_targetILNS1_3genE3ELNS1_11target_archE908ELNS1_3gpuE7ELNS1_3repE0EEENS1_30default_config_static_selectorELNS0_4arch9wavefront6targetE1EEEvSK_.has_dyn_sized_stack, 0
	.set _ZN7rocprim17ROCPRIM_400000_NS6detail17trampoline_kernelINS0_14default_configENS1_22reduce_config_selectorIxEEZNS1_11reduce_implILb1ES3_N6thrust23THRUST_200600_302600_NS6detail15normal_iteratorINS8_10device_ptrIxEEEEPxx9plus_mod3IxEEE10hipError_tPvRmT1_T2_T3_mT4_P12ihipStream_tbEUlT_E1_NS1_11comp_targetILNS1_3genE3ELNS1_11target_archE908ELNS1_3gpuE7ELNS1_3repE0EEENS1_30default_config_static_selectorELNS0_4arch9wavefront6targetE1EEEvSK_.has_recursion, 0
	.set _ZN7rocprim17ROCPRIM_400000_NS6detail17trampoline_kernelINS0_14default_configENS1_22reduce_config_selectorIxEEZNS1_11reduce_implILb1ES3_N6thrust23THRUST_200600_302600_NS6detail15normal_iteratorINS8_10device_ptrIxEEEEPxx9plus_mod3IxEEE10hipError_tPvRmT1_T2_T3_mT4_P12ihipStream_tbEUlT_E1_NS1_11comp_targetILNS1_3genE3ELNS1_11target_archE908ELNS1_3gpuE7ELNS1_3repE0EEENS1_30default_config_static_selectorELNS0_4arch9wavefront6targetE1EEEvSK_.has_indirect_call, 0
	.section	.AMDGPU.csdata,"",@progbits
; Kernel info:
; codeLenInByte = 0
; TotalNumSgprs: 6
; NumVgprs: 0
; NumAgprs: 0
; TotalNumVgprs: 0
; ScratchSize: 0
; MemoryBound: 0
; FloatMode: 240
; IeeeMode: 1
; LDSByteSize: 0 bytes/workgroup (compile time only)
; SGPRBlocks: 0
; VGPRBlocks: 0
; NumSGPRsForWavesPerEU: 6
; NumVGPRsForWavesPerEU: 1
; AccumOffset: 4
; Occupancy: 8
; WaveLimiterHint : 0
; COMPUTE_PGM_RSRC2:SCRATCH_EN: 0
; COMPUTE_PGM_RSRC2:USER_SGPR: 2
; COMPUTE_PGM_RSRC2:TRAP_HANDLER: 0
; COMPUTE_PGM_RSRC2:TGID_X_EN: 1
; COMPUTE_PGM_RSRC2:TGID_Y_EN: 0
; COMPUTE_PGM_RSRC2:TGID_Z_EN: 0
; COMPUTE_PGM_RSRC2:TIDIG_COMP_CNT: 0
; COMPUTE_PGM_RSRC3_GFX90A:ACCUM_OFFSET: 0
; COMPUTE_PGM_RSRC3_GFX90A:TG_SPLIT: 0
	.section	.text._ZN7rocprim17ROCPRIM_400000_NS6detail17trampoline_kernelINS0_14default_configENS1_22reduce_config_selectorIxEEZNS1_11reduce_implILb1ES3_N6thrust23THRUST_200600_302600_NS6detail15normal_iteratorINS8_10device_ptrIxEEEEPxx9plus_mod3IxEEE10hipError_tPvRmT1_T2_T3_mT4_P12ihipStream_tbEUlT_E1_NS1_11comp_targetILNS1_3genE2ELNS1_11target_archE906ELNS1_3gpuE6ELNS1_3repE0EEENS1_30default_config_static_selectorELNS0_4arch9wavefront6targetE1EEEvSK_,"axG",@progbits,_ZN7rocprim17ROCPRIM_400000_NS6detail17trampoline_kernelINS0_14default_configENS1_22reduce_config_selectorIxEEZNS1_11reduce_implILb1ES3_N6thrust23THRUST_200600_302600_NS6detail15normal_iteratorINS8_10device_ptrIxEEEEPxx9plus_mod3IxEEE10hipError_tPvRmT1_T2_T3_mT4_P12ihipStream_tbEUlT_E1_NS1_11comp_targetILNS1_3genE2ELNS1_11target_archE906ELNS1_3gpuE6ELNS1_3repE0EEENS1_30default_config_static_selectorELNS0_4arch9wavefront6targetE1EEEvSK_,comdat
	.protected	_ZN7rocprim17ROCPRIM_400000_NS6detail17trampoline_kernelINS0_14default_configENS1_22reduce_config_selectorIxEEZNS1_11reduce_implILb1ES3_N6thrust23THRUST_200600_302600_NS6detail15normal_iteratorINS8_10device_ptrIxEEEEPxx9plus_mod3IxEEE10hipError_tPvRmT1_T2_T3_mT4_P12ihipStream_tbEUlT_E1_NS1_11comp_targetILNS1_3genE2ELNS1_11target_archE906ELNS1_3gpuE6ELNS1_3repE0EEENS1_30default_config_static_selectorELNS0_4arch9wavefront6targetE1EEEvSK_ ; -- Begin function _ZN7rocprim17ROCPRIM_400000_NS6detail17trampoline_kernelINS0_14default_configENS1_22reduce_config_selectorIxEEZNS1_11reduce_implILb1ES3_N6thrust23THRUST_200600_302600_NS6detail15normal_iteratorINS8_10device_ptrIxEEEEPxx9plus_mod3IxEEE10hipError_tPvRmT1_T2_T3_mT4_P12ihipStream_tbEUlT_E1_NS1_11comp_targetILNS1_3genE2ELNS1_11target_archE906ELNS1_3gpuE6ELNS1_3repE0EEENS1_30default_config_static_selectorELNS0_4arch9wavefront6targetE1EEEvSK_
	.globl	_ZN7rocprim17ROCPRIM_400000_NS6detail17trampoline_kernelINS0_14default_configENS1_22reduce_config_selectorIxEEZNS1_11reduce_implILb1ES3_N6thrust23THRUST_200600_302600_NS6detail15normal_iteratorINS8_10device_ptrIxEEEEPxx9plus_mod3IxEEE10hipError_tPvRmT1_T2_T3_mT4_P12ihipStream_tbEUlT_E1_NS1_11comp_targetILNS1_3genE2ELNS1_11target_archE906ELNS1_3gpuE6ELNS1_3repE0EEENS1_30default_config_static_selectorELNS0_4arch9wavefront6targetE1EEEvSK_
	.p2align	8
	.type	_ZN7rocprim17ROCPRIM_400000_NS6detail17trampoline_kernelINS0_14default_configENS1_22reduce_config_selectorIxEEZNS1_11reduce_implILb1ES3_N6thrust23THRUST_200600_302600_NS6detail15normal_iteratorINS8_10device_ptrIxEEEEPxx9plus_mod3IxEEE10hipError_tPvRmT1_T2_T3_mT4_P12ihipStream_tbEUlT_E1_NS1_11comp_targetILNS1_3genE2ELNS1_11target_archE906ELNS1_3gpuE6ELNS1_3repE0EEENS1_30default_config_static_selectorELNS0_4arch9wavefront6targetE1EEEvSK_,@function
_ZN7rocprim17ROCPRIM_400000_NS6detail17trampoline_kernelINS0_14default_configENS1_22reduce_config_selectorIxEEZNS1_11reduce_implILb1ES3_N6thrust23THRUST_200600_302600_NS6detail15normal_iteratorINS8_10device_ptrIxEEEEPxx9plus_mod3IxEEE10hipError_tPvRmT1_T2_T3_mT4_P12ihipStream_tbEUlT_E1_NS1_11comp_targetILNS1_3genE2ELNS1_11target_archE906ELNS1_3gpuE6ELNS1_3repE0EEENS1_30default_config_static_selectorELNS0_4arch9wavefront6targetE1EEEvSK_: ; @_ZN7rocprim17ROCPRIM_400000_NS6detail17trampoline_kernelINS0_14default_configENS1_22reduce_config_selectorIxEEZNS1_11reduce_implILb1ES3_N6thrust23THRUST_200600_302600_NS6detail15normal_iteratorINS8_10device_ptrIxEEEEPxx9plus_mod3IxEEE10hipError_tPvRmT1_T2_T3_mT4_P12ihipStream_tbEUlT_E1_NS1_11comp_targetILNS1_3genE2ELNS1_11target_archE906ELNS1_3gpuE6ELNS1_3repE0EEENS1_30default_config_static_selectorELNS0_4arch9wavefront6targetE1EEEvSK_
; %bb.0:
	.section	.rodata,"a",@progbits
	.p2align	6, 0x0
	.amdhsa_kernel _ZN7rocprim17ROCPRIM_400000_NS6detail17trampoline_kernelINS0_14default_configENS1_22reduce_config_selectorIxEEZNS1_11reduce_implILb1ES3_N6thrust23THRUST_200600_302600_NS6detail15normal_iteratorINS8_10device_ptrIxEEEEPxx9plus_mod3IxEEE10hipError_tPvRmT1_T2_T3_mT4_P12ihipStream_tbEUlT_E1_NS1_11comp_targetILNS1_3genE2ELNS1_11target_archE906ELNS1_3gpuE6ELNS1_3repE0EEENS1_30default_config_static_selectorELNS0_4arch9wavefront6targetE1EEEvSK_
		.amdhsa_group_segment_fixed_size 0
		.amdhsa_private_segment_fixed_size 0
		.amdhsa_kernarg_size 48
		.amdhsa_user_sgpr_count 2
		.amdhsa_user_sgpr_dispatch_ptr 0
		.amdhsa_user_sgpr_queue_ptr 0
		.amdhsa_user_sgpr_kernarg_segment_ptr 1
		.amdhsa_user_sgpr_dispatch_id 0
		.amdhsa_user_sgpr_kernarg_preload_length 0
		.amdhsa_user_sgpr_kernarg_preload_offset 0
		.amdhsa_user_sgpr_private_segment_size 0
		.amdhsa_uses_dynamic_stack 0
		.amdhsa_enable_private_segment 0
		.amdhsa_system_sgpr_workgroup_id_x 1
		.amdhsa_system_sgpr_workgroup_id_y 0
		.amdhsa_system_sgpr_workgroup_id_z 0
		.amdhsa_system_sgpr_workgroup_info 0
		.amdhsa_system_vgpr_workitem_id 0
		.amdhsa_next_free_vgpr 1
		.amdhsa_next_free_sgpr 0
		.amdhsa_accum_offset 4
		.amdhsa_reserve_vcc 0
		.amdhsa_float_round_mode_32 0
		.amdhsa_float_round_mode_16_64 0
		.amdhsa_float_denorm_mode_32 3
		.amdhsa_float_denorm_mode_16_64 3
		.amdhsa_dx10_clamp 1
		.amdhsa_ieee_mode 1
		.amdhsa_fp16_overflow 0
		.amdhsa_tg_split 0
		.amdhsa_exception_fp_ieee_invalid_op 0
		.amdhsa_exception_fp_denorm_src 0
		.amdhsa_exception_fp_ieee_div_zero 0
		.amdhsa_exception_fp_ieee_overflow 0
		.amdhsa_exception_fp_ieee_underflow 0
		.amdhsa_exception_fp_ieee_inexact 0
		.amdhsa_exception_int_div_zero 0
	.end_amdhsa_kernel
	.section	.text._ZN7rocprim17ROCPRIM_400000_NS6detail17trampoline_kernelINS0_14default_configENS1_22reduce_config_selectorIxEEZNS1_11reduce_implILb1ES3_N6thrust23THRUST_200600_302600_NS6detail15normal_iteratorINS8_10device_ptrIxEEEEPxx9plus_mod3IxEEE10hipError_tPvRmT1_T2_T3_mT4_P12ihipStream_tbEUlT_E1_NS1_11comp_targetILNS1_3genE2ELNS1_11target_archE906ELNS1_3gpuE6ELNS1_3repE0EEENS1_30default_config_static_selectorELNS0_4arch9wavefront6targetE1EEEvSK_,"axG",@progbits,_ZN7rocprim17ROCPRIM_400000_NS6detail17trampoline_kernelINS0_14default_configENS1_22reduce_config_selectorIxEEZNS1_11reduce_implILb1ES3_N6thrust23THRUST_200600_302600_NS6detail15normal_iteratorINS8_10device_ptrIxEEEEPxx9plus_mod3IxEEE10hipError_tPvRmT1_T2_T3_mT4_P12ihipStream_tbEUlT_E1_NS1_11comp_targetILNS1_3genE2ELNS1_11target_archE906ELNS1_3gpuE6ELNS1_3repE0EEENS1_30default_config_static_selectorELNS0_4arch9wavefront6targetE1EEEvSK_,comdat
.Lfunc_end906:
	.size	_ZN7rocprim17ROCPRIM_400000_NS6detail17trampoline_kernelINS0_14default_configENS1_22reduce_config_selectorIxEEZNS1_11reduce_implILb1ES3_N6thrust23THRUST_200600_302600_NS6detail15normal_iteratorINS8_10device_ptrIxEEEEPxx9plus_mod3IxEEE10hipError_tPvRmT1_T2_T3_mT4_P12ihipStream_tbEUlT_E1_NS1_11comp_targetILNS1_3genE2ELNS1_11target_archE906ELNS1_3gpuE6ELNS1_3repE0EEENS1_30default_config_static_selectorELNS0_4arch9wavefront6targetE1EEEvSK_, .Lfunc_end906-_ZN7rocprim17ROCPRIM_400000_NS6detail17trampoline_kernelINS0_14default_configENS1_22reduce_config_selectorIxEEZNS1_11reduce_implILb1ES3_N6thrust23THRUST_200600_302600_NS6detail15normal_iteratorINS8_10device_ptrIxEEEEPxx9plus_mod3IxEEE10hipError_tPvRmT1_T2_T3_mT4_P12ihipStream_tbEUlT_E1_NS1_11comp_targetILNS1_3genE2ELNS1_11target_archE906ELNS1_3gpuE6ELNS1_3repE0EEENS1_30default_config_static_selectorELNS0_4arch9wavefront6targetE1EEEvSK_
                                        ; -- End function
	.set _ZN7rocprim17ROCPRIM_400000_NS6detail17trampoline_kernelINS0_14default_configENS1_22reduce_config_selectorIxEEZNS1_11reduce_implILb1ES3_N6thrust23THRUST_200600_302600_NS6detail15normal_iteratorINS8_10device_ptrIxEEEEPxx9plus_mod3IxEEE10hipError_tPvRmT1_T2_T3_mT4_P12ihipStream_tbEUlT_E1_NS1_11comp_targetILNS1_3genE2ELNS1_11target_archE906ELNS1_3gpuE6ELNS1_3repE0EEENS1_30default_config_static_selectorELNS0_4arch9wavefront6targetE1EEEvSK_.num_vgpr, 0
	.set _ZN7rocprim17ROCPRIM_400000_NS6detail17trampoline_kernelINS0_14default_configENS1_22reduce_config_selectorIxEEZNS1_11reduce_implILb1ES3_N6thrust23THRUST_200600_302600_NS6detail15normal_iteratorINS8_10device_ptrIxEEEEPxx9plus_mod3IxEEE10hipError_tPvRmT1_T2_T3_mT4_P12ihipStream_tbEUlT_E1_NS1_11comp_targetILNS1_3genE2ELNS1_11target_archE906ELNS1_3gpuE6ELNS1_3repE0EEENS1_30default_config_static_selectorELNS0_4arch9wavefront6targetE1EEEvSK_.num_agpr, 0
	.set _ZN7rocprim17ROCPRIM_400000_NS6detail17trampoline_kernelINS0_14default_configENS1_22reduce_config_selectorIxEEZNS1_11reduce_implILb1ES3_N6thrust23THRUST_200600_302600_NS6detail15normal_iteratorINS8_10device_ptrIxEEEEPxx9plus_mod3IxEEE10hipError_tPvRmT1_T2_T3_mT4_P12ihipStream_tbEUlT_E1_NS1_11comp_targetILNS1_3genE2ELNS1_11target_archE906ELNS1_3gpuE6ELNS1_3repE0EEENS1_30default_config_static_selectorELNS0_4arch9wavefront6targetE1EEEvSK_.numbered_sgpr, 0
	.set _ZN7rocprim17ROCPRIM_400000_NS6detail17trampoline_kernelINS0_14default_configENS1_22reduce_config_selectorIxEEZNS1_11reduce_implILb1ES3_N6thrust23THRUST_200600_302600_NS6detail15normal_iteratorINS8_10device_ptrIxEEEEPxx9plus_mod3IxEEE10hipError_tPvRmT1_T2_T3_mT4_P12ihipStream_tbEUlT_E1_NS1_11comp_targetILNS1_3genE2ELNS1_11target_archE906ELNS1_3gpuE6ELNS1_3repE0EEENS1_30default_config_static_selectorELNS0_4arch9wavefront6targetE1EEEvSK_.num_named_barrier, 0
	.set _ZN7rocprim17ROCPRIM_400000_NS6detail17trampoline_kernelINS0_14default_configENS1_22reduce_config_selectorIxEEZNS1_11reduce_implILb1ES3_N6thrust23THRUST_200600_302600_NS6detail15normal_iteratorINS8_10device_ptrIxEEEEPxx9plus_mod3IxEEE10hipError_tPvRmT1_T2_T3_mT4_P12ihipStream_tbEUlT_E1_NS1_11comp_targetILNS1_3genE2ELNS1_11target_archE906ELNS1_3gpuE6ELNS1_3repE0EEENS1_30default_config_static_selectorELNS0_4arch9wavefront6targetE1EEEvSK_.private_seg_size, 0
	.set _ZN7rocprim17ROCPRIM_400000_NS6detail17trampoline_kernelINS0_14default_configENS1_22reduce_config_selectorIxEEZNS1_11reduce_implILb1ES3_N6thrust23THRUST_200600_302600_NS6detail15normal_iteratorINS8_10device_ptrIxEEEEPxx9plus_mod3IxEEE10hipError_tPvRmT1_T2_T3_mT4_P12ihipStream_tbEUlT_E1_NS1_11comp_targetILNS1_3genE2ELNS1_11target_archE906ELNS1_3gpuE6ELNS1_3repE0EEENS1_30default_config_static_selectorELNS0_4arch9wavefront6targetE1EEEvSK_.uses_vcc, 0
	.set _ZN7rocprim17ROCPRIM_400000_NS6detail17trampoline_kernelINS0_14default_configENS1_22reduce_config_selectorIxEEZNS1_11reduce_implILb1ES3_N6thrust23THRUST_200600_302600_NS6detail15normal_iteratorINS8_10device_ptrIxEEEEPxx9plus_mod3IxEEE10hipError_tPvRmT1_T2_T3_mT4_P12ihipStream_tbEUlT_E1_NS1_11comp_targetILNS1_3genE2ELNS1_11target_archE906ELNS1_3gpuE6ELNS1_3repE0EEENS1_30default_config_static_selectorELNS0_4arch9wavefront6targetE1EEEvSK_.uses_flat_scratch, 0
	.set _ZN7rocprim17ROCPRIM_400000_NS6detail17trampoline_kernelINS0_14default_configENS1_22reduce_config_selectorIxEEZNS1_11reduce_implILb1ES3_N6thrust23THRUST_200600_302600_NS6detail15normal_iteratorINS8_10device_ptrIxEEEEPxx9plus_mod3IxEEE10hipError_tPvRmT1_T2_T3_mT4_P12ihipStream_tbEUlT_E1_NS1_11comp_targetILNS1_3genE2ELNS1_11target_archE906ELNS1_3gpuE6ELNS1_3repE0EEENS1_30default_config_static_selectorELNS0_4arch9wavefront6targetE1EEEvSK_.has_dyn_sized_stack, 0
	.set _ZN7rocprim17ROCPRIM_400000_NS6detail17trampoline_kernelINS0_14default_configENS1_22reduce_config_selectorIxEEZNS1_11reduce_implILb1ES3_N6thrust23THRUST_200600_302600_NS6detail15normal_iteratorINS8_10device_ptrIxEEEEPxx9plus_mod3IxEEE10hipError_tPvRmT1_T2_T3_mT4_P12ihipStream_tbEUlT_E1_NS1_11comp_targetILNS1_3genE2ELNS1_11target_archE906ELNS1_3gpuE6ELNS1_3repE0EEENS1_30default_config_static_selectorELNS0_4arch9wavefront6targetE1EEEvSK_.has_recursion, 0
	.set _ZN7rocprim17ROCPRIM_400000_NS6detail17trampoline_kernelINS0_14default_configENS1_22reduce_config_selectorIxEEZNS1_11reduce_implILb1ES3_N6thrust23THRUST_200600_302600_NS6detail15normal_iteratorINS8_10device_ptrIxEEEEPxx9plus_mod3IxEEE10hipError_tPvRmT1_T2_T3_mT4_P12ihipStream_tbEUlT_E1_NS1_11comp_targetILNS1_3genE2ELNS1_11target_archE906ELNS1_3gpuE6ELNS1_3repE0EEENS1_30default_config_static_selectorELNS0_4arch9wavefront6targetE1EEEvSK_.has_indirect_call, 0
	.section	.AMDGPU.csdata,"",@progbits
; Kernel info:
; codeLenInByte = 0
; TotalNumSgprs: 6
; NumVgprs: 0
; NumAgprs: 0
; TotalNumVgprs: 0
; ScratchSize: 0
; MemoryBound: 0
; FloatMode: 240
; IeeeMode: 1
; LDSByteSize: 0 bytes/workgroup (compile time only)
; SGPRBlocks: 0
; VGPRBlocks: 0
; NumSGPRsForWavesPerEU: 6
; NumVGPRsForWavesPerEU: 1
; AccumOffset: 4
; Occupancy: 8
; WaveLimiterHint : 0
; COMPUTE_PGM_RSRC2:SCRATCH_EN: 0
; COMPUTE_PGM_RSRC2:USER_SGPR: 2
; COMPUTE_PGM_RSRC2:TRAP_HANDLER: 0
; COMPUTE_PGM_RSRC2:TGID_X_EN: 1
; COMPUTE_PGM_RSRC2:TGID_Y_EN: 0
; COMPUTE_PGM_RSRC2:TGID_Z_EN: 0
; COMPUTE_PGM_RSRC2:TIDIG_COMP_CNT: 0
; COMPUTE_PGM_RSRC3_GFX90A:ACCUM_OFFSET: 0
; COMPUTE_PGM_RSRC3_GFX90A:TG_SPLIT: 0
	.section	.text._ZN7rocprim17ROCPRIM_400000_NS6detail17trampoline_kernelINS0_14default_configENS1_22reduce_config_selectorIxEEZNS1_11reduce_implILb1ES3_N6thrust23THRUST_200600_302600_NS6detail15normal_iteratorINS8_10device_ptrIxEEEEPxx9plus_mod3IxEEE10hipError_tPvRmT1_T2_T3_mT4_P12ihipStream_tbEUlT_E1_NS1_11comp_targetILNS1_3genE10ELNS1_11target_archE1201ELNS1_3gpuE5ELNS1_3repE0EEENS1_30default_config_static_selectorELNS0_4arch9wavefront6targetE1EEEvSK_,"axG",@progbits,_ZN7rocprim17ROCPRIM_400000_NS6detail17trampoline_kernelINS0_14default_configENS1_22reduce_config_selectorIxEEZNS1_11reduce_implILb1ES3_N6thrust23THRUST_200600_302600_NS6detail15normal_iteratorINS8_10device_ptrIxEEEEPxx9plus_mod3IxEEE10hipError_tPvRmT1_T2_T3_mT4_P12ihipStream_tbEUlT_E1_NS1_11comp_targetILNS1_3genE10ELNS1_11target_archE1201ELNS1_3gpuE5ELNS1_3repE0EEENS1_30default_config_static_selectorELNS0_4arch9wavefront6targetE1EEEvSK_,comdat
	.protected	_ZN7rocprim17ROCPRIM_400000_NS6detail17trampoline_kernelINS0_14default_configENS1_22reduce_config_selectorIxEEZNS1_11reduce_implILb1ES3_N6thrust23THRUST_200600_302600_NS6detail15normal_iteratorINS8_10device_ptrIxEEEEPxx9plus_mod3IxEEE10hipError_tPvRmT1_T2_T3_mT4_P12ihipStream_tbEUlT_E1_NS1_11comp_targetILNS1_3genE10ELNS1_11target_archE1201ELNS1_3gpuE5ELNS1_3repE0EEENS1_30default_config_static_selectorELNS0_4arch9wavefront6targetE1EEEvSK_ ; -- Begin function _ZN7rocprim17ROCPRIM_400000_NS6detail17trampoline_kernelINS0_14default_configENS1_22reduce_config_selectorIxEEZNS1_11reduce_implILb1ES3_N6thrust23THRUST_200600_302600_NS6detail15normal_iteratorINS8_10device_ptrIxEEEEPxx9plus_mod3IxEEE10hipError_tPvRmT1_T2_T3_mT4_P12ihipStream_tbEUlT_E1_NS1_11comp_targetILNS1_3genE10ELNS1_11target_archE1201ELNS1_3gpuE5ELNS1_3repE0EEENS1_30default_config_static_selectorELNS0_4arch9wavefront6targetE1EEEvSK_
	.globl	_ZN7rocprim17ROCPRIM_400000_NS6detail17trampoline_kernelINS0_14default_configENS1_22reduce_config_selectorIxEEZNS1_11reduce_implILb1ES3_N6thrust23THRUST_200600_302600_NS6detail15normal_iteratorINS8_10device_ptrIxEEEEPxx9plus_mod3IxEEE10hipError_tPvRmT1_T2_T3_mT4_P12ihipStream_tbEUlT_E1_NS1_11comp_targetILNS1_3genE10ELNS1_11target_archE1201ELNS1_3gpuE5ELNS1_3repE0EEENS1_30default_config_static_selectorELNS0_4arch9wavefront6targetE1EEEvSK_
	.p2align	8
	.type	_ZN7rocprim17ROCPRIM_400000_NS6detail17trampoline_kernelINS0_14default_configENS1_22reduce_config_selectorIxEEZNS1_11reduce_implILb1ES3_N6thrust23THRUST_200600_302600_NS6detail15normal_iteratorINS8_10device_ptrIxEEEEPxx9plus_mod3IxEEE10hipError_tPvRmT1_T2_T3_mT4_P12ihipStream_tbEUlT_E1_NS1_11comp_targetILNS1_3genE10ELNS1_11target_archE1201ELNS1_3gpuE5ELNS1_3repE0EEENS1_30default_config_static_selectorELNS0_4arch9wavefront6targetE1EEEvSK_,@function
_ZN7rocprim17ROCPRIM_400000_NS6detail17trampoline_kernelINS0_14default_configENS1_22reduce_config_selectorIxEEZNS1_11reduce_implILb1ES3_N6thrust23THRUST_200600_302600_NS6detail15normal_iteratorINS8_10device_ptrIxEEEEPxx9plus_mod3IxEEE10hipError_tPvRmT1_T2_T3_mT4_P12ihipStream_tbEUlT_E1_NS1_11comp_targetILNS1_3genE10ELNS1_11target_archE1201ELNS1_3gpuE5ELNS1_3repE0EEENS1_30default_config_static_selectorELNS0_4arch9wavefront6targetE1EEEvSK_: ; @_ZN7rocprim17ROCPRIM_400000_NS6detail17trampoline_kernelINS0_14default_configENS1_22reduce_config_selectorIxEEZNS1_11reduce_implILb1ES3_N6thrust23THRUST_200600_302600_NS6detail15normal_iteratorINS8_10device_ptrIxEEEEPxx9plus_mod3IxEEE10hipError_tPvRmT1_T2_T3_mT4_P12ihipStream_tbEUlT_E1_NS1_11comp_targetILNS1_3genE10ELNS1_11target_archE1201ELNS1_3gpuE5ELNS1_3repE0EEENS1_30default_config_static_selectorELNS0_4arch9wavefront6targetE1EEEvSK_
; %bb.0:
	.section	.rodata,"a",@progbits
	.p2align	6, 0x0
	.amdhsa_kernel _ZN7rocprim17ROCPRIM_400000_NS6detail17trampoline_kernelINS0_14default_configENS1_22reduce_config_selectorIxEEZNS1_11reduce_implILb1ES3_N6thrust23THRUST_200600_302600_NS6detail15normal_iteratorINS8_10device_ptrIxEEEEPxx9plus_mod3IxEEE10hipError_tPvRmT1_T2_T3_mT4_P12ihipStream_tbEUlT_E1_NS1_11comp_targetILNS1_3genE10ELNS1_11target_archE1201ELNS1_3gpuE5ELNS1_3repE0EEENS1_30default_config_static_selectorELNS0_4arch9wavefront6targetE1EEEvSK_
		.amdhsa_group_segment_fixed_size 0
		.amdhsa_private_segment_fixed_size 0
		.amdhsa_kernarg_size 48
		.amdhsa_user_sgpr_count 2
		.amdhsa_user_sgpr_dispatch_ptr 0
		.amdhsa_user_sgpr_queue_ptr 0
		.amdhsa_user_sgpr_kernarg_segment_ptr 1
		.amdhsa_user_sgpr_dispatch_id 0
		.amdhsa_user_sgpr_kernarg_preload_length 0
		.amdhsa_user_sgpr_kernarg_preload_offset 0
		.amdhsa_user_sgpr_private_segment_size 0
		.amdhsa_uses_dynamic_stack 0
		.amdhsa_enable_private_segment 0
		.amdhsa_system_sgpr_workgroup_id_x 1
		.amdhsa_system_sgpr_workgroup_id_y 0
		.amdhsa_system_sgpr_workgroup_id_z 0
		.amdhsa_system_sgpr_workgroup_info 0
		.amdhsa_system_vgpr_workitem_id 0
		.amdhsa_next_free_vgpr 1
		.amdhsa_next_free_sgpr 0
		.amdhsa_accum_offset 4
		.amdhsa_reserve_vcc 0
		.amdhsa_float_round_mode_32 0
		.amdhsa_float_round_mode_16_64 0
		.amdhsa_float_denorm_mode_32 3
		.amdhsa_float_denorm_mode_16_64 3
		.amdhsa_dx10_clamp 1
		.amdhsa_ieee_mode 1
		.amdhsa_fp16_overflow 0
		.amdhsa_tg_split 0
		.amdhsa_exception_fp_ieee_invalid_op 0
		.amdhsa_exception_fp_denorm_src 0
		.amdhsa_exception_fp_ieee_div_zero 0
		.amdhsa_exception_fp_ieee_overflow 0
		.amdhsa_exception_fp_ieee_underflow 0
		.amdhsa_exception_fp_ieee_inexact 0
		.amdhsa_exception_int_div_zero 0
	.end_amdhsa_kernel
	.section	.text._ZN7rocprim17ROCPRIM_400000_NS6detail17trampoline_kernelINS0_14default_configENS1_22reduce_config_selectorIxEEZNS1_11reduce_implILb1ES3_N6thrust23THRUST_200600_302600_NS6detail15normal_iteratorINS8_10device_ptrIxEEEEPxx9plus_mod3IxEEE10hipError_tPvRmT1_T2_T3_mT4_P12ihipStream_tbEUlT_E1_NS1_11comp_targetILNS1_3genE10ELNS1_11target_archE1201ELNS1_3gpuE5ELNS1_3repE0EEENS1_30default_config_static_selectorELNS0_4arch9wavefront6targetE1EEEvSK_,"axG",@progbits,_ZN7rocprim17ROCPRIM_400000_NS6detail17trampoline_kernelINS0_14default_configENS1_22reduce_config_selectorIxEEZNS1_11reduce_implILb1ES3_N6thrust23THRUST_200600_302600_NS6detail15normal_iteratorINS8_10device_ptrIxEEEEPxx9plus_mod3IxEEE10hipError_tPvRmT1_T2_T3_mT4_P12ihipStream_tbEUlT_E1_NS1_11comp_targetILNS1_3genE10ELNS1_11target_archE1201ELNS1_3gpuE5ELNS1_3repE0EEENS1_30default_config_static_selectorELNS0_4arch9wavefront6targetE1EEEvSK_,comdat
.Lfunc_end907:
	.size	_ZN7rocprim17ROCPRIM_400000_NS6detail17trampoline_kernelINS0_14default_configENS1_22reduce_config_selectorIxEEZNS1_11reduce_implILb1ES3_N6thrust23THRUST_200600_302600_NS6detail15normal_iteratorINS8_10device_ptrIxEEEEPxx9plus_mod3IxEEE10hipError_tPvRmT1_T2_T3_mT4_P12ihipStream_tbEUlT_E1_NS1_11comp_targetILNS1_3genE10ELNS1_11target_archE1201ELNS1_3gpuE5ELNS1_3repE0EEENS1_30default_config_static_selectorELNS0_4arch9wavefront6targetE1EEEvSK_, .Lfunc_end907-_ZN7rocprim17ROCPRIM_400000_NS6detail17trampoline_kernelINS0_14default_configENS1_22reduce_config_selectorIxEEZNS1_11reduce_implILb1ES3_N6thrust23THRUST_200600_302600_NS6detail15normal_iteratorINS8_10device_ptrIxEEEEPxx9plus_mod3IxEEE10hipError_tPvRmT1_T2_T3_mT4_P12ihipStream_tbEUlT_E1_NS1_11comp_targetILNS1_3genE10ELNS1_11target_archE1201ELNS1_3gpuE5ELNS1_3repE0EEENS1_30default_config_static_selectorELNS0_4arch9wavefront6targetE1EEEvSK_
                                        ; -- End function
	.set _ZN7rocprim17ROCPRIM_400000_NS6detail17trampoline_kernelINS0_14default_configENS1_22reduce_config_selectorIxEEZNS1_11reduce_implILb1ES3_N6thrust23THRUST_200600_302600_NS6detail15normal_iteratorINS8_10device_ptrIxEEEEPxx9plus_mod3IxEEE10hipError_tPvRmT1_T2_T3_mT4_P12ihipStream_tbEUlT_E1_NS1_11comp_targetILNS1_3genE10ELNS1_11target_archE1201ELNS1_3gpuE5ELNS1_3repE0EEENS1_30default_config_static_selectorELNS0_4arch9wavefront6targetE1EEEvSK_.num_vgpr, 0
	.set _ZN7rocprim17ROCPRIM_400000_NS6detail17trampoline_kernelINS0_14default_configENS1_22reduce_config_selectorIxEEZNS1_11reduce_implILb1ES3_N6thrust23THRUST_200600_302600_NS6detail15normal_iteratorINS8_10device_ptrIxEEEEPxx9plus_mod3IxEEE10hipError_tPvRmT1_T2_T3_mT4_P12ihipStream_tbEUlT_E1_NS1_11comp_targetILNS1_3genE10ELNS1_11target_archE1201ELNS1_3gpuE5ELNS1_3repE0EEENS1_30default_config_static_selectorELNS0_4arch9wavefront6targetE1EEEvSK_.num_agpr, 0
	.set _ZN7rocprim17ROCPRIM_400000_NS6detail17trampoline_kernelINS0_14default_configENS1_22reduce_config_selectorIxEEZNS1_11reduce_implILb1ES3_N6thrust23THRUST_200600_302600_NS6detail15normal_iteratorINS8_10device_ptrIxEEEEPxx9plus_mod3IxEEE10hipError_tPvRmT1_T2_T3_mT4_P12ihipStream_tbEUlT_E1_NS1_11comp_targetILNS1_3genE10ELNS1_11target_archE1201ELNS1_3gpuE5ELNS1_3repE0EEENS1_30default_config_static_selectorELNS0_4arch9wavefront6targetE1EEEvSK_.numbered_sgpr, 0
	.set _ZN7rocprim17ROCPRIM_400000_NS6detail17trampoline_kernelINS0_14default_configENS1_22reduce_config_selectorIxEEZNS1_11reduce_implILb1ES3_N6thrust23THRUST_200600_302600_NS6detail15normal_iteratorINS8_10device_ptrIxEEEEPxx9plus_mod3IxEEE10hipError_tPvRmT1_T2_T3_mT4_P12ihipStream_tbEUlT_E1_NS1_11comp_targetILNS1_3genE10ELNS1_11target_archE1201ELNS1_3gpuE5ELNS1_3repE0EEENS1_30default_config_static_selectorELNS0_4arch9wavefront6targetE1EEEvSK_.num_named_barrier, 0
	.set _ZN7rocprim17ROCPRIM_400000_NS6detail17trampoline_kernelINS0_14default_configENS1_22reduce_config_selectorIxEEZNS1_11reduce_implILb1ES3_N6thrust23THRUST_200600_302600_NS6detail15normal_iteratorINS8_10device_ptrIxEEEEPxx9plus_mod3IxEEE10hipError_tPvRmT1_T2_T3_mT4_P12ihipStream_tbEUlT_E1_NS1_11comp_targetILNS1_3genE10ELNS1_11target_archE1201ELNS1_3gpuE5ELNS1_3repE0EEENS1_30default_config_static_selectorELNS0_4arch9wavefront6targetE1EEEvSK_.private_seg_size, 0
	.set _ZN7rocprim17ROCPRIM_400000_NS6detail17trampoline_kernelINS0_14default_configENS1_22reduce_config_selectorIxEEZNS1_11reduce_implILb1ES3_N6thrust23THRUST_200600_302600_NS6detail15normal_iteratorINS8_10device_ptrIxEEEEPxx9plus_mod3IxEEE10hipError_tPvRmT1_T2_T3_mT4_P12ihipStream_tbEUlT_E1_NS1_11comp_targetILNS1_3genE10ELNS1_11target_archE1201ELNS1_3gpuE5ELNS1_3repE0EEENS1_30default_config_static_selectorELNS0_4arch9wavefront6targetE1EEEvSK_.uses_vcc, 0
	.set _ZN7rocprim17ROCPRIM_400000_NS6detail17trampoline_kernelINS0_14default_configENS1_22reduce_config_selectorIxEEZNS1_11reduce_implILb1ES3_N6thrust23THRUST_200600_302600_NS6detail15normal_iteratorINS8_10device_ptrIxEEEEPxx9plus_mod3IxEEE10hipError_tPvRmT1_T2_T3_mT4_P12ihipStream_tbEUlT_E1_NS1_11comp_targetILNS1_3genE10ELNS1_11target_archE1201ELNS1_3gpuE5ELNS1_3repE0EEENS1_30default_config_static_selectorELNS0_4arch9wavefront6targetE1EEEvSK_.uses_flat_scratch, 0
	.set _ZN7rocprim17ROCPRIM_400000_NS6detail17trampoline_kernelINS0_14default_configENS1_22reduce_config_selectorIxEEZNS1_11reduce_implILb1ES3_N6thrust23THRUST_200600_302600_NS6detail15normal_iteratorINS8_10device_ptrIxEEEEPxx9plus_mod3IxEEE10hipError_tPvRmT1_T2_T3_mT4_P12ihipStream_tbEUlT_E1_NS1_11comp_targetILNS1_3genE10ELNS1_11target_archE1201ELNS1_3gpuE5ELNS1_3repE0EEENS1_30default_config_static_selectorELNS0_4arch9wavefront6targetE1EEEvSK_.has_dyn_sized_stack, 0
	.set _ZN7rocprim17ROCPRIM_400000_NS6detail17trampoline_kernelINS0_14default_configENS1_22reduce_config_selectorIxEEZNS1_11reduce_implILb1ES3_N6thrust23THRUST_200600_302600_NS6detail15normal_iteratorINS8_10device_ptrIxEEEEPxx9plus_mod3IxEEE10hipError_tPvRmT1_T2_T3_mT4_P12ihipStream_tbEUlT_E1_NS1_11comp_targetILNS1_3genE10ELNS1_11target_archE1201ELNS1_3gpuE5ELNS1_3repE0EEENS1_30default_config_static_selectorELNS0_4arch9wavefront6targetE1EEEvSK_.has_recursion, 0
	.set _ZN7rocprim17ROCPRIM_400000_NS6detail17trampoline_kernelINS0_14default_configENS1_22reduce_config_selectorIxEEZNS1_11reduce_implILb1ES3_N6thrust23THRUST_200600_302600_NS6detail15normal_iteratorINS8_10device_ptrIxEEEEPxx9plus_mod3IxEEE10hipError_tPvRmT1_T2_T3_mT4_P12ihipStream_tbEUlT_E1_NS1_11comp_targetILNS1_3genE10ELNS1_11target_archE1201ELNS1_3gpuE5ELNS1_3repE0EEENS1_30default_config_static_selectorELNS0_4arch9wavefront6targetE1EEEvSK_.has_indirect_call, 0
	.section	.AMDGPU.csdata,"",@progbits
; Kernel info:
; codeLenInByte = 0
; TotalNumSgprs: 6
; NumVgprs: 0
; NumAgprs: 0
; TotalNumVgprs: 0
; ScratchSize: 0
; MemoryBound: 0
; FloatMode: 240
; IeeeMode: 1
; LDSByteSize: 0 bytes/workgroup (compile time only)
; SGPRBlocks: 0
; VGPRBlocks: 0
; NumSGPRsForWavesPerEU: 6
; NumVGPRsForWavesPerEU: 1
; AccumOffset: 4
; Occupancy: 8
; WaveLimiterHint : 0
; COMPUTE_PGM_RSRC2:SCRATCH_EN: 0
; COMPUTE_PGM_RSRC2:USER_SGPR: 2
; COMPUTE_PGM_RSRC2:TRAP_HANDLER: 0
; COMPUTE_PGM_RSRC2:TGID_X_EN: 1
; COMPUTE_PGM_RSRC2:TGID_Y_EN: 0
; COMPUTE_PGM_RSRC2:TGID_Z_EN: 0
; COMPUTE_PGM_RSRC2:TIDIG_COMP_CNT: 0
; COMPUTE_PGM_RSRC3_GFX90A:ACCUM_OFFSET: 0
; COMPUTE_PGM_RSRC3_GFX90A:TG_SPLIT: 0
	.section	.text._ZN7rocprim17ROCPRIM_400000_NS6detail17trampoline_kernelINS0_14default_configENS1_22reduce_config_selectorIxEEZNS1_11reduce_implILb1ES3_N6thrust23THRUST_200600_302600_NS6detail15normal_iteratorINS8_10device_ptrIxEEEEPxx9plus_mod3IxEEE10hipError_tPvRmT1_T2_T3_mT4_P12ihipStream_tbEUlT_E1_NS1_11comp_targetILNS1_3genE10ELNS1_11target_archE1200ELNS1_3gpuE4ELNS1_3repE0EEENS1_30default_config_static_selectorELNS0_4arch9wavefront6targetE1EEEvSK_,"axG",@progbits,_ZN7rocprim17ROCPRIM_400000_NS6detail17trampoline_kernelINS0_14default_configENS1_22reduce_config_selectorIxEEZNS1_11reduce_implILb1ES3_N6thrust23THRUST_200600_302600_NS6detail15normal_iteratorINS8_10device_ptrIxEEEEPxx9plus_mod3IxEEE10hipError_tPvRmT1_T2_T3_mT4_P12ihipStream_tbEUlT_E1_NS1_11comp_targetILNS1_3genE10ELNS1_11target_archE1200ELNS1_3gpuE4ELNS1_3repE0EEENS1_30default_config_static_selectorELNS0_4arch9wavefront6targetE1EEEvSK_,comdat
	.protected	_ZN7rocprim17ROCPRIM_400000_NS6detail17trampoline_kernelINS0_14default_configENS1_22reduce_config_selectorIxEEZNS1_11reduce_implILb1ES3_N6thrust23THRUST_200600_302600_NS6detail15normal_iteratorINS8_10device_ptrIxEEEEPxx9plus_mod3IxEEE10hipError_tPvRmT1_T2_T3_mT4_P12ihipStream_tbEUlT_E1_NS1_11comp_targetILNS1_3genE10ELNS1_11target_archE1200ELNS1_3gpuE4ELNS1_3repE0EEENS1_30default_config_static_selectorELNS0_4arch9wavefront6targetE1EEEvSK_ ; -- Begin function _ZN7rocprim17ROCPRIM_400000_NS6detail17trampoline_kernelINS0_14default_configENS1_22reduce_config_selectorIxEEZNS1_11reduce_implILb1ES3_N6thrust23THRUST_200600_302600_NS6detail15normal_iteratorINS8_10device_ptrIxEEEEPxx9plus_mod3IxEEE10hipError_tPvRmT1_T2_T3_mT4_P12ihipStream_tbEUlT_E1_NS1_11comp_targetILNS1_3genE10ELNS1_11target_archE1200ELNS1_3gpuE4ELNS1_3repE0EEENS1_30default_config_static_selectorELNS0_4arch9wavefront6targetE1EEEvSK_
	.globl	_ZN7rocprim17ROCPRIM_400000_NS6detail17trampoline_kernelINS0_14default_configENS1_22reduce_config_selectorIxEEZNS1_11reduce_implILb1ES3_N6thrust23THRUST_200600_302600_NS6detail15normal_iteratorINS8_10device_ptrIxEEEEPxx9plus_mod3IxEEE10hipError_tPvRmT1_T2_T3_mT4_P12ihipStream_tbEUlT_E1_NS1_11comp_targetILNS1_3genE10ELNS1_11target_archE1200ELNS1_3gpuE4ELNS1_3repE0EEENS1_30default_config_static_selectorELNS0_4arch9wavefront6targetE1EEEvSK_
	.p2align	8
	.type	_ZN7rocprim17ROCPRIM_400000_NS6detail17trampoline_kernelINS0_14default_configENS1_22reduce_config_selectorIxEEZNS1_11reduce_implILb1ES3_N6thrust23THRUST_200600_302600_NS6detail15normal_iteratorINS8_10device_ptrIxEEEEPxx9plus_mod3IxEEE10hipError_tPvRmT1_T2_T3_mT4_P12ihipStream_tbEUlT_E1_NS1_11comp_targetILNS1_3genE10ELNS1_11target_archE1200ELNS1_3gpuE4ELNS1_3repE0EEENS1_30default_config_static_selectorELNS0_4arch9wavefront6targetE1EEEvSK_,@function
_ZN7rocprim17ROCPRIM_400000_NS6detail17trampoline_kernelINS0_14default_configENS1_22reduce_config_selectorIxEEZNS1_11reduce_implILb1ES3_N6thrust23THRUST_200600_302600_NS6detail15normal_iteratorINS8_10device_ptrIxEEEEPxx9plus_mod3IxEEE10hipError_tPvRmT1_T2_T3_mT4_P12ihipStream_tbEUlT_E1_NS1_11comp_targetILNS1_3genE10ELNS1_11target_archE1200ELNS1_3gpuE4ELNS1_3repE0EEENS1_30default_config_static_selectorELNS0_4arch9wavefront6targetE1EEEvSK_: ; @_ZN7rocprim17ROCPRIM_400000_NS6detail17trampoline_kernelINS0_14default_configENS1_22reduce_config_selectorIxEEZNS1_11reduce_implILb1ES3_N6thrust23THRUST_200600_302600_NS6detail15normal_iteratorINS8_10device_ptrIxEEEEPxx9plus_mod3IxEEE10hipError_tPvRmT1_T2_T3_mT4_P12ihipStream_tbEUlT_E1_NS1_11comp_targetILNS1_3genE10ELNS1_11target_archE1200ELNS1_3gpuE4ELNS1_3repE0EEENS1_30default_config_static_selectorELNS0_4arch9wavefront6targetE1EEEvSK_
; %bb.0:
	.section	.rodata,"a",@progbits
	.p2align	6, 0x0
	.amdhsa_kernel _ZN7rocprim17ROCPRIM_400000_NS6detail17trampoline_kernelINS0_14default_configENS1_22reduce_config_selectorIxEEZNS1_11reduce_implILb1ES3_N6thrust23THRUST_200600_302600_NS6detail15normal_iteratorINS8_10device_ptrIxEEEEPxx9plus_mod3IxEEE10hipError_tPvRmT1_T2_T3_mT4_P12ihipStream_tbEUlT_E1_NS1_11comp_targetILNS1_3genE10ELNS1_11target_archE1200ELNS1_3gpuE4ELNS1_3repE0EEENS1_30default_config_static_selectorELNS0_4arch9wavefront6targetE1EEEvSK_
		.amdhsa_group_segment_fixed_size 0
		.amdhsa_private_segment_fixed_size 0
		.amdhsa_kernarg_size 48
		.amdhsa_user_sgpr_count 2
		.amdhsa_user_sgpr_dispatch_ptr 0
		.amdhsa_user_sgpr_queue_ptr 0
		.amdhsa_user_sgpr_kernarg_segment_ptr 1
		.amdhsa_user_sgpr_dispatch_id 0
		.amdhsa_user_sgpr_kernarg_preload_length 0
		.amdhsa_user_sgpr_kernarg_preload_offset 0
		.amdhsa_user_sgpr_private_segment_size 0
		.amdhsa_uses_dynamic_stack 0
		.amdhsa_enable_private_segment 0
		.amdhsa_system_sgpr_workgroup_id_x 1
		.amdhsa_system_sgpr_workgroup_id_y 0
		.amdhsa_system_sgpr_workgroup_id_z 0
		.amdhsa_system_sgpr_workgroup_info 0
		.amdhsa_system_vgpr_workitem_id 0
		.amdhsa_next_free_vgpr 1
		.amdhsa_next_free_sgpr 0
		.amdhsa_accum_offset 4
		.amdhsa_reserve_vcc 0
		.amdhsa_float_round_mode_32 0
		.amdhsa_float_round_mode_16_64 0
		.amdhsa_float_denorm_mode_32 3
		.amdhsa_float_denorm_mode_16_64 3
		.amdhsa_dx10_clamp 1
		.amdhsa_ieee_mode 1
		.amdhsa_fp16_overflow 0
		.amdhsa_tg_split 0
		.amdhsa_exception_fp_ieee_invalid_op 0
		.amdhsa_exception_fp_denorm_src 0
		.amdhsa_exception_fp_ieee_div_zero 0
		.amdhsa_exception_fp_ieee_overflow 0
		.amdhsa_exception_fp_ieee_underflow 0
		.amdhsa_exception_fp_ieee_inexact 0
		.amdhsa_exception_int_div_zero 0
	.end_amdhsa_kernel
	.section	.text._ZN7rocprim17ROCPRIM_400000_NS6detail17trampoline_kernelINS0_14default_configENS1_22reduce_config_selectorIxEEZNS1_11reduce_implILb1ES3_N6thrust23THRUST_200600_302600_NS6detail15normal_iteratorINS8_10device_ptrIxEEEEPxx9plus_mod3IxEEE10hipError_tPvRmT1_T2_T3_mT4_P12ihipStream_tbEUlT_E1_NS1_11comp_targetILNS1_3genE10ELNS1_11target_archE1200ELNS1_3gpuE4ELNS1_3repE0EEENS1_30default_config_static_selectorELNS0_4arch9wavefront6targetE1EEEvSK_,"axG",@progbits,_ZN7rocprim17ROCPRIM_400000_NS6detail17trampoline_kernelINS0_14default_configENS1_22reduce_config_selectorIxEEZNS1_11reduce_implILb1ES3_N6thrust23THRUST_200600_302600_NS6detail15normal_iteratorINS8_10device_ptrIxEEEEPxx9plus_mod3IxEEE10hipError_tPvRmT1_T2_T3_mT4_P12ihipStream_tbEUlT_E1_NS1_11comp_targetILNS1_3genE10ELNS1_11target_archE1200ELNS1_3gpuE4ELNS1_3repE0EEENS1_30default_config_static_selectorELNS0_4arch9wavefront6targetE1EEEvSK_,comdat
.Lfunc_end908:
	.size	_ZN7rocprim17ROCPRIM_400000_NS6detail17trampoline_kernelINS0_14default_configENS1_22reduce_config_selectorIxEEZNS1_11reduce_implILb1ES3_N6thrust23THRUST_200600_302600_NS6detail15normal_iteratorINS8_10device_ptrIxEEEEPxx9plus_mod3IxEEE10hipError_tPvRmT1_T2_T3_mT4_P12ihipStream_tbEUlT_E1_NS1_11comp_targetILNS1_3genE10ELNS1_11target_archE1200ELNS1_3gpuE4ELNS1_3repE0EEENS1_30default_config_static_selectorELNS0_4arch9wavefront6targetE1EEEvSK_, .Lfunc_end908-_ZN7rocprim17ROCPRIM_400000_NS6detail17trampoline_kernelINS0_14default_configENS1_22reduce_config_selectorIxEEZNS1_11reduce_implILb1ES3_N6thrust23THRUST_200600_302600_NS6detail15normal_iteratorINS8_10device_ptrIxEEEEPxx9plus_mod3IxEEE10hipError_tPvRmT1_T2_T3_mT4_P12ihipStream_tbEUlT_E1_NS1_11comp_targetILNS1_3genE10ELNS1_11target_archE1200ELNS1_3gpuE4ELNS1_3repE0EEENS1_30default_config_static_selectorELNS0_4arch9wavefront6targetE1EEEvSK_
                                        ; -- End function
	.set _ZN7rocprim17ROCPRIM_400000_NS6detail17trampoline_kernelINS0_14default_configENS1_22reduce_config_selectorIxEEZNS1_11reduce_implILb1ES3_N6thrust23THRUST_200600_302600_NS6detail15normal_iteratorINS8_10device_ptrIxEEEEPxx9plus_mod3IxEEE10hipError_tPvRmT1_T2_T3_mT4_P12ihipStream_tbEUlT_E1_NS1_11comp_targetILNS1_3genE10ELNS1_11target_archE1200ELNS1_3gpuE4ELNS1_3repE0EEENS1_30default_config_static_selectorELNS0_4arch9wavefront6targetE1EEEvSK_.num_vgpr, 0
	.set _ZN7rocprim17ROCPRIM_400000_NS6detail17trampoline_kernelINS0_14default_configENS1_22reduce_config_selectorIxEEZNS1_11reduce_implILb1ES3_N6thrust23THRUST_200600_302600_NS6detail15normal_iteratorINS8_10device_ptrIxEEEEPxx9plus_mod3IxEEE10hipError_tPvRmT1_T2_T3_mT4_P12ihipStream_tbEUlT_E1_NS1_11comp_targetILNS1_3genE10ELNS1_11target_archE1200ELNS1_3gpuE4ELNS1_3repE0EEENS1_30default_config_static_selectorELNS0_4arch9wavefront6targetE1EEEvSK_.num_agpr, 0
	.set _ZN7rocprim17ROCPRIM_400000_NS6detail17trampoline_kernelINS0_14default_configENS1_22reduce_config_selectorIxEEZNS1_11reduce_implILb1ES3_N6thrust23THRUST_200600_302600_NS6detail15normal_iteratorINS8_10device_ptrIxEEEEPxx9plus_mod3IxEEE10hipError_tPvRmT1_T2_T3_mT4_P12ihipStream_tbEUlT_E1_NS1_11comp_targetILNS1_3genE10ELNS1_11target_archE1200ELNS1_3gpuE4ELNS1_3repE0EEENS1_30default_config_static_selectorELNS0_4arch9wavefront6targetE1EEEvSK_.numbered_sgpr, 0
	.set _ZN7rocprim17ROCPRIM_400000_NS6detail17trampoline_kernelINS0_14default_configENS1_22reduce_config_selectorIxEEZNS1_11reduce_implILb1ES3_N6thrust23THRUST_200600_302600_NS6detail15normal_iteratorINS8_10device_ptrIxEEEEPxx9plus_mod3IxEEE10hipError_tPvRmT1_T2_T3_mT4_P12ihipStream_tbEUlT_E1_NS1_11comp_targetILNS1_3genE10ELNS1_11target_archE1200ELNS1_3gpuE4ELNS1_3repE0EEENS1_30default_config_static_selectorELNS0_4arch9wavefront6targetE1EEEvSK_.num_named_barrier, 0
	.set _ZN7rocprim17ROCPRIM_400000_NS6detail17trampoline_kernelINS0_14default_configENS1_22reduce_config_selectorIxEEZNS1_11reduce_implILb1ES3_N6thrust23THRUST_200600_302600_NS6detail15normal_iteratorINS8_10device_ptrIxEEEEPxx9plus_mod3IxEEE10hipError_tPvRmT1_T2_T3_mT4_P12ihipStream_tbEUlT_E1_NS1_11comp_targetILNS1_3genE10ELNS1_11target_archE1200ELNS1_3gpuE4ELNS1_3repE0EEENS1_30default_config_static_selectorELNS0_4arch9wavefront6targetE1EEEvSK_.private_seg_size, 0
	.set _ZN7rocprim17ROCPRIM_400000_NS6detail17trampoline_kernelINS0_14default_configENS1_22reduce_config_selectorIxEEZNS1_11reduce_implILb1ES3_N6thrust23THRUST_200600_302600_NS6detail15normal_iteratorINS8_10device_ptrIxEEEEPxx9plus_mod3IxEEE10hipError_tPvRmT1_T2_T3_mT4_P12ihipStream_tbEUlT_E1_NS1_11comp_targetILNS1_3genE10ELNS1_11target_archE1200ELNS1_3gpuE4ELNS1_3repE0EEENS1_30default_config_static_selectorELNS0_4arch9wavefront6targetE1EEEvSK_.uses_vcc, 0
	.set _ZN7rocprim17ROCPRIM_400000_NS6detail17trampoline_kernelINS0_14default_configENS1_22reduce_config_selectorIxEEZNS1_11reduce_implILb1ES3_N6thrust23THRUST_200600_302600_NS6detail15normal_iteratorINS8_10device_ptrIxEEEEPxx9plus_mod3IxEEE10hipError_tPvRmT1_T2_T3_mT4_P12ihipStream_tbEUlT_E1_NS1_11comp_targetILNS1_3genE10ELNS1_11target_archE1200ELNS1_3gpuE4ELNS1_3repE0EEENS1_30default_config_static_selectorELNS0_4arch9wavefront6targetE1EEEvSK_.uses_flat_scratch, 0
	.set _ZN7rocprim17ROCPRIM_400000_NS6detail17trampoline_kernelINS0_14default_configENS1_22reduce_config_selectorIxEEZNS1_11reduce_implILb1ES3_N6thrust23THRUST_200600_302600_NS6detail15normal_iteratorINS8_10device_ptrIxEEEEPxx9plus_mod3IxEEE10hipError_tPvRmT1_T2_T3_mT4_P12ihipStream_tbEUlT_E1_NS1_11comp_targetILNS1_3genE10ELNS1_11target_archE1200ELNS1_3gpuE4ELNS1_3repE0EEENS1_30default_config_static_selectorELNS0_4arch9wavefront6targetE1EEEvSK_.has_dyn_sized_stack, 0
	.set _ZN7rocprim17ROCPRIM_400000_NS6detail17trampoline_kernelINS0_14default_configENS1_22reduce_config_selectorIxEEZNS1_11reduce_implILb1ES3_N6thrust23THRUST_200600_302600_NS6detail15normal_iteratorINS8_10device_ptrIxEEEEPxx9plus_mod3IxEEE10hipError_tPvRmT1_T2_T3_mT4_P12ihipStream_tbEUlT_E1_NS1_11comp_targetILNS1_3genE10ELNS1_11target_archE1200ELNS1_3gpuE4ELNS1_3repE0EEENS1_30default_config_static_selectorELNS0_4arch9wavefront6targetE1EEEvSK_.has_recursion, 0
	.set _ZN7rocprim17ROCPRIM_400000_NS6detail17trampoline_kernelINS0_14default_configENS1_22reduce_config_selectorIxEEZNS1_11reduce_implILb1ES3_N6thrust23THRUST_200600_302600_NS6detail15normal_iteratorINS8_10device_ptrIxEEEEPxx9plus_mod3IxEEE10hipError_tPvRmT1_T2_T3_mT4_P12ihipStream_tbEUlT_E1_NS1_11comp_targetILNS1_3genE10ELNS1_11target_archE1200ELNS1_3gpuE4ELNS1_3repE0EEENS1_30default_config_static_selectorELNS0_4arch9wavefront6targetE1EEEvSK_.has_indirect_call, 0
	.section	.AMDGPU.csdata,"",@progbits
; Kernel info:
; codeLenInByte = 0
; TotalNumSgprs: 6
; NumVgprs: 0
; NumAgprs: 0
; TotalNumVgprs: 0
; ScratchSize: 0
; MemoryBound: 0
; FloatMode: 240
; IeeeMode: 1
; LDSByteSize: 0 bytes/workgroup (compile time only)
; SGPRBlocks: 0
; VGPRBlocks: 0
; NumSGPRsForWavesPerEU: 6
; NumVGPRsForWavesPerEU: 1
; AccumOffset: 4
; Occupancy: 8
; WaveLimiterHint : 0
; COMPUTE_PGM_RSRC2:SCRATCH_EN: 0
; COMPUTE_PGM_RSRC2:USER_SGPR: 2
; COMPUTE_PGM_RSRC2:TRAP_HANDLER: 0
; COMPUTE_PGM_RSRC2:TGID_X_EN: 1
; COMPUTE_PGM_RSRC2:TGID_Y_EN: 0
; COMPUTE_PGM_RSRC2:TGID_Z_EN: 0
; COMPUTE_PGM_RSRC2:TIDIG_COMP_CNT: 0
; COMPUTE_PGM_RSRC3_GFX90A:ACCUM_OFFSET: 0
; COMPUTE_PGM_RSRC3_GFX90A:TG_SPLIT: 0
	.section	.text._ZN7rocprim17ROCPRIM_400000_NS6detail17trampoline_kernelINS0_14default_configENS1_22reduce_config_selectorIxEEZNS1_11reduce_implILb1ES3_N6thrust23THRUST_200600_302600_NS6detail15normal_iteratorINS8_10device_ptrIxEEEEPxx9plus_mod3IxEEE10hipError_tPvRmT1_T2_T3_mT4_P12ihipStream_tbEUlT_E1_NS1_11comp_targetILNS1_3genE9ELNS1_11target_archE1100ELNS1_3gpuE3ELNS1_3repE0EEENS1_30default_config_static_selectorELNS0_4arch9wavefront6targetE1EEEvSK_,"axG",@progbits,_ZN7rocprim17ROCPRIM_400000_NS6detail17trampoline_kernelINS0_14default_configENS1_22reduce_config_selectorIxEEZNS1_11reduce_implILb1ES3_N6thrust23THRUST_200600_302600_NS6detail15normal_iteratorINS8_10device_ptrIxEEEEPxx9plus_mod3IxEEE10hipError_tPvRmT1_T2_T3_mT4_P12ihipStream_tbEUlT_E1_NS1_11comp_targetILNS1_3genE9ELNS1_11target_archE1100ELNS1_3gpuE3ELNS1_3repE0EEENS1_30default_config_static_selectorELNS0_4arch9wavefront6targetE1EEEvSK_,comdat
	.protected	_ZN7rocprim17ROCPRIM_400000_NS6detail17trampoline_kernelINS0_14default_configENS1_22reduce_config_selectorIxEEZNS1_11reduce_implILb1ES3_N6thrust23THRUST_200600_302600_NS6detail15normal_iteratorINS8_10device_ptrIxEEEEPxx9plus_mod3IxEEE10hipError_tPvRmT1_T2_T3_mT4_P12ihipStream_tbEUlT_E1_NS1_11comp_targetILNS1_3genE9ELNS1_11target_archE1100ELNS1_3gpuE3ELNS1_3repE0EEENS1_30default_config_static_selectorELNS0_4arch9wavefront6targetE1EEEvSK_ ; -- Begin function _ZN7rocprim17ROCPRIM_400000_NS6detail17trampoline_kernelINS0_14default_configENS1_22reduce_config_selectorIxEEZNS1_11reduce_implILb1ES3_N6thrust23THRUST_200600_302600_NS6detail15normal_iteratorINS8_10device_ptrIxEEEEPxx9plus_mod3IxEEE10hipError_tPvRmT1_T2_T3_mT4_P12ihipStream_tbEUlT_E1_NS1_11comp_targetILNS1_3genE9ELNS1_11target_archE1100ELNS1_3gpuE3ELNS1_3repE0EEENS1_30default_config_static_selectorELNS0_4arch9wavefront6targetE1EEEvSK_
	.globl	_ZN7rocprim17ROCPRIM_400000_NS6detail17trampoline_kernelINS0_14default_configENS1_22reduce_config_selectorIxEEZNS1_11reduce_implILb1ES3_N6thrust23THRUST_200600_302600_NS6detail15normal_iteratorINS8_10device_ptrIxEEEEPxx9plus_mod3IxEEE10hipError_tPvRmT1_T2_T3_mT4_P12ihipStream_tbEUlT_E1_NS1_11comp_targetILNS1_3genE9ELNS1_11target_archE1100ELNS1_3gpuE3ELNS1_3repE0EEENS1_30default_config_static_selectorELNS0_4arch9wavefront6targetE1EEEvSK_
	.p2align	8
	.type	_ZN7rocprim17ROCPRIM_400000_NS6detail17trampoline_kernelINS0_14default_configENS1_22reduce_config_selectorIxEEZNS1_11reduce_implILb1ES3_N6thrust23THRUST_200600_302600_NS6detail15normal_iteratorINS8_10device_ptrIxEEEEPxx9plus_mod3IxEEE10hipError_tPvRmT1_T2_T3_mT4_P12ihipStream_tbEUlT_E1_NS1_11comp_targetILNS1_3genE9ELNS1_11target_archE1100ELNS1_3gpuE3ELNS1_3repE0EEENS1_30default_config_static_selectorELNS0_4arch9wavefront6targetE1EEEvSK_,@function
_ZN7rocprim17ROCPRIM_400000_NS6detail17trampoline_kernelINS0_14default_configENS1_22reduce_config_selectorIxEEZNS1_11reduce_implILb1ES3_N6thrust23THRUST_200600_302600_NS6detail15normal_iteratorINS8_10device_ptrIxEEEEPxx9plus_mod3IxEEE10hipError_tPvRmT1_T2_T3_mT4_P12ihipStream_tbEUlT_E1_NS1_11comp_targetILNS1_3genE9ELNS1_11target_archE1100ELNS1_3gpuE3ELNS1_3repE0EEENS1_30default_config_static_selectorELNS0_4arch9wavefront6targetE1EEEvSK_: ; @_ZN7rocprim17ROCPRIM_400000_NS6detail17trampoline_kernelINS0_14default_configENS1_22reduce_config_selectorIxEEZNS1_11reduce_implILb1ES3_N6thrust23THRUST_200600_302600_NS6detail15normal_iteratorINS8_10device_ptrIxEEEEPxx9plus_mod3IxEEE10hipError_tPvRmT1_T2_T3_mT4_P12ihipStream_tbEUlT_E1_NS1_11comp_targetILNS1_3genE9ELNS1_11target_archE1100ELNS1_3gpuE3ELNS1_3repE0EEENS1_30default_config_static_selectorELNS0_4arch9wavefront6targetE1EEEvSK_
; %bb.0:
	.section	.rodata,"a",@progbits
	.p2align	6, 0x0
	.amdhsa_kernel _ZN7rocprim17ROCPRIM_400000_NS6detail17trampoline_kernelINS0_14default_configENS1_22reduce_config_selectorIxEEZNS1_11reduce_implILb1ES3_N6thrust23THRUST_200600_302600_NS6detail15normal_iteratorINS8_10device_ptrIxEEEEPxx9plus_mod3IxEEE10hipError_tPvRmT1_T2_T3_mT4_P12ihipStream_tbEUlT_E1_NS1_11comp_targetILNS1_3genE9ELNS1_11target_archE1100ELNS1_3gpuE3ELNS1_3repE0EEENS1_30default_config_static_selectorELNS0_4arch9wavefront6targetE1EEEvSK_
		.amdhsa_group_segment_fixed_size 0
		.amdhsa_private_segment_fixed_size 0
		.amdhsa_kernarg_size 48
		.amdhsa_user_sgpr_count 2
		.amdhsa_user_sgpr_dispatch_ptr 0
		.amdhsa_user_sgpr_queue_ptr 0
		.amdhsa_user_sgpr_kernarg_segment_ptr 1
		.amdhsa_user_sgpr_dispatch_id 0
		.amdhsa_user_sgpr_kernarg_preload_length 0
		.amdhsa_user_sgpr_kernarg_preload_offset 0
		.amdhsa_user_sgpr_private_segment_size 0
		.amdhsa_uses_dynamic_stack 0
		.amdhsa_enable_private_segment 0
		.amdhsa_system_sgpr_workgroup_id_x 1
		.amdhsa_system_sgpr_workgroup_id_y 0
		.amdhsa_system_sgpr_workgroup_id_z 0
		.amdhsa_system_sgpr_workgroup_info 0
		.amdhsa_system_vgpr_workitem_id 0
		.amdhsa_next_free_vgpr 1
		.amdhsa_next_free_sgpr 0
		.amdhsa_accum_offset 4
		.amdhsa_reserve_vcc 0
		.amdhsa_float_round_mode_32 0
		.amdhsa_float_round_mode_16_64 0
		.amdhsa_float_denorm_mode_32 3
		.amdhsa_float_denorm_mode_16_64 3
		.amdhsa_dx10_clamp 1
		.amdhsa_ieee_mode 1
		.amdhsa_fp16_overflow 0
		.amdhsa_tg_split 0
		.amdhsa_exception_fp_ieee_invalid_op 0
		.amdhsa_exception_fp_denorm_src 0
		.amdhsa_exception_fp_ieee_div_zero 0
		.amdhsa_exception_fp_ieee_overflow 0
		.amdhsa_exception_fp_ieee_underflow 0
		.amdhsa_exception_fp_ieee_inexact 0
		.amdhsa_exception_int_div_zero 0
	.end_amdhsa_kernel
	.section	.text._ZN7rocprim17ROCPRIM_400000_NS6detail17trampoline_kernelINS0_14default_configENS1_22reduce_config_selectorIxEEZNS1_11reduce_implILb1ES3_N6thrust23THRUST_200600_302600_NS6detail15normal_iteratorINS8_10device_ptrIxEEEEPxx9plus_mod3IxEEE10hipError_tPvRmT1_T2_T3_mT4_P12ihipStream_tbEUlT_E1_NS1_11comp_targetILNS1_3genE9ELNS1_11target_archE1100ELNS1_3gpuE3ELNS1_3repE0EEENS1_30default_config_static_selectorELNS0_4arch9wavefront6targetE1EEEvSK_,"axG",@progbits,_ZN7rocprim17ROCPRIM_400000_NS6detail17trampoline_kernelINS0_14default_configENS1_22reduce_config_selectorIxEEZNS1_11reduce_implILb1ES3_N6thrust23THRUST_200600_302600_NS6detail15normal_iteratorINS8_10device_ptrIxEEEEPxx9plus_mod3IxEEE10hipError_tPvRmT1_T2_T3_mT4_P12ihipStream_tbEUlT_E1_NS1_11comp_targetILNS1_3genE9ELNS1_11target_archE1100ELNS1_3gpuE3ELNS1_3repE0EEENS1_30default_config_static_selectorELNS0_4arch9wavefront6targetE1EEEvSK_,comdat
.Lfunc_end909:
	.size	_ZN7rocprim17ROCPRIM_400000_NS6detail17trampoline_kernelINS0_14default_configENS1_22reduce_config_selectorIxEEZNS1_11reduce_implILb1ES3_N6thrust23THRUST_200600_302600_NS6detail15normal_iteratorINS8_10device_ptrIxEEEEPxx9plus_mod3IxEEE10hipError_tPvRmT1_T2_T3_mT4_P12ihipStream_tbEUlT_E1_NS1_11comp_targetILNS1_3genE9ELNS1_11target_archE1100ELNS1_3gpuE3ELNS1_3repE0EEENS1_30default_config_static_selectorELNS0_4arch9wavefront6targetE1EEEvSK_, .Lfunc_end909-_ZN7rocprim17ROCPRIM_400000_NS6detail17trampoline_kernelINS0_14default_configENS1_22reduce_config_selectorIxEEZNS1_11reduce_implILb1ES3_N6thrust23THRUST_200600_302600_NS6detail15normal_iteratorINS8_10device_ptrIxEEEEPxx9plus_mod3IxEEE10hipError_tPvRmT1_T2_T3_mT4_P12ihipStream_tbEUlT_E1_NS1_11comp_targetILNS1_3genE9ELNS1_11target_archE1100ELNS1_3gpuE3ELNS1_3repE0EEENS1_30default_config_static_selectorELNS0_4arch9wavefront6targetE1EEEvSK_
                                        ; -- End function
	.set _ZN7rocprim17ROCPRIM_400000_NS6detail17trampoline_kernelINS0_14default_configENS1_22reduce_config_selectorIxEEZNS1_11reduce_implILb1ES3_N6thrust23THRUST_200600_302600_NS6detail15normal_iteratorINS8_10device_ptrIxEEEEPxx9plus_mod3IxEEE10hipError_tPvRmT1_T2_T3_mT4_P12ihipStream_tbEUlT_E1_NS1_11comp_targetILNS1_3genE9ELNS1_11target_archE1100ELNS1_3gpuE3ELNS1_3repE0EEENS1_30default_config_static_selectorELNS0_4arch9wavefront6targetE1EEEvSK_.num_vgpr, 0
	.set _ZN7rocprim17ROCPRIM_400000_NS6detail17trampoline_kernelINS0_14default_configENS1_22reduce_config_selectorIxEEZNS1_11reduce_implILb1ES3_N6thrust23THRUST_200600_302600_NS6detail15normal_iteratorINS8_10device_ptrIxEEEEPxx9plus_mod3IxEEE10hipError_tPvRmT1_T2_T3_mT4_P12ihipStream_tbEUlT_E1_NS1_11comp_targetILNS1_3genE9ELNS1_11target_archE1100ELNS1_3gpuE3ELNS1_3repE0EEENS1_30default_config_static_selectorELNS0_4arch9wavefront6targetE1EEEvSK_.num_agpr, 0
	.set _ZN7rocprim17ROCPRIM_400000_NS6detail17trampoline_kernelINS0_14default_configENS1_22reduce_config_selectorIxEEZNS1_11reduce_implILb1ES3_N6thrust23THRUST_200600_302600_NS6detail15normal_iteratorINS8_10device_ptrIxEEEEPxx9plus_mod3IxEEE10hipError_tPvRmT1_T2_T3_mT4_P12ihipStream_tbEUlT_E1_NS1_11comp_targetILNS1_3genE9ELNS1_11target_archE1100ELNS1_3gpuE3ELNS1_3repE0EEENS1_30default_config_static_selectorELNS0_4arch9wavefront6targetE1EEEvSK_.numbered_sgpr, 0
	.set _ZN7rocprim17ROCPRIM_400000_NS6detail17trampoline_kernelINS0_14default_configENS1_22reduce_config_selectorIxEEZNS1_11reduce_implILb1ES3_N6thrust23THRUST_200600_302600_NS6detail15normal_iteratorINS8_10device_ptrIxEEEEPxx9plus_mod3IxEEE10hipError_tPvRmT1_T2_T3_mT4_P12ihipStream_tbEUlT_E1_NS1_11comp_targetILNS1_3genE9ELNS1_11target_archE1100ELNS1_3gpuE3ELNS1_3repE0EEENS1_30default_config_static_selectorELNS0_4arch9wavefront6targetE1EEEvSK_.num_named_barrier, 0
	.set _ZN7rocprim17ROCPRIM_400000_NS6detail17trampoline_kernelINS0_14default_configENS1_22reduce_config_selectorIxEEZNS1_11reduce_implILb1ES3_N6thrust23THRUST_200600_302600_NS6detail15normal_iteratorINS8_10device_ptrIxEEEEPxx9plus_mod3IxEEE10hipError_tPvRmT1_T2_T3_mT4_P12ihipStream_tbEUlT_E1_NS1_11comp_targetILNS1_3genE9ELNS1_11target_archE1100ELNS1_3gpuE3ELNS1_3repE0EEENS1_30default_config_static_selectorELNS0_4arch9wavefront6targetE1EEEvSK_.private_seg_size, 0
	.set _ZN7rocprim17ROCPRIM_400000_NS6detail17trampoline_kernelINS0_14default_configENS1_22reduce_config_selectorIxEEZNS1_11reduce_implILb1ES3_N6thrust23THRUST_200600_302600_NS6detail15normal_iteratorINS8_10device_ptrIxEEEEPxx9plus_mod3IxEEE10hipError_tPvRmT1_T2_T3_mT4_P12ihipStream_tbEUlT_E1_NS1_11comp_targetILNS1_3genE9ELNS1_11target_archE1100ELNS1_3gpuE3ELNS1_3repE0EEENS1_30default_config_static_selectorELNS0_4arch9wavefront6targetE1EEEvSK_.uses_vcc, 0
	.set _ZN7rocprim17ROCPRIM_400000_NS6detail17trampoline_kernelINS0_14default_configENS1_22reduce_config_selectorIxEEZNS1_11reduce_implILb1ES3_N6thrust23THRUST_200600_302600_NS6detail15normal_iteratorINS8_10device_ptrIxEEEEPxx9plus_mod3IxEEE10hipError_tPvRmT1_T2_T3_mT4_P12ihipStream_tbEUlT_E1_NS1_11comp_targetILNS1_3genE9ELNS1_11target_archE1100ELNS1_3gpuE3ELNS1_3repE0EEENS1_30default_config_static_selectorELNS0_4arch9wavefront6targetE1EEEvSK_.uses_flat_scratch, 0
	.set _ZN7rocprim17ROCPRIM_400000_NS6detail17trampoline_kernelINS0_14default_configENS1_22reduce_config_selectorIxEEZNS1_11reduce_implILb1ES3_N6thrust23THRUST_200600_302600_NS6detail15normal_iteratorINS8_10device_ptrIxEEEEPxx9plus_mod3IxEEE10hipError_tPvRmT1_T2_T3_mT4_P12ihipStream_tbEUlT_E1_NS1_11comp_targetILNS1_3genE9ELNS1_11target_archE1100ELNS1_3gpuE3ELNS1_3repE0EEENS1_30default_config_static_selectorELNS0_4arch9wavefront6targetE1EEEvSK_.has_dyn_sized_stack, 0
	.set _ZN7rocprim17ROCPRIM_400000_NS6detail17trampoline_kernelINS0_14default_configENS1_22reduce_config_selectorIxEEZNS1_11reduce_implILb1ES3_N6thrust23THRUST_200600_302600_NS6detail15normal_iteratorINS8_10device_ptrIxEEEEPxx9plus_mod3IxEEE10hipError_tPvRmT1_T2_T3_mT4_P12ihipStream_tbEUlT_E1_NS1_11comp_targetILNS1_3genE9ELNS1_11target_archE1100ELNS1_3gpuE3ELNS1_3repE0EEENS1_30default_config_static_selectorELNS0_4arch9wavefront6targetE1EEEvSK_.has_recursion, 0
	.set _ZN7rocprim17ROCPRIM_400000_NS6detail17trampoline_kernelINS0_14default_configENS1_22reduce_config_selectorIxEEZNS1_11reduce_implILb1ES3_N6thrust23THRUST_200600_302600_NS6detail15normal_iteratorINS8_10device_ptrIxEEEEPxx9plus_mod3IxEEE10hipError_tPvRmT1_T2_T3_mT4_P12ihipStream_tbEUlT_E1_NS1_11comp_targetILNS1_3genE9ELNS1_11target_archE1100ELNS1_3gpuE3ELNS1_3repE0EEENS1_30default_config_static_selectorELNS0_4arch9wavefront6targetE1EEEvSK_.has_indirect_call, 0
	.section	.AMDGPU.csdata,"",@progbits
; Kernel info:
; codeLenInByte = 0
; TotalNumSgprs: 6
; NumVgprs: 0
; NumAgprs: 0
; TotalNumVgprs: 0
; ScratchSize: 0
; MemoryBound: 0
; FloatMode: 240
; IeeeMode: 1
; LDSByteSize: 0 bytes/workgroup (compile time only)
; SGPRBlocks: 0
; VGPRBlocks: 0
; NumSGPRsForWavesPerEU: 6
; NumVGPRsForWavesPerEU: 1
; AccumOffset: 4
; Occupancy: 8
; WaveLimiterHint : 0
; COMPUTE_PGM_RSRC2:SCRATCH_EN: 0
; COMPUTE_PGM_RSRC2:USER_SGPR: 2
; COMPUTE_PGM_RSRC2:TRAP_HANDLER: 0
; COMPUTE_PGM_RSRC2:TGID_X_EN: 1
; COMPUTE_PGM_RSRC2:TGID_Y_EN: 0
; COMPUTE_PGM_RSRC2:TGID_Z_EN: 0
; COMPUTE_PGM_RSRC2:TIDIG_COMP_CNT: 0
; COMPUTE_PGM_RSRC3_GFX90A:ACCUM_OFFSET: 0
; COMPUTE_PGM_RSRC3_GFX90A:TG_SPLIT: 0
	.section	.text._ZN7rocprim17ROCPRIM_400000_NS6detail17trampoline_kernelINS0_14default_configENS1_22reduce_config_selectorIxEEZNS1_11reduce_implILb1ES3_N6thrust23THRUST_200600_302600_NS6detail15normal_iteratorINS8_10device_ptrIxEEEEPxx9plus_mod3IxEEE10hipError_tPvRmT1_T2_T3_mT4_P12ihipStream_tbEUlT_E1_NS1_11comp_targetILNS1_3genE8ELNS1_11target_archE1030ELNS1_3gpuE2ELNS1_3repE0EEENS1_30default_config_static_selectorELNS0_4arch9wavefront6targetE1EEEvSK_,"axG",@progbits,_ZN7rocprim17ROCPRIM_400000_NS6detail17trampoline_kernelINS0_14default_configENS1_22reduce_config_selectorIxEEZNS1_11reduce_implILb1ES3_N6thrust23THRUST_200600_302600_NS6detail15normal_iteratorINS8_10device_ptrIxEEEEPxx9plus_mod3IxEEE10hipError_tPvRmT1_T2_T3_mT4_P12ihipStream_tbEUlT_E1_NS1_11comp_targetILNS1_3genE8ELNS1_11target_archE1030ELNS1_3gpuE2ELNS1_3repE0EEENS1_30default_config_static_selectorELNS0_4arch9wavefront6targetE1EEEvSK_,comdat
	.protected	_ZN7rocprim17ROCPRIM_400000_NS6detail17trampoline_kernelINS0_14default_configENS1_22reduce_config_selectorIxEEZNS1_11reduce_implILb1ES3_N6thrust23THRUST_200600_302600_NS6detail15normal_iteratorINS8_10device_ptrIxEEEEPxx9plus_mod3IxEEE10hipError_tPvRmT1_T2_T3_mT4_P12ihipStream_tbEUlT_E1_NS1_11comp_targetILNS1_3genE8ELNS1_11target_archE1030ELNS1_3gpuE2ELNS1_3repE0EEENS1_30default_config_static_selectorELNS0_4arch9wavefront6targetE1EEEvSK_ ; -- Begin function _ZN7rocprim17ROCPRIM_400000_NS6detail17trampoline_kernelINS0_14default_configENS1_22reduce_config_selectorIxEEZNS1_11reduce_implILb1ES3_N6thrust23THRUST_200600_302600_NS6detail15normal_iteratorINS8_10device_ptrIxEEEEPxx9plus_mod3IxEEE10hipError_tPvRmT1_T2_T3_mT4_P12ihipStream_tbEUlT_E1_NS1_11comp_targetILNS1_3genE8ELNS1_11target_archE1030ELNS1_3gpuE2ELNS1_3repE0EEENS1_30default_config_static_selectorELNS0_4arch9wavefront6targetE1EEEvSK_
	.globl	_ZN7rocprim17ROCPRIM_400000_NS6detail17trampoline_kernelINS0_14default_configENS1_22reduce_config_selectorIxEEZNS1_11reduce_implILb1ES3_N6thrust23THRUST_200600_302600_NS6detail15normal_iteratorINS8_10device_ptrIxEEEEPxx9plus_mod3IxEEE10hipError_tPvRmT1_T2_T3_mT4_P12ihipStream_tbEUlT_E1_NS1_11comp_targetILNS1_3genE8ELNS1_11target_archE1030ELNS1_3gpuE2ELNS1_3repE0EEENS1_30default_config_static_selectorELNS0_4arch9wavefront6targetE1EEEvSK_
	.p2align	8
	.type	_ZN7rocprim17ROCPRIM_400000_NS6detail17trampoline_kernelINS0_14default_configENS1_22reduce_config_selectorIxEEZNS1_11reduce_implILb1ES3_N6thrust23THRUST_200600_302600_NS6detail15normal_iteratorINS8_10device_ptrIxEEEEPxx9plus_mod3IxEEE10hipError_tPvRmT1_T2_T3_mT4_P12ihipStream_tbEUlT_E1_NS1_11comp_targetILNS1_3genE8ELNS1_11target_archE1030ELNS1_3gpuE2ELNS1_3repE0EEENS1_30default_config_static_selectorELNS0_4arch9wavefront6targetE1EEEvSK_,@function
_ZN7rocprim17ROCPRIM_400000_NS6detail17trampoline_kernelINS0_14default_configENS1_22reduce_config_selectorIxEEZNS1_11reduce_implILb1ES3_N6thrust23THRUST_200600_302600_NS6detail15normal_iteratorINS8_10device_ptrIxEEEEPxx9plus_mod3IxEEE10hipError_tPvRmT1_T2_T3_mT4_P12ihipStream_tbEUlT_E1_NS1_11comp_targetILNS1_3genE8ELNS1_11target_archE1030ELNS1_3gpuE2ELNS1_3repE0EEENS1_30default_config_static_selectorELNS0_4arch9wavefront6targetE1EEEvSK_: ; @_ZN7rocprim17ROCPRIM_400000_NS6detail17trampoline_kernelINS0_14default_configENS1_22reduce_config_selectorIxEEZNS1_11reduce_implILb1ES3_N6thrust23THRUST_200600_302600_NS6detail15normal_iteratorINS8_10device_ptrIxEEEEPxx9plus_mod3IxEEE10hipError_tPvRmT1_T2_T3_mT4_P12ihipStream_tbEUlT_E1_NS1_11comp_targetILNS1_3genE8ELNS1_11target_archE1030ELNS1_3gpuE2ELNS1_3repE0EEENS1_30default_config_static_selectorELNS0_4arch9wavefront6targetE1EEEvSK_
; %bb.0:
	.section	.rodata,"a",@progbits
	.p2align	6, 0x0
	.amdhsa_kernel _ZN7rocprim17ROCPRIM_400000_NS6detail17trampoline_kernelINS0_14default_configENS1_22reduce_config_selectorIxEEZNS1_11reduce_implILb1ES3_N6thrust23THRUST_200600_302600_NS6detail15normal_iteratorINS8_10device_ptrIxEEEEPxx9plus_mod3IxEEE10hipError_tPvRmT1_T2_T3_mT4_P12ihipStream_tbEUlT_E1_NS1_11comp_targetILNS1_3genE8ELNS1_11target_archE1030ELNS1_3gpuE2ELNS1_3repE0EEENS1_30default_config_static_selectorELNS0_4arch9wavefront6targetE1EEEvSK_
		.amdhsa_group_segment_fixed_size 0
		.amdhsa_private_segment_fixed_size 0
		.amdhsa_kernarg_size 48
		.amdhsa_user_sgpr_count 2
		.amdhsa_user_sgpr_dispatch_ptr 0
		.amdhsa_user_sgpr_queue_ptr 0
		.amdhsa_user_sgpr_kernarg_segment_ptr 1
		.amdhsa_user_sgpr_dispatch_id 0
		.amdhsa_user_sgpr_kernarg_preload_length 0
		.amdhsa_user_sgpr_kernarg_preload_offset 0
		.amdhsa_user_sgpr_private_segment_size 0
		.amdhsa_uses_dynamic_stack 0
		.amdhsa_enable_private_segment 0
		.amdhsa_system_sgpr_workgroup_id_x 1
		.amdhsa_system_sgpr_workgroup_id_y 0
		.amdhsa_system_sgpr_workgroup_id_z 0
		.amdhsa_system_sgpr_workgroup_info 0
		.amdhsa_system_vgpr_workitem_id 0
		.amdhsa_next_free_vgpr 1
		.amdhsa_next_free_sgpr 0
		.amdhsa_accum_offset 4
		.amdhsa_reserve_vcc 0
		.amdhsa_float_round_mode_32 0
		.amdhsa_float_round_mode_16_64 0
		.amdhsa_float_denorm_mode_32 3
		.amdhsa_float_denorm_mode_16_64 3
		.amdhsa_dx10_clamp 1
		.amdhsa_ieee_mode 1
		.amdhsa_fp16_overflow 0
		.amdhsa_tg_split 0
		.amdhsa_exception_fp_ieee_invalid_op 0
		.amdhsa_exception_fp_denorm_src 0
		.amdhsa_exception_fp_ieee_div_zero 0
		.amdhsa_exception_fp_ieee_overflow 0
		.amdhsa_exception_fp_ieee_underflow 0
		.amdhsa_exception_fp_ieee_inexact 0
		.amdhsa_exception_int_div_zero 0
	.end_amdhsa_kernel
	.section	.text._ZN7rocprim17ROCPRIM_400000_NS6detail17trampoline_kernelINS0_14default_configENS1_22reduce_config_selectorIxEEZNS1_11reduce_implILb1ES3_N6thrust23THRUST_200600_302600_NS6detail15normal_iteratorINS8_10device_ptrIxEEEEPxx9plus_mod3IxEEE10hipError_tPvRmT1_T2_T3_mT4_P12ihipStream_tbEUlT_E1_NS1_11comp_targetILNS1_3genE8ELNS1_11target_archE1030ELNS1_3gpuE2ELNS1_3repE0EEENS1_30default_config_static_selectorELNS0_4arch9wavefront6targetE1EEEvSK_,"axG",@progbits,_ZN7rocprim17ROCPRIM_400000_NS6detail17trampoline_kernelINS0_14default_configENS1_22reduce_config_selectorIxEEZNS1_11reduce_implILb1ES3_N6thrust23THRUST_200600_302600_NS6detail15normal_iteratorINS8_10device_ptrIxEEEEPxx9plus_mod3IxEEE10hipError_tPvRmT1_T2_T3_mT4_P12ihipStream_tbEUlT_E1_NS1_11comp_targetILNS1_3genE8ELNS1_11target_archE1030ELNS1_3gpuE2ELNS1_3repE0EEENS1_30default_config_static_selectorELNS0_4arch9wavefront6targetE1EEEvSK_,comdat
.Lfunc_end910:
	.size	_ZN7rocprim17ROCPRIM_400000_NS6detail17trampoline_kernelINS0_14default_configENS1_22reduce_config_selectorIxEEZNS1_11reduce_implILb1ES3_N6thrust23THRUST_200600_302600_NS6detail15normal_iteratorINS8_10device_ptrIxEEEEPxx9plus_mod3IxEEE10hipError_tPvRmT1_T2_T3_mT4_P12ihipStream_tbEUlT_E1_NS1_11comp_targetILNS1_3genE8ELNS1_11target_archE1030ELNS1_3gpuE2ELNS1_3repE0EEENS1_30default_config_static_selectorELNS0_4arch9wavefront6targetE1EEEvSK_, .Lfunc_end910-_ZN7rocprim17ROCPRIM_400000_NS6detail17trampoline_kernelINS0_14default_configENS1_22reduce_config_selectorIxEEZNS1_11reduce_implILb1ES3_N6thrust23THRUST_200600_302600_NS6detail15normal_iteratorINS8_10device_ptrIxEEEEPxx9plus_mod3IxEEE10hipError_tPvRmT1_T2_T3_mT4_P12ihipStream_tbEUlT_E1_NS1_11comp_targetILNS1_3genE8ELNS1_11target_archE1030ELNS1_3gpuE2ELNS1_3repE0EEENS1_30default_config_static_selectorELNS0_4arch9wavefront6targetE1EEEvSK_
                                        ; -- End function
	.set _ZN7rocprim17ROCPRIM_400000_NS6detail17trampoline_kernelINS0_14default_configENS1_22reduce_config_selectorIxEEZNS1_11reduce_implILb1ES3_N6thrust23THRUST_200600_302600_NS6detail15normal_iteratorINS8_10device_ptrIxEEEEPxx9plus_mod3IxEEE10hipError_tPvRmT1_T2_T3_mT4_P12ihipStream_tbEUlT_E1_NS1_11comp_targetILNS1_3genE8ELNS1_11target_archE1030ELNS1_3gpuE2ELNS1_3repE0EEENS1_30default_config_static_selectorELNS0_4arch9wavefront6targetE1EEEvSK_.num_vgpr, 0
	.set _ZN7rocprim17ROCPRIM_400000_NS6detail17trampoline_kernelINS0_14default_configENS1_22reduce_config_selectorIxEEZNS1_11reduce_implILb1ES3_N6thrust23THRUST_200600_302600_NS6detail15normal_iteratorINS8_10device_ptrIxEEEEPxx9plus_mod3IxEEE10hipError_tPvRmT1_T2_T3_mT4_P12ihipStream_tbEUlT_E1_NS1_11comp_targetILNS1_3genE8ELNS1_11target_archE1030ELNS1_3gpuE2ELNS1_3repE0EEENS1_30default_config_static_selectorELNS0_4arch9wavefront6targetE1EEEvSK_.num_agpr, 0
	.set _ZN7rocprim17ROCPRIM_400000_NS6detail17trampoline_kernelINS0_14default_configENS1_22reduce_config_selectorIxEEZNS1_11reduce_implILb1ES3_N6thrust23THRUST_200600_302600_NS6detail15normal_iteratorINS8_10device_ptrIxEEEEPxx9plus_mod3IxEEE10hipError_tPvRmT1_T2_T3_mT4_P12ihipStream_tbEUlT_E1_NS1_11comp_targetILNS1_3genE8ELNS1_11target_archE1030ELNS1_3gpuE2ELNS1_3repE0EEENS1_30default_config_static_selectorELNS0_4arch9wavefront6targetE1EEEvSK_.numbered_sgpr, 0
	.set _ZN7rocprim17ROCPRIM_400000_NS6detail17trampoline_kernelINS0_14default_configENS1_22reduce_config_selectorIxEEZNS1_11reduce_implILb1ES3_N6thrust23THRUST_200600_302600_NS6detail15normal_iteratorINS8_10device_ptrIxEEEEPxx9plus_mod3IxEEE10hipError_tPvRmT1_T2_T3_mT4_P12ihipStream_tbEUlT_E1_NS1_11comp_targetILNS1_3genE8ELNS1_11target_archE1030ELNS1_3gpuE2ELNS1_3repE0EEENS1_30default_config_static_selectorELNS0_4arch9wavefront6targetE1EEEvSK_.num_named_barrier, 0
	.set _ZN7rocprim17ROCPRIM_400000_NS6detail17trampoline_kernelINS0_14default_configENS1_22reduce_config_selectorIxEEZNS1_11reduce_implILb1ES3_N6thrust23THRUST_200600_302600_NS6detail15normal_iteratorINS8_10device_ptrIxEEEEPxx9plus_mod3IxEEE10hipError_tPvRmT1_T2_T3_mT4_P12ihipStream_tbEUlT_E1_NS1_11comp_targetILNS1_3genE8ELNS1_11target_archE1030ELNS1_3gpuE2ELNS1_3repE0EEENS1_30default_config_static_selectorELNS0_4arch9wavefront6targetE1EEEvSK_.private_seg_size, 0
	.set _ZN7rocprim17ROCPRIM_400000_NS6detail17trampoline_kernelINS0_14default_configENS1_22reduce_config_selectorIxEEZNS1_11reduce_implILb1ES3_N6thrust23THRUST_200600_302600_NS6detail15normal_iteratorINS8_10device_ptrIxEEEEPxx9plus_mod3IxEEE10hipError_tPvRmT1_T2_T3_mT4_P12ihipStream_tbEUlT_E1_NS1_11comp_targetILNS1_3genE8ELNS1_11target_archE1030ELNS1_3gpuE2ELNS1_3repE0EEENS1_30default_config_static_selectorELNS0_4arch9wavefront6targetE1EEEvSK_.uses_vcc, 0
	.set _ZN7rocprim17ROCPRIM_400000_NS6detail17trampoline_kernelINS0_14default_configENS1_22reduce_config_selectorIxEEZNS1_11reduce_implILb1ES3_N6thrust23THRUST_200600_302600_NS6detail15normal_iteratorINS8_10device_ptrIxEEEEPxx9plus_mod3IxEEE10hipError_tPvRmT1_T2_T3_mT4_P12ihipStream_tbEUlT_E1_NS1_11comp_targetILNS1_3genE8ELNS1_11target_archE1030ELNS1_3gpuE2ELNS1_3repE0EEENS1_30default_config_static_selectorELNS0_4arch9wavefront6targetE1EEEvSK_.uses_flat_scratch, 0
	.set _ZN7rocprim17ROCPRIM_400000_NS6detail17trampoline_kernelINS0_14default_configENS1_22reduce_config_selectorIxEEZNS1_11reduce_implILb1ES3_N6thrust23THRUST_200600_302600_NS6detail15normal_iteratorINS8_10device_ptrIxEEEEPxx9plus_mod3IxEEE10hipError_tPvRmT1_T2_T3_mT4_P12ihipStream_tbEUlT_E1_NS1_11comp_targetILNS1_3genE8ELNS1_11target_archE1030ELNS1_3gpuE2ELNS1_3repE0EEENS1_30default_config_static_selectorELNS0_4arch9wavefront6targetE1EEEvSK_.has_dyn_sized_stack, 0
	.set _ZN7rocprim17ROCPRIM_400000_NS6detail17trampoline_kernelINS0_14default_configENS1_22reduce_config_selectorIxEEZNS1_11reduce_implILb1ES3_N6thrust23THRUST_200600_302600_NS6detail15normal_iteratorINS8_10device_ptrIxEEEEPxx9plus_mod3IxEEE10hipError_tPvRmT1_T2_T3_mT4_P12ihipStream_tbEUlT_E1_NS1_11comp_targetILNS1_3genE8ELNS1_11target_archE1030ELNS1_3gpuE2ELNS1_3repE0EEENS1_30default_config_static_selectorELNS0_4arch9wavefront6targetE1EEEvSK_.has_recursion, 0
	.set _ZN7rocprim17ROCPRIM_400000_NS6detail17trampoline_kernelINS0_14default_configENS1_22reduce_config_selectorIxEEZNS1_11reduce_implILb1ES3_N6thrust23THRUST_200600_302600_NS6detail15normal_iteratorINS8_10device_ptrIxEEEEPxx9plus_mod3IxEEE10hipError_tPvRmT1_T2_T3_mT4_P12ihipStream_tbEUlT_E1_NS1_11comp_targetILNS1_3genE8ELNS1_11target_archE1030ELNS1_3gpuE2ELNS1_3repE0EEENS1_30default_config_static_selectorELNS0_4arch9wavefront6targetE1EEEvSK_.has_indirect_call, 0
	.section	.AMDGPU.csdata,"",@progbits
; Kernel info:
; codeLenInByte = 0
; TotalNumSgprs: 6
; NumVgprs: 0
; NumAgprs: 0
; TotalNumVgprs: 0
; ScratchSize: 0
; MemoryBound: 0
; FloatMode: 240
; IeeeMode: 1
; LDSByteSize: 0 bytes/workgroup (compile time only)
; SGPRBlocks: 0
; VGPRBlocks: 0
; NumSGPRsForWavesPerEU: 6
; NumVGPRsForWavesPerEU: 1
; AccumOffset: 4
; Occupancy: 8
; WaveLimiterHint : 0
; COMPUTE_PGM_RSRC2:SCRATCH_EN: 0
; COMPUTE_PGM_RSRC2:USER_SGPR: 2
; COMPUTE_PGM_RSRC2:TRAP_HANDLER: 0
; COMPUTE_PGM_RSRC2:TGID_X_EN: 1
; COMPUTE_PGM_RSRC2:TGID_Y_EN: 0
; COMPUTE_PGM_RSRC2:TGID_Z_EN: 0
; COMPUTE_PGM_RSRC2:TIDIG_COMP_CNT: 0
; COMPUTE_PGM_RSRC3_GFX90A:ACCUM_OFFSET: 0
; COMPUTE_PGM_RSRC3_GFX90A:TG_SPLIT: 0
	.section	.text._ZN7rocprim17ROCPRIM_400000_NS6detail17trampoline_kernelINS0_14default_configENS1_22reduce_config_selectorIiEEZNS1_11reduce_implILb1ES3_PiS7_i9plus_mod3IiEEE10hipError_tPvRmT1_T2_T3_mT4_P12ihipStream_tbEUlT_E0_NS1_11comp_targetILNS1_3genE0ELNS1_11target_archE4294967295ELNS1_3gpuE0ELNS1_3repE0EEENS1_30default_config_static_selectorELNS0_4arch9wavefront6targetE1EEEvSD_,"axG",@progbits,_ZN7rocprim17ROCPRIM_400000_NS6detail17trampoline_kernelINS0_14default_configENS1_22reduce_config_selectorIiEEZNS1_11reduce_implILb1ES3_PiS7_i9plus_mod3IiEEE10hipError_tPvRmT1_T2_T3_mT4_P12ihipStream_tbEUlT_E0_NS1_11comp_targetILNS1_3genE0ELNS1_11target_archE4294967295ELNS1_3gpuE0ELNS1_3repE0EEENS1_30default_config_static_selectorELNS0_4arch9wavefront6targetE1EEEvSD_,comdat
	.protected	_ZN7rocprim17ROCPRIM_400000_NS6detail17trampoline_kernelINS0_14default_configENS1_22reduce_config_selectorIiEEZNS1_11reduce_implILb1ES3_PiS7_i9plus_mod3IiEEE10hipError_tPvRmT1_T2_T3_mT4_P12ihipStream_tbEUlT_E0_NS1_11comp_targetILNS1_3genE0ELNS1_11target_archE4294967295ELNS1_3gpuE0ELNS1_3repE0EEENS1_30default_config_static_selectorELNS0_4arch9wavefront6targetE1EEEvSD_ ; -- Begin function _ZN7rocprim17ROCPRIM_400000_NS6detail17trampoline_kernelINS0_14default_configENS1_22reduce_config_selectorIiEEZNS1_11reduce_implILb1ES3_PiS7_i9plus_mod3IiEEE10hipError_tPvRmT1_T2_T3_mT4_P12ihipStream_tbEUlT_E0_NS1_11comp_targetILNS1_3genE0ELNS1_11target_archE4294967295ELNS1_3gpuE0ELNS1_3repE0EEENS1_30default_config_static_selectorELNS0_4arch9wavefront6targetE1EEEvSD_
	.globl	_ZN7rocprim17ROCPRIM_400000_NS6detail17trampoline_kernelINS0_14default_configENS1_22reduce_config_selectorIiEEZNS1_11reduce_implILb1ES3_PiS7_i9plus_mod3IiEEE10hipError_tPvRmT1_T2_T3_mT4_P12ihipStream_tbEUlT_E0_NS1_11comp_targetILNS1_3genE0ELNS1_11target_archE4294967295ELNS1_3gpuE0ELNS1_3repE0EEENS1_30default_config_static_selectorELNS0_4arch9wavefront6targetE1EEEvSD_
	.p2align	8
	.type	_ZN7rocprim17ROCPRIM_400000_NS6detail17trampoline_kernelINS0_14default_configENS1_22reduce_config_selectorIiEEZNS1_11reduce_implILb1ES3_PiS7_i9plus_mod3IiEEE10hipError_tPvRmT1_T2_T3_mT4_P12ihipStream_tbEUlT_E0_NS1_11comp_targetILNS1_3genE0ELNS1_11target_archE4294967295ELNS1_3gpuE0ELNS1_3repE0EEENS1_30default_config_static_selectorELNS0_4arch9wavefront6targetE1EEEvSD_,@function
_ZN7rocprim17ROCPRIM_400000_NS6detail17trampoline_kernelINS0_14default_configENS1_22reduce_config_selectorIiEEZNS1_11reduce_implILb1ES3_PiS7_i9plus_mod3IiEEE10hipError_tPvRmT1_T2_T3_mT4_P12ihipStream_tbEUlT_E0_NS1_11comp_targetILNS1_3genE0ELNS1_11target_archE4294967295ELNS1_3gpuE0ELNS1_3repE0EEENS1_30default_config_static_selectorELNS0_4arch9wavefront6targetE1EEEvSD_: ; @_ZN7rocprim17ROCPRIM_400000_NS6detail17trampoline_kernelINS0_14default_configENS1_22reduce_config_selectorIiEEZNS1_11reduce_implILb1ES3_PiS7_i9plus_mod3IiEEE10hipError_tPvRmT1_T2_T3_mT4_P12ihipStream_tbEUlT_E0_NS1_11comp_targetILNS1_3genE0ELNS1_11target_archE4294967295ELNS1_3gpuE0ELNS1_3repE0EEENS1_30default_config_static_selectorELNS0_4arch9wavefront6targetE1EEEvSD_
; %bb.0:
	s_load_dwordx8 s[4:11], s[0:1], 0x0
	s_load_dwordx2 s[12:13], s[0:1], 0x38
	v_lshlrev_b32_e32 v6, 2, v0
	v_mbcnt_lo_u32_b32 v1, -1, 0
	s_waitcnt lgkmcnt(0)
	s_lshl_b64 s[6:7], s[6:7], 2
	s_add_u32 s16, s4, s6
	s_addc_u32 s17, s5, s7
	s_lshl_b32 s4, s2, 10
	s_mov_b32 s5, 0
	s_lshr_b64 s[6:7], s[8:9], 10
	s_lshl_b64 s[14:15], s[4:5], 2
	s_add_u32 s16, s16, s14
	s_mov_b32 s3, s5
	s_addc_u32 s17, s17, s15
	s_cmp_lg_u64 s[6:7], s[2:3]
	s_cbranch_scc0 .LBB911_6
; %bb.1:
	global_load_dword v2, v6, s[16:17]
	global_load_dword v3, v6, s[16:17] offset:1024
	global_load_dword v4, v6, s[16:17] offset:2048
	;; [unrolled: 1-line block ×3, first 2 shown]
	s_waitcnt vmcnt(2)
	v_add_u32_e32 v2, v3, v2
	v_ashrrev_i32_e32 v3, 31, v2
	v_lshl_add_u64 v[2:3], v[2:3], 2, s[12:13]
	global_load_dword v2, v[2:3], off
	s_waitcnt vmcnt(0)
	v_add_u32_e32 v2, v2, v4
	v_ashrrev_i32_e32 v3, 31, v2
	v_lshl_add_u64 v[2:3], v[2:3], 2, s[12:13]
	global_load_dword v2, v[2:3], off
	;; [unrolled: 5-line block ×3, first 2 shown]
	v_mbcnt_hi_u32_b32 v5, -1, v1
	v_cmp_eq_u32_e32 vcc, 0, v5
	s_waitcnt vmcnt(0)
	v_add_u32_dpp v2, v2, v2 quad_perm:[1,0,3,2] row_mask:0xf bank_mask:0xf bound_ctrl:1
	v_ashrrev_i32_e32 v3, 31, v2
	v_lshl_add_u64 v[2:3], v[2:3], 2, s[12:13]
	global_load_dword v2, v[2:3], off
	s_waitcnt vmcnt(0)
	s_nop 0
	v_add_u32_dpp v2, v2, v2 quad_perm:[2,3,0,1] row_mask:0xf bank_mask:0xf bound_ctrl:1
	v_ashrrev_i32_e32 v3, 31, v2
	v_lshl_add_u64 v[2:3], v[2:3], 2, s[12:13]
	global_load_dword v2, v[2:3], off
	s_waitcnt vmcnt(0)
	s_nop 0
	v_add_u32_dpp v2, v2, v2 row_ror:4 row_mask:0xf bank_mask:0xf bound_ctrl:1
	v_ashrrev_i32_e32 v3, 31, v2
	v_lshl_add_u64 v[2:3], v[2:3], 2, s[12:13]
	global_load_dword v2, v[2:3], off
	s_waitcnt vmcnt(0)
	s_nop 0
	v_add_u32_dpp v2, v2, v2 row_ror:8 row_mask:0xf bank_mask:0xf bound_ctrl:1
	v_ashrrev_i32_e32 v3, 31, v2
	v_lshl_add_u64 v[2:3], v[2:3], 2, s[12:13]
	global_load_dword v2, v[2:3], off
	s_waitcnt vmcnt(0)
	s_nop 0
	v_add_u32_dpp v2, v2, v2 row_bcast:15 row_mask:0xf bank_mask:0xf bound_ctrl:1
	v_ashrrev_i32_e32 v3, 31, v2
	v_lshl_add_u64 v[2:3], v[2:3], 2, s[12:13]
	global_load_dword v2, v[2:3], off
	s_waitcnt vmcnt(0)
	s_nop 0
	v_add_u32_dpp v2, v2, v2 row_bcast:31 row_mask:0xf bank_mask:0xf bound_ctrl:1
	v_ashrrev_i32_e32 v3, 31, v2
	v_lshl_add_u64 v[2:3], v[2:3], 2, s[12:13]
	global_load_dword v2, v[2:3], off
	v_lshlrev_b32_e32 v3, 2, v5
	v_or_b32_e32 v4, 0xfc, v3
	s_waitcnt vmcnt(0)
	ds_bpermute_b32 v2, v4, v2
	s_and_saveexec_b64 s[6:7], vcc
	s_cbranch_execz .LBB911_3
; %bb.2:
	v_lshrrev_b32_e32 v4, 4, v0
	v_and_b32_e32 v4, 12, v4
	s_waitcnt lgkmcnt(0)
	ds_write_b32 v4, v2 offset:16
.LBB911_3:
	s_or_b64 exec, exec, s[6:7]
	v_cmp_gt_u32_e32 vcc, 64, v0
	s_mov_b64 s[6:7], 0
	s_mov_b64 s[14:15], 0
	s_waitcnt lgkmcnt(0)
	s_barrier
                                        ; implicit-def: $vgpr4
	s_and_saveexec_b64 s[18:19], vcc
	s_xor_b64 s[18:19], exec, s[18:19]
	s_cbranch_execz .LBB911_5
; %bb.4:
	v_and_b32_e32 v4, 3, v5
	v_lshlrev_b32_e32 v7, 2, v4
	ds_read_b32 v7, v7 offset:16
	v_cmp_ne_u32_e32 vcc, 3, v4
	v_or_b32_e32 v3, 8, v3
	s_mov_b64 s[14:15], exec
	v_addc_co_u32_e32 v4, vcc, 0, v5, vcc
	v_lshlrev_b32_e32 v4, 2, v4
	s_waitcnt lgkmcnt(0)
	ds_bpermute_b32 v4, v4, v7
	s_waitcnt lgkmcnt(0)
	v_add_u32_e32 v4, v4, v7
	v_ashrrev_i32_e32 v5, 31, v4
	v_lshl_add_u64 v[4:5], v[4:5], 2, s[12:13]
	global_load_dword v4, v[4:5], off
	s_waitcnt vmcnt(0)
	ds_bpermute_b32 v3, v3, v4
	s_waitcnt lgkmcnt(0)
	v_add_u32_e32 v4, v3, v4
.LBB911_5:
	s_or_b64 exec, exec, s[18:19]
	s_and_b64 vcc, exec, s[6:7]
	s_cbranch_vccnz .LBB911_7
	s_branch .LBB911_39
.LBB911_6:
	s_mov_b64 s[14:15], 0
                                        ; implicit-def: $vgpr4
                                        ; implicit-def: $vgpr2
	s_cbranch_execz .LBB911_39
.LBB911_7:
	s_sub_i32 s20, s8, s4
	v_mov_b32_e32 v2, 0
	v_cmp_gt_u32_e32 vcc, s20, v0
	v_mov_b32_e32 v3, v2
	v_mov_b32_e32 v4, v2
	;; [unrolled: 1-line block ×3, first 2 shown]
	s_and_saveexec_b64 s[4:5], vcc
	s_cbranch_execz .LBB911_9
; %bb.8:
	global_load_dword v8, v6, s[16:17]
	v_mov_b32_e32 v9, v2
	v_mov_b32_e32 v10, v2
	;; [unrolled: 1-line block ×3, first 2 shown]
	s_waitcnt vmcnt(0)
	v_mov_b64_e32 v[2:3], v[8:9]
	v_mov_b64_e32 v[4:5], v[10:11]
.LBB911_9:
	s_or_b64 exec, exec, s[4:5]
	v_or_b32_e32 v7, 0x100, v0
	v_cmp_gt_u32_e64 s[6:7], s20, v7
	s_and_saveexec_b64 s[4:5], s[6:7]
	s_cbranch_execz .LBB911_11
; %bb.10:
	global_load_dword v3, v6, s[16:17] offset:1024
.LBB911_11:
	s_or_b64 exec, exec, s[4:5]
	v_or_b32_e32 v7, 0x200, v0
	v_cmp_gt_u32_e64 s[4:5], s20, v7
	s_and_saveexec_b64 s[18:19], s[4:5]
	s_cbranch_execz .LBB911_13
; %bb.12:
	global_load_dword v4, v6, s[16:17] offset:2048
.LBB911_13:
	s_or_b64 exec, exec, s[18:19]
	v_or_b32_e32 v7, 0x300, v0
	v_cmp_gt_u32_e32 vcc, s20, v7
	s_and_saveexec_b64 s[18:19], vcc
	s_cbranch_execnz .LBB911_44
; %bb.14:
	s_or_b64 exec, exec, s[18:19]
	s_and_saveexec_b64 s[16:17], s[6:7]
	s_cbranch_execnz .LBB911_45
.LBB911_15:
	s_or_b64 exec, exec, s[16:17]
	s_and_saveexec_b64 s[6:7], s[4:5]
	s_cbranch_execnz .LBB911_46
.LBB911_16:
	s_or_b64 exec, exec, s[6:7]
	s_and_saveexec_b64 s[4:5], vcc
	s_cbranch_execz .LBB911_18
.LBB911_17:
	s_waitcnt vmcnt(0)
	v_add_u32_e32 v2, v2, v5
	v_ashrrev_i32_e32 v3, 31, v2
	v_lshl_add_u64 v[2:3], v[2:3], 2, s[12:13]
	global_load_dword v2, v[2:3], off
.LBB911_18:
	s_or_b64 exec, exec, s[4:5]
	v_mbcnt_hi_u32_b32 v1, -1, v1
	s_waitcnt vmcnt(0)
	v_and_b32_e32 v3, 63, v1
	v_cmp_ne_u32_e32 vcc, 63, v3
	s_min_u32 s6, s20, 0x100
	v_add_u32_e32 v6, 1, v3
	v_addc_co_u32_e32 v4, vcc, 0, v1, vcc
	v_lshlrev_b32_e32 v4, 2, v4
	ds_bpermute_b32 v5, v4, v2
	v_and_b32_e32 v4, 0xc0, v0
	v_sub_u32_e64 v4, s6, v4 clamp
	v_cmp_lt_u32_e32 vcc, v6, v4
	s_and_saveexec_b64 s[4:5], vcc
	s_xor_b64 s[4:5], exec, s[4:5]
	s_cbranch_execz .LBB911_20
; %bb.19:
	s_waitcnt lgkmcnt(0)
	v_add_u32_e32 v6, v5, v2
	v_ashrrev_i32_e32 v7, 31, v6
	v_lshl_add_u64 v[6:7], v[6:7], 2, s[12:13]
	global_load_dword v2, v[6:7], off
.LBB911_20:
	s_or_b64 exec, exec, s[4:5]
	v_cmp_gt_u32_e32 vcc, 62, v3
	v_add_u32_e32 v6, 2, v3
	s_waitcnt lgkmcnt(0)
	v_cndmask_b32_e64 v5, 0, 2, vcc
	v_add_lshl_u32 v5, v5, v1, 2
	s_waitcnt vmcnt(0)
	ds_bpermute_b32 v5, v5, v2
	v_cmp_lt_u32_e32 vcc, v6, v4
	s_and_saveexec_b64 s[4:5], vcc
	s_cbranch_execz .LBB911_22
; %bb.21:
	s_waitcnt lgkmcnt(0)
	v_add_u32_e32 v6, v5, v2
	v_ashrrev_i32_e32 v7, 31, v6
	v_lshl_add_u64 v[6:7], v[6:7], 2, s[12:13]
	global_load_dword v2, v[6:7], off
.LBB911_22:
	s_or_b64 exec, exec, s[4:5]
	v_cmp_gt_u32_e32 vcc, 60, v3
	v_add_u32_e32 v6, 4, v3
	s_waitcnt lgkmcnt(0)
	v_cndmask_b32_e64 v5, 0, 4, vcc
	v_add_lshl_u32 v5, v5, v1, 2
	s_waitcnt vmcnt(0)
	ds_bpermute_b32 v5, v5, v2
	v_cmp_lt_u32_e32 vcc, v6, v4
	s_and_saveexec_b64 s[4:5], vcc
	;; [unrolled: 18-line block ×4, first 2 shown]
	s_cbranch_execz .LBB911_28
; %bb.27:
	s_waitcnt lgkmcnt(0)
	v_add_u32_e32 v6, v5, v2
	v_ashrrev_i32_e32 v7, 31, v6
	v_lshl_add_u64 v[6:7], v[6:7], 2, s[12:13]
	global_load_dword v2, v[6:7], off
.LBB911_28:
	s_or_b64 exec, exec, s[4:5]
	s_waitcnt lgkmcnt(0)
	v_lshlrev_b32_e32 v5, 2, v1
	v_or_b32_e32 v6, 0x80, v5
	s_waitcnt vmcnt(0)
	ds_bpermute_b32 v6, v6, v2
	v_add_u32_e32 v3, 32, v3
	v_cmp_lt_u32_e32 vcc, v3, v4
	s_and_saveexec_b64 s[4:5], vcc
	s_cbranch_execz .LBB911_30
; %bb.29:
	s_waitcnt lgkmcnt(0)
	v_add_u32_e32 v2, v6, v2
	v_ashrrev_i32_e32 v3, 31, v2
	v_lshl_add_u64 v[2:3], v[2:3], 2, s[12:13]
	global_load_dword v2, v[2:3], off
.LBB911_30:
	s_or_b64 exec, exec, s[4:5]
	v_cmp_eq_u32_e32 vcc, 0, v1
	s_and_saveexec_b64 s[4:5], vcc
	s_cbranch_execz .LBB911_32
; %bb.31:
	v_lshrrev_b32_e32 v3, 4, v0
	v_and_b32_e32 v3, 12, v3
	s_waitcnt vmcnt(0)
	ds_write_b32 v3, v2
.LBB911_32:
	s_or_b64 exec, exec, s[4:5]
	v_cmp_gt_u32_e32 vcc, 4, v0
	s_waitcnt lgkmcnt(0)
	s_barrier
                                        ; implicit-def: $vgpr4
	s_and_saveexec_b64 s[4:5], vcc
	s_cbranch_execz .LBB911_38
; %bb.33:
	s_waitcnt vmcnt(0)
	ds_read_b32 v2, v5
	v_and_b32_e32 v3, 3, v1
	v_cmp_ne_u32_e32 vcc, 3, v3
	s_add_i32 s6, s6, 63
	s_lshr_b32 s16, s6, 6
	v_addc_co_u32_e32 v1, vcc, 0, v1, vcc
	v_lshlrev_b32_e32 v1, 2, v1
	s_waitcnt lgkmcnt(0)
	ds_bpermute_b32 v1, v1, v2
	v_add_u32_e32 v4, 1, v3
	v_cmp_gt_u32_e32 vcc, s16, v4
	s_and_saveexec_b64 s[6:7], vcc
	s_cbranch_execz .LBB911_35
; %bb.34:
	s_waitcnt lgkmcnt(0)
	v_add_u32_e32 v6, v1, v2
	v_ashrrev_i32_e32 v7, 31, v6
	v_lshl_add_u64 v[6:7], v[6:7], 2, s[12:13]
	global_load_dword v2, v[6:7], off
.LBB911_35:
	s_or_b64 exec, exec, s[6:7]
	s_waitcnt lgkmcnt(0)
	v_or_b32_e32 v1, 8, v5
	s_waitcnt vmcnt(0)
	ds_bpermute_b32 v1, v1, v2
	v_add_u32_e32 v3, 2, v3
	v_cmp_gt_u32_e32 vcc, s16, v3
	s_mov_b64 s[6:7], s[14:15]
                                        ; implicit-def: $vgpr4
	s_and_saveexec_b64 s[16:17], vcc
	s_cbranch_execz .LBB911_37
; %bb.36:
	s_waitcnt lgkmcnt(0)
	v_add_u32_e32 v4, v1, v2
	s_or_b64 s[6:7], s[14:15], exec
.LBB911_37:
	s_or_b64 exec, exec, s[16:17]
	s_andn2_b64 s[14:15], s[14:15], exec
	s_and_b64 s[6:7], s[6:7], exec
	s_or_b64 s[14:15], s[14:15], s[6:7]
.LBB911_38:
	s_or_b64 exec, exec, s[4:5]
.LBB911_39:
	s_and_saveexec_b64 s[4:5], s[14:15]
	s_cbranch_execnz .LBB911_42
; %bb.40:
	s_or_b64 exec, exec, s[4:5]
	v_cmp_eq_u32_e32 vcc, 0, v0
	s_and_saveexec_b64 s[4:5], vcc
	s_cbranch_execnz .LBB911_43
.LBB911_41:
	s_endpgm
.LBB911_42:
	v_ashrrev_i32_e32 v5, 31, v4
	s_waitcnt vmcnt(0)
	v_lshl_add_u64 v[2:3], v[4:5], 2, s[12:13]
	global_load_dword v2, v[2:3], off
	s_or_b64 exec, exec, s[4:5]
	v_cmp_eq_u32_e32 vcc, 0, v0
	s_and_saveexec_b64 s[4:5], vcc
	s_cbranch_execz .LBB911_41
.LBB911_43:
	s_load_dwordx4 s[4:7], s[0:1], 0x20
	s_load_dword s12, s[0:1], 0x30
	s_waitcnt lgkmcnt(0)
	v_mov_b32_e32 v1, 0
	s_mul_i32 s1, s6, s5
	s_mul_hi_u32 s5, s6, s4
	s_mul_i32 s7, s7, s4
	s_add_i32 s1, s5, s1
	s_mul_i32 s0, s6, s4
	s_add_i32 s1, s1, s7
	s_lshl_b64 s[0:1], s[0:1], 2
	s_add_u32 s4, s10, s0
	s_addc_u32 s5, s11, s1
	s_cmp_eq_u64 s[8:9], 0
	s_cselect_b64 vcc, -1, 0
	s_lshl_b64 s[0:1], s[2:3], 2
	v_mov_b32_e32 v0, s12
	s_add_u32 s0, s4, s0
	s_waitcnt vmcnt(0)
	v_cndmask_b32_e32 v0, v2, v0, vcc
	s_addc_u32 s1, s5, s1
	global_store_dword v1, v0, s[0:1]
	s_endpgm
.LBB911_44:
	global_load_dword v5, v6, s[16:17] offset:3072
	s_or_b64 exec, exec, s[18:19]
	s_and_saveexec_b64 s[16:17], s[6:7]
	s_cbranch_execz .LBB911_15
.LBB911_45:
	s_waitcnt vmcnt(0)
	v_add_u32_e32 v2, v3, v2
	v_ashrrev_i32_e32 v3, 31, v2
	v_lshl_add_u64 v[2:3], v[2:3], 2, s[12:13]
	global_load_dword v2, v[2:3], off
	s_or_b64 exec, exec, s[16:17]
	s_and_saveexec_b64 s[6:7], s[4:5]
	s_cbranch_execz .LBB911_16
.LBB911_46:
	s_waitcnt vmcnt(0)
	v_add_u32_e32 v2, v2, v4
	v_ashrrev_i32_e32 v3, 31, v2
	v_lshl_add_u64 v[2:3], v[2:3], 2, s[12:13]
	global_load_dword v2, v[2:3], off
	s_or_b64 exec, exec, s[6:7]
	s_and_saveexec_b64 s[4:5], vcc
	s_cbranch_execnz .LBB911_17
	s_branch .LBB911_18
	.section	.rodata,"a",@progbits
	.p2align	6, 0x0
	.amdhsa_kernel _ZN7rocprim17ROCPRIM_400000_NS6detail17trampoline_kernelINS0_14default_configENS1_22reduce_config_selectorIiEEZNS1_11reduce_implILb1ES3_PiS7_i9plus_mod3IiEEE10hipError_tPvRmT1_T2_T3_mT4_P12ihipStream_tbEUlT_E0_NS1_11comp_targetILNS1_3genE0ELNS1_11target_archE4294967295ELNS1_3gpuE0ELNS1_3repE0EEENS1_30default_config_static_selectorELNS0_4arch9wavefront6targetE1EEEvSD_
		.amdhsa_group_segment_fixed_size 32
		.amdhsa_private_segment_fixed_size 0
		.amdhsa_kernarg_size 64
		.amdhsa_user_sgpr_count 2
		.amdhsa_user_sgpr_dispatch_ptr 0
		.amdhsa_user_sgpr_queue_ptr 0
		.amdhsa_user_sgpr_kernarg_segment_ptr 1
		.amdhsa_user_sgpr_dispatch_id 0
		.amdhsa_user_sgpr_kernarg_preload_length 0
		.amdhsa_user_sgpr_kernarg_preload_offset 0
		.amdhsa_user_sgpr_private_segment_size 0
		.amdhsa_uses_dynamic_stack 0
		.amdhsa_enable_private_segment 0
		.amdhsa_system_sgpr_workgroup_id_x 1
		.amdhsa_system_sgpr_workgroup_id_y 0
		.amdhsa_system_sgpr_workgroup_id_z 0
		.amdhsa_system_sgpr_workgroup_info 0
		.amdhsa_system_vgpr_workitem_id 0
		.amdhsa_next_free_vgpr 12
		.amdhsa_next_free_sgpr 21
		.amdhsa_accum_offset 12
		.amdhsa_reserve_vcc 1
		.amdhsa_float_round_mode_32 0
		.amdhsa_float_round_mode_16_64 0
		.amdhsa_float_denorm_mode_32 3
		.amdhsa_float_denorm_mode_16_64 3
		.amdhsa_dx10_clamp 1
		.amdhsa_ieee_mode 1
		.amdhsa_fp16_overflow 0
		.amdhsa_tg_split 0
		.amdhsa_exception_fp_ieee_invalid_op 0
		.amdhsa_exception_fp_denorm_src 0
		.amdhsa_exception_fp_ieee_div_zero 0
		.amdhsa_exception_fp_ieee_overflow 0
		.amdhsa_exception_fp_ieee_underflow 0
		.amdhsa_exception_fp_ieee_inexact 0
		.amdhsa_exception_int_div_zero 0
	.end_amdhsa_kernel
	.section	.text._ZN7rocprim17ROCPRIM_400000_NS6detail17trampoline_kernelINS0_14default_configENS1_22reduce_config_selectorIiEEZNS1_11reduce_implILb1ES3_PiS7_i9plus_mod3IiEEE10hipError_tPvRmT1_T2_T3_mT4_P12ihipStream_tbEUlT_E0_NS1_11comp_targetILNS1_3genE0ELNS1_11target_archE4294967295ELNS1_3gpuE0ELNS1_3repE0EEENS1_30default_config_static_selectorELNS0_4arch9wavefront6targetE1EEEvSD_,"axG",@progbits,_ZN7rocprim17ROCPRIM_400000_NS6detail17trampoline_kernelINS0_14default_configENS1_22reduce_config_selectorIiEEZNS1_11reduce_implILb1ES3_PiS7_i9plus_mod3IiEEE10hipError_tPvRmT1_T2_T3_mT4_P12ihipStream_tbEUlT_E0_NS1_11comp_targetILNS1_3genE0ELNS1_11target_archE4294967295ELNS1_3gpuE0ELNS1_3repE0EEENS1_30default_config_static_selectorELNS0_4arch9wavefront6targetE1EEEvSD_,comdat
.Lfunc_end911:
	.size	_ZN7rocprim17ROCPRIM_400000_NS6detail17trampoline_kernelINS0_14default_configENS1_22reduce_config_selectorIiEEZNS1_11reduce_implILb1ES3_PiS7_i9plus_mod3IiEEE10hipError_tPvRmT1_T2_T3_mT4_P12ihipStream_tbEUlT_E0_NS1_11comp_targetILNS1_3genE0ELNS1_11target_archE4294967295ELNS1_3gpuE0ELNS1_3repE0EEENS1_30default_config_static_selectorELNS0_4arch9wavefront6targetE1EEEvSD_, .Lfunc_end911-_ZN7rocprim17ROCPRIM_400000_NS6detail17trampoline_kernelINS0_14default_configENS1_22reduce_config_selectorIiEEZNS1_11reduce_implILb1ES3_PiS7_i9plus_mod3IiEEE10hipError_tPvRmT1_T2_T3_mT4_P12ihipStream_tbEUlT_E0_NS1_11comp_targetILNS1_3genE0ELNS1_11target_archE4294967295ELNS1_3gpuE0ELNS1_3repE0EEENS1_30default_config_static_selectorELNS0_4arch9wavefront6targetE1EEEvSD_
                                        ; -- End function
	.set _ZN7rocprim17ROCPRIM_400000_NS6detail17trampoline_kernelINS0_14default_configENS1_22reduce_config_selectorIiEEZNS1_11reduce_implILb1ES3_PiS7_i9plus_mod3IiEEE10hipError_tPvRmT1_T2_T3_mT4_P12ihipStream_tbEUlT_E0_NS1_11comp_targetILNS1_3genE0ELNS1_11target_archE4294967295ELNS1_3gpuE0ELNS1_3repE0EEENS1_30default_config_static_selectorELNS0_4arch9wavefront6targetE1EEEvSD_.num_vgpr, 12
	.set _ZN7rocprim17ROCPRIM_400000_NS6detail17trampoline_kernelINS0_14default_configENS1_22reduce_config_selectorIiEEZNS1_11reduce_implILb1ES3_PiS7_i9plus_mod3IiEEE10hipError_tPvRmT1_T2_T3_mT4_P12ihipStream_tbEUlT_E0_NS1_11comp_targetILNS1_3genE0ELNS1_11target_archE4294967295ELNS1_3gpuE0ELNS1_3repE0EEENS1_30default_config_static_selectorELNS0_4arch9wavefront6targetE1EEEvSD_.num_agpr, 0
	.set _ZN7rocprim17ROCPRIM_400000_NS6detail17trampoline_kernelINS0_14default_configENS1_22reduce_config_selectorIiEEZNS1_11reduce_implILb1ES3_PiS7_i9plus_mod3IiEEE10hipError_tPvRmT1_T2_T3_mT4_P12ihipStream_tbEUlT_E0_NS1_11comp_targetILNS1_3genE0ELNS1_11target_archE4294967295ELNS1_3gpuE0ELNS1_3repE0EEENS1_30default_config_static_selectorELNS0_4arch9wavefront6targetE1EEEvSD_.numbered_sgpr, 21
	.set _ZN7rocprim17ROCPRIM_400000_NS6detail17trampoline_kernelINS0_14default_configENS1_22reduce_config_selectorIiEEZNS1_11reduce_implILb1ES3_PiS7_i9plus_mod3IiEEE10hipError_tPvRmT1_T2_T3_mT4_P12ihipStream_tbEUlT_E0_NS1_11comp_targetILNS1_3genE0ELNS1_11target_archE4294967295ELNS1_3gpuE0ELNS1_3repE0EEENS1_30default_config_static_selectorELNS0_4arch9wavefront6targetE1EEEvSD_.num_named_barrier, 0
	.set _ZN7rocprim17ROCPRIM_400000_NS6detail17trampoline_kernelINS0_14default_configENS1_22reduce_config_selectorIiEEZNS1_11reduce_implILb1ES3_PiS7_i9plus_mod3IiEEE10hipError_tPvRmT1_T2_T3_mT4_P12ihipStream_tbEUlT_E0_NS1_11comp_targetILNS1_3genE0ELNS1_11target_archE4294967295ELNS1_3gpuE0ELNS1_3repE0EEENS1_30default_config_static_selectorELNS0_4arch9wavefront6targetE1EEEvSD_.private_seg_size, 0
	.set _ZN7rocprim17ROCPRIM_400000_NS6detail17trampoline_kernelINS0_14default_configENS1_22reduce_config_selectorIiEEZNS1_11reduce_implILb1ES3_PiS7_i9plus_mod3IiEEE10hipError_tPvRmT1_T2_T3_mT4_P12ihipStream_tbEUlT_E0_NS1_11comp_targetILNS1_3genE0ELNS1_11target_archE4294967295ELNS1_3gpuE0ELNS1_3repE0EEENS1_30default_config_static_selectorELNS0_4arch9wavefront6targetE1EEEvSD_.uses_vcc, 1
	.set _ZN7rocprim17ROCPRIM_400000_NS6detail17trampoline_kernelINS0_14default_configENS1_22reduce_config_selectorIiEEZNS1_11reduce_implILb1ES3_PiS7_i9plus_mod3IiEEE10hipError_tPvRmT1_T2_T3_mT4_P12ihipStream_tbEUlT_E0_NS1_11comp_targetILNS1_3genE0ELNS1_11target_archE4294967295ELNS1_3gpuE0ELNS1_3repE0EEENS1_30default_config_static_selectorELNS0_4arch9wavefront6targetE1EEEvSD_.uses_flat_scratch, 0
	.set _ZN7rocprim17ROCPRIM_400000_NS6detail17trampoline_kernelINS0_14default_configENS1_22reduce_config_selectorIiEEZNS1_11reduce_implILb1ES3_PiS7_i9plus_mod3IiEEE10hipError_tPvRmT1_T2_T3_mT4_P12ihipStream_tbEUlT_E0_NS1_11comp_targetILNS1_3genE0ELNS1_11target_archE4294967295ELNS1_3gpuE0ELNS1_3repE0EEENS1_30default_config_static_selectorELNS0_4arch9wavefront6targetE1EEEvSD_.has_dyn_sized_stack, 0
	.set _ZN7rocprim17ROCPRIM_400000_NS6detail17trampoline_kernelINS0_14default_configENS1_22reduce_config_selectorIiEEZNS1_11reduce_implILb1ES3_PiS7_i9plus_mod3IiEEE10hipError_tPvRmT1_T2_T3_mT4_P12ihipStream_tbEUlT_E0_NS1_11comp_targetILNS1_3genE0ELNS1_11target_archE4294967295ELNS1_3gpuE0ELNS1_3repE0EEENS1_30default_config_static_selectorELNS0_4arch9wavefront6targetE1EEEvSD_.has_recursion, 0
	.set _ZN7rocprim17ROCPRIM_400000_NS6detail17trampoline_kernelINS0_14default_configENS1_22reduce_config_selectorIiEEZNS1_11reduce_implILb1ES3_PiS7_i9plus_mod3IiEEE10hipError_tPvRmT1_T2_T3_mT4_P12ihipStream_tbEUlT_E0_NS1_11comp_targetILNS1_3genE0ELNS1_11target_archE4294967295ELNS1_3gpuE0ELNS1_3repE0EEENS1_30default_config_static_selectorELNS0_4arch9wavefront6targetE1EEEvSD_.has_indirect_call, 0
	.section	.AMDGPU.csdata,"",@progbits
; Kernel info:
; codeLenInByte = 1880
; TotalNumSgprs: 27
; NumVgprs: 12
; NumAgprs: 0
; TotalNumVgprs: 12
; ScratchSize: 0
; MemoryBound: 0
; FloatMode: 240
; IeeeMode: 1
; LDSByteSize: 32 bytes/workgroup (compile time only)
; SGPRBlocks: 3
; VGPRBlocks: 1
; NumSGPRsForWavesPerEU: 27
; NumVGPRsForWavesPerEU: 12
; AccumOffset: 12
; Occupancy: 8
; WaveLimiterHint : 1
; COMPUTE_PGM_RSRC2:SCRATCH_EN: 0
; COMPUTE_PGM_RSRC2:USER_SGPR: 2
; COMPUTE_PGM_RSRC2:TRAP_HANDLER: 0
; COMPUTE_PGM_RSRC2:TGID_X_EN: 1
; COMPUTE_PGM_RSRC2:TGID_Y_EN: 0
; COMPUTE_PGM_RSRC2:TGID_Z_EN: 0
; COMPUTE_PGM_RSRC2:TIDIG_COMP_CNT: 0
; COMPUTE_PGM_RSRC3_GFX90A:ACCUM_OFFSET: 2
; COMPUTE_PGM_RSRC3_GFX90A:TG_SPLIT: 0
	.section	.text._ZN7rocprim17ROCPRIM_400000_NS6detail17trampoline_kernelINS0_14default_configENS1_22reduce_config_selectorIiEEZNS1_11reduce_implILb1ES3_PiS7_i9plus_mod3IiEEE10hipError_tPvRmT1_T2_T3_mT4_P12ihipStream_tbEUlT_E0_NS1_11comp_targetILNS1_3genE5ELNS1_11target_archE942ELNS1_3gpuE9ELNS1_3repE0EEENS1_30default_config_static_selectorELNS0_4arch9wavefront6targetE1EEEvSD_,"axG",@progbits,_ZN7rocprim17ROCPRIM_400000_NS6detail17trampoline_kernelINS0_14default_configENS1_22reduce_config_selectorIiEEZNS1_11reduce_implILb1ES3_PiS7_i9plus_mod3IiEEE10hipError_tPvRmT1_T2_T3_mT4_P12ihipStream_tbEUlT_E0_NS1_11comp_targetILNS1_3genE5ELNS1_11target_archE942ELNS1_3gpuE9ELNS1_3repE0EEENS1_30default_config_static_selectorELNS0_4arch9wavefront6targetE1EEEvSD_,comdat
	.protected	_ZN7rocprim17ROCPRIM_400000_NS6detail17trampoline_kernelINS0_14default_configENS1_22reduce_config_selectorIiEEZNS1_11reduce_implILb1ES3_PiS7_i9plus_mod3IiEEE10hipError_tPvRmT1_T2_T3_mT4_P12ihipStream_tbEUlT_E0_NS1_11comp_targetILNS1_3genE5ELNS1_11target_archE942ELNS1_3gpuE9ELNS1_3repE0EEENS1_30default_config_static_selectorELNS0_4arch9wavefront6targetE1EEEvSD_ ; -- Begin function _ZN7rocprim17ROCPRIM_400000_NS6detail17trampoline_kernelINS0_14default_configENS1_22reduce_config_selectorIiEEZNS1_11reduce_implILb1ES3_PiS7_i9plus_mod3IiEEE10hipError_tPvRmT1_T2_T3_mT4_P12ihipStream_tbEUlT_E0_NS1_11comp_targetILNS1_3genE5ELNS1_11target_archE942ELNS1_3gpuE9ELNS1_3repE0EEENS1_30default_config_static_selectorELNS0_4arch9wavefront6targetE1EEEvSD_
	.globl	_ZN7rocprim17ROCPRIM_400000_NS6detail17trampoline_kernelINS0_14default_configENS1_22reduce_config_selectorIiEEZNS1_11reduce_implILb1ES3_PiS7_i9plus_mod3IiEEE10hipError_tPvRmT1_T2_T3_mT4_P12ihipStream_tbEUlT_E0_NS1_11comp_targetILNS1_3genE5ELNS1_11target_archE942ELNS1_3gpuE9ELNS1_3repE0EEENS1_30default_config_static_selectorELNS0_4arch9wavefront6targetE1EEEvSD_
	.p2align	8
	.type	_ZN7rocprim17ROCPRIM_400000_NS6detail17trampoline_kernelINS0_14default_configENS1_22reduce_config_selectorIiEEZNS1_11reduce_implILb1ES3_PiS7_i9plus_mod3IiEEE10hipError_tPvRmT1_T2_T3_mT4_P12ihipStream_tbEUlT_E0_NS1_11comp_targetILNS1_3genE5ELNS1_11target_archE942ELNS1_3gpuE9ELNS1_3repE0EEENS1_30default_config_static_selectorELNS0_4arch9wavefront6targetE1EEEvSD_,@function
_ZN7rocprim17ROCPRIM_400000_NS6detail17trampoline_kernelINS0_14default_configENS1_22reduce_config_selectorIiEEZNS1_11reduce_implILb1ES3_PiS7_i9plus_mod3IiEEE10hipError_tPvRmT1_T2_T3_mT4_P12ihipStream_tbEUlT_E0_NS1_11comp_targetILNS1_3genE5ELNS1_11target_archE942ELNS1_3gpuE9ELNS1_3repE0EEENS1_30default_config_static_selectorELNS0_4arch9wavefront6targetE1EEEvSD_: ; @_ZN7rocprim17ROCPRIM_400000_NS6detail17trampoline_kernelINS0_14default_configENS1_22reduce_config_selectorIiEEZNS1_11reduce_implILb1ES3_PiS7_i9plus_mod3IiEEE10hipError_tPvRmT1_T2_T3_mT4_P12ihipStream_tbEUlT_E0_NS1_11comp_targetILNS1_3genE5ELNS1_11target_archE942ELNS1_3gpuE9ELNS1_3repE0EEENS1_30default_config_static_selectorELNS0_4arch9wavefront6targetE1EEEvSD_
; %bb.0:
	.section	.rodata,"a",@progbits
	.p2align	6, 0x0
	.amdhsa_kernel _ZN7rocprim17ROCPRIM_400000_NS6detail17trampoline_kernelINS0_14default_configENS1_22reduce_config_selectorIiEEZNS1_11reduce_implILb1ES3_PiS7_i9plus_mod3IiEEE10hipError_tPvRmT1_T2_T3_mT4_P12ihipStream_tbEUlT_E0_NS1_11comp_targetILNS1_3genE5ELNS1_11target_archE942ELNS1_3gpuE9ELNS1_3repE0EEENS1_30default_config_static_selectorELNS0_4arch9wavefront6targetE1EEEvSD_
		.amdhsa_group_segment_fixed_size 0
		.amdhsa_private_segment_fixed_size 0
		.amdhsa_kernarg_size 64
		.amdhsa_user_sgpr_count 2
		.amdhsa_user_sgpr_dispatch_ptr 0
		.amdhsa_user_sgpr_queue_ptr 0
		.amdhsa_user_sgpr_kernarg_segment_ptr 1
		.amdhsa_user_sgpr_dispatch_id 0
		.amdhsa_user_sgpr_kernarg_preload_length 0
		.amdhsa_user_sgpr_kernarg_preload_offset 0
		.amdhsa_user_sgpr_private_segment_size 0
		.amdhsa_uses_dynamic_stack 0
		.amdhsa_enable_private_segment 0
		.amdhsa_system_sgpr_workgroup_id_x 1
		.amdhsa_system_sgpr_workgroup_id_y 0
		.amdhsa_system_sgpr_workgroup_id_z 0
		.amdhsa_system_sgpr_workgroup_info 0
		.amdhsa_system_vgpr_workitem_id 0
		.amdhsa_next_free_vgpr 1
		.amdhsa_next_free_sgpr 0
		.amdhsa_accum_offset 4
		.amdhsa_reserve_vcc 0
		.amdhsa_float_round_mode_32 0
		.amdhsa_float_round_mode_16_64 0
		.amdhsa_float_denorm_mode_32 3
		.amdhsa_float_denorm_mode_16_64 3
		.amdhsa_dx10_clamp 1
		.amdhsa_ieee_mode 1
		.amdhsa_fp16_overflow 0
		.amdhsa_tg_split 0
		.amdhsa_exception_fp_ieee_invalid_op 0
		.amdhsa_exception_fp_denorm_src 0
		.amdhsa_exception_fp_ieee_div_zero 0
		.amdhsa_exception_fp_ieee_overflow 0
		.amdhsa_exception_fp_ieee_underflow 0
		.amdhsa_exception_fp_ieee_inexact 0
		.amdhsa_exception_int_div_zero 0
	.end_amdhsa_kernel
	.section	.text._ZN7rocprim17ROCPRIM_400000_NS6detail17trampoline_kernelINS0_14default_configENS1_22reduce_config_selectorIiEEZNS1_11reduce_implILb1ES3_PiS7_i9plus_mod3IiEEE10hipError_tPvRmT1_T2_T3_mT4_P12ihipStream_tbEUlT_E0_NS1_11comp_targetILNS1_3genE5ELNS1_11target_archE942ELNS1_3gpuE9ELNS1_3repE0EEENS1_30default_config_static_selectorELNS0_4arch9wavefront6targetE1EEEvSD_,"axG",@progbits,_ZN7rocprim17ROCPRIM_400000_NS6detail17trampoline_kernelINS0_14default_configENS1_22reduce_config_selectorIiEEZNS1_11reduce_implILb1ES3_PiS7_i9plus_mod3IiEEE10hipError_tPvRmT1_T2_T3_mT4_P12ihipStream_tbEUlT_E0_NS1_11comp_targetILNS1_3genE5ELNS1_11target_archE942ELNS1_3gpuE9ELNS1_3repE0EEENS1_30default_config_static_selectorELNS0_4arch9wavefront6targetE1EEEvSD_,comdat
.Lfunc_end912:
	.size	_ZN7rocprim17ROCPRIM_400000_NS6detail17trampoline_kernelINS0_14default_configENS1_22reduce_config_selectorIiEEZNS1_11reduce_implILb1ES3_PiS7_i9plus_mod3IiEEE10hipError_tPvRmT1_T2_T3_mT4_P12ihipStream_tbEUlT_E0_NS1_11comp_targetILNS1_3genE5ELNS1_11target_archE942ELNS1_3gpuE9ELNS1_3repE0EEENS1_30default_config_static_selectorELNS0_4arch9wavefront6targetE1EEEvSD_, .Lfunc_end912-_ZN7rocprim17ROCPRIM_400000_NS6detail17trampoline_kernelINS0_14default_configENS1_22reduce_config_selectorIiEEZNS1_11reduce_implILb1ES3_PiS7_i9plus_mod3IiEEE10hipError_tPvRmT1_T2_T3_mT4_P12ihipStream_tbEUlT_E0_NS1_11comp_targetILNS1_3genE5ELNS1_11target_archE942ELNS1_3gpuE9ELNS1_3repE0EEENS1_30default_config_static_selectorELNS0_4arch9wavefront6targetE1EEEvSD_
                                        ; -- End function
	.set _ZN7rocprim17ROCPRIM_400000_NS6detail17trampoline_kernelINS0_14default_configENS1_22reduce_config_selectorIiEEZNS1_11reduce_implILb1ES3_PiS7_i9plus_mod3IiEEE10hipError_tPvRmT1_T2_T3_mT4_P12ihipStream_tbEUlT_E0_NS1_11comp_targetILNS1_3genE5ELNS1_11target_archE942ELNS1_3gpuE9ELNS1_3repE0EEENS1_30default_config_static_selectorELNS0_4arch9wavefront6targetE1EEEvSD_.num_vgpr, 0
	.set _ZN7rocprim17ROCPRIM_400000_NS6detail17trampoline_kernelINS0_14default_configENS1_22reduce_config_selectorIiEEZNS1_11reduce_implILb1ES3_PiS7_i9plus_mod3IiEEE10hipError_tPvRmT1_T2_T3_mT4_P12ihipStream_tbEUlT_E0_NS1_11comp_targetILNS1_3genE5ELNS1_11target_archE942ELNS1_3gpuE9ELNS1_3repE0EEENS1_30default_config_static_selectorELNS0_4arch9wavefront6targetE1EEEvSD_.num_agpr, 0
	.set _ZN7rocprim17ROCPRIM_400000_NS6detail17trampoline_kernelINS0_14default_configENS1_22reduce_config_selectorIiEEZNS1_11reduce_implILb1ES3_PiS7_i9plus_mod3IiEEE10hipError_tPvRmT1_T2_T3_mT4_P12ihipStream_tbEUlT_E0_NS1_11comp_targetILNS1_3genE5ELNS1_11target_archE942ELNS1_3gpuE9ELNS1_3repE0EEENS1_30default_config_static_selectorELNS0_4arch9wavefront6targetE1EEEvSD_.numbered_sgpr, 0
	.set _ZN7rocprim17ROCPRIM_400000_NS6detail17trampoline_kernelINS0_14default_configENS1_22reduce_config_selectorIiEEZNS1_11reduce_implILb1ES3_PiS7_i9plus_mod3IiEEE10hipError_tPvRmT1_T2_T3_mT4_P12ihipStream_tbEUlT_E0_NS1_11comp_targetILNS1_3genE5ELNS1_11target_archE942ELNS1_3gpuE9ELNS1_3repE0EEENS1_30default_config_static_selectorELNS0_4arch9wavefront6targetE1EEEvSD_.num_named_barrier, 0
	.set _ZN7rocprim17ROCPRIM_400000_NS6detail17trampoline_kernelINS0_14default_configENS1_22reduce_config_selectorIiEEZNS1_11reduce_implILb1ES3_PiS7_i9plus_mod3IiEEE10hipError_tPvRmT1_T2_T3_mT4_P12ihipStream_tbEUlT_E0_NS1_11comp_targetILNS1_3genE5ELNS1_11target_archE942ELNS1_3gpuE9ELNS1_3repE0EEENS1_30default_config_static_selectorELNS0_4arch9wavefront6targetE1EEEvSD_.private_seg_size, 0
	.set _ZN7rocprim17ROCPRIM_400000_NS6detail17trampoline_kernelINS0_14default_configENS1_22reduce_config_selectorIiEEZNS1_11reduce_implILb1ES3_PiS7_i9plus_mod3IiEEE10hipError_tPvRmT1_T2_T3_mT4_P12ihipStream_tbEUlT_E0_NS1_11comp_targetILNS1_3genE5ELNS1_11target_archE942ELNS1_3gpuE9ELNS1_3repE0EEENS1_30default_config_static_selectorELNS0_4arch9wavefront6targetE1EEEvSD_.uses_vcc, 0
	.set _ZN7rocprim17ROCPRIM_400000_NS6detail17trampoline_kernelINS0_14default_configENS1_22reduce_config_selectorIiEEZNS1_11reduce_implILb1ES3_PiS7_i9plus_mod3IiEEE10hipError_tPvRmT1_T2_T3_mT4_P12ihipStream_tbEUlT_E0_NS1_11comp_targetILNS1_3genE5ELNS1_11target_archE942ELNS1_3gpuE9ELNS1_3repE0EEENS1_30default_config_static_selectorELNS0_4arch9wavefront6targetE1EEEvSD_.uses_flat_scratch, 0
	.set _ZN7rocprim17ROCPRIM_400000_NS6detail17trampoline_kernelINS0_14default_configENS1_22reduce_config_selectorIiEEZNS1_11reduce_implILb1ES3_PiS7_i9plus_mod3IiEEE10hipError_tPvRmT1_T2_T3_mT4_P12ihipStream_tbEUlT_E0_NS1_11comp_targetILNS1_3genE5ELNS1_11target_archE942ELNS1_3gpuE9ELNS1_3repE0EEENS1_30default_config_static_selectorELNS0_4arch9wavefront6targetE1EEEvSD_.has_dyn_sized_stack, 0
	.set _ZN7rocprim17ROCPRIM_400000_NS6detail17trampoline_kernelINS0_14default_configENS1_22reduce_config_selectorIiEEZNS1_11reduce_implILb1ES3_PiS7_i9plus_mod3IiEEE10hipError_tPvRmT1_T2_T3_mT4_P12ihipStream_tbEUlT_E0_NS1_11comp_targetILNS1_3genE5ELNS1_11target_archE942ELNS1_3gpuE9ELNS1_3repE0EEENS1_30default_config_static_selectorELNS0_4arch9wavefront6targetE1EEEvSD_.has_recursion, 0
	.set _ZN7rocprim17ROCPRIM_400000_NS6detail17trampoline_kernelINS0_14default_configENS1_22reduce_config_selectorIiEEZNS1_11reduce_implILb1ES3_PiS7_i9plus_mod3IiEEE10hipError_tPvRmT1_T2_T3_mT4_P12ihipStream_tbEUlT_E0_NS1_11comp_targetILNS1_3genE5ELNS1_11target_archE942ELNS1_3gpuE9ELNS1_3repE0EEENS1_30default_config_static_selectorELNS0_4arch9wavefront6targetE1EEEvSD_.has_indirect_call, 0
	.section	.AMDGPU.csdata,"",@progbits
; Kernel info:
; codeLenInByte = 0
; TotalNumSgprs: 6
; NumVgprs: 0
; NumAgprs: 0
; TotalNumVgprs: 0
; ScratchSize: 0
; MemoryBound: 0
; FloatMode: 240
; IeeeMode: 1
; LDSByteSize: 0 bytes/workgroup (compile time only)
; SGPRBlocks: 0
; VGPRBlocks: 0
; NumSGPRsForWavesPerEU: 6
; NumVGPRsForWavesPerEU: 1
; AccumOffset: 4
; Occupancy: 8
; WaveLimiterHint : 0
; COMPUTE_PGM_RSRC2:SCRATCH_EN: 0
; COMPUTE_PGM_RSRC2:USER_SGPR: 2
; COMPUTE_PGM_RSRC2:TRAP_HANDLER: 0
; COMPUTE_PGM_RSRC2:TGID_X_EN: 1
; COMPUTE_PGM_RSRC2:TGID_Y_EN: 0
; COMPUTE_PGM_RSRC2:TGID_Z_EN: 0
; COMPUTE_PGM_RSRC2:TIDIG_COMP_CNT: 0
; COMPUTE_PGM_RSRC3_GFX90A:ACCUM_OFFSET: 0
; COMPUTE_PGM_RSRC3_GFX90A:TG_SPLIT: 0
	.section	.text._ZN7rocprim17ROCPRIM_400000_NS6detail17trampoline_kernelINS0_14default_configENS1_22reduce_config_selectorIiEEZNS1_11reduce_implILb1ES3_PiS7_i9plus_mod3IiEEE10hipError_tPvRmT1_T2_T3_mT4_P12ihipStream_tbEUlT_E0_NS1_11comp_targetILNS1_3genE4ELNS1_11target_archE910ELNS1_3gpuE8ELNS1_3repE0EEENS1_30default_config_static_selectorELNS0_4arch9wavefront6targetE1EEEvSD_,"axG",@progbits,_ZN7rocprim17ROCPRIM_400000_NS6detail17trampoline_kernelINS0_14default_configENS1_22reduce_config_selectorIiEEZNS1_11reduce_implILb1ES3_PiS7_i9plus_mod3IiEEE10hipError_tPvRmT1_T2_T3_mT4_P12ihipStream_tbEUlT_E0_NS1_11comp_targetILNS1_3genE4ELNS1_11target_archE910ELNS1_3gpuE8ELNS1_3repE0EEENS1_30default_config_static_selectorELNS0_4arch9wavefront6targetE1EEEvSD_,comdat
	.protected	_ZN7rocprim17ROCPRIM_400000_NS6detail17trampoline_kernelINS0_14default_configENS1_22reduce_config_selectorIiEEZNS1_11reduce_implILb1ES3_PiS7_i9plus_mod3IiEEE10hipError_tPvRmT1_T2_T3_mT4_P12ihipStream_tbEUlT_E0_NS1_11comp_targetILNS1_3genE4ELNS1_11target_archE910ELNS1_3gpuE8ELNS1_3repE0EEENS1_30default_config_static_selectorELNS0_4arch9wavefront6targetE1EEEvSD_ ; -- Begin function _ZN7rocprim17ROCPRIM_400000_NS6detail17trampoline_kernelINS0_14default_configENS1_22reduce_config_selectorIiEEZNS1_11reduce_implILb1ES3_PiS7_i9plus_mod3IiEEE10hipError_tPvRmT1_T2_T3_mT4_P12ihipStream_tbEUlT_E0_NS1_11comp_targetILNS1_3genE4ELNS1_11target_archE910ELNS1_3gpuE8ELNS1_3repE0EEENS1_30default_config_static_selectorELNS0_4arch9wavefront6targetE1EEEvSD_
	.globl	_ZN7rocprim17ROCPRIM_400000_NS6detail17trampoline_kernelINS0_14default_configENS1_22reduce_config_selectorIiEEZNS1_11reduce_implILb1ES3_PiS7_i9plus_mod3IiEEE10hipError_tPvRmT1_T2_T3_mT4_P12ihipStream_tbEUlT_E0_NS1_11comp_targetILNS1_3genE4ELNS1_11target_archE910ELNS1_3gpuE8ELNS1_3repE0EEENS1_30default_config_static_selectorELNS0_4arch9wavefront6targetE1EEEvSD_
	.p2align	8
	.type	_ZN7rocprim17ROCPRIM_400000_NS6detail17trampoline_kernelINS0_14default_configENS1_22reduce_config_selectorIiEEZNS1_11reduce_implILb1ES3_PiS7_i9plus_mod3IiEEE10hipError_tPvRmT1_T2_T3_mT4_P12ihipStream_tbEUlT_E0_NS1_11comp_targetILNS1_3genE4ELNS1_11target_archE910ELNS1_3gpuE8ELNS1_3repE0EEENS1_30default_config_static_selectorELNS0_4arch9wavefront6targetE1EEEvSD_,@function
_ZN7rocprim17ROCPRIM_400000_NS6detail17trampoline_kernelINS0_14default_configENS1_22reduce_config_selectorIiEEZNS1_11reduce_implILb1ES3_PiS7_i9plus_mod3IiEEE10hipError_tPvRmT1_T2_T3_mT4_P12ihipStream_tbEUlT_E0_NS1_11comp_targetILNS1_3genE4ELNS1_11target_archE910ELNS1_3gpuE8ELNS1_3repE0EEENS1_30default_config_static_selectorELNS0_4arch9wavefront6targetE1EEEvSD_: ; @_ZN7rocprim17ROCPRIM_400000_NS6detail17trampoline_kernelINS0_14default_configENS1_22reduce_config_selectorIiEEZNS1_11reduce_implILb1ES3_PiS7_i9plus_mod3IiEEE10hipError_tPvRmT1_T2_T3_mT4_P12ihipStream_tbEUlT_E0_NS1_11comp_targetILNS1_3genE4ELNS1_11target_archE910ELNS1_3gpuE8ELNS1_3repE0EEENS1_30default_config_static_selectorELNS0_4arch9wavefront6targetE1EEEvSD_
; %bb.0:
	.section	.rodata,"a",@progbits
	.p2align	6, 0x0
	.amdhsa_kernel _ZN7rocprim17ROCPRIM_400000_NS6detail17trampoline_kernelINS0_14default_configENS1_22reduce_config_selectorIiEEZNS1_11reduce_implILb1ES3_PiS7_i9plus_mod3IiEEE10hipError_tPvRmT1_T2_T3_mT4_P12ihipStream_tbEUlT_E0_NS1_11comp_targetILNS1_3genE4ELNS1_11target_archE910ELNS1_3gpuE8ELNS1_3repE0EEENS1_30default_config_static_selectorELNS0_4arch9wavefront6targetE1EEEvSD_
		.amdhsa_group_segment_fixed_size 0
		.amdhsa_private_segment_fixed_size 0
		.amdhsa_kernarg_size 64
		.amdhsa_user_sgpr_count 2
		.amdhsa_user_sgpr_dispatch_ptr 0
		.amdhsa_user_sgpr_queue_ptr 0
		.amdhsa_user_sgpr_kernarg_segment_ptr 1
		.amdhsa_user_sgpr_dispatch_id 0
		.amdhsa_user_sgpr_kernarg_preload_length 0
		.amdhsa_user_sgpr_kernarg_preload_offset 0
		.amdhsa_user_sgpr_private_segment_size 0
		.amdhsa_uses_dynamic_stack 0
		.amdhsa_enable_private_segment 0
		.amdhsa_system_sgpr_workgroup_id_x 1
		.amdhsa_system_sgpr_workgroup_id_y 0
		.amdhsa_system_sgpr_workgroup_id_z 0
		.amdhsa_system_sgpr_workgroup_info 0
		.amdhsa_system_vgpr_workitem_id 0
		.amdhsa_next_free_vgpr 1
		.amdhsa_next_free_sgpr 0
		.amdhsa_accum_offset 4
		.amdhsa_reserve_vcc 0
		.amdhsa_float_round_mode_32 0
		.amdhsa_float_round_mode_16_64 0
		.amdhsa_float_denorm_mode_32 3
		.amdhsa_float_denorm_mode_16_64 3
		.amdhsa_dx10_clamp 1
		.amdhsa_ieee_mode 1
		.amdhsa_fp16_overflow 0
		.amdhsa_tg_split 0
		.amdhsa_exception_fp_ieee_invalid_op 0
		.amdhsa_exception_fp_denorm_src 0
		.amdhsa_exception_fp_ieee_div_zero 0
		.amdhsa_exception_fp_ieee_overflow 0
		.amdhsa_exception_fp_ieee_underflow 0
		.amdhsa_exception_fp_ieee_inexact 0
		.amdhsa_exception_int_div_zero 0
	.end_amdhsa_kernel
	.section	.text._ZN7rocprim17ROCPRIM_400000_NS6detail17trampoline_kernelINS0_14default_configENS1_22reduce_config_selectorIiEEZNS1_11reduce_implILb1ES3_PiS7_i9plus_mod3IiEEE10hipError_tPvRmT1_T2_T3_mT4_P12ihipStream_tbEUlT_E0_NS1_11comp_targetILNS1_3genE4ELNS1_11target_archE910ELNS1_3gpuE8ELNS1_3repE0EEENS1_30default_config_static_selectorELNS0_4arch9wavefront6targetE1EEEvSD_,"axG",@progbits,_ZN7rocprim17ROCPRIM_400000_NS6detail17trampoline_kernelINS0_14default_configENS1_22reduce_config_selectorIiEEZNS1_11reduce_implILb1ES3_PiS7_i9plus_mod3IiEEE10hipError_tPvRmT1_T2_T3_mT4_P12ihipStream_tbEUlT_E0_NS1_11comp_targetILNS1_3genE4ELNS1_11target_archE910ELNS1_3gpuE8ELNS1_3repE0EEENS1_30default_config_static_selectorELNS0_4arch9wavefront6targetE1EEEvSD_,comdat
.Lfunc_end913:
	.size	_ZN7rocprim17ROCPRIM_400000_NS6detail17trampoline_kernelINS0_14default_configENS1_22reduce_config_selectorIiEEZNS1_11reduce_implILb1ES3_PiS7_i9plus_mod3IiEEE10hipError_tPvRmT1_T2_T3_mT4_P12ihipStream_tbEUlT_E0_NS1_11comp_targetILNS1_3genE4ELNS1_11target_archE910ELNS1_3gpuE8ELNS1_3repE0EEENS1_30default_config_static_selectorELNS0_4arch9wavefront6targetE1EEEvSD_, .Lfunc_end913-_ZN7rocprim17ROCPRIM_400000_NS6detail17trampoline_kernelINS0_14default_configENS1_22reduce_config_selectorIiEEZNS1_11reduce_implILb1ES3_PiS7_i9plus_mod3IiEEE10hipError_tPvRmT1_T2_T3_mT4_P12ihipStream_tbEUlT_E0_NS1_11comp_targetILNS1_3genE4ELNS1_11target_archE910ELNS1_3gpuE8ELNS1_3repE0EEENS1_30default_config_static_selectorELNS0_4arch9wavefront6targetE1EEEvSD_
                                        ; -- End function
	.set _ZN7rocprim17ROCPRIM_400000_NS6detail17trampoline_kernelINS0_14default_configENS1_22reduce_config_selectorIiEEZNS1_11reduce_implILb1ES3_PiS7_i9plus_mod3IiEEE10hipError_tPvRmT1_T2_T3_mT4_P12ihipStream_tbEUlT_E0_NS1_11comp_targetILNS1_3genE4ELNS1_11target_archE910ELNS1_3gpuE8ELNS1_3repE0EEENS1_30default_config_static_selectorELNS0_4arch9wavefront6targetE1EEEvSD_.num_vgpr, 0
	.set _ZN7rocprim17ROCPRIM_400000_NS6detail17trampoline_kernelINS0_14default_configENS1_22reduce_config_selectorIiEEZNS1_11reduce_implILb1ES3_PiS7_i9plus_mod3IiEEE10hipError_tPvRmT1_T2_T3_mT4_P12ihipStream_tbEUlT_E0_NS1_11comp_targetILNS1_3genE4ELNS1_11target_archE910ELNS1_3gpuE8ELNS1_3repE0EEENS1_30default_config_static_selectorELNS0_4arch9wavefront6targetE1EEEvSD_.num_agpr, 0
	.set _ZN7rocprim17ROCPRIM_400000_NS6detail17trampoline_kernelINS0_14default_configENS1_22reduce_config_selectorIiEEZNS1_11reduce_implILb1ES3_PiS7_i9plus_mod3IiEEE10hipError_tPvRmT1_T2_T3_mT4_P12ihipStream_tbEUlT_E0_NS1_11comp_targetILNS1_3genE4ELNS1_11target_archE910ELNS1_3gpuE8ELNS1_3repE0EEENS1_30default_config_static_selectorELNS0_4arch9wavefront6targetE1EEEvSD_.numbered_sgpr, 0
	.set _ZN7rocprim17ROCPRIM_400000_NS6detail17trampoline_kernelINS0_14default_configENS1_22reduce_config_selectorIiEEZNS1_11reduce_implILb1ES3_PiS7_i9plus_mod3IiEEE10hipError_tPvRmT1_T2_T3_mT4_P12ihipStream_tbEUlT_E0_NS1_11comp_targetILNS1_3genE4ELNS1_11target_archE910ELNS1_3gpuE8ELNS1_3repE0EEENS1_30default_config_static_selectorELNS0_4arch9wavefront6targetE1EEEvSD_.num_named_barrier, 0
	.set _ZN7rocprim17ROCPRIM_400000_NS6detail17trampoline_kernelINS0_14default_configENS1_22reduce_config_selectorIiEEZNS1_11reduce_implILb1ES3_PiS7_i9plus_mod3IiEEE10hipError_tPvRmT1_T2_T3_mT4_P12ihipStream_tbEUlT_E0_NS1_11comp_targetILNS1_3genE4ELNS1_11target_archE910ELNS1_3gpuE8ELNS1_3repE0EEENS1_30default_config_static_selectorELNS0_4arch9wavefront6targetE1EEEvSD_.private_seg_size, 0
	.set _ZN7rocprim17ROCPRIM_400000_NS6detail17trampoline_kernelINS0_14default_configENS1_22reduce_config_selectorIiEEZNS1_11reduce_implILb1ES3_PiS7_i9plus_mod3IiEEE10hipError_tPvRmT1_T2_T3_mT4_P12ihipStream_tbEUlT_E0_NS1_11comp_targetILNS1_3genE4ELNS1_11target_archE910ELNS1_3gpuE8ELNS1_3repE0EEENS1_30default_config_static_selectorELNS0_4arch9wavefront6targetE1EEEvSD_.uses_vcc, 0
	.set _ZN7rocprim17ROCPRIM_400000_NS6detail17trampoline_kernelINS0_14default_configENS1_22reduce_config_selectorIiEEZNS1_11reduce_implILb1ES3_PiS7_i9plus_mod3IiEEE10hipError_tPvRmT1_T2_T3_mT4_P12ihipStream_tbEUlT_E0_NS1_11comp_targetILNS1_3genE4ELNS1_11target_archE910ELNS1_3gpuE8ELNS1_3repE0EEENS1_30default_config_static_selectorELNS0_4arch9wavefront6targetE1EEEvSD_.uses_flat_scratch, 0
	.set _ZN7rocprim17ROCPRIM_400000_NS6detail17trampoline_kernelINS0_14default_configENS1_22reduce_config_selectorIiEEZNS1_11reduce_implILb1ES3_PiS7_i9plus_mod3IiEEE10hipError_tPvRmT1_T2_T3_mT4_P12ihipStream_tbEUlT_E0_NS1_11comp_targetILNS1_3genE4ELNS1_11target_archE910ELNS1_3gpuE8ELNS1_3repE0EEENS1_30default_config_static_selectorELNS0_4arch9wavefront6targetE1EEEvSD_.has_dyn_sized_stack, 0
	.set _ZN7rocprim17ROCPRIM_400000_NS6detail17trampoline_kernelINS0_14default_configENS1_22reduce_config_selectorIiEEZNS1_11reduce_implILb1ES3_PiS7_i9plus_mod3IiEEE10hipError_tPvRmT1_T2_T3_mT4_P12ihipStream_tbEUlT_E0_NS1_11comp_targetILNS1_3genE4ELNS1_11target_archE910ELNS1_3gpuE8ELNS1_3repE0EEENS1_30default_config_static_selectorELNS0_4arch9wavefront6targetE1EEEvSD_.has_recursion, 0
	.set _ZN7rocprim17ROCPRIM_400000_NS6detail17trampoline_kernelINS0_14default_configENS1_22reduce_config_selectorIiEEZNS1_11reduce_implILb1ES3_PiS7_i9plus_mod3IiEEE10hipError_tPvRmT1_T2_T3_mT4_P12ihipStream_tbEUlT_E0_NS1_11comp_targetILNS1_3genE4ELNS1_11target_archE910ELNS1_3gpuE8ELNS1_3repE0EEENS1_30default_config_static_selectorELNS0_4arch9wavefront6targetE1EEEvSD_.has_indirect_call, 0
	.section	.AMDGPU.csdata,"",@progbits
; Kernel info:
; codeLenInByte = 0
; TotalNumSgprs: 6
; NumVgprs: 0
; NumAgprs: 0
; TotalNumVgprs: 0
; ScratchSize: 0
; MemoryBound: 0
; FloatMode: 240
; IeeeMode: 1
; LDSByteSize: 0 bytes/workgroup (compile time only)
; SGPRBlocks: 0
; VGPRBlocks: 0
; NumSGPRsForWavesPerEU: 6
; NumVGPRsForWavesPerEU: 1
; AccumOffset: 4
; Occupancy: 8
; WaveLimiterHint : 0
; COMPUTE_PGM_RSRC2:SCRATCH_EN: 0
; COMPUTE_PGM_RSRC2:USER_SGPR: 2
; COMPUTE_PGM_RSRC2:TRAP_HANDLER: 0
; COMPUTE_PGM_RSRC2:TGID_X_EN: 1
; COMPUTE_PGM_RSRC2:TGID_Y_EN: 0
; COMPUTE_PGM_RSRC2:TGID_Z_EN: 0
; COMPUTE_PGM_RSRC2:TIDIG_COMP_CNT: 0
; COMPUTE_PGM_RSRC3_GFX90A:ACCUM_OFFSET: 0
; COMPUTE_PGM_RSRC3_GFX90A:TG_SPLIT: 0
	.section	.text._ZN7rocprim17ROCPRIM_400000_NS6detail17trampoline_kernelINS0_14default_configENS1_22reduce_config_selectorIiEEZNS1_11reduce_implILb1ES3_PiS7_i9plus_mod3IiEEE10hipError_tPvRmT1_T2_T3_mT4_P12ihipStream_tbEUlT_E0_NS1_11comp_targetILNS1_3genE3ELNS1_11target_archE908ELNS1_3gpuE7ELNS1_3repE0EEENS1_30default_config_static_selectorELNS0_4arch9wavefront6targetE1EEEvSD_,"axG",@progbits,_ZN7rocprim17ROCPRIM_400000_NS6detail17trampoline_kernelINS0_14default_configENS1_22reduce_config_selectorIiEEZNS1_11reduce_implILb1ES3_PiS7_i9plus_mod3IiEEE10hipError_tPvRmT1_T2_T3_mT4_P12ihipStream_tbEUlT_E0_NS1_11comp_targetILNS1_3genE3ELNS1_11target_archE908ELNS1_3gpuE7ELNS1_3repE0EEENS1_30default_config_static_selectorELNS0_4arch9wavefront6targetE1EEEvSD_,comdat
	.protected	_ZN7rocprim17ROCPRIM_400000_NS6detail17trampoline_kernelINS0_14default_configENS1_22reduce_config_selectorIiEEZNS1_11reduce_implILb1ES3_PiS7_i9plus_mod3IiEEE10hipError_tPvRmT1_T2_T3_mT4_P12ihipStream_tbEUlT_E0_NS1_11comp_targetILNS1_3genE3ELNS1_11target_archE908ELNS1_3gpuE7ELNS1_3repE0EEENS1_30default_config_static_selectorELNS0_4arch9wavefront6targetE1EEEvSD_ ; -- Begin function _ZN7rocprim17ROCPRIM_400000_NS6detail17trampoline_kernelINS0_14default_configENS1_22reduce_config_selectorIiEEZNS1_11reduce_implILb1ES3_PiS7_i9plus_mod3IiEEE10hipError_tPvRmT1_T2_T3_mT4_P12ihipStream_tbEUlT_E0_NS1_11comp_targetILNS1_3genE3ELNS1_11target_archE908ELNS1_3gpuE7ELNS1_3repE0EEENS1_30default_config_static_selectorELNS0_4arch9wavefront6targetE1EEEvSD_
	.globl	_ZN7rocprim17ROCPRIM_400000_NS6detail17trampoline_kernelINS0_14default_configENS1_22reduce_config_selectorIiEEZNS1_11reduce_implILb1ES3_PiS7_i9plus_mod3IiEEE10hipError_tPvRmT1_T2_T3_mT4_P12ihipStream_tbEUlT_E0_NS1_11comp_targetILNS1_3genE3ELNS1_11target_archE908ELNS1_3gpuE7ELNS1_3repE0EEENS1_30default_config_static_selectorELNS0_4arch9wavefront6targetE1EEEvSD_
	.p2align	8
	.type	_ZN7rocprim17ROCPRIM_400000_NS6detail17trampoline_kernelINS0_14default_configENS1_22reduce_config_selectorIiEEZNS1_11reduce_implILb1ES3_PiS7_i9plus_mod3IiEEE10hipError_tPvRmT1_T2_T3_mT4_P12ihipStream_tbEUlT_E0_NS1_11comp_targetILNS1_3genE3ELNS1_11target_archE908ELNS1_3gpuE7ELNS1_3repE0EEENS1_30default_config_static_selectorELNS0_4arch9wavefront6targetE1EEEvSD_,@function
_ZN7rocprim17ROCPRIM_400000_NS6detail17trampoline_kernelINS0_14default_configENS1_22reduce_config_selectorIiEEZNS1_11reduce_implILb1ES3_PiS7_i9plus_mod3IiEEE10hipError_tPvRmT1_T2_T3_mT4_P12ihipStream_tbEUlT_E0_NS1_11comp_targetILNS1_3genE3ELNS1_11target_archE908ELNS1_3gpuE7ELNS1_3repE0EEENS1_30default_config_static_selectorELNS0_4arch9wavefront6targetE1EEEvSD_: ; @_ZN7rocprim17ROCPRIM_400000_NS6detail17trampoline_kernelINS0_14default_configENS1_22reduce_config_selectorIiEEZNS1_11reduce_implILb1ES3_PiS7_i9plus_mod3IiEEE10hipError_tPvRmT1_T2_T3_mT4_P12ihipStream_tbEUlT_E0_NS1_11comp_targetILNS1_3genE3ELNS1_11target_archE908ELNS1_3gpuE7ELNS1_3repE0EEENS1_30default_config_static_selectorELNS0_4arch9wavefront6targetE1EEEvSD_
; %bb.0:
	.section	.rodata,"a",@progbits
	.p2align	6, 0x0
	.amdhsa_kernel _ZN7rocprim17ROCPRIM_400000_NS6detail17trampoline_kernelINS0_14default_configENS1_22reduce_config_selectorIiEEZNS1_11reduce_implILb1ES3_PiS7_i9plus_mod3IiEEE10hipError_tPvRmT1_T2_T3_mT4_P12ihipStream_tbEUlT_E0_NS1_11comp_targetILNS1_3genE3ELNS1_11target_archE908ELNS1_3gpuE7ELNS1_3repE0EEENS1_30default_config_static_selectorELNS0_4arch9wavefront6targetE1EEEvSD_
		.amdhsa_group_segment_fixed_size 0
		.amdhsa_private_segment_fixed_size 0
		.amdhsa_kernarg_size 64
		.amdhsa_user_sgpr_count 2
		.amdhsa_user_sgpr_dispatch_ptr 0
		.amdhsa_user_sgpr_queue_ptr 0
		.amdhsa_user_sgpr_kernarg_segment_ptr 1
		.amdhsa_user_sgpr_dispatch_id 0
		.amdhsa_user_sgpr_kernarg_preload_length 0
		.amdhsa_user_sgpr_kernarg_preload_offset 0
		.amdhsa_user_sgpr_private_segment_size 0
		.amdhsa_uses_dynamic_stack 0
		.amdhsa_enable_private_segment 0
		.amdhsa_system_sgpr_workgroup_id_x 1
		.amdhsa_system_sgpr_workgroup_id_y 0
		.amdhsa_system_sgpr_workgroup_id_z 0
		.amdhsa_system_sgpr_workgroup_info 0
		.amdhsa_system_vgpr_workitem_id 0
		.amdhsa_next_free_vgpr 1
		.amdhsa_next_free_sgpr 0
		.amdhsa_accum_offset 4
		.amdhsa_reserve_vcc 0
		.amdhsa_float_round_mode_32 0
		.amdhsa_float_round_mode_16_64 0
		.amdhsa_float_denorm_mode_32 3
		.amdhsa_float_denorm_mode_16_64 3
		.amdhsa_dx10_clamp 1
		.amdhsa_ieee_mode 1
		.amdhsa_fp16_overflow 0
		.amdhsa_tg_split 0
		.amdhsa_exception_fp_ieee_invalid_op 0
		.amdhsa_exception_fp_denorm_src 0
		.amdhsa_exception_fp_ieee_div_zero 0
		.amdhsa_exception_fp_ieee_overflow 0
		.amdhsa_exception_fp_ieee_underflow 0
		.amdhsa_exception_fp_ieee_inexact 0
		.amdhsa_exception_int_div_zero 0
	.end_amdhsa_kernel
	.section	.text._ZN7rocprim17ROCPRIM_400000_NS6detail17trampoline_kernelINS0_14default_configENS1_22reduce_config_selectorIiEEZNS1_11reduce_implILb1ES3_PiS7_i9plus_mod3IiEEE10hipError_tPvRmT1_T2_T3_mT4_P12ihipStream_tbEUlT_E0_NS1_11comp_targetILNS1_3genE3ELNS1_11target_archE908ELNS1_3gpuE7ELNS1_3repE0EEENS1_30default_config_static_selectorELNS0_4arch9wavefront6targetE1EEEvSD_,"axG",@progbits,_ZN7rocprim17ROCPRIM_400000_NS6detail17trampoline_kernelINS0_14default_configENS1_22reduce_config_selectorIiEEZNS1_11reduce_implILb1ES3_PiS7_i9plus_mod3IiEEE10hipError_tPvRmT1_T2_T3_mT4_P12ihipStream_tbEUlT_E0_NS1_11comp_targetILNS1_3genE3ELNS1_11target_archE908ELNS1_3gpuE7ELNS1_3repE0EEENS1_30default_config_static_selectorELNS0_4arch9wavefront6targetE1EEEvSD_,comdat
.Lfunc_end914:
	.size	_ZN7rocprim17ROCPRIM_400000_NS6detail17trampoline_kernelINS0_14default_configENS1_22reduce_config_selectorIiEEZNS1_11reduce_implILb1ES3_PiS7_i9plus_mod3IiEEE10hipError_tPvRmT1_T2_T3_mT4_P12ihipStream_tbEUlT_E0_NS1_11comp_targetILNS1_3genE3ELNS1_11target_archE908ELNS1_3gpuE7ELNS1_3repE0EEENS1_30default_config_static_selectorELNS0_4arch9wavefront6targetE1EEEvSD_, .Lfunc_end914-_ZN7rocprim17ROCPRIM_400000_NS6detail17trampoline_kernelINS0_14default_configENS1_22reduce_config_selectorIiEEZNS1_11reduce_implILb1ES3_PiS7_i9plus_mod3IiEEE10hipError_tPvRmT1_T2_T3_mT4_P12ihipStream_tbEUlT_E0_NS1_11comp_targetILNS1_3genE3ELNS1_11target_archE908ELNS1_3gpuE7ELNS1_3repE0EEENS1_30default_config_static_selectorELNS0_4arch9wavefront6targetE1EEEvSD_
                                        ; -- End function
	.set _ZN7rocprim17ROCPRIM_400000_NS6detail17trampoline_kernelINS0_14default_configENS1_22reduce_config_selectorIiEEZNS1_11reduce_implILb1ES3_PiS7_i9plus_mod3IiEEE10hipError_tPvRmT1_T2_T3_mT4_P12ihipStream_tbEUlT_E0_NS1_11comp_targetILNS1_3genE3ELNS1_11target_archE908ELNS1_3gpuE7ELNS1_3repE0EEENS1_30default_config_static_selectorELNS0_4arch9wavefront6targetE1EEEvSD_.num_vgpr, 0
	.set _ZN7rocprim17ROCPRIM_400000_NS6detail17trampoline_kernelINS0_14default_configENS1_22reduce_config_selectorIiEEZNS1_11reduce_implILb1ES3_PiS7_i9plus_mod3IiEEE10hipError_tPvRmT1_T2_T3_mT4_P12ihipStream_tbEUlT_E0_NS1_11comp_targetILNS1_3genE3ELNS1_11target_archE908ELNS1_3gpuE7ELNS1_3repE0EEENS1_30default_config_static_selectorELNS0_4arch9wavefront6targetE1EEEvSD_.num_agpr, 0
	.set _ZN7rocprim17ROCPRIM_400000_NS6detail17trampoline_kernelINS0_14default_configENS1_22reduce_config_selectorIiEEZNS1_11reduce_implILb1ES3_PiS7_i9plus_mod3IiEEE10hipError_tPvRmT1_T2_T3_mT4_P12ihipStream_tbEUlT_E0_NS1_11comp_targetILNS1_3genE3ELNS1_11target_archE908ELNS1_3gpuE7ELNS1_3repE0EEENS1_30default_config_static_selectorELNS0_4arch9wavefront6targetE1EEEvSD_.numbered_sgpr, 0
	.set _ZN7rocprim17ROCPRIM_400000_NS6detail17trampoline_kernelINS0_14default_configENS1_22reduce_config_selectorIiEEZNS1_11reduce_implILb1ES3_PiS7_i9plus_mod3IiEEE10hipError_tPvRmT1_T2_T3_mT4_P12ihipStream_tbEUlT_E0_NS1_11comp_targetILNS1_3genE3ELNS1_11target_archE908ELNS1_3gpuE7ELNS1_3repE0EEENS1_30default_config_static_selectorELNS0_4arch9wavefront6targetE1EEEvSD_.num_named_barrier, 0
	.set _ZN7rocprim17ROCPRIM_400000_NS6detail17trampoline_kernelINS0_14default_configENS1_22reduce_config_selectorIiEEZNS1_11reduce_implILb1ES3_PiS7_i9plus_mod3IiEEE10hipError_tPvRmT1_T2_T3_mT4_P12ihipStream_tbEUlT_E0_NS1_11comp_targetILNS1_3genE3ELNS1_11target_archE908ELNS1_3gpuE7ELNS1_3repE0EEENS1_30default_config_static_selectorELNS0_4arch9wavefront6targetE1EEEvSD_.private_seg_size, 0
	.set _ZN7rocprim17ROCPRIM_400000_NS6detail17trampoline_kernelINS0_14default_configENS1_22reduce_config_selectorIiEEZNS1_11reduce_implILb1ES3_PiS7_i9plus_mod3IiEEE10hipError_tPvRmT1_T2_T3_mT4_P12ihipStream_tbEUlT_E0_NS1_11comp_targetILNS1_3genE3ELNS1_11target_archE908ELNS1_3gpuE7ELNS1_3repE0EEENS1_30default_config_static_selectorELNS0_4arch9wavefront6targetE1EEEvSD_.uses_vcc, 0
	.set _ZN7rocprim17ROCPRIM_400000_NS6detail17trampoline_kernelINS0_14default_configENS1_22reduce_config_selectorIiEEZNS1_11reduce_implILb1ES3_PiS7_i9plus_mod3IiEEE10hipError_tPvRmT1_T2_T3_mT4_P12ihipStream_tbEUlT_E0_NS1_11comp_targetILNS1_3genE3ELNS1_11target_archE908ELNS1_3gpuE7ELNS1_3repE0EEENS1_30default_config_static_selectorELNS0_4arch9wavefront6targetE1EEEvSD_.uses_flat_scratch, 0
	.set _ZN7rocprim17ROCPRIM_400000_NS6detail17trampoline_kernelINS0_14default_configENS1_22reduce_config_selectorIiEEZNS1_11reduce_implILb1ES3_PiS7_i9plus_mod3IiEEE10hipError_tPvRmT1_T2_T3_mT4_P12ihipStream_tbEUlT_E0_NS1_11comp_targetILNS1_3genE3ELNS1_11target_archE908ELNS1_3gpuE7ELNS1_3repE0EEENS1_30default_config_static_selectorELNS0_4arch9wavefront6targetE1EEEvSD_.has_dyn_sized_stack, 0
	.set _ZN7rocprim17ROCPRIM_400000_NS6detail17trampoline_kernelINS0_14default_configENS1_22reduce_config_selectorIiEEZNS1_11reduce_implILb1ES3_PiS7_i9plus_mod3IiEEE10hipError_tPvRmT1_T2_T3_mT4_P12ihipStream_tbEUlT_E0_NS1_11comp_targetILNS1_3genE3ELNS1_11target_archE908ELNS1_3gpuE7ELNS1_3repE0EEENS1_30default_config_static_selectorELNS0_4arch9wavefront6targetE1EEEvSD_.has_recursion, 0
	.set _ZN7rocprim17ROCPRIM_400000_NS6detail17trampoline_kernelINS0_14default_configENS1_22reduce_config_selectorIiEEZNS1_11reduce_implILb1ES3_PiS7_i9plus_mod3IiEEE10hipError_tPvRmT1_T2_T3_mT4_P12ihipStream_tbEUlT_E0_NS1_11comp_targetILNS1_3genE3ELNS1_11target_archE908ELNS1_3gpuE7ELNS1_3repE0EEENS1_30default_config_static_selectorELNS0_4arch9wavefront6targetE1EEEvSD_.has_indirect_call, 0
	.section	.AMDGPU.csdata,"",@progbits
; Kernel info:
; codeLenInByte = 0
; TotalNumSgprs: 6
; NumVgprs: 0
; NumAgprs: 0
; TotalNumVgprs: 0
; ScratchSize: 0
; MemoryBound: 0
; FloatMode: 240
; IeeeMode: 1
; LDSByteSize: 0 bytes/workgroup (compile time only)
; SGPRBlocks: 0
; VGPRBlocks: 0
; NumSGPRsForWavesPerEU: 6
; NumVGPRsForWavesPerEU: 1
; AccumOffset: 4
; Occupancy: 8
; WaveLimiterHint : 0
; COMPUTE_PGM_RSRC2:SCRATCH_EN: 0
; COMPUTE_PGM_RSRC2:USER_SGPR: 2
; COMPUTE_PGM_RSRC2:TRAP_HANDLER: 0
; COMPUTE_PGM_RSRC2:TGID_X_EN: 1
; COMPUTE_PGM_RSRC2:TGID_Y_EN: 0
; COMPUTE_PGM_RSRC2:TGID_Z_EN: 0
; COMPUTE_PGM_RSRC2:TIDIG_COMP_CNT: 0
; COMPUTE_PGM_RSRC3_GFX90A:ACCUM_OFFSET: 0
; COMPUTE_PGM_RSRC3_GFX90A:TG_SPLIT: 0
	.section	.text._ZN7rocprim17ROCPRIM_400000_NS6detail17trampoline_kernelINS0_14default_configENS1_22reduce_config_selectorIiEEZNS1_11reduce_implILb1ES3_PiS7_i9plus_mod3IiEEE10hipError_tPvRmT1_T2_T3_mT4_P12ihipStream_tbEUlT_E0_NS1_11comp_targetILNS1_3genE2ELNS1_11target_archE906ELNS1_3gpuE6ELNS1_3repE0EEENS1_30default_config_static_selectorELNS0_4arch9wavefront6targetE1EEEvSD_,"axG",@progbits,_ZN7rocprim17ROCPRIM_400000_NS6detail17trampoline_kernelINS0_14default_configENS1_22reduce_config_selectorIiEEZNS1_11reduce_implILb1ES3_PiS7_i9plus_mod3IiEEE10hipError_tPvRmT1_T2_T3_mT4_P12ihipStream_tbEUlT_E0_NS1_11comp_targetILNS1_3genE2ELNS1_11target_archE906ELNS1_3gpuE6ELNS1_3repE0EEENS1_30default_config_static_selectorELNS0_4arch9wavefront6targetE1EEEvSD_,comdat
	.protected	_ZN7rocprim17ROCPRIM_400000_NS6detail17trampoline_kernelINS0_14default_configENS1_22reduce_config_selectorIiEEZNS1_11reduce_implILb1ES3_PiS7_i9plus_mod3IiEEE10hipError_tPvRmT1_T2_T3_mT4_P12ihipStream_tbEUlT_E0_NS1_11comp_targetILNS1_3genE2ELNS1_11target_archE906ELNS1_3gpuE6ELNS1_3repE0EEENS1_30default_config_static_selectorELNS0_4arch9wavefront6targetE1EEEvSD_ ; -- Begin function _ZN7rocprim17ROCPRIM_400000_NS6detail17trampoline_kernelINS0_14default_configENS1_22reduce_config_selectorIiEEZNS1_11reduce_implILb1ES3_PiS7_i9plus_mod3IiEEE10hipError_tPvRmT1_T2_T3_mT4_P12ihipStream_tbEUlT_E0_NS1_11comp_targetILNS1_3genE2ELNS1_11target_archE906ELNS1_3gpuE6ELNS1_3repE0EEENS1_30default_config_static_selectorELNS0_4arch9wavefront6targetE1EEEvSD_
	.globl	_ZN7rocprim17ROCPRIM_400000_NS6detail17trampoline_kernelINS0_14default_configENS1_22reduce_config_selectorIiEEZNS1_11reduce_implILb1ES3_PiS7_i9plus_mod3IiEEE10hipError_tPvRmT1_T2_T3_mT4_P12ihipStream_tbEUlT_E0_NS1_11comp_targetILNS1_3genE2ELNS1_11target_archE906ELNS1_3gpuE6ELNS1_3repE0EEENS1_30default_config_static_selectorELNS0_4arch9wavefront6targetE1EEEvSD_
	.p2align	8
	.type	_ZN7rocprim17ROCPRIM_400000_NS6detail17trampoline_kernelINS0_14default_configENS1_22reduce_config_selectorIiEEZNS1_11reduce_implILb1ES3_PiS7_i9plus_mod3IiEEE10hipError_tPvRmT1_T2_T3_mT4_P12ihipStream_tbEUlT_E0_NS1_11comp_targetILNS1_3genE2ELNS1_11target_archE906ELNS1_3gpuE6ELNS1_3repE0EEENS1_30default_config_static_selectorELNS0_4arch9wavefront6targetE1EEEvSD_,@function
_ZN7rocprim17ROCPRIM_400000_NS6detail17trampoline_kernelINS0_14default_configENS1_22reduce_config_selectorIiEEZNS1_11reduce_implILb1ES3_PiS7_i9plus_mod3IiEEE10hipError_tPvRmT1_T2_T3_mT4_P12ihipStream_tbEUlT_E0_NS1_11comp_targetILNS1_3genE2ELNS1_11target_archE906ELNS1_3gpuE6ELNS1_3repE0EEENS1_30default_config_static_selectorELNS0_4arch9wavefront6targetE1EEEvSD_: ; @_ZN7rocprim17ROCPRIM_400000_NS6detail17trampoline_kernelINS0_14default_configENS1_22reduce_config_selectorIiEEZNS1_11reduce_implILb1ES3_PiS7_i9plus_mod3IiEEE10hipError_tPvRmT1_T2_T3_mT4_P12ihipStream_tbEUlT_E0_NS1_11comp_targetILNS1_3genE2ELNS1_11target_archE906ELNS1_3gpuE6ELNS1_3repE0EEENS1_30default_config_static_selectorELNS0_4arch9wavefront6targetE1EEEvSD_
; %bb.0:
	.section	.rodata,"a",@progbits
	.p2align	6, 0x0
	.amdhsa_kernel _ZN7rocprim17ROCPRIM_400000_NS6detail17trampoline_kernelINS0_14default_configENS1_22reduce_config_selectorIiEEZNS1_11reduce_implILb1ES3_PiS7_i9plus_mod3IiEEE10hipError_tPvRmT1_T2_T3_mT4_P12ihipStream_tbEUlT_E0_NS1_11comp_targetILNS1_3genE2ELNS1_11target_archE906ELNS1_3gpuE6ELNS1_3repE0EEENS1_30default_config_static_selectorELNS0_4arch9wavefront6targetE1EEEvSD_
		.amdhsa_group_segment_fixed_size 0
		.amdhsa_private_segment_fixed_size 0
		.amdhsa_kernarg_size 64
		.amdhsa_user_sgpr_count 2
		.amdhsa_user_sgpr_dispatch_ptr 0
		.amdhsa_user_sgpr_queue_ptr 0
		.amdhsa_user_sgpr_kernarg_segment_ptr 1
		.amdhsa_user_sgpr_dispatch_id 0
		.amdhsa_user_sgpr_kernarg_preload_length 0
		.amdhsa_user_sgpr_kernarg_preload_offset 0
		.amdhsa_user_sgpr_private_segment_size 0
		.amdhsa_uses_dynamic_stack 0
		.amdhsa_enable_private_segment 0
		.amdhsa_system_sgpr_workgroup_id_x 1
		.amdhsa_system_sgpr_workgroup_id_y 0
		.amdhsa_system_sgpr_workgroup_id_z 0
		.amdhsa_system_sgpr_workgroup_info 0
		.amdhsa_system_vgpr_workitem_id 0
		.amdhsa_next_free_vgpr 1
		.amdhsa_next_free_sgpr 0
		.amdhsa_accum_offset 4
		.amdhsa_reserve_vcc 0
		.amdhsa_float_round_mode_32 0
		.amdhsa_float_round_mode_16_64 0
		.amdhsa_float_denorm_mode_32 3
		.amdhsa_float_denorm_mode_16_64 3
		.amdhsa_dx10_clamp 1
		.amdhsa_ieee_mode 1
		.amdhsa_fp16_overflow 0
		.amdhsa_tg_split 0
		.amdhsa_exception_fp_ieee_invalid_op 0
		.amdhsa_exception_fp_denorm_src 0
		.amdhsa_exception_fp_ieee_div_zero 0
		.amdhsa_exception_fp_ieee_overflow 0
		.amdhsa_exception_fp_ieee_underflow 0
		.amdhsa_exception_fp_ieee_inexact 0
		.amdhsa_exception_int_div_zero 0
	.end_amdhsa_kernel
	.section	.text._ZN7rocprim17ROCPRIM_400000_NS6detail17trampoline_kernelINS0_14default_configENS1_22reduce_config_selectorIiEEZNS1_11reduce_implILb1ES3_PiS7_i9plus_mod3IiEEE10hipError_tPvRmT1_T2_T3_mT4_P12ihipStream_tbEUlT_E0_NS1_11comp_targetILNS1_3genE2ELNS1_11target_archE906ELNS1_3gpuE6ELNS1_3repE0EEENS1_30default_config_static_selectorELNS0_4arch9wavefront6targetE1EEEvSD_,"axG",@progbits,_ZN7rocprim17ROCPRIM_400000_NS6detail17trampoline_kernelINS0_14default_configENS1_22reduce_config_selectorIiEEZNS1_11reduce_implILb1ES3_PiS7_i9plus_mod3IiEEE10hipError_tPvRmT1_T2_T3_mT4_P12ihipStream_tbEUlT_E0_NS1_11comp_targetILNS1_3genE2ELNS1_11target_archE906ELNS1_3gpuE6ELNS1_3repE0EEENS1_30default_config_static_selectorELNS0_4arch9wavefront6targetE1EEEvSD_,comdat
.Lfunc_end915:
	.size	_ZN7rocprim17ROCPRIM_400000_NS6detail17trampoline_kernelINS0_14default_configENS1_22reduce_config_selectorIiEEZNS1_11reduce_implILb1ES3_PiS7_i9plus_mod3IiEEE10hipError_tPvRmT1_T2_T3_mT4_P12ihipStream_tbEUlT_E0_NS1_11comp_targetILNS1_3genE2ELNS1_11target_archE906ELNS1_3gpuE6ELNS1_3repE0EEENS1_30default_config_static_selectorELNS0_4arch9wavefront6targetE1EEEvSD_, .Lfunc_end915-_ZN7rocprim17ROCPRIM_400000_NS6detail17trampoline_kernelINS0_14default_configENS1_22reduce_config_selectorIiEEZNS1_11reduce_implILb1ES3_PiS7_i9plus_mod3IiEEE10hipError_tPvRmT1_T2_T3_mT4_P12ihipStream_tbEUlT_E0_NS1_11comp_targetILNS1_3genE2ELNS1_11target_archE906ELNS1_3gpuE6ELNS1_3repE0EEENS1_30default_config_static_selectorELNS0_4arch9wavefront6targetE1EEEvSD_
                                        ; -- End function
	.set _ZN7rocprim17ROCPRIM_400000_NS6detail17trampoline_kernelINS0_14default_configENS1_22reduce_config_selectorIiEEZNS1_11reduce_implILb1ES3_PiS7_i9plus_mod3IiEEE10hipError_tPvRmT1_T2_T3_mT4_P12ihipStream_tbEUlT_E0_NS1_11comp_targetILNS1_3genE2ELNS1_11target_archE906ELNS1_3gpuE6ELNS1_3repE0EEENS1_30default_config_static_selectorELNS0_4arch9wavefront6targetE1EEEvSD_.num_vgpr, 0
	.set _ZN7rocprim17ROCPRIM_400000_NS6detail17trampoline_kernelINS0_14default_configENS1_22reduce_config_selectorIiEEZNS1_11reduce_implILb1ES3_PiS7_i9plus_mod3IiEEE10hipError_tPvRmT1_T2_T3_mT4_P12ihipStream_tbEUlT_E0_NS1_11comp_targetILNS1_3genE2ELNS1_11target_archE906ELNS1_3gpuE6ELNS1_3repE0EEENS1_30default_config_static_selectorELNS0_4arch9wavefront6targetE1EEEvSD_.num_agpr, 0
	.set _ZN7rocprim17ROCPRIM_400000_NS6detail17trampoline_kernelINS0_14default_configENS1_22reduce_config_selectorIiEEZNS1_11reduce_implILb1ES3_PiS7_i9plus_mod3IiEEE10hipError_tPvRmT1_T2_T3_mT4_P12ihipStream_tbEUlT_E0_NS1_11comp_targetILNS1_3genE2ELNS1_11target_archE906ELNS1_3gpuE6ELNS1_3repE0EEENS1_30default_config_static_selectorELNS0_4arch9wavefront6targetE1EEEvSD_.numbered_sgpr, 0
	.set _ZN7rocprim17ROCPRIM_400000_NS6detail17trampoline_kernelINS0_14default_configENS1_22reduce_config_selectorIiEEZNS1_11reduce_implILb1ES3_PiS7_i9plus_mod3IiEEE10hipError_tPvRmT1_T2_T3_mT4_P12ihipStream_tbEUlT_E0_NS1_11comp_targetILNS1_3genE2ELNS1_11target_archE906ELNS1_3gpuE6ELNS1_3repE0EEENS1_30default_config_static_selectorELNS0_4arch9wavefront6targetE1EEEvSD_.num_named_barrier, 0
	.set _ZN7rocprim17ROCPRIM_400000_NS6detail17trampoline_kernelINS0_14default_configENS1_22reduce_config_selectorIiEEZNS1_11reduce_implILb1ES3_PiS7_i9plus_mod3IiEEE10hipError_tPvRmT1_T2_T3_mT4_P12ihipStream_tbEUlT_E0_NS1_11comp_targetILNS1_3genE2ELNS1_11target_archE906ELNS1_3gpuE6ELNS1_3repE0EEENS1_30default_config_static_selectorELNS0_4arch9wavefront6targetE1EEEvSD_.private_seg_size, 0
	.set _ZN7rocprim17ROCPRIM_400000_NS6detail17trampoline_kernelINS0_14default_configENS1_22reduce_config_selectorIiEEZNS1_11reduce_implILb1ES3_PiS7_i9plus_mod3IiEEE10hipError_tPvRmT1_T2_T3_mT4_P12ihipStream_tbEUlT_E0_NS1_11comp_targetILNS1_3genE2ELNS1_11target_archE906ELNS1_3gpuE6ELNS1_3repE0EEENS1_30default_config_static_selectorELNS0_4arch9wavefront6targetE1EEEvSD_.uses_vcc, 0
	.set _ZN7rocprim17ROCPRIM_400000_NS6detail17trampoline_kernelINS0_14default_configENS1_22reduce_config_selectorIiEEZNS1_11reduce_implILb1ES3_PiS7_i9plus_mod3IiEEE10hipError_tPvRmT1_T2_T3_mT4_P12ihipStream_tbEUlT_E0_NS1_11comp_targetILNS1_3genE2ELNS1_11target_archE906ELNS1_3gpuE6ELNS1_3repE0EEENS1_30default_config_static_selectorELNS0_4arch9wavefront6targetE1EEEvSD_.uses_flat_scratch, 0
	.set _ZN7rocprim17ROCPRIM_400000_NS6detail17trampoline_kernelINS0_14default_configENS1_22reduce_config_selectorIiEEZNS1_11reduce_implILb1ES3_PiS7_i9plus_mod3IiEEE10hipError_tPvRmT1_T2_T3_mT4_P12ihipStream_tbEUlT_E0_NS1_11comp_targetILNS1_3genE2ELNS1_11target_archE906ELNS1_3gpuE6ELNS1_3repE0EEENS1_30default_config_static_selectorELNS0_4arch9wavefront6targetE1EEEvSD_.has_dyn_sized_stack, 0
	.set _ZN7rocprim17ROCPRIM_400000_NS6detail17trampoline_kernelINS0_14default_configENS1_22reduce_config_selectorIiEEZNS1_11reduce_implILb1ES3_PiS7_i9plus_mod3IiEEE10hipError_tPvRmT1_T2_T3_mT4_P12ihipStream_tbEUlT_E0_NS1_11comp_targetILNS1_3genE2ELNS1_11target_archE906ELNS1_3gpuE6ELNS1_3repE0EEENS1_30default_config_static_selectorELNS0_4arch9wavefront6targetE1EEEvSD_.has_recursion, 0
	.set _ZN7rocprim17ROCPRIM_400000_NS6detail17trampoline_kernelINS0_14default_configENS1_22reduce_config_selectorIiEEZNS1_11reduce_implILb1ES3_PiS7_i9plus_mod3IiEEE10hipError_tPvRmT1_T2_T3_mT4_P12ihipStream_tbEUlT_E0_NS1_11comp_targetILNS1_3genE2ELNS1_11target_archE906ELNS1_3gpuE6ELNS1_3repE0EEENS1_30default_config_static_selectorELNS0_4arch9wavefront6targetE1EEEvSD_.has_indirect_call, 0
	.section	.AMDGPU.csdata,"",@progbits
; Kernel info:
; codeLenInByte = 0
; TotalNumSgprs: 6
; NumVgprs: 0
; NumAgprs: 0
; TotalNumVgprs: 0
; ScratchSize: 0
; MemoryBound: 0
; FloatMode: 240
; IeeeMode: 1
; LDSByteSize: 0 bytes/workgroup (compile time only)
; SGPRBlocks: 0
; VGPRBlocks: 0
; NumSGPRsForWavesPerEU: 6
; NumVGPRsForWavesPerEU: 1
; AccumOffset: 4
; Occupancy: 8
; WaveLimiterHint : 0
; COMPUTE_PGM_RSRC2:SCRATCH_EN: 0
; COMPUTE_PGM_RSRC2:USER_SGPR: 2
; COMPUTE_PGM_RSRC2:TRAP_HANDLER: 0
; COMPUTE_PGM_RSRC2:TGID_X_EN: 1
; COMPUTE_PGM_RSRC2:TGID_Y_EN: 0
; COMPUTE_PGM_RSRC2:TGID_Z_EN: 0
; COMPUTE_PGM_RSRC2:TIDIG_COMP_CNT: 0
; COMPUTE_PGM_RSRC3_GFX90A:ACCUM_OFFSET: 0
; COMPUTE_PGM_RSRC3_GFX90A:TG_SPLIT: 0
	.section	.text._ZN7rocprim17ROCPRIM_400000_NS6detail17trampoline_kernelINS0_14default_configENS1_22reduce_config_selectorIiEEZNS1_11reduce_implILb1ES3_PiS7_i9plus_mod3IiEEE10hipError_tPvRmT1_T2_T3_mT4_P12ihipStream_tbEUlT_E0_NS1_11comp_targetILNS1_3genE10ELNS1_11target_archE1201ELNS1_3gpuE5ELNS1_3repE0EEENS1_30default_config_static_selectorELNS0_4arch9wavefront6targetE1EEEvSD_,"axG",@progbits,_ZN7rocprim17ROCPRIM_400000_NS6detail17trampoline_kernelINS0_14default_configENS1_22reduce_config_selectorIiEEZNS1_11reduce_implILb1ES3_PiS7_i9plus_mod3IiEEE10hipError_tPvRmT1_T2_T3_mT4_P12ihipStream_tbEUlT_E0_NS1_11comp_targetILNS1_3genE10ELNS1_11target_archE1201ELNS1_3gpuE5ELNS1_3repE0EEENS1_30default_config_static_selectorELNS0_4arch9wavefront6targetE1EEEvSD_,comdat
	.protected	_ZN7rocprim17ROCPRIM_400000_NS6detail17trampoline_kernelINS0_14default_configENS1_22reduce_config_selectorIiEEZNS1_11reduce_implILb1ES3_PiS7_i9plus_mod3IiEEE10hipError_tPvRmT1_T2_T3_mT4_P12ihipStream_tbEUlT_E0_NS1_11comp_targetILNS1_3genE10ELNS1_11target_archE1201ELNS1_3gpuE5ELNS1_3repE0EEENS1_30default_config_static_selectorELNS0_4arch9wavefront6targetE1EEEvSD_ ; -- Begin function _ZN7rocprim17ROCPRIM_400000_NS6detail17trampoline_kernelINS0_14default_configENS1_22reduce_config_selectorIiEEZNS1_11reduce_implILb1ES3_PiS7_i9plus_mod3IiEEE10hipError_tPvRmT1_T2_T3_mT4_P12ihipStream_tbEUlT_E0_NS1_11comp_targetILNS1_3genE10ELNS1_11target_archE1201ELNS1_3gpuE5ELNS1_3repE0EEENS1_30default_config_static_selectorELNS0_4arch9wavefront6targetE1EEEvSD_
	.globl	_ZN7rocprim17ROCPRIM_400000_NS6detail17trampoline_kernelINS0_14default_configENS1_22reduce_config_selectorIiEEZNS1_11reduce_implILb1ES3_PiS7_i9plus_mod3IiEEE10hipError_tPvRmT1_T2_T3_mT4_P12ihipStream_tbEUlT_E0_NS1_11comp_targetILNS1_3genE10ELNS1_11target_archE1201ELNS1_3gpuE5ELNS1_3repE0EEENS1_30default_config_static_selectorELNS0_4arch9wavefront6targetE1EEEvSD_
	.p2align	8
	.type	_ZN7rocprim17ROCPRIM_400000_NS6detail17trampoline_kernelINS0_14default_configENS1_22reduce_config_selectorIiEEZNS1_11reduce_implILb1ES3_PiS7_i9plus_mod3IiEEE10hipError_tPvRmT1_T2_T3_mT4_P12ihipStream_tbEUlT_E0_NS1_11comp_targetILNS1_3genE10ELNS1_11target_archE1201ELNS1_3gpuE5ELNS1_3repE0EEENS1_30default_config_static_selectorELNS0_4arch9wavefront6targetE1EEEvSD_,@function
_ZN7rocprim17ROCPRIM_400000_NS6detail17trampoline_kernelINS0_14default_configENS1_22reduce_config_selectorIiEEZNS1_11reduce_implILb1ES3_PiS7_i9plus_mod3IiEEE10hipError_tPvRmT1_T2_T3_mT4_P12ihipStream_tbEUlT_E0_NS1_11comp_targetILNS1_3genE10ELNS1_11target_archE1201ELNS1_3gpuE5ELNS1_3repE0EEENS1_30default_config_static_selectorELNS0_4arch9wavefront6targetE1EEEvSD_: ; @_ZN7rocprim17ROCPRIM_400000_NS6detail17trampoline_kernelINS0_14default_configENS1_22reduce_config_selectorIiEEZNS1_11reduce_implILb1ES3_PiS7_i9plus_mod3IiEEE10hipError_tPvRmT1_T2_T3_mT4_P12ihipStream_tbEUlT_E0_NS1_11comp_targetILNS1_3genE10ELNS1_11target_archE1201ELNS1_3gpuE5ELNS1_3repE0EEENS1_30default_config_static_selectorELNS0_4arch9wavefront6targetE1EEEvSD_
; %bb.0:
	.section	.rodata,"a",@progbits
	.p2align	6, 0x0
	.amdhsa_kernel _ZN7rocprim17ROCPRIM_400000_NS6detail17trampoline_kernelINS0_14default_configENS1_22reduce_config_selectorIiEEZNS1_11reduce_implILb1ES3_PiS7_i9plus_mod3IiEEE10hipError_tPvRmT1_T2_T3_mT4_P12ihipStream_tbEUlT_E0_NS1_11comp_targetILNS1_3genE10ELNS1_11target_archE1201ELNS1_3gpuE5ELNS1_3repE0EEENS1_30default_config_static_selectorELNS0_4arch9wavefront6targetE1EEEvSD_
		.amdhsa_group_segment_fixed_size 0
		.amdhsa_private_segment_fixed_size 0
		.amdhsa_kernarg_size 64
		.amdhsa_user_sgpr_count 2
		.amdhsa_user_sgpr_dispatch_ptr 0
		.amdhsa_user_sgpr_queue_ptr 0
		.amdhsa_user_sgpr_kernarg_segment_ptr 1
		.amdhsa_user_sgpr_dispatch_id 0
		.amdhsa_user_sgpr_kernarg_preload_length 0
		.amdhsa_user_sgpr_kernarg_preload_offset 0
		.amdhsa_user_sgpr_private_segment_size 0
		.amdhsa_uses_dynamic_stack 0
		.amdhsa_enable_private_segment 0
		.amdhsa_system_sgpr_workgroup_id_x 1
		.amdhsa_system_sgpr_workgroup_id_y 0
		.amdhsa_system_sgpr_workgroup_id_z 0
		.amdhsa_system_sgpr_workgroup_info 0
		.amdhsa_system_vgpr_workitem_id 0
		.amdhsa_next_free_vgpr 1
		.amdhsa_next_free_sgpr 0
		.amdhsa_accum_offset 4
		.amdhsa_reserve_vcc 0
		.amdhsa_float_round_mode_32 0
		.amdhsa_float_round_mode_16_64 0
		.amdhsa_float_denorm_mode_32 3
		.amdhsa_float_denorm_mode_16_64 3
		.amdhsa_dx10_clamp 1
		.amdhsa_ieee_mode 1
		.amdhsa_fp16_overflow 0
		.amdhsa_tg_split 0
		.amdhsa_exception_fp_ieee_invalid_op 0
		.amdhsa_exception_fp_denorm_src 0
		.amdhsa_exception_fp_ieee_div_zero 0
		.amdhsa_exception_fp_ieee_overflow 0
		.amdhsa_exception_fp_ieee_underflow 0
		.amdhsa_exception_fp_ieee_inexact 0
		.amdhsa_exception_int_div_zero 0
	.end_amdhsa_kernel
	.section	.text._ZN7rocprim17ROCPRIM_400000_NS6detail17trampoline_kernelINS0_14default_configENS1_22reduce_config_selectorIiEEZNS1_11reduce_implILb1ES3_PiS7_i9plus_mod3IiEEE10hipError_tPvRmT1_T2_T3_mT4_P12ihipStream_tbEUlT_E0_NS1_11comp_targetILNS1_3genE10ELNS1_11target_archE1201ELNS1_3gpuE5ELNS1_3repE0EEENS1_30default_config_static_selectorELNS0_4arch9wavefront6targetE1EEEvSD_,"axG",@progbits,_ZN7rocprim17ROCPRIM_400000_NS6detail17trampoline_kernelINS0_14default_configENS1_22reduce_config_selectorIiEEZNS1_11reduce_implILb1ES3_PiS7_i9plus_mod3IiEEE10hipError_tPvRmT1_T2_T3_mT4_P12ihipStream_tbEUlT_E0_NS1_11comp_targetILNS1_3genE10ELNS1_11target_archE1201ELNS1_3gpuE5ELNS1_3repE0EEENS1_30default_config_static_selectorELNS0_4arch9wavefront6targetE1EEEvSD_,comdat
.Lfunc_end916:
	.size	_ZN7rocprim17ROCPRIM_400000_NS6detail17trampoline_kernelINS0_14default_configENS1_22reduce_config_selectorIiEEZNS1_11reduce_implILb1ES3_PiS7_i9plus_mod3IiEEE10hipError_tPvRmT1_T2_T3_mT4_P12ihipStream_tbEUlT_E0_NS1_11comp_targetILNS1_3genE10ELNS1_11target_archE1201ELNS1_3gpuE5ELNS1_3repE0EEENS1_30default_config_static_selectorELNS0_4arch9wavefront6targetE1EEEvSD_, .Lfunc_end916-_ZN7rocprim17ROCPRIM_400000_NS6detail17trampoline_kernelINS0_14default_configENS1_22reduce_config_selectorIiEEZNS1_11reduce_implILb1ES3_PiS7_i9plus_mod3IiEEE10hipError_tPvRmT1_T2_T3_mT4_P12ihipStream_tbEUlT_E0_NS1_11comp_targetILNS1_3genE10ELNS1_11target_archE1201ELNS1_3gpuE5ELNS1_3repE0EEENS1_30default_config_static_selectorELNS0_4arch9wavefront6targetE1EEEvSD_
                                        ; -- End function
	.set _ZN7rocprim17ROCPRIM_400000_NS6detail17trampoline_kernelINS0_14default_configENS1_22reduce_config_selectorIiEEZNS1_11reduce_implILb1ES3_PiS7_i9plus_mod3IiEEE10hipError_tPvRmT1_T2_T3_mT4_P12ihipStream_tbEUlT_E0_NS1_11comp_targetILNS1_3genE10ELNS1_11target_archE1201ELNS1_3gpuE5ELNS1_3repE0EEENS1_30default_config_static_selectorELNS0_4arch9wavefront6targetE1EEEvSD_.num_vgpr, 0
	.set _ZN7rocprim17ROCPRIM_400000_NS6detail17trampoline_kernelINS0_14default_configENS1_22reduce_config_selectorIiEEZNS1_11reduce_implILb1ES3_PiS7_i9plus_mod3IiEEE10hipError_tPvRmT1_T2_T3_mT4_P12ihipStream_tbEUlT_E0_NS1_11comp_targetILNS1_3genE10ELNS1_11target_archE1201ELNS1_3gpuE5ELNS1_3repE0EEENS1_30default_config_static_selectorELNS0_4arch9wavefront6targetE1EEEvSD_.num_agpr, 0
	.set _ZN7rocprim17ROCPRIM_400000_NS6detail17trampoline_kernelINS0_14default_configENS1_22reduce_config_selectorIiEEZNS1_11reduce_implILb1ES3_PiS7_i9plus_mod3IiEEE10hipError_tPvRmT1_T2_T3_mT4_P12ihipStream_tbEUlT_E0_NS1_11comp_targetILNS1_3genE10ELNS1_11target_archE1201ELNS1_3gpuE5ELNS1_3repE0EEENS1_30default_config_static_selectorELNS0_4arch9wavefront6targetE1EEEvSD_.numbered_sgpr, 0
	.set _ZN7rocprim17ROCPRIM_400000_NS6detail17trampoline_kernelINS0_14default_configENS1_22reduce_config_selectorIiEEZNS1_11reduce_implILb1ES3_PiS7_i9plus_mod3IiEEE10hipError_tPvRmT1_T2_T3_mT4_P12ihipStream_tbEUlT_E0_NS1_11comp_targetILNS1_3genE10ELNS1_11target_archE1201ELNS1_3gpuE5ELNS1_3repE0EEENS1_30default_config_static_selectorELNS0_4arch9wavefront6targetE1EEEvSD_.num_named_barrier, 0
	.set _ZN7rocprim17ROCPRIM_400000_NS6detail17trampoline_kernelINS0_14default_configENS1_22reduce_config_selectorIiEEZNS1_11reduce_implILb1ES3_PiS7_i9plus_mod3IiEEE10hipError_tPvRmT1_T2_T3_mT4_P12ihipStream_tbEUlT_E0_NS1_11comp_targetILNS1_3genE10ELNS1_11target_archE1201ELNS1_3gpuE5ELNS1_3repE0EEENS1_30default_config_static_selectorELNS0_4arch9wavefront6targetE1EEEvSD_.private_seg_size, 0
	.set _ZN7rocprim17ROCPRIM_400000_NS6detail17trampoline_kernelINS0_14default_configENS1_22reduce_config_selectorIiEEZNS1_11reduce_implILb1ES3_PiS7_i9plus_mod3IiEEE10hipError_tPvRmT1_T2_T3_mT4_P12ihipStream_tbEUlT_E0_NS1_11comp_targetILNS1_3genE10ELNS1_11target_archE1201ELNS1_3gpuE5ELNS1_3repE0EEENS1_30default_config_static_selectorELNS0_4arch9wavefront6targetE1EEEvSD_.uses_vcc, 0
	.set _ZN7rocprim17ROCPRIM_400000_NS6detail17trampoline_kernelINS0_14default_configENS1_22reduce_config_selectorIiEEZNS1_11reduce_implILb1ES3_PiS7_i9plus_mod3IiEEE10hipError_tPvRmT1_T2_T3_mT4_P12ihipStream_tbEUlT_E0_NS1_11comp_targetILNS1_3genE10ELNS1_11target_archE1201ELNS1_3gpuE5ELNS1_3repE0EEENS1_30default_config_static_selectorELNS0_4arch9wavefront6targetE1EEEvSD_.uses_flat_scratch, 0
	.set _ZN7rocprim17ROCPRIM_400000_NS6detail17trampoline_kernelINS0_14default_configENS1_22reduce_config_selectorIiEEZNS1_11reduce_implILb1ES3_PiS7_i9plus_mod3IiEEE10hipError_tPvRmT1_T2_T3_mT4_P12ihipStream_tbEUlT_E0_NS1_11comp_targetILNS1_3genE10ELNS1_11target_archE1201ELNS1_3gpuE5ELNS1_3repE0EEENS1_30default_config_static_selectorELNS0_4arch9wavefront6targetE1EEEvSD_.has_dyn_sized_stack, 0
	.set _ZN7rocprim17ROCPRIM_400000_NS6detail17trampoline_kernelINS0_14default_configENS1_22reduce_config_selectorIiEEZNS1_11reduce_implILb1ES3_PiS7_i9plus_mod3IiEEE10hipError_tPvRmT1_T2_T3_mT4_P12ihipStream_tbEUlT_E0_NS1_11comp_targetILNS1_3genE10ELNS1_11target_archE1201ELNS1_3gpuE5ELNS1_3repE0EEENS1_30default_config_static_selectorELNS0_4arch9wavefront6targetE1EEEvSD_.has_recursion, 0
	.set _ZN7rocprim17ROCPRIM_400000_NS6detail17trampoline_kernelINS0_14default_configENS1_22reduce_config_selectorIiEEZNS1_11reduce_implILb1ES3_PiS7_i9plus_mod3IiEEE10hipError_tPvRmT1_T2_T3_mT4_P12ihipStream_tbEUlT_E0_NS1_11comp_targetILNS1_3genE10ELNS1_11target_archE1201ELNS1_3gpuE5ELNS1_3repE0EEENS1_30default_config_static_selectorELNS0_4arch9wavefront6targetE1EEEvSD_.has_indirect_call, 0
	.section	.AMDGPU.csdata,"",@progbits
; Kernel info:
; codeLenInByte = 0
; TotalNumSgprs: 6
; NumVgprs: 0
; NumAgprs: 0
; TotalNumVgprs: 0
; ScratchSize: 0
; MemoryBound: 0
; FloatMode: 240
; IeeeMode: 1
; LDSByteSize: 0 bytes/workgroup (compile time only)
; SGPRBlocks: 0
; VGPRBlocks: 0
; NumSGPRsForWavesPerEU: 6
; NumVGPRsForWavesPerEU: 1
; AccumOffset: 4
; Occupancy: 8
; WaveLimiterHint : 0
; COMPUTE_PGM_RSRC2:SCRATCH_EN: 0
; COMPUTE_PGM_RSRC2:USER_SGPR: 2
; COMPUTE_PGM_RSRC2:TRAP_HANDLER: 0
; COMPUTE_PGM_RSRC2:TGID_X_EN: 1
; COMPUTE_PGM_RSRC2:TGID_Y_EN: 0
; COMPUTE_PGM_RSRC2:TGID_Z_EN: 0
; COMPUTE_PGM_RSRC2:TIDIG_COMP_CNT: 0
; COMPUTE_PGM_RSRC3_GFX90A:ACCUM_OFFSET: 0
; COMPUTE_PGM_RSRC3_GFX90A:TG_SPLIT: 0
	.section	.text._ZN7rocprim17ROCPRIM_400000_NS6detail17trampoline_kernelINS0_14default_configENS1_22reduce_config_selectorIiEEZNS1_11reduce_implILb1ES3_PiS7_i9plus_mod3IiEEE10hipError_tPvRmT1_T2_T3_mT4_P12ihipStream_tbEUlT_E0_NS1_11comp_targetILNS1_3genE10ELNS1_11target_archE1200ELNS1_3gpuE4ELNS1_3repE0EEENS1_30default_config_static_selectorELNS0_4arch9wavefront6targetE1EEEvSD_,"axG",@progbits,_ZN7rocprim17ROCPRIM_400000_NS6detail17trampoline_kernelINS0_14default_configENS1_22reduce_config_selectorIiEEZNS1_11reduce_implILb1ES3_PiS7_i9plus_mod3IiEEE10hipError_tPvRmT1_T2_T3_mT4_P12ihipStream_tbEUlT_E0_NS1_11comp_targetILNS1_3genE10ELNS1_11target_archE1200ELNS1_3gpuE4ELNS1_3repE0EEENS1_30default_config_static_selectorELNS0_4arch9wavefront6targetE1EEEvSD_,comdat
	.protected	_ZN7rocprim17ROCPRIM_400000_NS6detail17trampoline_kernelINS0_14default_configENS1_22reduce_config_selectorIiEEZNS1_11reduce_implILb1ES3_PiS7_i9plus_mod3IiEEE10hipError_tPvRmT1_T2_T3_mT4_P12ihipStream_tbEUlT_E0_NS1_11comp_targetILNS1_3genE10ELNS1_11target_archE1200ELNS1_3gpuE4ELNS1_3repE0EEENS1_30default_config_static_selectorELNS0_4arch9wavefront6targetE1EEEvSD_ ; -- Begin function _ZN7rocprim17ROCPRIM_400000_NS6detail17trampoline_kernelINS0_14default_configENS1_22reduce_config_selectorIiEEZNS1_11reduce_implILb1ES3_PiS7_i9plus_mod3IiEEE10hipError_tPvRmT1_T2_T3_mT4_P12ihipStream_tbEUlT_E0_NS1_11comp_targetILNS1_3genE10ELNS1_11target_archE1200ELNS1_3gpuE4ELNS1_3repE0EEENS1_30default_config_static_selectorELNS0_4arch9wavefront6targetE1EEEvSD_
	.globl	_ZN7rocprim17ROCPRIM_400000_NS6detail17trampoline_kernelINS0_14default_configENS1_22reduce_config_selectorIiEEZNS1_11reduce_implILb1ES3_PiS7_i9plus_mod3IiEEE10hipError_tPvRmT1_T2_T3_mT4_P12ihipStream_tbEUlT_E0_NS1_11comp_targetILNS1_3genE10ELNS1_11target_archE1200ELNS1_3gpuE4ELNS1_3repE0EEENS1_30default_config_static_selectorELNS0_4arch9wavefront6targetE1EEEvSD_
	.p2align	8
	.type	_ZN7rocprim17ROCPRIM_400000_NS6detail17trampoline_kernelINS0_14default_configENS1_22reduce_config_selectorIiEEZNS1_11reduce_implILb1ES3_PiS7_i9plus_mod3IiEEE10hipError_tPvRmT1_T2_T3_mT4_P12ihipStream_tbEUlT_E0_NS1_11comp_targetILNS1_3genE10ELNS1_11target_archE1200ELNS1_3gpuE4ELNS1_3repE0EEENS1_30default_config_static_selectorELNS0_4arch9wavefront6targetE1EEEvSD_,@function
_ZN7rocprim17ROCPRIM_400000_NS6detail17trampoline_kernelINS0_14default_configENS1_22reduce_config_selectorIiEEZNS1_11reduce_implILb1ES3_PiS7_i9plus_mod3IiEEE10hipError_tPvRmT1_T2_T3_mT4_P12ihipStream_tbEUlT_E0_NS1_11comp_targetILNS1_3genE10ELNS1_11target_archE1200ELNS1_3gpuE4ELNS1_3repE0EEENS1_30default_config_static_selectorELNS0_4arch9wavefront6targetE1EEEvSD_: ; @_ZN7rocprim17ROCPRIM_400000_NS6detail17trampoline_kernelINS0_14default_configENS1_22reduce_config_selectorIiEEZNS1_11reduce_implILb1ES3_PiS7_i9plus_mod3IiEEE10hipError_tPvRmT1_T2_T3_mT4_P12ihipStream_tbEUlT_E0_NS1_11comp_targetILNS1_3genE10ELNS1_11target_archE1200ELNS1_3gpuE4ELNS1_3repE0EEENS1_30default_config_static_selectorELNS0_4arch9wavefront6targetE1EEEvSD_
; %bb.0:
	.section	.rodata,"a",@progbits
	.p2align	6, 0x0
	.amdhsa_kernel _ZN7rocprim17ROCPRIM_400000_NS6detail17trampoline_kernelINS0_14default_configENS1_22reduce_config_selectorIiEEZNS1_11reduce_implILb1ES3_PiS7_i9plus_mod3IiEEE10hipError_tPvRmT1_T2_T3_mT4_P12ihipStream_tbEUlT_E0_NS1_11comp_targetILNS1_3genE10ELNS1_11target_archE1200ELNS1_3gpuE4ELNS1_3repE0EEENS1_30default_config_static_selectorELNS0_4arch9wavefront6targetE1EEEvSD_
		.amdhsa_group_segment_fixed_size 0
		.amdhsa_private_segment_fixed_size 0
		.amdhsa_kernarg_size 64
		.amdhsa_user_sgpr_count 2
		.amdhsa_user_sgpr_dispatch_ptr 0
		.amdhsa_user_sgpr_queue_ptr 0
		.amdhsa_user_sgpr_kernarg_segment_ptr 1
		.amdhsa_user_sgpr_dispatch_id 0
		.amdhsa_user_sgpr_kernarg_preload_length 0
		.amdhsa_user_sgpr_kernarg_preload_offset 0
		.amdhsa_user_sgpr_private_segment_size 0
		.amdhsa_uses_dynamic_stack 0
		.amdhsa_enable_private_segment 0
		.amdhsa_system_sgpr_workgroup_id_x 1
		.amdhsa_system_sgpr_workgroup_id_y 0
		.amdhsa_system_sgpr_workgroup_id_z 0
		.amdhsa_system_sgpr_workgroup_info 0
		.amdhsa_system_vgpr_workitem_id 0
		.amdhsa_next_free_vgpr 1
		.amdhsa_next_free_sgpr 0
		.amdhsa_accum_offset 4
		.amdhsa_reserve_vcc 0
		.amdhsa_float_round_mode_32 0
		.amdhsa_float_round_mode_16_64 0
		.amdhsa_float_denorm_mode_32 3
		.amdhsa_float_denorm_mode_16_64 3
		.amdhsa_dx10_clamp 1
		.amdhsa_ieee_mode 1
		.amdhsa_fp16_overflow 0
		.amdhsa_tg_split 0
		.amdhsa_exception_fp_ieee_invalid_op 0
		.amdhsa_exception_fp_denorm_src 0
		.amdhsa_exception_fp_ieee_div_zero 0
		.amdhsa_exception_fp_ieee_overflow 0
		.amdhsa_exception_fp_ieee_underflow 0
		.amdhsa_exception_fp_ieee_inexact 0
		.amdhsa_exception_int_div_zero 0
	.end_amdhsa_kernel
	.section	.text._ZN7rocprim17ROCPRIM_400000_NS6detail17trampoline_kernelINS0_14default_configENS1_22reduce_config_selectorIiEEZNS1_11reduce_implILb1ES3_PiS7_i9plus_mod3IiEEE10hipError_tPvRmT1_T2_T3_mT4_P12ihipStream_tbEUlT_E0_NS1_11comp_targetILNS1_3genE10ELNS1_11target_archE1200ELNS1_3gpuE4ELNS1_3repE0EEENS1_30default_config_static_selectorELNS0_4arch9wavefront6targetE1EEEvSD_,"axG",@progbits,_ZN7rocprim17ROCPRIM_400000_NS6detail17trampoline_kernelINS0_14default_configENS1_22reduce_config_selectorIiEEZNS1_11reduce_implILb1ES3_PiS7_i9plus_mod3IiEEE10hipError_tPvRmT1_T2_T3_mT4_P12ihipStream_tbEUlT_E0_NS1_11comp_targetILNS1_3genE10ELNS1_11target_archE1200ELNS1_3gpuE4ELNS1_3repE0EEENS1_30default_config_static_selectorELNS0_4arch9wavefront6targetE1EEEvSD_,comdat
.Lfunc_end917:
	.size	_ZN7rocprim17ROCPRIM_400000_NS6detail17trampoline_kernelINS0_14default_configENS1_22reduce_config_selectorIiEEZNS1_11reduce_implILb1ES3_PiS7_i9plus_mod3IiEEE10hipError_tPvRmT1_T2_T3_mT4_P12ihipStream_tbEUlT_E0_NS1_11comp_targetILNS1_3genE10ELNS1_11target_archE1200ELNS1_3gpuE4ELNS1_3repE0EEENS1_30default_config_static_selectorELNS0_4arch9wavefront6targetE1EEEvSD_, .Lfunc_end917-_ZN7rocprim17ROCPRIM_400000_NS6detail17trampoline_kernelINS0_14default_configENS1_22reduce_config_selectorIiEEZNS1_11reduce_implILb1ES3_PiS7_i9plus_mod3IiEEE10hipError_tPvRmT1_T2_T3_mT4_P12ihipStream_tbEUlT_E0_NS1_11comp_targetILNS1_3genE10ELNS1_11target_archE1200ELNS1_3gpuE4ELNS1_3repE0EEENS1_30default_config_static_selectorELNS0_4arch9wavefront6targetE1EEEvSD_
                                        ; -- End function
	.set _ZN7rocprim17ROCPRIM_400000_NS6detail17trampoline_kernelINS0_14default_configENS1_22reduce_config_selectorIiEEZNS1_11reduce_implILb1ES3_PiS7_i9plus_mod3IiEEE10hipError_tPvRmT1_T2_T3_mT4_P12ihipStream_tbEUlT_E0_NS1_11comp_targetILNS1_3genE10ELNS1_11target_archE1200ELNS1_3gpuE4ELNS1_3repE0EEENS1_30default_config_static_selectorELNS0_4arch9wavefront6targetE1EEEvSD_.num_vgpr, 0
	.set _ZN7rocprim17ROCPRIM_400000_NS6detail17trampoline_kernelINS0_14default_configENS1_22reduce_config_selectorIiEEZNS1_11reduce_implILb1ES3_PiS7_i9plus_mod3IiEEE10hipError_tPvRmT1_T2_T3_mT4_P12ihipStream_tbEUlT_E0_NS1_11comp_targetILNS1_3genE10ELNS1_11target_archE1200ELNS1_3gpuE4ELNS1_3repE0EEENS1_30default_config_static_selectorELNS0_4arch9wavefront6targetE1EEEvSD_.num_agpr, 0
	.set _ZN7rocprim17ROCPRIM_400000_NS6detail17trampoline_kernelINS0_14default_configENS1_22reduce_config_selectorIiEEZNS1_11reduce_implILb1ES3_PiS7_i9plus_mod3IiEEE10hipError_tPvRmT1_T2_T3_mT4_P12ihipStream_tbEUlT_E0_NS1_11comp_targetILNS1_3genE10ELNS1_11target_archE1200ELNS1_3gpuE4ELNS1_3repE0EEENS1_30default_config_static_selectorELNS0_4arch9wavefront6targetE1EEEvSD_.numbered_sgpr, 0
	.set _ZN7rocprim17ROCPRIM_400000_NS6detail17trampoline_kernelINS0_14default_configENS1_22reduce_config_selectorIiEEZNS1_11reduce_implILb1ES3_PiS7_i9plus_mod3IiEEE10hipError_tPvRmT1_T2_T3_mT4_P12ihipStream_tbEUlT_E0_NS1_11comp_targetILNS1_3genE10ELNS1_11target_archE1200ELNS1_3gpuE4ELNS1_3repE0EEENS1_30default_config_static_selectorELNS0_4arch9wavefront6targetE1EEEvSD_.num_named_barrier, 0
	.set _ZN7rocprim17ROCPRIM_400000_NS6detail17trampoline_kernelINS0_14default_configENS1_22reduce_config_selectorIiEEZNS1_11reduce_implILb1ES3_PiS7_i9plus_mod3IiEEE10hipError_tPvRmT1_T2_T3_mT4_P12ihipStream_tbEUlT_E0_NS1_11comp_targetILNS1_3genE10ELNS1_11target_archE1200ELNS1_3gpuE4ELNS1_3repE0EEENS1_30default_config_static_selectorELNS0_4arch9wavefront6targetE1EEEvSD_.private_seg_size, 0
	.set _ZN7rocprim17ROCPRIM_400000_NS6detail17trampoline_kernelINS0_14default_configENS1_22reduce_config_selectorIiEEZNS1_11reduce_implILb1ES3_PiS7_i9plus_mod3IiEEE10hipError_tPvRmT1_T2_T3_mT4_P12ihipStream_tbEUlT_E0_NS1_11comp_targetILNS1_3genE10ELNS1_11target_archE1200ELNS1_3gpuE4ELNS1_3repE0EEENS1_30default_config_static_selectorELNS0_4arch9wavefront6targetE1EEEvSD_.uses_vcc, 0
	.set _ZN7rocprim17ROCPRIM_400000_NS6detail17trampoline_kernelINS0_14default_configENS1_22reduce_config_selectorIiEEZNS1_11reduce_implILb1ES3_PiS7_i9plus_mod3IiEEE10hipError_tPvRmT1_T2_T3_mT4_P12ihipStream_tbEUlT_E0_NS1_11comp_targetILNS1_3genE10ELNS1_11target_archE1200ELNS1_3gpuE4ELNS1_3repE0EEENS1_30default_config_static_selectorELNS0_4arch9wavefront6targetE1EEEvSD_.uses_flat_scratch, 0
	.set _ZN7rocprim17ROCPRIM_400000_NS6detail17trampoline_kernelINS0_14default_configENS1_22reduce_config_selectorIiEEZNS1_11reduce_implILb1ES3_PiS7_i9plus_mod3IiEEE10hipError_tPvRmT1_T2_T3_mT4_P12ihipStream_tbEUlT_E0_NS1_11comp_targetILNS1_3genE10ELNS1_11target_archE1200ELNS1_3gpuE4ELNS1_3repE0EEENS1_30default_config_static_selectorELNS0_4arch9wavefront6targetE1EEEvSD_.has_dyn_sized_stack, 0
	.set _ZN7rocprim17ROCPRIM_400000_NS6detail17trampoline_kernelINS0_14default_configENS1_22reduce_config_selectorIiEEZNS1_11reduce_implILb1ES3_PiS7_i9plus_mod3IiEEE10hipError_tPvRmT1_T2_T3_mT4_P12ihipStream_tbEUlT_E0_NS1_11comp_targetILNS1_3genE10ELNS1_11target_archE1200ELNS1_3gpuE4ELNS1_3repE0EEENS1_30default_config_static_selectorELNS0_4arch9wavefront6targetE1EEEvSD_.has_recursion, 0
	.set _ZN7rocprim17ROCPRIM_400000_NS6detail17trampoline_kernelINS0_14default_configENS1_22reduce_config_selectorIiEEZNS1_11reduce_implILb1ES3_PiS7_i9plus_mod3IiEEE10hipError_tPvRmT1_T2_T3_mT4_P12ihipStream_tbEUlT_E0_NS1_11comp_targetILNS1_3genE10ELNS1_11target_archE1200ELNS1_3gpuE4ELNS1_3repE0EEENS1_30default_config_static_selectorELNS0_4arch9wavefront6targetE1EEEvSD_.has_indirect_call, 0
	.section	.AMDGPU.csdata,"",@progbits
; Kernel info:
; codeLenInByte = 0
; TotalNumSgprs: 6
; NumVgprs: 0
; NumAgprs: 0
; TotalNumVgprs: 0
; ScratchSize: 0
; MemoryBound: 0
; FloatMode: 240
; IeeeMode: 1
; LDSByteSize: 0 bytes/workgroup (compile time only)
; SGPRBlocks: 0
; VGPRBlocks: 0
; NumSGPRsForWavesPerEU: 6
; NumVGPRsForWavesPerEU: 1
; AccumOffset: 4
; Occupancy: 8
; WaveLimiterHint : 0
; COMPUTE_PGM_RSRC2:SCRATCH_EN: 0
; COMPUTE_PGM_RSRC2:USER_SGPR: 2
; COMPUTE_PGM_RSRC2:TRAP_HANDLER: 0
; COMPUTE_PGM_RSRC2:TGID_X_EN: 1
; COMPUTE_PGM_RSRC2:TGID_Y_EN: 0
; COMPUTE_PGM_RSRC2:TGID_Z_EN: 0
; COMPUTE_PGM_RSRC2:TIDIG_COMP_CNT: 0
; COMPUTE_PGM_RSRC3_GFX90A:ACCUM_OFFSET: 0
; COMPUTE_PGM_RSRC3_GFX90A:TG_SPLIT: 0
	.section	.text._ZN7rocprim17ROCPRIM_400000_NS6detail17trampoline_kernelINS0_14default_configENS1_22reduce_config_selectorIiEEZNS1_11reduce_implILb1ES3_PiS7_i9plus_mod3IiEEE10hipError_tPvRmT1_T2_T3_mT4_P12ihipStream_tbEUlT_E0_NS1_11comp_targetILNS1_3genE9ELNS1_11target_archE1100ELNS1_3gpuE3ELNS1_3repE0EEENS1_30default_config_static_selectorELNS0_4arch9wavefront6targetE1EEEvSD_,"axG",@progbits,_ZN7rocprim17ROCPRIM_400000_NS6detail17trampoline_kernelINS0_14default_configENS1_22reduce_config_selectorIiEEZNS1_11reduce_implILb1ES3_PiS7_i9plus_mod3IiEEE10hipError_tPvRmT1_T2_T3_mT4_P12ihipStream_tbEUlT_E0_NS1_11comp_targetILNS1_3genE9ELNS1_11target_archE1100ELNS1_3gpuE3ELNS1_3repE0EEENS1_30default_config_static_selectorELNS0_4arch9wavefront6targetE1EEEvSD_,comdat
	.protected	_ZN7rocprim17ROCPRIM_400000_NS6detail17trampoline_kernelINS0_14default_configENS1_22reduce_config_selectorIiEEZNS1_11reduce_implILb1ES3_PiS7_i9plus_mod3IiEEE10hipError_tPvRmT1_T2_T3_mT4_P12ihipStream_tbEUlT_E0_NS1_11comp_targetILNS1_3genE9ELNS1_11target_archE1100ELNS1_3gpuE3ELNS1_3repE0EEENS1_30default_config_static_selectorELNS0_4arch9wavefront6targetE1EEEvSD_ ; -- Begin function _ZN7rocprim17ROCPRIM_400000_NS6detail17trampoline_kernelINS0_14default_configENS1_22reduce_config_selectorIiEEZNS1_11reduce_implILb1ES3_PiS7_i9plus_mod3IiEEE10hipError_tPvRmT1_T2_T3_mT4_P12ihipStream_tbEUlT_E0_NS1_11comp_targetILNS1_3genE9ELNS1_11target_archE1100ELNS1_3gpuE3ELNS1_3repE0EEENS1_30default_config_static_selectorELNS0_4arch9wavefront6targetE1EEEvSD_
	.globl	_ZN7rocprim17ROCPRIM_400000_NS6detail17trampoline_kernelINS0_14default_configENS1_22reduce_config_selectorIiEEZNS1_11reduce_implILb1ES3_PiS7_i9plus_mod3IiEEE10hipError_tPvRmT1_T2_T3_mT4_P12ihipStream_tbEUlT_E0_NS1_11comp_targetILNS1_3genE9ELNS1_11target_archE1100ELNS1_3gpuE3ELNS1_3repE0EEENS1_30default_config_static_selectorELNS0_4arch9wavefront6targetE1EEEvSD_
	.p2align	8
	.type	_ZN7rocprim17ROCPRIM_400000_NS6detail17trampoline_kernelINS0_14default_configENS1_22reduce_config_selectorIiEEZNS1_11reduce_implILb1ES3_PiS7_i9plus_mod3IiEEE10hipError_tPvRmT1_T2_T3_mT4_P12ihipStream_tbEUlT_E0_NS1_11comp_targetILNS1_3genE9ELNS1_11target_archE1100ELNS1_3gpuE3ELNS1_3repE0EEENS1_30default_config_static_selectorELNS0_4arch9wavefront6targetE1EEEvSD_,@function
_ZN7rocprim17ROCPRIM_400000_NS6detail17trampoline_kernelINS0_14default_configENS1_22reduce_config_selectorIiEEZNS1_11reduce_implILb1ES3_PiS7_i9plus_mod3IiEEE10hipError_tPvRmT1_T2_T3_mT4_P12ihipStream_tbEUlT_E0_NS1_11comp_targetILNS1_3genE9ELNS1_11target_archE1100ELNS1_3gpuE3ELNS1_3repE0EEENS1_30default_config_static_selectorELNS0_4arch9wavefront6targetE1EEEvSD_: ; @_ZN7rocprim17ROCPRIM_400000_NS6detail17trampoline_kernelINS0_14default_configENS1_22reduce_config_selectorIiEEZNS1_11reduce_implILb1ES3_PiS7_i9plus_mod3IiEEE10hipError_tPvRmT1_T2_T3_mT4_P12ihipStream_tbEUlT_E0_NS1_11comp_targetILNS1_3genE9ELNS1_11target_archE1100ELNS1_3gpuE3ELNS1_3repE0EEENS1_30default_config_static_selectorELNS0_4arch9wavefront6targetE1EEEvSD_
; %bb.0:
	.section	.rodata,"a",@progbits
	.p2align	6, 0x0
	.amdhsa_kernel _ZN7rocprim17ROCPRIM_400000_NS6detail17trampoline_kernelINS0_14default_configENS1_22reduce_config_selectorIiEEZNS1_11reduce_implILb1ES3_PiS7_i9plus_mod3IiEEE10hipError_tPvRmT1_T2_T3_mT4_P12ihipStream_tbEUlT_E0_NS1_11comp_targetILNS1_3genE9ELNS1_11target_archE1100ELNS1_3gpuE3ELNS1_3repE0EEENS1_30default_config_static_selectorELNS0_4arch9wavefront6targetE1EEEvSD_
		.amdhsa_group_segment_fixed_size 0
		.amdhsa_private_segment_fixed_size 0
		.amdhsa_kernarg_size 64
		.amdhsa_user_sgpr_count 2
		.amdhsa_user_sgpr_dispatch_ptr 0
		.amdhsa_user_sgpr_queue_ptr 0
		.amdhsa_user_sgpr_kernarg_segment_ptr 1
		.amdhsa_user_sgpr_dispatch_id 0
		.amdhsa_user_sgpr_kernarg_preload_length 0
		.amdhsa_user_sgpr_kernarg_preload_offset 0
		.amdhsa_user_sgpr_private_segment_size 0
		.amdhsa_uses_dynamic_stack 0
		.amdhsa_enable_private_segment 0
		.amdhsa_system_sgpr_workgroup_id_x 1
		.amdhsa_system_sgpr_workgroup_id_y 0
		.amdhsa_system_sgpr_workgroup_id_z 0
		.amdhsa_system_sgpr_workgroup_info 0
		.amdhsa_system_vgpr_workitem_id 0
		.amdhsa_next_free_vgpr 1
		.amdhsa_next_free_sgpr 0
		.amdhsa_accum_offset 4
		.amdhsa_reserve_vcc 0
		.amdhsa_float_round_mode_32 0
		.amdhsa_float_round_mode_16_64 0
		.amdhsa_float_denorm_mode_32 3
		.amdhsa_float_denorm_mode_16_64 3
		.amdhsa_dx10_clamp 1
		.amdhsa_ieee_mode 1
		.amdhsa_fp16_overflow 0
		.amdhsa_tg_split 0
		.amdhsa_exception_fp_ieee_invalid_op 0
		.amdhsa_exception_fp_denorm_src 0
		.amdhsa_exception_fp_ieee_div_zero 0
		.amdhsa_exception_fp_ieee_overflow 0
		.amdhsa_exception_fp_ieee_underflow 0
		.amdhsa_exception_fp_ieee_inexact 0
		.amdhsa_exception_int_div_zero 0
	.end_amdhsa_kernel
	.section	.text._ZN7rocprim17ROCPRIM_400000_NS6detail17trampoline_kernelINS0_14default_configENS1_22reduce_config_selectorIiEEZNS1_11reduce_implILb1ES3_PiS7_i9plus_mod3IiEEE10hipError_tPvRmT1_T2_T3_mT4_P12ihipStream_tbEUlT_E0_NS1_11comp_targetILNS1_3genE9ELNS1_11target_archE1100ELNS1_3gpuE3ELNS1_3repE0EEENS1_30default_config_static_selectorELNS0_4arch9wavefront6targetE1EEEvSD_,"axG",@progbits,_ZN7rocprim17ROCPRIM_400000_NS6detail17trampoline_kernelINS0_14default_configENS1_22reduce_config_selectorIiEEZNS1_11reduce_implILb1ES3_PiS7_i9plus_mod3IiEEE10hipError_tPvRmT1_T2_T3_mT4_P12ihipStream_tbEUlT_E0_NS1_11comp_targetILNS1_3genE9ELNS1_11target_archE1100ELNS1_3gpuE3ELNS1_3repE0EEENS1_30default_config_static_selectorELNS0_4arch9wavefront6targetE1EEEvSD_,comdat
.Lfunc_end918:
	.size	_ZN7rocprim17ROCPRIM_400000_NS6detail17trampoline_kernelINS0_14default_configENS1_22reduce_config_selectorIiEEZNS1_11reduce_implILb1ES3_PiS7_i9plus_mod3IiEEE10hipError_tPvRmT1_T2_T3_mT4_P12ihipStream_tbEUlT_E0_NS1_11comp_targetILNS1_3genE9ELNS1_11target_archE1100ELNS1_3gpuE3ELNS1_3repE0EEENS1_30default_config_static_selectorELNS0_4arch9wavefront6targetE1EEEvSD_, .Lfunc_end918-_ZN7rocprim17ROCPRIM_400000_NS6detail17trampoline_kernelINS0_14default_configENS1_22reduce_config_selectorIiEEZNS1_11reduce_implILb1ES3_PiS7_i9plus_mod3IiEEE10hipError_tPvRmT1_T2_T3_mT4_P12ihipStream_tbEUlT_E0_NS1_11comp_targetILNS1_3genE9ELNS1_11target_archE1100ELNS1_3gpuE3ELNS1_3repE0EEENS1_30default_config_static_selectorELNS0_4arch9wavefront6targetE1EEEvSD_
                                        ; -- End function
	.set _ZN7rocprim17ROCPRIM_400000_NS6detail17trampoline_kernelINS0_14default_configENS1_22reduce_config_selectorIiEEZNS1_11reduce_implILb1ES3_PiS7_i9plus_mod3IiEEE10hipError_tPvRmT1_T2_T3_mT4_P12ihipStream_tbEUlT_E0_NS1_11comp_targetILNS1_3genE9ELNS1_11target_archE1100ELNS1_3gpuE3ELNS1_3repE0EEENS1_30default_config_static_selectorELNS0_4arch9wavefront6targetE1EEEvSD_.num_vgpr, 0
	.set _ZN7rocprim17ROCPRIM_400000_NS6detail17trampoline_kernelINS0_14default_configENS1_22reduce_config_selectorIiEEZNS1_11reduce_implILb1ES3_PiS7_i9plus_mod3IiEEE10hipError_tPvRmT1_T2_T3_mT4_P12ihipStream_tbEUlT_E0_NS1_11comp_targetILNS1_3genE9ELNS1_11target_archE1100ELNS1_3gpuE3ELNS1_3repE0EEENS1_30default_config_static_selectorELNS0_4arch9wavefront6targetE1EEEvSD_.num_agpr, 0
	.set _ZN7rocprim17ROCPRIM_400000_NS6detail17trampoline_kernelINS0_14default_configENS1_22reduce_config_selectorIiEEZNS1_11reduce_implILb1ES3_PiS7_i9plus_mod3IiEEE10hipError_tPvRmT1_T2_T3_mT4_P12ihipStream_tbEUlT_E0_NS1_11comp_targetILNS1_3genE9ELNS1_11target_archE1100ELNS1_3gpuE3ELNS1_3repE0EEENS1_30default_config_static_selectorELNS0_4arch9wavefront6targetE1EEEvSD_.numbered_sgpr, 0
	.set _ZN7rocprim17ROCPRIM_400000_NS6detail17trampoline_kernelINS0_14default_configENS1_22reduce_config_selectorIiEEZNS1_11reduce_implILb1ES3_PiS7_i9plus_mod3IiEEE10hipError_tPvRmT1_T2_T3_mT4_P12ihipStream_tbEUlT_E0_NS1_11comp_targetILNS1_3genE9ELNS1_11target_archE1100ELNS1_3gpuE3ELNS1_3repE0EEENS1_30default_config_static_selectorELNS0_4arch9wavefront6targetE1EEEvSD_.num_named_barrier, 0
	.set _ZN7rocprim17ROCPRIM_400000_NS6detail17trampoline_kernelINS0_14default_configENS1_22reduce_config_selectorIiEEZNS1_11reduce_implILb1ES3_PiS7_i9plus_mod3IiEEE10hipError_tPvRmT1_T2_T3_mT4_P12ihipStream_tbEUlT_E0_NS1_11comp_targetILNS1_3genE9ELNS1_11target_archE1100ELNS1_3gpuE3ELNS1_3repE0EEENS1_30default_config_static_selectorELNS0_4arch9wavefront6targetE1EEEvSD_.private_seg_size, 0
	.set _ZN7rocprim17ROCPRIM_400000_NS6detail17trampoline_kernelINS0_14default_configENS1_22reduce_config_selectorIiEEZNS1_11reduce_implILb1ES3_PiS7_i9plus_mod3IiEEE10hipError_tPvRmT1_T2_T3_mT4_P12ihipStream_tbEUlT_E0_NS1_11comp_targetILNS1_3genE9ELNS1_11target_archE1100ELNS1_3gpuE3ELNS1_3repE0EEENS1_30default_config_static_selectorELNS0_4arch9wavefront6targetE1EEEvSD_.uses_vcc, 0
	.set _ZN7rocprim17ROCPRIM_400000_NS6detail17trampoline_kernelINS0_14default_configENS1_22reduce_config_selectorIiEEZNS1_11reduce_implILb1ES3_PiS7_i9plus_mod3IiEEE10hipError_tPvRmT1_T2_T3_mT4_P12ihipStream_tbEUlT_E0_NS1_11comp_targetILNS1_3genE9ELNS1_11target_archE1100ELNS1_3gpuE3ELNS1_3repE0EEENS1_30default_config_static_selectorELNS0_4arch9wavefront6targetE1EEEvSD_.uses_flat_scratch, 0
	.set _ZN7rocprim17ROCPRIM_400000_NS6detail17trampoline_kernelINS0_14default_configENS1_22reduce_config_selectorIiEEZNS1_11reduce_implILb1ES3_PiS7_i9plus_mod3IiEEE10hipError_tPvRmT1_T2_T3_mT4_P12ihipStream_tbEUlT_E0_NS1_11comp_targetILNS1_3genE9ELNS1_11target_archE1100ELNS1_3gpuE3ELNS1_3repE0EEENS1_30default_config_static_selectorELNS0_4arch9wavefront6targetE1EEEvSD_.has_dyn_sized_stack, 0
	.set _ZN7rocprim17ROCPRIM_400000_NS6detail17trampoline_kernelINS0_14default_configENS1_22reduce_config_selectorIiEEZNS1_11reduce_implILb1ES3_PiS7_i9plus_mod3IiEEE10hipError_tPvRmT1_T2_T3_mT4_P12ihipStream_tbEUlT_E0_NS1_11comp_targetILNS1_3genE9ELNS1_11target_archE1100ELNS1_3gpuE3ELNS1_3repE0EEENS1_30default_config_static_selectorELNS0_4arch9wavefront6targetE1EEEvSD_.has_recursion, 0
	.set _ZN7rocprim17ROCPRIM_400000_NS6detail17trampoline_kernelINS0_14default_configENS1_22reduce_config_selectorIiEEZNS1_11reduce_implILb1ES3_PiS7_i9plus_mod3IiEEE10hipError_tPvRmT1_T2_T3_mT4_P12ihipStream_tbEUlT_E0_NS1_11comp_targetILNS1_3genE9ELNS1_11target_archE1100ELNS1_3gpuE3ELNS1_3repE0EEENS1_30default_config_static_selectorELNS0_4arch9wavefront6targetE1EEEvSD_.has_indirect_call, 0
	.section	.AMDGPU.csdata,"",@progbits
; Kernel info:
; codeLenInByte = 0
; TotalNumSgprs: 6
; NumVgprs: 0
; NumAgprs: 0
; TotalNumVgprs: 0
; ScratchSize: 0
; MemoryBound: 0
; FloatMode: 240
; IeeeMode: 1
; LDSByteSize: 0 bytes/workgroup (compile time only)
; SGPRBlocks: 0
; VGPRBlocks: 0
; NumSGPRsForWavesPerEU: 6
; NumVGPRsForWavesPerEU: 1
; AccumOffset: 4
; Occupancy: 8
; WaveLimiterHint : 0
; COMPUTE_PGM_RSRC2:SCRATCH_EN: 0
; COMPUTE_PGM_RSRC2:USER_SGPR: 2
; COMPUTE_PGM_RSRC2:TRAP_HANDLER: 0
; COMPUTE_PGM_RSRC2:TGID_X_EN: 1
; COMPUTE_PGM_RSRC2:TGID_Y_EN: 0
; COMPUTE_PGM_RSRC2:TGID_Z_EN: 0
; COMPUTE_PGM_RSRC2:TIDIG_COMP_CNT: 0
; COMPUTE_PGM_RSRC3_GFX90A:ACCUM_OFFSET: 0
; COMPUTE_PGM_RSRC3_GFX90A:TG_SPLIT: 0
	.section	.text._ZN7rocprim17ROCPRIM_400000_NS6detail17trampoline_kernelINS0_14default_configENS1_22reduce_config_selectorIiEEZNS1_11reduce_implILb1ES3_PiS7_i9plus_mod3IiEEE10hipError_tPvRmT1_T2_T3_mT4_P12ihipStream_tbEUlT_E0_NS1_11comp_targetILNS1_3genE8ELNS1_11target_archE1030ELNS1_3gpuE2ELNS1_3repE0EEENS1_30default_config_static_selectorELNS0_4arch9wavefront6targetE1EEEvSD_,"axG",@progbits,_ZN7rocprim17ROCPRIM_400000_NS6detail17trampoline_kernelINS0_14default_configENS1_22reduce_config_selectorIiEEZNS1_11reduce_implILb1ES3_PiS7_i9plus_mod3IiEEE10hipError_tPvRmT1_T2_T3_mT4_P12ihipStream_tbEUlT_E0_NS1_11comp_targetILNS1_3genE8ELNS1_11target_archE1030ELNS1_3gpuE2ELNS1_3repE0EEENS1_30default_config_static_selectorELNS0_4arch9wavefront6targetE1EEEvSD_,comdat
	.protected	_ZN7rocprim17ROCPRIM_400000_NS6detail17trampoline_kernelINS0_14default_configENS1_22reduce_config_selectorIiEEZNS1_11reduce_implILb1ES3_PiS7_i9plus_mod3IiEEE10hipError_tPvRmT1_T2_T3_mT4_P12ihipStream_tbEUlT_E0_NS1_11comp_targetILNS1_3genE8ELNS1_11target_archE1030ELNS1_3gpuE2ELNS1_3repE0EEENS1_30default_config_static_selectorELNS0_4arch9wavefront6targetE1EEEvSD_ ; -- Begin function _ZN7rocprim17ROCPRIM_400000_NS6detail17trampoline_kernelINS0_14default_configENS1_22reduce_config_selectorIiEEZNS1_11reduce_implILb1ES3_PiS7_i9plus_mod3IiEEE10hipError_tPvRmT1_T2_T3_mT4_P12ihipStream_tbEUlT_E0_NS1_11comp_targetILNS1_3genE8ELNS1_11target_archE1030ELNS1_3gpuE2ELNS1_3repE0EEENS1_30default_config_static_selectorELNS0_4arch9wavefront6targetE1EEEvSD_
	.globl	_ZN7rocprim17ROCPRIM_400000_NS6detail17trampoline_kernelINS0_14default_configENS1_22reduce_config_selectorIiEEZNS1_11reduce_implILb1ES3_PiS7_i9plus_mod3IiEEE10hipError_tPvRmT1_T2_T3_mT4_P12ihipStream_tbEUlT_E0_NS1_11comp_targetILNS1_3genE8ELNS1_11target_archE1030ELNS1_3gpuE2ELNS1_3repE0EEENS1_30default_config_static_selectorELNS0_4arch9wavefront6targetE1EEEvSD_
	.p2align	8
	.type	_ZN7rocprim17ROCPRIM_400000_NS6detail17trampoline_kernelINS0_14default_configENS1_22reduce_config_selectorIiEEZNS1_11reduce_implILb1ES3_PiS7_i9plus_mod3IiEEE10hipError_tPvRmT1_T2_T3_mT4_P12ihipStream_tbEUlT_E0_NS1_11comp_targetILNS1_3genE8ELNS1_11target_archE1030ELNS1_3gpuE2ELNS1_3repE0EEENS1_30default_config_static_selectorELNS0_4arch9wavefront6targetE1EEEvSD_,@function
_ZN7rocprim17ROCPRIM_400000_NS6detail17trampoline_kernelINS0_14default_configENS1_22reduce_config_selectorIiEEZNS1_11reduce_implILb1ES3_PiS7_i9plus_mod3IiEEE10hipError_tPvRmT1_T2_T3_mT4_P12ihipStream_tbEUlT_E0_NS1_11comp_targetILNS1_3genE8ELNS1_11target_archE1030ELNS1_3gpuE2ELNS1_3repE0EEENS1_30default_config_static_selectorELNS0_4arch9wavefront6targetE1EEEvSD_: ; @_ZN7rocprim17ROCPRIM_400000_NS6detail17trampoline_kernelINS0_14default_configENS1_22reduce_config_selectorIiEEZNS1_11reduce_implILb1ES3_PiS7_i9plus_mod3IiEEE10hipError_tPvRmT1_T2_T3_mT4_P12ihipStream_tbEUlT_E0_NS1_11comp_targetILNS1_3genE8ELNS1_11target_archE1030ELNS1_3gpuE2ELNS1_3repE0EEENS1_30default_config_static_selectorELNS0_4arch9wavefront6targetE1EEEvSD_
; %bb.0:
	.section	.rodata,"a",@progbits
	.p2align	6, 0x0
	.amdhsa_kernel _ZN7rocprim17ROCPRIM_400000_NS6detail17trampoline_kernelINS0_14default_configENS1_22reduce_config_selectorIiEEZNS1_11reduce_implILb1ES3_PiS7_i9plus_mod3IiEEE10hipError_tPvRmT1_T2_T3_mT4_P12ihipStream_tbEUlT_E0_NS1_11comp_targetILNS1_3genE8ELNS1_11target_archE1030ELNS1_3gpuE2ELNS1_3repE0EEENS1_30default_config_static_selectorELNS0_4arch9wavefront6targetE1EEEvSD_
		.amdhsa_group_segment_fixed_size 0
		.amdhsa_private_segment_fixed_size 0
		.amdhsa_kernarg_size 64
		.amdhsa_user_sgpr_count 2
		.amdhsa_user_sgpr_dispatch_ptr 0
		.amdhsa_user_sgpr_queue_ptr 0
		.amdhsa_user_sgpr_kernarg_segment_ptr 1
		.amdhsa_user_sgpr_dispatch_id 0
		.amdhsa_user_sgpr_kernarg_preload_length 0
		.amdhsa_user_sgpr_kernarg_preload_offset 0
		.amdhsa_user_sgpr_private_segment_size 0
		.amdhsa_uses_dynamic_stack 0
		.amdhsa_enable_private_segment 0
		.amdhsa_system_sgpr_workgroup_id_x 1
		.amdhsa_system_sgpr_workgroup_id_y 0
		.amdhsa_system_sgpr_workgroup_id_z 0
		.amdhsa_system_sgpr_workgroup_info 0
		.amdhsa_system_vgpr_workitem_id 0
		.amdhsa_next_free_vgpr 1
		.amdhsa_next_free_sgpr 0
		.amdhsa_accum_offset 4
		.amdhsa_reserve_vcc 0
		.amdhsa_float_round_mode_32 0
		.amdhsa_float_round_mode_16_64 0
		.amdhsa_float_denorm_mode_32 3
		.amdhsa_float_denorm_mode_16_64 3
		.amdhsa_dx10_clamp 1
		.amdhsa_ieee_mode 1
		.amdhsa_fp16_overflow 0
		.amdhsa_tg_split 0
		.amdhsa_exception_fp_ieee_invalid_op 0
		.amdhsa_exception_fp_denorm_src 0
		.amdhsa_exception_fp_ieee_div_zero 0
		.amdhsa_exception_fp_ieee_overflow 0
		.amdhsa_exception_fp_ieee_underflow 0
		.amdhsa_exception_fp_ieee_inexact 0
		.amdhsa_exception_int_div_zero 0
	.end_amdhsa_kernel
	.section	.text._ZN7rocprim17ROCPRIM_400000_NS6detail17trampoline_kernelINS0_14default_configENS1_22reduce_config_selectorIiEEZNS1_11reduce_implILb1ES3_PiS7_i9plus_mod3IiEEE10hipError_tPvRmT1_T2_T3_mT4_P12ihipStream_tbEUlT_E0_NS1_11comp_targetILNS1_3genE8ELNS1_11target_archE1030ELNS1_3gpuE2ELNS1_3repE0EEENS1_30default_config_static_selectorELNS0_4arch9wavefront6targetE1EEEvSD_,"axG",@progbits,_ZN7rocprim17ROCPRIM_400000_NS6detail17trampoline_kernelINS0_14default_configENS1_22reduce_config_selectorIiEEZNS1_11reduce_implILb1ES3_PiS7_i9plus_mod3IiEEE10hipError_tPvRmT1_T2_T3_mT4_P12ihipStream_tbEUlT_E0_NS1_11comp_targetILNS1_3genE8ELNS1_11target_archE1030ELNS1_3gpuE2ELNS1_3repE0EEENS1_30default_config_static_selectorELNS0_4arch9wavefront6targetE1EEEvSD_,comdat
.Lfunc_end919:
	.size	_ZN7rocprim17ROCPRIM_400000_NS6detail17trampoline_kernelINS0_14default_configENS1_22reduce_config_selectorIiEEZNS1_11reduce_implILb1ES3_PiS7_i9plus_mod3IiEEE10hipError_tPvRmT1_T2_T3_mT4_P12ihipStream_tbEUlT_E0_NS1_11comp_targetILNS1_3genE8ELNS1_11target_archE1030ELNS1_3gpuE2ELNS1_3repE0EEENS1_30default_config_static_selectorELNS0_4arch9wavefront6targetE1EEEvSD_, .Lfunc_end919-_ZN7rocprim17ROCPRIM_400000_NS6detail17trampoline_kernelINS0_14default_configENS1_22reduce_config_selectorIiEEZNS1_11reduce_implILb1ES3_PiS7_i9plus_mod3IiEEE10hipError_tPvRmT1_T2_T3_mT4_P12ihipStream_tbEUlT_E0_NS1_11comp_targetILNS1_3genE8ELNS1_11target_archE1030ELNS1_3gpuE2ELNS1_3repE0EEENS1_30default_config_static_selectorELNS0_4arch9wavefront6targetE1EEEvSD_
                                        ; -- End function
	.set _ZN7rocprim17ROCPRIM_400000_NS6detail17trampoline_kernelINS0_14default_configENS1_22reduce_config_selectorIiEEZNS1_11reduce_implILb1ES3_PiS7_i9plus_mod3IiEEE10hipError_tPvRmT1_T2_T3_mT4_P12ihipStream_tbEUlT_E0_NS1_11comp_targetILNS1_3genE8ELNS1_11target_archE1030ELNS1_3gpuE2ELNS1_3repE0EEENS1_30default_config_static_selectorELNS0_4arch9wavefront6targetE1EEEvSD_.num_vgpr, 0
	.set _ZN7rocprim17ROCPRIM_400000_NS6detail17trampoline_kernelINS0_14default_configENS1_22reduce_config_selectorIiEEZNS1_11reduce_implILb1ES3_PiS7_i9plus_mod3IiEEE10hipError_tPvRmT1_T2_T3_mT4_P12ihipStream_tbEUlT_E0_NS1_11comp_targetILNS1_3genE8ELNS1_11target_archE1030ELNS1_3gpuE2ELNS1_3repE0EEENS1_30default_config_static_selectorELNS0_4arch9wavefront6targetE1EEEvSD_.num_agpr, 0
	.set _ZN7rocprim17ROCPRIM_400000_NS6detail17trampoline_kernelINS0_14default_configENS1_22reduce_config_selectorIiEEZNS1_11reduce_implILb1ES3_PiS7_i9plus_mod3IiEEE10hipError_tPvRmT1_T2_T3_mT4_P12ihipStream_tbEUlT_E0_NS1_11comp_targetILNS1_3genE8ELNS1_11target_archE1030ELNS1_3gpuE2ELNS1_3repE0EEENS1_30default_config_static_selectorELNS0_4arch9wavefront6targetE1EEEvSD_.numbered_sgpr, 0
	.set _ZN7rocprim17ROCPRIM_400000_NS6detail17trampoline_kernelINS0_14default_configENS1_22reduce_config_selectorIiEEZNS1_11reduce_implILb1ES3_PiS7_i9plus_mod3IiEEE10hipError_tPvRmT1_T2_T3_mT4_P12ihipStream_tbEUlT_E0_NS1_11comp_targetILNS1_3genE8ELNS1_11target_archE1030ELNS1_3gpuE2ELNS1_3repE0EEENS1_30default_config_static_selectorELNS0_4arch9wavefront6targetE1EEEvSD_.num_named_barrier, 0
	.set _ZN7rocprim17ROCPRIM_400000_NS6detail17trampoline_kernelINS0_14default_configENS1_22reduce_config_selectorIiEEZNS1_11reduce_implILb1ES3_PiS7_i9plus_mod3IiEEE10hipError_tPvRmT1_T2_T3_mT4_P12ihipStream_tbEUlT_E0_NS1_11comp_targetILNS1_3genE8ELNS1_11target_archE1030ELNS1_3gpuE2ELNS1_3repE0EEENS1_30default_config_static_selectorELNS0_4arch9wavefront6targetE1EEEvSD_.private_seg_size, 0
	.set _ZN7rocprim17ROCPRIM_400000_NS6detail17trampoline_kernelINS0_14default_configENS1_22reduce_config_selectorIiEEZNS1_11reduce_implILb1ES3_PiS7_i9plus_mod3IiEEE10hipError_tPvRmT1_T2_T3_mT4_P12ihipStream_tbEUlT_E0_NS1_11comp_targetILNS1_3genE8ELNS1_11target_archE1030ELNS1_3gpuE2ELNS1_3repE0EEENS1_30default_config_static_selectorELNS0_4arch9wavefront6targetE1EEEvSD_.uses_vcc, 0
	.set _ZN7rocprim17ROCPRIM_400000_NS6detail17trampoline_kernelINS0_14default_configENS1_22reduce_config_selectorIiEEZNS1_11reduce_implILb1ES3_PiS7_i9plus_mod3IiEEE10hipError_tPvRmT1_T2_T3_mT4_P12ihipStream_tbEUlT_E0_NS1_11comp_targetILNS1_3genE8ELNS1_11target_archE1030ELNS1_3gpuE2ELNS1_3repE0EEENS1_30default_config_static_selectorELNS0_4arch9wavefront6targetE1EEEvSD_.uses_flat_scratch, 0
	.set _ZN7rocprim17ROCPRIM_400000_NS6detail17trampoline_kernelINS0_14default_configENS1_22reduce_config_selectorIiEEZNS1_11reduce_implILb1ES3_PiS7_i9plus_mod3IiEEE10hipError_tPvRmT1_T2_T3_mT4_P12ihipStream_tbEUlT_E0_NS1_11comp_targetILNS1_3genE8ELNS1_11target_archE1030ELNS1_3gpuE2ELNS1_3repE0EEENS1_30default_config_static_selectorELNS0_4arch9wavefront6targetE1EEEvSD_.has_dyn_sized_stack, 0
	.set _ZN7rocprim17ROCPRIM_400000_NS6detail17trampoline_kernelINS0_14default_configENS1_22reduce_config_selectorIiEEZNS1_11reduce_implILb1ES3_PiS7_i9plus_mod3IiEEE10hipError_tPvRmT1_T2_T3_mT4_P12ihipStream_tbEUlT_E0_NS1_11comp_targetILNS1_3genE8ELNS1_11target_archE1030ELNS1_3gpuE2ELNS1_3repE0EEENS1_30default_config_static_selectorELNS0_4arch9wavefront6targetE1EEEvSD_.has_recursion, 0
	.set _ZN7rocprim17ROCPRIM_400000_NS6detail17trampoline_kernelINS0_14default_configENS1_22reduce_config_selectorIiEEZNS1_11reduce_implILb1ES3_PiS7_i9plus_mod3IiEEE10hipError_tPvRmT1_T2_T3_mT4_P12ihipStream_tbEUlT_E0_NS1_11comp_targetILNS1_3genE8ELNS1_11target_archE1030ELNS1_3gpuE2ELNS1_3repE0EEENS1_30default_config_static_selectorELNS0_4arch9wavefront6targetE1EEEvSD_.has_indirect_call, 0
	.section	.AMDGPU.csdata,"",@progbits
; Kernel info:
; codeLenInByte = 0
; TotalNumSgprs: 6
; NumVgprs: 0
; NumAgprs: 0
; TotalNumVgprs: 0
; ScratchSize: 0
; MemoryBound: 0
; FloatMode: 240
; IeeeMode: 1
; LDSByteSize: 0 bytes/workgroup (compile time only)
; SGPRBlocks: 0
; VGPRBlocks: 0
; NumSGPRsForWavesPerEU: 6
; NumVGPRsForWavesPerEU: 1
; AccumOffset: 4
; Occupancy: 8
; WaveLimiterHint : 0
; COMPUTE_PGM_RSRC2:SCRATCH_EN: 0
; COMPUTE_PGM_RSRC2:USER_SGPR: 2
; COMPUTE_PGM_RSRC2:TRAP_HANDLER: 0
; COMPUTE_PGM_RSRC2:TGID_X_EN: 1
; COMPUTE_PGM_RSRC2:TGID_Y_EN: 0
; COMPUTE_PGM_RSRC2:TGID_Z_EN: 0
; COMPUTE_PGM_RSRC2:TIDIG_COMP_CNT: 0
; COMPUTE_PGM_RSRC3_GFX90A:ACCUM_OFFSET: 0
; COMPUTE_PGM_RSRC3_GFX90A:TG_SPLIT: 0
	.section	.text._ZN7rocprim17ROCPRIM_400000_NS6detail17trampoline_kernelINS0_14default_configENS1_22reduce_config_selectorIiEEZNS1_11reduce_implILb1ES3_PiS7_i9plus_mod3IiEEE10hipError_tPvRmT1_T2_T3_mT4_P12ihipStream_tbEUlT_E1_NS1_11comp_targetILNS1_3genE0ELNS1_11target_archE4294967295ELNS1_3gpuE0ELNS1_3repE0EEENS1_30default_config_static_selectorELNS0_4arch9wavefront6targetE1EEEvSD_,"axG",@progbits,_ZN7rocprim17ROCPRIM_400000_NS6detail17trampoline_kernelINS0_14default_configENS1_22reduce_config_selectorIiEEZNS1_11reduce_implILb1ES3_PiS7_i9plus_mod3IiEEE10hipError_tPvRmT1_T2_T3_mT4_P12ihipStream_tbEUlT_E1_NS1_11comp_targetILNS1_3genE0ELNS1_11target_archE4294967295ELNS1_3gpuE0ELNS1_3repE0EEENS1_30default_config_static_selectorELNS0_4arch9wavefront6targetE1EEEvSD_,comdat
	.protected	_ZN7rocprim17ROCPRIM_400000_NS6detail17trampoline_kernelINS0_14default_configENS1_22reduce_config_selectorIiEEZNS1_11reduce_implILb1ES3_PiS7_i9plus_mod3IiEEE10hipError_tPvRmT1_T2_T3_mT4_P12ihipStream_tbEUlT_E1_NS1_11comp_targetILNS1_3genE0ELNS1_11target_archE4294967295ELNS1_3gpuE0ELNS1_3repE0EEENS1_30default_config_static_selectorELNS0_4arch9wavefront6targetE1EEEvSD_ ; -- Begin function _ZN7rocprim17ROCPRIM_400000_NS6detail17trampoline_kernelINS0_14default_configENS1_22reduce_config_selectorIiEEZNS1_11reduce_implILb1ES3_PiS7_i9plus_mod3IiEEE10hipError_tPvRmT1_T2_T3_mT4_P12ihipStream_tbEUlT_E1_NS1_11comp_targetILNS1_3genE0ELNS1_11target_archE4294967295ELNS1_3gpuE0ELNS1_3repE0EEENS1_30default_config_static_selectorELNS0_4arch9wavefront6targetE1EEEvSD_
	.globl	_ZN7rocprim17ROCPRIM_400000_NS6detail17trampoline_kernelINS0_14default_configENS1_22reduce_config_selectorIiEEZNS1_11reduce_implILb1ES3_PiS7_i9plus_mod3IiEEE10hipError_tPvRmT1_T2_T3_mT4_P12ihipStream_tbEUlT_E1_NS1_11comp_targetILNS1_3genE0ELNS1_11target_archE4294967295ELNS1_3gpuE0ELNS1_3repE0EEENS1_30default_config_static_selectorELNS0_4arch9wavefront6targetE1EEEvSD_
	.p2align	8
	.type	_ZN7rocprim17ROCPRIM_400000_NS6detail17trampoline_kernelINS0_14default_configENS1_22reduce_config_selectorIiEEZNS1_11reduce_implILb1ES3_PiS7_i9plus_mod3IiEEE10hipError_tPvRmT1_T2_T3_mT4_P12ihipStream_tbEUlT_E1_NS1_11comp_targetILNS1_3genE0ELNS1_11target_archE4294967295ELNS1_3gpuE0ELNS1_3repE0EEENS1_30default_config_static_selectorELNS0_4arch9wavefront6targetE1EEEvSD_,@function
_ZN7rocprim17ROCPRIM_400000_NS6detail17trampoline_kernelINS0_14default_configENS1_22reduce_config_selectorIiEEZNS1_11reduce_implILb1ES3_PiS7_i9plus_mod3IiEEE10hipError_tPvRmT1_T2_T3_mT4_P12ihipStream_tbEUlT_E1_NS1_11comp_targetILNS1_3genE0ELNS1_11target_archE4294967295ELNS1_3gpuE0ELNS1_3repE0EEENS1_30default_config_static_selectorELNS0_4arch9wavefront6targetE1EEEvSD_: ; @_ZN7rocprim17ROCPRIM_400000_NS6detail17trampoline_kernelINS0_14default_configENS1_22reduce_config_selectorIiEEZNS1_11reduce_implILb1ES3_PiS7_i9plus_mod3IiEEE10hipError_tPvRmT1_T2_T3_mT4_P12ihipStream_tbEUlT_E1_NS1_11comp_targetILNS1_3genE0ELNS1_11target_archE4294967295ELNS1_3gpuE0ELNS1_3repE0EEENS1_30default_config_static_selectorELNS0_4arch9wavefront6targetE1EEEvSD_
; %bb.0:
	s_load_dword s80, s[0:1], 0x4
	s_load_dwordx4 s[68:71], s[0:1], 0x8
	s_load_dword s33, s[0:1], 0x20
	s_load_dwordx2 s[66:67], s[0:1], 0x28
	s_waitcnt lgkmcnt(0)
	s_cmp_lt_i32 s80, 8
	s_cbranch_scc1 .LBB920_10
; %bb.1:
	s_cmp_gt_i32 s80, 15
	s_cbranch_scc0 .LBB920_11
; %bb.2:
	s_cmp_gt_i32 s80, 31
	s_cbranch_scc0 .LBB920_12
; %bb.3:
	s_cmp_eq_u32 s80, 32
	s_mov_b64 s[72:73], 0
	s_cbranch_scc0 .LBB920_13
; %bb.4:
	s_mov_b32 s3, 0
	s_lshl_b32 s4, s2, 13
	s_mov_b32 s5, s3
	s_lshr_b64 s[6:7], s[70:71], 13
	s_lshl_b64 s[8:9], s[4:5], 2
	s_add_u32 s76, s68, s8
	s_addc_u32 s77, s69, s9
	s_cmp_lg_u64 s[6:7], s[2:3]
	s_cbranch_scc0 .LBB920_22
; %bb.5:
	v_lshlrev_b32_e32 v2, 2, v0
	global_load_dword v1, v2, s[76:77]
	global_load_dword v3, v2, s[76:77] offset:1024
	global_load_dword v6, v2, s[76:77] offset:2048
	;; [unrolled: 1-line block ×3, first 2 shown]
	s_waitcnt vmcnt(2)
	v_add_u32_e32 v4, v3, v1
	v_ashrrev_i32_e32 v5, 31, v4
	v_lshl_add_u64 v[4:5], v[4:5], 2, s[66:67]
	global_load_dword v1, v[4:5], off
	v_mov_b32_e32 v3, 0
	v_lshl_add_u64 v[2:3], s[76:77], 0, v[2:3]
	s_waitcnt vmcnt(0)
	v_add_u32_e32 v4, v1, v6
	v_ashrrev_i32_e32 v5, 31, v4
	v_lshl_add_u64 v[4:5], v[4:5], 2, s[66:67]
	global_load_dword v1, v[4:5], off
	v_add_co_u32_e32 v4, vcc, 0x1000, v2
	s_waitcnt vmcnt(0)
	v_add_u32_e32 v6, v1, v7
	v_ashrrev_i32_e32 v7, 31, v6
	v_addc_co_u32_e32 v5, vcc, 0, v3, vcc
	v_lshl_add_u64 v[6:7], v[6:7], 2, s[66:67]
	global_load_dword v8, v[4:5], off
	global_load_dword v1, v[6:7], off
	v_add_co_u32_e32 v6, vcc, 0x2000, v2
	s_nop 1
	v_addc_co_u32_e32 v7, vcc, 0, v3, vcc
	global_load_dword v9, v[4:5], off offset:1024
	global_load_dword v10, v[4:5], off offset:2048
	;; [unrolled: 1-line block ×3, first 2 shown]
	global_load_dword v12, v[6:7], off
	global_load_dword v13, v[6:7], off offset:1024
	global_load_dword v14, v[6:7], off offset:2048
	;; [unrolled: 1-line block ×3, first 2 shown]
	s_waitcnt vmcnt(7)
	v_add_u32_e32 v4, v1, v8
	v_ashrrev_i32_e32 v5, 31, v4
	v_lshl_add_u64 v[4:5], v[4:5], 2, s[66:67]
	global_load_dword v1, v[4:5], off
	s_waitcnt vmcnt(0)
	v_add_u32_e32 v4, v1, v9
	v_ashrrev_i32_e32 v5, 31, v4
	v_lshl_add_u64 v[4:5], v[4:5], 2, s[66:67]
	global_load_dword v1, v[4:5], off
	;; [unrolled: 5-line block ×7, first 2 shown]
	v_add_co_u32_e32 v4, vcc, 0x3000, v2
	s_waitcnt vmcnt(0)
	v_add_u32_e32 v6, v1, v15
	v_ashrrev_i32_e32 v7, 31, v6
	v_addc_co_u32_e32 v5, vcc, 0, v3, vcc
	v_lshl_add_u64 v[6:7], v[6:7], 2, s[66:67]
	global_load_dword v8, v[4:5], off
	global_load_dword v1, v[6:7], off
	v_add_co_u32_e32 v6, vcc, 0x4000, v2
	s_nop 1
	v_addc_co_u32_e32 v7, vcc, 0, v3, vcc
	global_load_dword v9, v[4:5], off offset:1024
	global_load_dword v10, v[4:5], off offset:2048
	global_load_dword v11, v[4:5], off offset:3072
	global_load_dword v12, v[6:7], off
	global_load_dword v13, v[6:7], off offset:1024
	global_load_dword v14, v[6:7], off offset:2048
	;; [unrolled: 1-line block ×3, first 2 shown]
	s_waitcnt vmcnt(7)
	v_add_u32_e32 v4, v1, v8
	v_ashrrev_i32_e32 v5, 31, v4
	v_lshl_add_u64 v[4:5], v[4:5], 2, s[66:67]
	global_load_dword v1, v[4:5], off
	s_waitcnt vmcnt(0)
	v_add_u32_e32 v4, v1, v9
	v_ashrrev_i32_e32 v5, 31, v4
	v_lshl_add_u64 v[4:5], v[4:5], 2, s[66:67]
	global_load_dword v1, v[4:5], off
	;; [unrolled: 5-line block ×7, first 2 shown]
	v_add_co_u32_e32 v4, vcc, 0x5000, v2
	s_waitcnt vmcnt(0)
	v_add_u32_e32 v6, v1, v15
	v_ashrrev_i32_e32 v7, 31, v6
	v_addc_co_u32_e32 v5, vcc, 0, v3, vcc
	v_lshl_add_u64 v[6:7], v[6:7], 2, s[66:67]
	global_load_dword v8, v[4:5], off
	global_load_dword v1, v[6:7], off
	v_add_co_u32_e32 v6, vcc, 0x6000, v2
	s_nop 1
	v_addc_co_u32_e32 v7, vcc, 0, v3, vcc
	global_load_dword v9, v[4:5], off offset:1024
	global_load_dword v10, v[4:5], off offset:2048
	;; [unrolled: 1-line block ×3, first 2 shown]
	global_load_dword v12, v[6:7], off
	global_load_dword v13, v[6:7], off offset:1024
	global_load_dword v14, v[6:7], off offset:2048
	;; [unrolled: 1-line block ×3, first 2 shown]
	v_add_co_u32_e32 v2, vcc, 0x7000, v2
	s_waitcnt vmcnt(7)
	v_add_u32_e32 v4, v1, v8
	v_ashrrev_i32_e32 v5, 31, v4
	v_lshl_add_u64 v[4:5], v[4:5], 2, s[66:67]
	global_load_dword v1, v[4:5], off
	v_addc_co_u32_e32 v3, vcc, 0, v3, vcc
	s_waitcnt vmcnt(0)
	v_add_u32_e32 v4, v1, v9
	v_ashrrev_i32_e32 v5, 31, v4
	v_lshl_add_u64 v[4:5], v[4:5], 2, s[66:67]
	global_load_dword v1, v[4:5], off
	s_waitcnt vmcnt(0)
	v_add_u32_e32 v4, v1, v10
	v_ashrrev_i32_e32 v5, 31, v4
	v_lshl_add_u64 v[4:5], v[4:5], 2, s[66:67]
	global_load_dword v1, v[4:5], off
	s_waitcnt vmcnt(0)
	v_add_u32_e32 v4, v1, v11
	v_ashrrev_i32_e32 v5, 31, v4
	v_lshl_add_u64 v[4:5], v[4:5], 2, s[66:67]
	global_load_dword v1, v[4:5], off
	s_waitcnt vmcnt(0)
	v_add_u32_e32 v4, v1, v12
	v_ashrrev_i32_e32 v5, 31, v4
	v_lshl_add_u64 v[4:5], v[4:5], 2, s[66:67]
	global_load_dword v1, v[4:5], off
	s_waitcnt vmcnt(0)
	v_add_u32_e32 v4, v1, v13
	v_ashrrev_i32_e32 v5, 31, v4
	v_lshl_add_u64 v[4:5], v[4:5], 2, s[66:67]
	global_load_dword v1, v[4:5], off
	s_waitcnt vmcnt(0)
	v_add_u32_e32 v4, v1, v14
	v_ashrrev_i32_e32 v5, 31, v4
	v_lshl_add_u64 v[4:5], v[4:5], 2, s[66:67]
	global_load_dword v1, v[4:5], off
	s_waitcnt vmcnt(0)
	v_add_u32_e32 v4, v1, v15
	v_ashrrev_i32_e32 v5, 31, v4
	v_lshl_add_u64 v[4:5], v[4:5], 2, s[66:67]
	global_load_dword v1, v[4:5], off
	global_load_dword v6, v[2:3], off
	global_load_dword v7, v[2:3], off offset:1024
	global_load_dword v8, v[2:3], off offset:2048
	;; [unrolled: 1-line block ×3, first 2 shown]
	s_waitcnt vmcnt(3)
	v_add_u32_e32 v2, v1, v6
	v_ashrrev_i32_e32 v3, 31, v2
	v_lshl_add_u64 v[2:3], v[2:3], 2, s[66:67]
	global_load_dword v1, v[2:3], off
	s_waitcnt vmcnt(0)
	v_add_u32_e32 v2, v1, v7
	v_ashrrev_i32_e32 v3, 31, v2
	v_lshl_add_u64 v[2:3], v[2:3], 2, s[66:67]
	global_load_dword v1, v[2:3], off
	;; [unrolled: 5-line block ×4, first 2 shown]
	s_waitcnt vmcnt(0)
	s_nop 0
	v_add_u32_dpp v2, v1, v1 quad_perm:[1,0,3,2] row_mask:0xf bank_mask:0xf bound_ctrl:1
	v_ashrrev_i32_e32 v3, 31, v2
	v_lshl_add_u64 v[2:3], v[2:3], 2, s[66:67]
	global_load_dword v1, v[2:3], off
	s_waitcnt vmcnt(0)
	s_nop 0
	v_add_u32_dpp v2, v1, v1 quad_perm:[2,3,0,1] row_mask:0xf bank_mask:0xf bound_ctrl:1
	v_ashrrev_i32_e32 v3, 31, v2
	v_lshl_add_u64 v[2:3], v[2:3], 2, s[66:67]
	global_load_dword v1, v[2:3], off
	s_waitcnt vmcnt(0)
	s_nop 0
	v_add_u32_dpp v2, v1, v1 row_ror:4 row_mask:0xf bank_mask:0xf bound_ctrl:1
	v_ashrrev_i32_e32 v3, 31, v2
	v_lshl_add_u64 v[2:3], v[2:3], 2, s[66:67]
	global_load_dword v1, v[2:3], off
	s_waitcnt vmcnt(0)
	s_nop 0
	v_add_u32_dpp v2, v1, v1 row_ror:8 row_mask:0xf bank_mask:0xf bound_ctrl:1
	v_ashrrev_i32_e32 v3, 31, v2
	v_lshl_add_u64 v[2:3], v[2:3], 2, s[66:67]
	global_load_dword v1, v[2:3], off
	s_waitcnt vmcnt(0)
	s_nop 0
	v_add_u32_dpp v2, v1, v1 row_bcast:15 row_mask:0xf bank_mask:0xf bound_ctrl:1
	v_ashrrev_i32_e32 v3, 31, v2
	v_lshl_add_u64 v[2:3], v[2:3], 2, s[66:67]
	global_load_dword v1, v[2:3], off
	s_waitcnt vmcnt(0)
	s_nop 0
	v_add_u32_dpp v2, v1, v1 row_bcast:31 row_mask:0xf bank_mask:0xf bound_ctrl:1
	v_ashrrev_i32_e32 v3, 31, v2
	v_lshl_add_u64 v[2:3], v[2:3], 2, s[66:67]
	global_load_dword v2, v[2:3], off
	v_mbcnt_lo_u32_b32 v1, -1, 0
	v_mbcnt_hi_u32_b32 v3, -1, v1
	v_lshlrev_b32_e32 v1, 2, v3
	v_or_b32_e32 v4, 0xfc, v1
	v_cmp_eq_u32_e32 vcc, 0, v3
	s_waitcnt vmcnt(0)
	ds_bpermute_b32 v2, v4, v2
	s_and_saveexec_b64 s[6:7], vcc
	s_cbranch_execz .LBB920_7
; %bb.6:
	v_lshrrev_b32_e32 v4, 4, v0
	v_and_b32_e32 v4, 12, v4
	s_waitcnt lgkmcnt(0)
	ds_write_b32 v4, v2 offset:64
.LBB920_7:
	s_or_b64 exec, exec, s[6:7]
	v_cmp_gt_u32_e32 vcc, 64, v0
	s_mov_b64 s[6:7], 0
	s_mov_b64 s[74:75], 0
	s_waitcnt lgkmcnt(0)
	s_barrier
                                        ; implicit-def: $vgpr4
	s_and_saveexec_b64 s[8:9], vcc
	s_xor_b64 s[8:9], exec, s[8:9]
	s_cbranch_execz .LBB920_9
; %bb.8:
	v_and_b32_e32 v4, 3, v3
	v_lshlrev_b32_e32 v5, 2, v4
	ds_read_b32 v5, v5 offset:64
	v_cmp_ne_u32_e32 vcc, 3, v4
	v_or_b32_e32 v1, 8, v1
	s_mov_b64 s[74:75], exec
	v_addc_co_u32_e32 v3, vcc, 0, v3, vcc
	v_lshlrev_b32_e32 v3, 2, v3
	s_waitcnt lgkmcnt(0)
	ds_bpermute_b32 v3, v3, v5
	s_waitcnt lgkmcnt(0)
	v_add_u32_e32 v4, v3, v5
	v_ashrrev_i32_e32 v5, 31, v4
	v_lshl_add_u64 v[4:5], v[4:5], 2, s[66:67]
	global_load_dword v3, v[4:5], off
	s_waitcnt vmcnt(0)
	ds_bpermute_b32 v1, v1, v3
	s_waitcnt lgkmcnt(0)
	v_add_u32_e32 v4, v1, v3
.LBB920_9:
	s_or_b64 exec, exec, s[8:9]
	s_branch .LBB920_23
.LBB920_10:
	s_mov_b64 s[36:37], 0
	s_mov_b64 s[34:35], 0
                                        ; implicit-def: $vgpr2
	s_cbranch_execnz .LBB920_280
	s_branch .LBB920_389
.LBB920_11:
	s_mov_b64 s[36:37], 0
	s_mov_b64 s[34:35], 0
                                        ; implicit-def: $vgpr2
	s_cbranch_execnz .LBB920_221
	s_branch .LBB920_229
.LBB920_12:
	s_mov_b64 s[72:73], -1
.LBB920_13:
	s_mov_b64 s[36:37], 0
	s_mov_b64 s[34:35], 0
                                        ; implicit-def: $vgpr2
	s_and_b64 vcc, exec, s[72:73]
	s_cbranch_vccz .LBB920_145
.LBB920_14:
	s_cmp_eq_u32 s80, 16
	s_cbranch_scc0 .LBB920_21
; %bb.15:
	s_mov_b32 s3, 0
	s_lshl_b32 s4, s2, 12
	s_mov_b32 s5, s3
	s_lshr_b64 s[6:7], s[70:71], 12
	s_lshl_b64 s[8:9], s[4:5], 2
	s_add_u32 s40, s68, s8
	s_addc_u32 s41, s69, s9
	s_cmp_lg_u64 s[6:7], s[2:3]
	s_cbranch_scc0 .LBB920_146
; %bb.16:
	s_waitcnt vmcnt(0)
	v_lshlrev_b32_e32 v2, 2, v0
	s_waitcnt lgkmcnt(0)
	global_load_dword v1, v2, s[40:41]
	global_load_dword v3, v2, s[40:41] offset:1024
	global_load_dword v6, v2, s[40:41] offset:2048
	;; [unrolled: 1-line block ×3, first 2 shown]
	s_waitcnt vmcnt(2)
	v_add_u32_e32 v4, v3, v1
	v_ashrrev_i32_e32 v5, 31, v4
	v_lshl_add_u64 v[4:5], v[4:5], 2, s[66:67]
	global_load_dword v1, v[4:5], off
	v_mov_b32_e32 v3, 0
	v_lshl_add_u64 v[2:3], s[40:41], 0, v[2:3]
	s_waitcnt vmcnt(0)
	v_add_u32_e32 v4, v1, v6
	v_ashrrev_i32_e32 v5, 31, v4
	v_lshl_add_u64 v[4:5], v[4:5], 2, s[66:67]
	global_load_dword v1, v[4:5], off
	v_add_co_u32_e32 v4, vcc, 0x1000, v2
	s_waitcnt vmcnt(0)
	v_add_u32_e32 v6, v1, v7
	v_ashrrev_i32_e32 v7, 31, v6
	v_addc_co_u32_e32 v5, vcc, 0, v3, vcc
	v_lshl_add_u64 v[6:7], v[6:7], 2, s[66:67]
	global_load_dword v8, v[4:5], off
	global_load_dword v1, v[6:7], off
	v_add_co_u32_e32 v6, vcc, 0x2000, v2
	s_nop 1
	v_addc_co_u32_e32 v7, vcc, 0, v3, vcc
	global_load_dword v9, v[4:5], off offset:1024
	global_load_dword v10, v[4:5], off offset:2048
	;; [unrolled: 1-line block ×3, first 2 shown]
	global_load_dword v12, v[6:7], off
	global_load_dword v13, v[6:7], off offset:1024
	global_load_dword v14, v[6:7], off offset:2048
	;; [unrolled: 1-line block ×3, first 2 shown]
	v_add_co_u32_e32 v2, vcc, 0x3000, v2
	s_waitcnt vmcnt(7)
	v_add_u32_e32 v4, v1, v8
	v_ashrrev_i32_e32 v5, 31, v4
	v_lshl_add_u64 v[4:5], v[4:5], 2, s[66:67]
	global_load_dword v1, v[4:5], off
	v_addc_co_u32_e32 v3, vcc, 0, v3, vcc
	s_waitcnt vmcnt(0)
	v_add_u32_e32 v4, v1, v9
	v_ashrrev_i32_e32 v5, 31, v4
	v_lshl_add_u64 v[4:5], v[4:5], 2, s[66:67]
	global_load_dword v1, v[4:5], off
	s_waitcnt vmcnt(0)
	v_add_u32_e32 v4, v1, v10
	v_ashrrev_i32_e32 v5, 31, v4
	v_lshl_add_u64 v[4:5], v[4:5], 2, s[66:67]
	global_load_dword v1, v[4:5], off
	s_waitcnt vmcnt(0)
	v_add_u32_e32 v4, v1, v11
	v_ashrrev_i32_e32 v5, 31, v4
	v_lshl_add_u64 v[4:5], v[4:5], 2, s[66:67]
	global_load_dword v1, v[4:5], off
	s_waitcnt vmcnt(0)
	v_add_u32_e32 v4, v1, v12
	v_ashrrev_i32_e32 v5, 31, v4
	v_lshl_add_u64 v[4:5], v[4:5], 2, s[66:67]
	global_load_dword v1, v[4:5], off
	s_waitcnt vmcnt(0)
	v_add_u32_e32 v4, v1, v13
	v_ashrrev_i32_e32 v5, 31, v4
	v_lshl_add_u64 v[4:5], v[4:5], 2, s[66:67]
	global_load_dword v1, v[4:5], off
	s_waitcnt vmcnt(0)
	v_add_u32_e32 v4, v1, v14
	v_ashrrev_i32_e32 v5, 31, v4
	v_lshl_add_u64 v[4:5], v[4:5], 2, s[66:67]
	global_load_dword v1, v[4:5], off
	s_waitcnt vmcnt(0)
	v_add_u32_e32 v4, v1, v15
	v_ashrrev_i32_e32 v5, 31, v4
	v_lshl_add_u64 v[4:5], v[4:5], 2, s[66:67]
	global_load_dword v1, v[4:5], off
	global_load_dword v6, v[2:3], off
	global_load_dword v7, v[2:3], off offset:1024
	global_load_dword v8, v[2:3], off offset:2048
	;; [unrolled: 1-line block ×3, first 2 shown]
	s_waitcnt vmcnt(3)
	v_add_u32_e32 v2, v1, v6
	v_ashrrev_i32_e32 v3, 31, v2
	v_lshl_add_u64 v[2:3], v[2:3], 2, s[66:67]
	global_load_dword v1, v[2:3], off
	s_waitcnt vmcnt(0)
	v_add_u32_e32 v2, v1, v7
	v_ashrrev_i32_e32 v3, 31, v2
	v_lshl_add_u64 v[2:3], v[2:3], 2, s[66:67]
	global_load_dword v1, v[2:3], off
	;; [unrolled: 5-line block ×4, first 2 shown]
	s_waitcnt vmcnt(0)
	s_nop 0
	v_add_u32_dpp v2, v1, v1 quad_perm:[1,0,3,2] row_mask:0xf bank_mask:0xf bound_ctrl:1
	v_ashrrev_i32_e32 v3, 31, v2
	v_lshl_add_u64 v[2:3], v[2:3], 2, s[66:67]
	global_load_dword v1, v[2:3], off
	s_waitcnt vmcnt(0)
	s_nop 0
	v_add_u32_dpp v2, v1, v1 quad_perm:[2,3,0,1] row_mask:0xf bank_mask:0xf bound_ctrl:1
	v_ashrrev_i32_e32 v3, 31, v2
	v_lshl_add_u64 v[2:3], v[2:3], 2, s[66:67]
	global_load_dword v1, v[2:3], off
	s_waitcnt vmcnt(0)
	s_nop 0
	v_add_u32_dpp v2, v1, v1 row_ror:4 row_mask:0xf bank_mask:0xf bound_ctrl:1
	v_ashrrev_i32_e32 v3, 31, v2
	v_lshl_add_u64 v[2:3], v[2:3], 2, s[66:67]
	global_load_dword v1, v[2:3], off
	s_waitcnt vmcnt(0)
	s_nop 0
	v_add_u32_dpp v2, v1, v1 row_ror:8 row_mask:0xf bank_mask:0xf bound_ctrl:1
	v_ashrrev_i32_e32 v3, 31, v2
	v_lshl_add_u64 v[2:3], v[2:3], 2, s[66:67]
	global_load_dword v1, v[2:3], off
	s_waitcnt vmcnt(0)
	s_nop 0
	v_add_u32_dpp v2, v1, v1 row_bcast:15 row_mask:0xf bank_mask:0xf bound_ctrl:1
	v_ashrrev_i32_e32 v3, 31, v2
	v_lshl_add_u64 v[2:3], v[2:3], 2, s[66:67]
	global_load_dword v1, v[2:3], off
	s_waitcnt vmcnt(0)
	s_nop 0
	v_add_u32_dpp v2, v1, v1 row_bcast:31 row_mask:0xf bank_mask:0xf bound_ctrl:1
	v_ashrrev_i32_e32 v3, 31, v2
	v_lshl_add_u64 v[2:3], v[2:3], 2, s[66:67]
	global_load_dword v2, v[2:3], off
	v_mbcnt_lo_u32_b32 v1, -1, 0
	v_mbcnt_hi_u32_b32 v3, -1, v1
	v_lshlrev_b32_e32 v1, 2, v3
	v_or_b32_e32 v4, 0xfc, v1
	v_cmp_eq_u32_e32 vcc, 0, v3
	s_waitcnt vmcnt(0)
	ds_bpermute_b32 v2, v4, v2
	s_and_saveexec_b64 s[6:7], vcc
	s_cbranch_execz .LBB920_18
; %bb.17:
	v_lshrrev_b32_e32 v4, 4, v0
	v_and_b32_e32 v4, 12, v4
	s_waitcnt lgkmcnt(0)
	ds_write_b32 v4, v2 offset:16
.LBB920_18:
	s_or_b64 exec, exec, s[6:7]
	v_cmp_gt_u32_e32 vcc, 64, v0
	s_mov_b64 s[6:7], 0
	s_mov_b64 s[38:39], 0
	s_waitcnt lgkmcnt(0)
	s_barrier
                                        ; implicit-def: $vgpr4
	s_and_saveexec_b64 s[8:9], vcc
	s_xor_b64 s[8:9], exec, s[8:9]
	s_cbranch_execz .LBB920_20
; %bb.19:
	v_and_b32_e32 v4, 3, v3
	v_lshlrev_b32_e32 v5, 2, v4
	ds_read_b32 v5, v5 offset:16
	v_cmp_ne_u32_e32 vcc, 3, v4
	v_or_b32_e32 v1, 8, v1
	s_mov_b64 s[38:39], exec
	v_addc_co_u32_e32 v3, vcc, 0, v3, vcc
	v_lshlrev_b32_e32 v3, 2, v3
	s_waitcnt lgkmcnt(0)
	ds_bpermute_b32 v3, v3, v5
	s_waitcnt lgkmcnt(0)
	v_add_u32_e32 v4, v3, v5
	v_ashrrev_i32_e32 v5, 31, v4
	v_lshl_add_u64 v[4:5], v[4:5], 2, s[66:67]
	global_load_dword v3, v[4:5], off
	s_waitcnt vmcnt(0)
	ds_bpermute_b32 v1, v1, v3
	s_waitcnt lgkmcnt(0)
	v_add_u32_e32 v4, v1, v3
.LBB920_20:
	s_or_b64 exec, exec, s[8:9]
	s_branch .LBB920_147
.LBB920_21:
                                        ; implicit-def: $vgpr2
	s_branch .LBB920_229
.LBB920_22:
	s_mov_b64 s[6:7], -1
	s_mov_b64 s[74:75], 0
                                        ; implicit-def: $vgpr4
                                        ; implicit-def: $vgpr2
.LBB920_23:
	s_and_b64 vcc, exec, s[6:7]
	s_cbranch_vccz .LBB920_140
; %bb.24:
	s_sub_i32 s81, s70, s4
	v_mov_b32_e32 v2, 0
	v_cmp_gt_u32_e32 vcc, s81, v0
	v_mov_b32_e32 v3, v2
	v_mov_b32_e32 v4, v2
	;; [unrolled: 1-line block ×31, first 2 shown]
	s_and_saveexec_b64 s[4:5], vcc
	s_cbranch_execz .LBB920_26
; %bb.25:
	v_lshlrev_b32_e32 v1, 2, v0
	global_load_dword v4, v1, s[76:77]
	v_mov_b32_e32 v5, v2
	v_mov_b32_e32 v6, v2
	;; [unrolled: 1-line block ×31, first 2 shown]
	s_waitcnt vmcnt(0)
	v_mov_b64_e32 v[2:3], v[4:5]
	v_mov_b64_e32 v[4:5], v[6:7]
	;; [unrolled: 1-line block ×16, first 2 shown]
.LBB920_26:
	s_or_b64 exec, exec, s[4:5]
	v_or_b32_e32 v1, 0x100, v0
	v_cmp_gt_u32_e32 vcc, s81, v1
	s_and_saveexec_b64 s[4:5], vcc
	s_cbranch_execz .LBB920_28
; %bb.27:
	v_lshlrev_b32_e32 v1, 2, v0
	global_load_dword v3, v1, s[76:77] offset:1024
.LBB920_28:
	s_or_b64 exec, exec, s[4:5]
	v_or_b32_e32 v1, 0x200, v0
	v_cmp_gt_u32_e64 s[4:5], s81, v1
	s_and_saveexec_b64 s[6:7], s[4:5]
	s_cbranch_execz .LBB920_30
; %bb.29:
	v_lshlrev_b32_e32 v1, 2, v0
	global_load_dword v4, v1, s[76:77] offset:2048
.LBB920_30:
	s_or_b64 exec, exec, s[6:7]
	v_or_b32_e32 v1, 0x300, v0
	v_cmp_gt_u32_e64 s[6:7], s81, v1
	s_and_saveexec_b64 s[8:9], s[6:7]
	s_cbranch_execz .LBB920_32
; %bb.31:
	v_lshlrev_b32_e32 v1, 2, v0
	global_load_dword v5, v1, s[76:77] offset:3072
.LBB920_32:
	s_or_b64 exec, exec, s[8:9]
	v_or_b32_e32 v1, 0x400, v0
	v_cmp_gt_u32_e64 s[8:9], s81, v1
	s_and_saveexec_b64 s[10:11], s[8:9]
	s_cbranch_execz .LBB920_34
; %bb.33:
	v_lshlrev_b32_e32 v1, 2, v1
	global_load_dword v6, v1, s[76:77]
.LBB920_34:
	s_or_b64 exec, exec, s[10:11]
	v_or_b32_e32 v1, 0x500, v0
	v_cmp_gt_u32_e64 s[10:11], s81, v1
	s_and_saveexec_b64 s[12:13], s[10:11]
	s_cbranch_execz .LBB920_36
; %bb.35:
	v_lshlrev_b32_e32 v1, 2, v1
	global_load_dword v7, v1, s[76:77]
.LBB920_36:
	s_or_b64 exec, exec, s[12:13]
	v_or_b32_e32 v1, 0x600, v0
	v_cmp_gt_u32_e64 s[12:13], s81, v1
	s_and_saveexec_b64 s[14:15], s[12:13]
	;; [unrolled: 9-line block ×27, first 2 shown]
	s_cbranch_execnz .LBB920_423
; %bb.87:
	s_or_b64 exec, exec, s[78:79]
	s_and_saveexec_b64 s[76:77], vcc
	s_cbranch_execnz .LBB920_424
.LBB920_88:
	s_or_b64 exec, exec, s[76:77]
	s_and_saveexec_b64 s[76:77], s[4:5]
	s_cbranch_execnz .LBB920_425
.LBB920_89:
	s_or_b64 exec, exec, s[76:77]
	s_and_saveexec_b64 s[4:5], s[6:7]
	s_cbranch_execnz .LBB920_426
.LBB920_90:
	s_or_b64 exec, exec, s[4:5]
	s_and_saveexec_b64 s[4:5], s[8:9]
	s_cbranch_execnz .LBB920_427
.LBB920_91:
	s_or_b64 exec, exec, s[4:5]
	s_and_saveexec_b64 s[4:5], s[10:11]
	s_cbranch_execnz .LBB920_428
.LBB920_92:
	s_or_b64 exec, exec, s[4:5]
	s_and_saveexec_b64 s[4:5], s[12:13]
	s_cbranch_execnz .LBB920_429
.LBB920_93:
	s_or_b64 exec, exec, s[4:5]
	s_and_saveexec_b64 s[4:5], s[14:15]
	s_cbranch_execnz .LBB920_430
.LBB920_94:
	s_or_b64 exec, exec, s[4:5]
	s_and_saveexec_b64 s[4:5], s[16:17]
	s_cbranch_execnz .LBB920_431
.LBB920_95:
	s_or_b64 exec, exec, s[4:5]
	s_and_saveexec_b64 s[4:5], s[18:19]
	s_cbranch_execnz .LBB920_432
.LBB920_96:
	s_or_b64 exec, exec, s[4:5]
	s_and_saveexec_b64 s[4:5], s[20:21]
	s_cbranch_execnz .LBB920_433
.LBB920_97:
	s_or_b64 exec, exec, s[4:5]
	s_and_saveexec_b64 s[4:5], s[22:23]
	s_cbranch_execnz .LBB920_434
.LBB920_98:
	s_or_b64 exec, exec, s[4:5]
	s_and_saveexec_b64 s[4:5], s[24:25]
	s_cbranch_execnz .LBB920_435
.LBB920_99:
	s_or_b64 exec, exec, s[4:5]
	s_and_saveexec_b64 s[4:5], s[26:27]
	s_cbranch_execnz .LBB920_436
.LBB920_100:
	s_or_b64 exec, exec, s[4:5]
	s_and_saveexec_b64 s[4:5], s[28:29]
	s_cbranch_execnz .LBB920_437
.LBB920_101:
	s_or_b64 exec, exec, s[4:5]
	s_and_saveexec_b64 s[4:5], s[30:31]
	s_cbranch_execnz .LBB920_438
.LBB920_102:
	s_or_b64 exec, exec, s[4:5]
	s_and_saveexec_b64 s[4:5], s[34:35]
	s_cbranch_execnz .LBB920_439
.LBB920_103:
	s_or_b64 exec, exec, s[4:5]
	s_and_saveexec_b64 s[4:5], s[36:37]
	s_cbranch_execnz .LBB920_440
.LBB920_104:
	s_or_b64 exec, exec, s[4:5]
	s_and_saveexec_b64 s[4:5], s[38:39]
	s_cbranch_execnz .LBB920_441
.LBB920_105:
	s_or_b64 exec, exec, s[4:5]
	s_and_saveexec_b64 s[4:5], s[40:41]
	s_cbranch_execnz .LBB920_442
.LBB920_106:
	s_or_b64 exec, exec, s[4:5]
	s_and_saveexec_b64 s[4:5], s[42:43]
	s_cbranch_execnz .LBB920_443
.LBB920_107:
	s_or_b64 exec, exec, s[4:5]
	s_and_saveexec_b64 s[4:5], s[44:45]
	s_cbranch_execnz .LBB920_444
.LBB920_108:
	s_or_b64 exec, exec, s[4:5]
	s_and_saveexec_b64 s[4:5], s[46:47]
	s_cbranch_execnz .LBB920_445
.LBB920_109:
	s_or_b64 exec, exec, s[4:5]
	s_and_saveexec_b64 s[4:5], s[48:49]
	s_cbranch_execnz .LBB920_446
.LBB920_110:
	s_or_b64 exec, exec, s[4:5]
	s_and_saveexec_b64 s[4:5], s[50:51]
	s_cbranch_execnz .LBB920_447
.LBB920_111:
	s_or_b64 exec, exec, s[4:5]
	s_and_saveexec_b64 s[4:5], s[52:53]
	s_cbranch_execnz .LBB920_448
.LBB920_112:
	s_or_b64 exec, exec, s[4:5]
	s_and_saveexec_b64 s[4:5], s[54:55]
	s_cbranch_execnz .LBB920_449
.LBB920_113:
	s_or_b64 exec, exec, s[4:5]
	s_and_saveexec_b64 s[4:5], s[56:57]
	s_cbranch_execnz .LBB920_450
.LBB920_114:
	s_or_b64 exec, exec, s[4:5]
	s_and_saveexec_b64 s[4:5], s[58:59]
	s_cbranch_execnz .LBB920_451
.LBB920_115:
	s_or_b64 exec, exec, s[4:5]
	s_and_saveexec_b64 s[4:5], s[60:61]
	s_cbranch_execnz .LBB920_452
.LBB920_116:
	s_or_b64 exec, exec, s[4:5]
	s_and_saveexec_b64 s[4:5], s[62:63]
	s_cbranch_execnz .LBB920_453
.LBB920_117:
	s_or_b64 exec, exec, s[4:5]
	s_and_saveexec_b64 s[4:5], s[64:65]
	s_cbranch_execz .LBB920_119
.LBB920_118:
	s_waitcnt vmcnt(0)
	v_add_u32_e32 v2, v2, v33
	v_ashrrev_i32_e32 v3, 31, v2
	v_lshl_add_u64 v[2:3], v[2:3], 2, s[66:67]
	global_load_dword v2, v[2:3], off
.LBB920_119:
	s_or_b64 exec, exec, s[4:5]
	v_mbcnt_lo_u32_b32 v1, -1, 0
	v_mbcnt_hi_u32_b32 v1, -1, v1
	s_waitcnt vmcnt(0)
	v_and_b32_e32 v3, 63, v1
	v_cmp_ne_u32_e32 vcc, 63, v3
	s_min_u32 s6, s81, 0x100
	v_add_u32_e32 v6, 1, v3
	v_addc_co_u32_e32 v4, vcc, 0, v1, vcc
	v_lshlrev_b32_e32 v4, 2, v4
	ds_bpermute_b32 v5, v4, v2
	v_and_b32_e32 v4, 0xc0, v0
	v_sub_u32_e64 v4, s6, v4 clamp
	v_cmp_lt_u32_e32 vcc, v6, v4
	s_and_saveexec_b64 s[4:5], vcc
	s_xor_b64 s[4:5], exec, s[4:5]
	s_cbranch_execz .LBB920_121
; %bb.120:
	s_waitcnt lgkmcnt(0)
	v_add_u32_e32 v6, v5, v2
	v_ashrrev_i32_e32 v7, 31, v6
	v_lshl_add_u64 v[6:7], v[6:7], 2, s[66:67]
	global_load_dword v2, v[6:7], off
.LBB920_121:
	s_or_b64 exec, exec, s[4:5]
	v_cmp_gt_u32_e32 vcc, 62, v3
	v_add_u32_e32 v6, 2, v3
	s_waitcnt lgkmcnt(0)
	v_cndmask_b32_e64 v5, 0, 2, vcc
	v_add_lshl_u32 v5, v5, v1, 2
	s_waitcnt vmcnt(0)
	ds_bpermute_b32 v5, v5, v2
	v_cmp_lt_u32_e32 vcc, v6, v4
	s_and_saveexec_b64 s[4:5], vcc
	s_cbranch_execz .LBB920_123
; %bb.122:
	s_waitcnt lgkmcnt(0)
	v_add_u32_e32 v6, v5, v2
	v_ashrrev_i32_e32 v7, 31, v6
	v_lshl_add_u64 v[6:7], v[6:7], 2, s[66:67]
	global_load_dword v2, v[6:7], off
.LBB920_123:
	s_or_b64 exec, exec, s[4:5]
	v_cmp_gt_u32_e32 vcc, 60, v3
	v_add_u32_e32 v6, 4, v3
	s_waitcnt lgkmcnt(0)
	v_cndmask_b32_e64 v5, 0, 4, vcc
	v_add_lshl_u32 v5, v5, v1, 2
	s_waitcnt vmcnt(0)
	ds_bpermute_b32 v5, v5, v2
	v_cmp_lt_u32_e32 vcc, v6, v4
	s_and_saveexec_b64 s[4:5], vcc
	;; [unrolled: 18-line block ×4, first 2 shown]
	s_cbranch_execz .LBB920_129
; %bb.128:
	s_waitcnt lgkmcnt(0)
	v_add_u32_e32 v6, v5, v2
	v_ashrrev_i32_e32 v7, 31, v6
	v_lshl_add_u64 v[6:7], v[6:7], 2, s[66:67]
	global_load_dword v2, v[6:7], off
.LBB920_129:
	s_or_b64 exec, exec, s[4:5]
	s_waitcnt lgkmcnt(0)
	v_lshlrev_b32_e32 v5, 2, v1
	v_or_b32_e32 v6, 0x80, v5
	s_waitcnt vmcnt(0)
	ds_bpermute_b32 v6, v6, v2
	v_add_u32_e32 v3, 32, v3
	v_cmp_lt_u32_e32 vcc, v3, v4
	s_and_saveexec_b64 s[4:5], vcc
	s_cbranch_execz .LBB920_131
; %bb.130:
	s_waitcnt lgkmcnt(0)
	v_add_u32_e32 v2, v6, v2
	v_ashrrev_i32_e32 v3, 31, v2
	v_lshl_add_u64 v[2:3], v[2:3], 2, s[66:67]
	global_load_dword v2, v[2:3], off
.LBB920_131:
	s_or_b64 exec, exec, s[4:5]
	v_cmp_eq_u32_e32 vcc, 0, v1
	s_and_saveexec_b64 s[4:5], vcc
	s_cbranch_execz .LBB920_133
; %bb.132:
	v_lshrrev_b32_e32 v3, 4, v0
	v_and_b32_e32 v3, 12, v3
	s_waitcnt vmcnt(0)
	ds_write_b32 v3, v2
.LBB920_133:
	s_or_b64 exec, exec, s[4:5]
	v_cmp_gt_u32_e32 vcc, 4, v0
	s_waitcnt lgkmcnt(0)
	s_barrier
                                        ; implicit-def: $vgpr4
	s_and_saveexec_b64 s[4:5], vcc
	s_cbranch_execz .LBB920_139
; %bb.134:
	s_waitcnt vmcnt(0)
	ds_read_b32 v2, v5
	v_and_b32_e32 v3, 3, v1
	v_cmp_ne_u32_e32 vcc, 3, v3
	s_add_i32 s6, s6, 63
	s_lshr_b32 s8, s6, 6
	v_addc_co_u32_e32 v1, vcc, 0, v1, vcc
	v_lshlrev_b32_e32 v1, 2, v1
	s_waitcnt lgkmcnt(0)
	ds_bpermute_b32 v1, v1, v2
	v_add_u32_e32 v4, 1, v3
	v_cmp_gt_u32_e32 vcc, s8, v4
	s_and_saveexec_b64 s[6:7], vcc
	s_cbranch_execz .LBB920_136
; %bb.135:
	s_waitcnt lgkmcnt(0)
	v_add_u32_e32 v6, v1, v2
	v_ashrrev_i32_e32 v7, 31, v6
	v_lshl_add_u64 v[6:7], v[6:7], 2, s[66:67]
	global_load_dword v2, v[6:7], off
.LBB920_136:
	s_or_b64 exec, exec, s[6:7]
	s_waitcnt lgkmcnt(0)
	v_or_b32_e32 v1, 8, v5
	s_waitcnt vmcnt(0)
	ds_bpermute_b32 v1, v1, v2
	v_add_u32_e32 v3, 2, v3
	v_cmp_gt_u32_e32 vcc, s8, v3
	s_mov_b64 s[6:7], s[74:75]
                                        ; implicit-def: $vgpr4
	s_and_saveexec_b64 s[8:9], vcc
	s_cbranch_execz .LBB920_138
; %bb.137:
	s_waitcnt lgkmcnt(0)
	v_add_u32_e32 v4, v1, v2
	s_or_b64 s[6:7], s[74:75], exec
.LBB920_138:
	s_or_b64 exec, exec, s[8:9]
	s_andn2_b64 s[8:9], s[74:75], exec
	s_and_b64 s[6:7], s[6:7], exec
	s_or_b64 s[74:75], s[8:9], s[6:7]
.LBB920_139:
	s_or_b64 exec, exec, s[4:5]
.LBB920_140:
	s_and_saveexec_b64 s[4:5], s[74:75]
	s_cbranch_execz .LBB920_142
; %bb.141:
	v_ashrrev_i32_e32 v5, 31, v4
	s_waitcnt vmcnt(0)
	v_lshl_add_u64 v[2:3], v[4:5], 2, s[66:67]
	global_load_dword v2, v[2:3], off
.LBB920_142:
	s_or_b64 exec, exec, s[4:5]
	v_cmp_eq_u32_e32 vcc, 0, v0
	s_mov_b64 s[36:37], 0
	s_mov_b64 s[34:35], 0
	s_and_saveexec_b64 s[4:5], vcc
	s_xor_b64 s[4:5], exec, s[4:5]
; %bb.143:
	s_cmp_eq_u64 s[70:71], 0
	s_cselect_b64 s[6:7], -1, 0
	s_cmp_lg_u64 s[70:71], 0
	s_cselect_b64 s[8:9], -1, 0
	s_and_b64 s[34:35], s[6:7], exec
	s_and_b64 s[36:37], s[8:9], exec
; %bb.144:
	s_or_b64 exec, exec, s[4:5]
	s_and_b64 vcc, exec, s[72:73]
	s_cbranch_vccnz .LBB920_14
.LBB920_145:
	s_branch .LBB920_229
.LBB920_146:
	s_mov_b64 s[6:7], -1
	s_mov_b64 s[38:39], 0
                                        ; implicit-def: $vgpr4
                                        ; implicit-def: $vgpr2
.LBB920_147:
	s_and_b64 vcc, exec, s[6:7]
	s_cbranch_vccz .LBB920_216
; %bb.148:
	s_sub_i32 s44, s70, s4
	s_waitcnt vmcnt(0)
	v_mov_b32_e32 v2, 0
	v_cmp_gt_u32_e32 vcc, s44, v0
	v_mov_b32_e32 v3, v2
	v_mov_b32_e32 v4, v2
	;; [unrolled: 1-line block ×15, first 2 shown]
	s_and_saveexec_b64 s[4:5], vcc
	s_cbranch_execz .LBB920_150
; %bb.149:
	s_waitcnt lgkmcnt(0)
	v_lshlrev_b32_e32 v1, 2, v0
	global_load_dword v4, v1, s[40:41]
	v_mov_b32_e32 v5, v2
	v_mov_b32_e32 v6, v2
	;; [unrolled: 1-line block ×15, first 2 shown]
	s_waitcnt vmcnt(0)
	v_mov_b64_e32 v[2:3], v[4:5]
	v_mov_b64_e32 v[4:5], v[6:7]
	;; [unrolled: 1-line block ×8, first 2 shown]
.LBB920_150:
	s_or_b64 exec, exec, s[4:5]
	s_waitcnt lgkmcnt(0)
	v_or_b32_e32 v1, 0x100, v0
	v_cmp_gt_u32_e32 vcc, s44, v1
	s_and_saveexec_b64 s[4:5], vcc
	s_cbranch_execz .LBB920_152
; %bb.151:
	v_lshlrev_b32_e32 v1, 2, v0
	global_load_dword v3, v1, s[40:41] offset:1024
.LBB920_152:
	s_or_b64 exec, exec, s[4:5]
	v_or_b32_e32 v1, 0x200, v0
	v_cmp_gt_u32_e64 s[4:5], s44, v1
	s_and_saveexec_b64 s[6:7], s[4:5]
	s_cbranch_execz .LBB920_154
; %bb.153:
	v_lshlrev_b32_e32 v1, 2, v0
	global_load_dword v4, v1, s[40:41] offset:2048
.LBB920_154:
	s_or_b64 exec, exec, s[6:7]
	v_or_b32_e32 v1, 0x300, v0
	v_cmp_gt_u32_e64 s[6:7], s44, v1
	s_and_saveexec_b64 s[8:9], s[6:7]
	s_cbranch_execz .LBB920_156
; %bb.155:
	v_lshlrev_b32_e32 v1, 2, v0
	global_load_dword v5, v1, s[40:41] offset:3072
.LBB920_156:
	s_or_b64 exec, exec, s[8:9]
	v_or_b32_e32 v1, 0x400, v0
	v_cmp_gt_u32_e64 s[8:9], s44, v1
	s_and_saveexec_b64 s[10:11], s[8:9]
	s_cbranch_execz .LBB920_158
; %bb.157:
	v_lshlrev_b32_e32 v1, 2, v1
	global_load_dword v6, v1, s[40:41]
.LBB920_158:
	s_or_b64 exec, exec, s[10:11]
	v_or_b32_e32 v1, 0x500, v0
	v_cmp_gt_u32_e64 s[10:11], s44, v1
	s_and_saveexec_b64 s[12:13], s[10:11]
	s_cbranch_execz .LBB920_160
; %bb.159:
	v_lshlrev_b32_e32 v1, 2, v1
	global_load_dword v7, v1, s[40:41]
.LBB920_160:
	s_or_b64 exec, exec, s[12:13]
	v_or_b32_e32 v1, 0x600, v0
	v_cmp_gt_u32_e64 s[12:13], s44, v1
	s_and_saveexec_b64 s[14:15], s[12:13]
	;; [unrolled: 9-line block ×11, first 2 shown]
	s_cbranch_execnz .LBB920_454
; %bb.179:
	s_or_b64 exec, exec, s[42:43]
	s_and_saveexec_b64 s[40:41], vcc
	s_cbranch_execnz .LBB920_455
.LBB920_180:
	s_or_b64 exec, exec, s[40:41]
	s_and_saveexec_b64 s[40:41], s[4:5]
	s_cbranch_execnz .LBB920_456
.LBB920_181:
	s_or_b64 exec, exec, s[40:41]
	s_and_saveexec_b64 s[4:5], s[6:7]
	s_cbranch_execnz .LBB920_457
.LBB920_182:
	s_or_b64 exec, exec, s[4:5]
	s_and_saveexec_b64 s[4:5], s[8:9]
	s_cbranch_execnz .LBB920_458
.LBB920_183:
	s_or_b64 exec, exec, s[4:5]
	s_and_saveexec_b64 s[4:5], s[10:11]
	s_cbranch_execnz .LBB920_459
.LBB920_184:
	s_or_b64 exec, exec, s[4:5]
	s_and_saveexec_b64 s[4:5], s[12:13]
	s_cbranch_execnz .LBB920_460
.LBB920_185:
	s_or_b64 exec, exec, s[4:5]
	s_and_saveexec_b64 s[4:5], s[14:15]
	s_cbranch_execnz .LBB920_461
.LBB920_186:
	s_or_b64 exec, exec, s[4:5]
	s_and_saveexec_b64 s[4:5], s[16:17]
	s_cbranch_execnz .LBB920_462
.LBB920_187:
	s_or_b64 exec, exec, s[4:5]
	s_and_saveexec_b64 s[4:5], s[18:19]
	s_cbranch_execnz .LBB920_463
.LBB920_188:
	s_or_b64 exec, exec, s[4:5]
	s_and_saveexec_b64 s[4:5], s[20:21]
	s_cbranch_execnz .LBB920_464
.LBB920_189:
	s_or_b64 exec, exec, s[4:5]
	s_and_saveexec_b64 s[4:5], s[22:23]
	s_cbranch_execnz .LBB920_465
.LBB920_190:
	s_or_b64 exec, exec, s[4:5]
	s_and_saveexec_b64 s[4:5], s[24:25]
	s_cbranch_execnz .LBB920_466
.LBB920_191:
	s_or_b64 exec, exec, s[4:5]
	s_and_saveexec_b64 s[4:5], s[26:27]
	s_cbranch_execnz .LBB920_467
.LBB920_192:
	s_or_b64 exec, exec, s[4:5]
	s_and_saveexec_b64 s[4:5], s[28:29]
	s_cbranch_execnz .LBB920_468
.LBB920_193:
	s_or_b64 exec, exec, s[4:5]
	s_and_saveexec_b64 s[4:5], s[30:31]
	s_cbranch_execz .LBB920_195
.LBB920_194:
	s_waitcnt vmcnt(0)
	v_add_u32_e32 v2, v2, v17
	v_ashrrev_i32_e32 v3, 31, v2
	v_lshl_add_u64 v[2:3], v[2:3], 2, s[66:67]
	global_load_dword v2, v[2:3], off
.LBB920_195:
	s_or_b64 exec, exec, s[4:5]
	v_mbcnt_lo_u32_b32 v1, -1, 0
	v_mbcnt_hi_u32_b32 v1, -1, v1
	s_waitcnt vmcnt(0)
	v_and_b32_e32 v3, 63, v1
	v_cmp_ne_u32_e32 vcc, 63, v3
	s_min_u32 s6, s44, 0x100
	v_add_u32_e32 v6, 1, v3
	v_addc_co_u32_e32 v4, vcc, 0, v1, vcc
	v_lshlrev_b32_e32 v4, 2, v4
	ds_bpermute_b32 v5, v4, v2
	v_and_b32_e32 v4, 0xc0, v0
	v_sub_u32_e64 v4, s6, v4 clamp
	v_cmp_lt_u32_e32 vcc, v6, v4
	s_and_saveexec_b64 s[4:5], vcc
	s_xor_b64 s[4:5], exec, s[4:5]
	s_cbranch_execz .LBB920_197
; %bb.196:
	s_waitcnt lgkmcnt(0)
	v_add_u32_e32 v6, v5, v2
	v_ashrrev_i32_e32 v7, 31, v6
	v_lshl_add_u64 v[6:7], v[6:7], 2, s[66:67]
	global_load_dword v2, v[6:7], off
.LBB920_197:
	s_or_b64 exec, exec, s[4:5]
	v_cmp_gt_u32_e32 vcc, 62, v3
	v_add_u32_e32 v6, 2, v3
	s_waitcnt lgkmcnt(0)
	v_cndmask_b32_e64 v5, 0, 2, vcc
	v_add_lshl_u32 v5, v5, v1, 2
	s_waitcnt vmcnt(0)
	ds_bpermute_b32 v5, v5, v2
	v_cmp_lt_u32_e32 vcc, v6, v4
	s_and_saveexec_b64 s[4:5], vcc
	s_cbranch_execz .LBB920_199
; %bb.198:
	s_waitcnt lgkmcnt(0)
	v_add_u32_e32 v6, v5, v2
	v_ashrrev_i32_e32 v7, 31, v6
	v_lshl_add_u64 v[6:7], v[6:7], 2, s[66:67]
	global_load_dword v2, v[6:7], off
.LBB920_199:
	s_or_b64 exec, exec, s[4:5]
	v_cmp_gt_u32_e32 vcc, 60, v3
	v_add_u32_e32 v6, 4, v3
	s_waitcnt lgkmcnt(0)
	v_cndmask_b32_e64 v5, 0, 4, vcc
	v_add_lshl_u32 v5, v5, v1, 2
	s_waitcnt vmcnt(0)
	ds_bpermute_b32 v5, v5, v2
	v_cmp_lt_u32_e32 vcc, v6, v4
	s_and_saveexec_b64 s[4:5], vcc
	;; [unrolled: 18-line block ×4, first 2 shown]
	s_cbranch_execz .LBB920_205
; %bb.204:
	s_waitcnt lgkmcnt(0)
	v_add_u32_e32 v6, v5, v2
	v_ashrrev_i32_e32 v7, 31, v6
	v_lshl_add_u64 v[6:7], v[6:7], 2, s[66:67]
	global_load_dword v2, v[6:7], off
.LBB920_205:
	s_or_b64 exec, exec, s[4:5]
	s_waitcnt lgkmcnt(0)
	v_lshlrev_b32_e32 v5, 2, v1
	v_or_b32_e32 v6, 0x80, v5
	s_waitcnt vmcnt(0)
	ds_bpermute_b32 v6, v6, v2
	v_add_u32_e32 v3, 32, v3
	v_cmp_lt_u32_e32 vcc, v3, v4
	s_and_saveexec_b64 s[4:5], vcc
	s_cbranch_execz .LBB920_207
; %bb.206:
	s_waitcnt lgkmcnt(0)
	v_add_u32_e32 v2, v6, v2
	v_ashrrev_i32_e32 v3, 31, v2
	v_lshl_add_u64 v[2:3], v[2:3], 2, s[66:67]
	global_load_dword v2, v[2:3], off
.LBB920_207:
	s_or_b64 exec, exec, s[4:5]
	v_cmp_eq_u32_e32 vcc, 0, v1
	s_and_saveexec_b64 s[4:5], vcc
	s_cbranch_execz .LBB920_209
; %bb.208:
	v_lshrrev_b32_e32 v3, 4, v0
	v_and_b32_e32 v3, 12, v3
	s_waitcnt vmcnt(0)
	ds_write_b32 v3, v2
.LBB920_209:
	s_or_b64 exec, exec, s[4:5]
	v_cmp_gt_u32_e32 vcc, 4, v0
	s_waitcnt lgkmcnt(0)
	s_barrier
                                        ; implicit-def: $vgpr4
	s_and_saveexec_b64 s[4:5], vcc
	s_cbranch_execz .LBB920_215
; %bb.210:
	s_waitcnt vmcnt(0)
	ds_read_b32 v2, v5
	v_and_b32_e32 v3, 3, v1
	v_cmp_ne_u32_e32 vcc, 3, v3
	s_add_i32 s6, s6, 63
	s_lshr_b32 s8, s6, 6
	v_addc_co_u32_e32 v1, vcc, 0, v1, vcc
	v_lshlrev_b32_e32 v1, 2, v1
	s_waitcnt lgkmcnt(0)
	ds_bpermute_b32 v1, v1, v2
	v_add_u32_e32 v4, 1, v3
	v_cmp_gt_u32_e32 vcc, s8, v4
	s_and_saveexec_b64 s[6:7], vcc
	s_cbranch_execz .LBB920_212
; %bb.211:
	s_waitcnt lgkmcnt(0)
	v_add_u32_e32 v6, v1, v2
	v_ashrrev_i32_e32 v7, 31, v6
	v_lshl_add_u64 v[6:7], v[6:7], 2, s[66:67]
	global_load_dword v2, v[6:7], off
.LBB920_212:
	s_or_b64 exec, exec, s[6:7]
	s_waitcnt lgkmcnt(0)
	v_or_b32_e32 v1, 8, v5
	s_waitcnt vmcnt(0)
	ds_bpermute_b32 v1, v1, v2
	v_add_u32_e32 v3, 2, v3
	v_cmp_gt_u32_e32 vcc, s8, v3
	s_mov_b64 s[6:7], s[38:39]
                                        ; implicit-def: $vgpr4
	s_and_saveexec_b64 s[8:9], vcc
	s_cbranch_execz .LBB920_214
; %bb.213:
	s_waitcnt lgkmcnt(0)
	v_add_u32_e32 v4, v1, v2
	s_or_b64 s[6:7], s[38:39], exec
.LBB920_214:
	s_or_b64 exec, exec, s[8:9]
	s_andn2_b64 s[8:9], s[38:39], exec
	s_and_b64 s[6:7], s[6:7], exec
	s_or_b64 s[38:39], s[8:9], s[6:7]
.LBB920_215:
	s_or_b64 exec, exec, s[4:5]
.LBB920_216:
	s_and_saveexec_b64 s[4:5], s[38:39]
	s_cbranch_execz .LBB920_218
; %bb.217:
	v_ashrrev_i32_e32 v5, 31, v4
	s_waitcnt vmcnt(0)
	v_lshl_add_u64 v[2:3], v[4:5], 2, s[66:67]
	global_load_dword v2, v[2:3], off
.LBB920_218:
	s_or_b64 exec, exec, s[4:5]
	v_cmp_eq_u32_e32 vcc, 0, v0
	s_and_saveexec_b64 s[4:5], vcc
	s_xor_b64 s[4:5], exec, s[4:5]
	s_cbranch_execz .LBB920_220
; %bb.219:
	s_cmp_eq_u64 s[70:71], 0
	s_cselect_b64 s[6:7], -1, 0
	s_cmp_lg_u64 s[70:71], 0
	s_cselect_b64 s[8:9], -1, 0
	s_andn2_b64 s[10:11], s[34:35], exec
	s_and_b64 s[6:7], s[6:7], exec
	s_or_b64 s[34:35], s[10:11], s[6:7]
	s_andn2_b64 s[6:7], s[36:37], exec
	s_and_b64 s[8:9], s[8:9], exec
	s_or_b64 s[36:37], s[6:7], s[8:9]
.LBB920_220:
	s_or_b64 exec, exec, s[4:5]
	s_branch .LBB920_229
.LBB920_221:
	s_cmp_eq_u32 s80, 8
	s_cbranch_scc0 .LBB920_228
; %bb.222:
	s_mov_b32 s3, 0
	s_lshl_b32 s4, s2, 11
	s_mov_b32 s5, s3
	s_lshr_b64 s[6:7], s[70:71], 11
	s_lshl_b64 s[8:9], s[4:5], 2
	s_add_u32 s18, s68, s8
	s_addc_u32 s19, s69, s9
	s_cmp_lg_u64 s[6:7], s[2:3]
	s_cbranch_scc0 .LBB920_230
; %bb.223:
	s_waitcnt vmcnt(0)
	v_lshlrev_b32_e32 v2, 2, v0
	s_waitcnt lgkmcnt(0)
	global_load_dword v1, v2, s[18:19]
	global_load_dword v3, v2, s[18:19] offset:1024
	global_load_dword v6, v2, s[18:19] offset:2048
	;; [unrolled: 1-line block ×3, first 2 shown]
	s_waitcnt vmcnt(2)
	v_add_u32_e32 v4, v3, v1
	v_ashrrev_i32_e32 v5, 31, v4
	v_lshl_add_u64 v[4:5], v[4:5], 2, s[66:67]
	global_load_dword v1, v[4:5], off
	v_mov_b32_e32 v3, 0
	v_lshl_add_u64 v[2:3], s[18:19], 0, v[2:3]
	v_add_co_u32_e32 v2, vcc, 0x1000, v2
	s_waitcnt vmcnt(0)
	v_add_u32_e32 v4, v1, v6
	v_ashrrev_i32_e32 v5, 31, v4
	v_lshl_add_u64 v[4:5], v[4:5], 2, s[66:67]
	global_load_dword v1, v[4:5], off
	v_addc_co_u32_e32 v3, vcc, 0, v3, vcc
	s_waitcnt vmcnt(0)
	v_add_u32_e32 v4, v1, v7
	v_ashrrev_i32_e32 v5, 31, v4
	v_lshl_add_u64 v[4:5], v[4:5], 2, s[66:67]
	global_load_dword v1, v[4:5], off
	global_load_dword v6, v[2:3], off
	global_load_dword v7, v[2:3], off offset:1024
	global_load_dword v8, v[2:3], off offset:2048
	;; [unrolled: 1-line block ×3, first 2 shown]
	s_waitcnt vmcnt(3)
	v_add_u32_e32 v2, v1, v6
	v_ashrrev_i32_e32 v3, 31, v2
	v_lshl_add_u64 v[2:3], v[2:3], 2, s[66:67]
	global_load_dword v1, v[2:3], off
	s_waitcnt vmcnt(0)
	v_add_u32_e32 v2, v1, v7
	v_ashrrev_i32_e32 v3, 31, v2
	v_lshl_add_u64 v[2:3], v[2:3], 2, s[66:67]
	global_load_dword v1, v[2:3], off
	;; [unrolled: 5-line block ×4, first 2 shown]
	s_waitcnt vmcnt(0)
	s_nop 0
	v_add_u32_dpp v2, v1, v1 quad_perm:[1,0,3,2] row_mask:0xf bank_mask:0xf bound_ctrl:1
	v_ashrrev_i32_e32 v3, 31, v2
	v_lshl_add_u64 v[2:3], v[2:3], 2, s[66:67]
	global_load_dword v1, v[2:3], off
	s_waitcnt vmcnt(0)
	s_nop 0
	v_add_u32_dpp v2, v1, v1 quad_perm:[2,3,0,1] row_mask:0xf bank_mask:0xf bound_ctrl:1
	v_ashrrev_i32_e32 v3, 31, v2
	v_lshl_add_u64 v[2:3], v[2:3], 2, s[66:67]
	global_load_dword v1, v[2:3], off
	s_waitcnt vmcnt(0)
	s_nop 0
	v_add_u32_dpp v2, v1, v1 row_ror:4 row_mask:0xf bank_mask:0xf bound_ctrl:1
	v_ashrrev_i32_e32 v3, 31, v2
	v_lshl_add_u64 v[2:3], v[2:3], 2, s[66:67]
	global_load_dword v1, v[2:3], off
	s_waitcnt vmcnt(0)
	s_nop 0
	v_add_u32_dpp v2, v1, v1 row_ror:8 row_mask:0xf bank_mask:0xf bound_ctrl:1
	v_ashrrev_i32_e32 v3, 31, v2
	v_lshl_add_u64 v[2:3], v[2:3], 2, s[66:67]
	global_load_dword v1, v[2:3], off
	s_waitcnt vmcnt(0)
	s_nop 0
	v_add_u32_dpp v2, v1, v1 row_bcast:15 row_mask:0xf bank_mask:0xf bound_ctrl:1
	v_ashrrev_i32_e32 v3, 31, v2
	v_lshl_add_u64 v[2:3], v[2:3], 2, s[66:67]
	global_load_dword v1, v[2:3], off
	s_waitcnt vmcnt(0)
	s_nop 0
	v_add_u32_dpp v2, v1, v1 row_bcast:31 row_mask:0xf bank_mask:0xf bound_ctrl:1
	v_ashrrev_i32_e32 v3, 31, v2
	v_lshl_add_u64 v[2:3], v[2:3], 2, s[66:67]
	global_load_dword v2, v[2:3], off
	v_mbcnt_lo_u32_b32 v1, -1, 0
	v_mbcnt_hi_u32_b32 v3, -1, v1
	v_lshlrev_b32_e32 v1, 2, v3
	v_or_b32_e32 v4, 0xfc, v1
	v_cmp_eq_u32_e32 vcc, 0, v3
	s_waitcnt vmcnt(0)
	ds_bpermute_b32 v2, v4, v2
	s_and_saveexec_b64 s[6:7], vcc
	s_cbranch_execz .LBB920_225
; %bb.224:
	v_lshrrev_b32_e32 v4, 4, v0
	v_and_b32_e32 v4, 12, v4
	s_waitcnt lgkmcnt(0)
	ds_write_b32 v4, v2 offset:96
.LBB920_225:
	s_or_b64 exec, exec, s[6:7]
	v_cmp_gt_u32_e32 vcc, 64, v0
	s_mov_b64 s[6:7], 0
	s_mov_b64 s[16:17], 0
	s_waitcnt lgkmcnt(0)
	s_barrier
                                        ; implicit-def: $vgpr4
	s_and_saveexec_b64 s[8:9], vcc
	s_xor_b64 s[8:9], exec, s[8:9]
	s_cbranch_execz .LBB920_227
; %bb.226:
	v_and_b32_e32 v4, 3, v3
	v_lshlrev_b32_e32 v5, 2, v4
	ds_read_b32 v5, v5 offset:96
	v_cmp_ne_u32_e32 vcc, 3, v4
	v_or_b32_e32 v1, 8, v1
	s_mov_b64 s[16:17], exec
	v_addc_co_u32_e32 v3, vcc, 0, v3, vcc
	v_lshlrev_b32_e32 v3, 2, v3
	s_waitcnt lgkmcnt(0)
	ds_bpermute_b32 v3, v3, v5
	s_waitcnt lgkmcnt(0)
	v_add_u32_e32 v4, v3, v5
	v_ashrrev_i32_e32 v5, 31, v4
	v_lshl_add_u64 v[4:5], v[4:5], 2, s[66:67]
	global_load_dword v3, v[4:5], off
	s_waitcnt vmcnt(0)
	ds_bpermute_b32 v1, v1, v3
	s_waitcnt lgkmcnt(0)
	v_add_u32_e32 v4, v1, v3
.LBB920_227:
	s_or_b64 exec, exec, s[8:9]
	s_and_b64 vcc, exec, s[6:7]
	s_cbranch_vccnz .LBB920_231
	s_branch .LBB920_275
.LBB920_228:
                                        ; implicit-def: $vgpr2
.LBB920_229:
	s_branch .LBB920_389
.LBB920_230:
	s_mov_b64 s[16:17], 0
                                        ; implicit-def: $vgpr4
                                        ; implicit-def: $vgpr2
	s_cbranch_execz .LBB920_275
.LBB920_231:
	s_sub_i32 s22, s70, s4
	s_waitcnt vmcnt(0)
	v_mov_b32_e32 v2, 0
	v_cmp_gt_u32_e32 vcc, s22, v0
	v_mov_b32_e32 v3, v2
	v_mov_b32_e32 v4, v2
	;; [unrolled: 1-line block ×7, first 2 shown]
	s_and_saveexec_b64 s[4:5], vcc
	s_cbranch_execz .LBB920_233
; %bb.232:
	s_waitcnt lgkmcnt(0)
	v_lshlrev_b32_e32 v1, 2, v0
	global_load_dword v4, v1, s[18:19]
	v_mov_b32_e32 v5, v2
	v_mov_b32_e32 v6, v2
	;; [unrolled: 1-line block ×7, first 2 shown]
	s_waitcnt vmcnt(0)
	v_mov_b64_e32 v[2:3], v[4:5]
	v_mov_b64_e32 v[4:5], v[6:7]
	;; [unrolled: 1-line block ×4, first 2 shown]
.LBB920_233:
	s_or_b64 exec, exec, s[4:5]
	s_waitcnt lgkmcnt(0)
	v_or_b32_e32 v1, 0x100, v0
	v_cmp_gt_u32_e32 vcc, s22, v1
	s_and_saveexec_b64 s[4:5], vcc
	s_cbranch_execz .LBB920_235
; %bb.234:
	v_lshlrev_b32_e32 v1, 2, v0
	global_load_dword v3, v1, s[18:19] offset:1024
.LBB920_235:
	s_or_b64 exec, exec, s[4:5]
	v_or_b32_e32 v1, 0x200, v0
	v_cmp_gt_u32_e64 s[4:5], s22, v1
	s_and_saveexec_b64 s[6:7], s[4:5]
	s_cbranch_execz .LBB920_237
; %bb.236:
	v_lshlrev_b32_e32 v1, 2, v0
	global_load_dword v4, v1, s[18:19] offset:2048
.LBB920_237:
	s_or_b64 exec, exec, s[6:7]
	v_or_b32_e32 v1, 0x300, v0
	v_cmp_gt_u32_e64 s[6:7], s22, v1
	s_and_saveexec_b64 s[8:9], s[6:7]
	s_cbranch_execz .LBB920_239
; %bb.238:
	v_lshlrev_b32_e32 v1, 2, v0
	global_load_dword v5, v1, s[18:19] offset:3072
.LBB920_239:
	s_or_b64 exec, exec, s[8:9]
	v_or_b32_e32 v1, 0x400, v0
	v_cmp_gt_u32_e64 s[8:9], s22, v1
	s_and_saveexec_b64 s[10:11], s[8:9]
	s_cbranch_execz .LBB920_241
; %bb.240:
	v_lshlrev_b32_e32 v1, 2, v1
	global_load_dword v6, v1, s[18:19]
.LBB920_241:
	s_or_b64 exec, exec, s[10:11]
	v_or_b32_e32 v1, 0x500, v0
	v_cmp_gt_u32_e64 s[10:11], s22, v1
	s_and_saveexec_b64 s[12:13], s[10:11]
	s_cbranch_execz .LBB920_243
; %bb.242:
	v_lshlrev_b32_e32 v1, 2, v1
	global_load_dword v7, v1, s[18:19]
.LBB920_243:
	s_or_b64 exec, exec, s[12:13]
	v_or_b32_e32 v1, 0x600, v0
	v_cmp_gt_u32_e64 s[12:13], s22, v1
	s_and_saveexec_b64 s[14:15], s[12:13]
	;; [unrolled: 9-line block ×3, first 2 shown]
	s_cbranch_execnz .LBB920_293
; %bb.246:
	s_or_b64 exec, exec, s[20:21]
	s_and_saveexec_b64 s[18:19], vcc
	s_cbranch_execnz .LBB920_294
.LBB920_247:
	s_or_b64 exec, exec, s[18:19]
	s_and_saveexec_b64 s[18:19], s[4:5]
	s_cbranch_execnz .LBB920_295
.LBB920_248:
	s_or_b64 exec, exec, s[18:19]
	s_and_saveexec_b64 s[4:5], s[6:7]
	s_cbranch_execnz .LBB920_296
.LBB920_249:
	s_or_b64 exec, exec, s[4:5]
	s_and_saveexec_b64 s[4:5], s[8:9]
	s_cbranch_execnz .LBB920_297
.LBB920_250:
	s_or_b64 exec, exec, s[4:5]
	s_and_saveexec_b64 s[4:5], s[10:11]
	s_cbranch_execnz .LBB920_298
.LBB920_251:
	s_or_b64 exec, exec, s[4:5]
	s_and_saveexec_b64 s[4:5], s[12:13]
	s_cbranch_execnz .LBB920_299
.LBB920_252:
	s_or_b64 exec, exec, s[4:5]
	s_and_saveexec_b64 s[4:5], s[14:15]
	s_cbranch_execz .LBB920_254
.LBB920_253:
	s_waitcnt vmcnt(0)
	v_add_u32_e32 v2, v2, v9
	v_ashrrev_i32_e32 v3, 31, v2
	v_lshl_add_u64 v[2:3], v[2:3], 2, s[66:67]
	global_load_dword v2, v[2:3], off
.LBB920_254:
	s_or_b64 exec, exec, s[4:5]
	v_mbcnt_lo_u32_b32 v1, -1, 0
	v_mbcnt_hi_u32_b32 v1, -1, v1
	s_waitcnt vmcnt(0)
	v_and_b32_e32 v3, 63, v1
	v_cmp_ne_u32_e32 vcc, 63, v3
	s_min_u32 s6, s22, 0x100
	v_add_u32_e32 v6, 1, v3
	v_addc_co_u32_e32 v4, vcc, 0, v1, vcc
	v_lshlrev_b32_e32 v4, 2, v4
	ds_bpermute_b32 v5, v4, v2
	v_and_b32_e32 v4, 0xc0, v0
	v_sub_u32_e64 v4, s6, v4 clamp
	v_cmp_lt_u32_e32 vcc, v6, v4
	s_and_saveexec_b64 s[4:5], vcc
	s_xor_b64 s[4:5], exec, s[4:5]
	s_cbranch_execz .LBB920_256
; %bb.255:
	s_waitcnt lgkmcnt(0)
	v_add_u32_e32 v6, v5, v2
	v_ashrrev_i32_e32 v7, 31, v6
	v_lshl_add_u64 v[6:7], v[6:7], 2, s[66:67]
	global_load_dword v2, v[6:7], off
.LBB920_256:
	s_or_b64 exec, exec, s[4:5]
	v_cmp_gt_u32_e32 vcc, 62, v3
	v_add_u32_e32 v6, 2, v3
	s_waitcnt lgkmcnt(0)
	v_cndmask_b32_e64 v5, 0, 2, vcc
	v_add_lshl_u32 v5, v5, v1, 2
	s_waitcnt vmcnt(0)
	ds_bpermute_b32 v5, v5, v2
	v_cmp_lt_u32_e32 vcc, v6, v4
	s_and_saveexec_b64 s[4:5], vcc
	s_cbranch_execz .LBB920_258
; %bb.257:
	s_waitcnt lgkmcnt(0)
	v_add_u32_e32 v6, v5, v2
	v_ashrrev_i32_e32 v7, 31, v6
	v_lshl_add_u64 v[6:7], v[6:7], 2, s[66:67]
	global_load_dword v2, v[6:7], off
.LBB920_258:
	s_or_b64 exec, exec, s[4:5]
	v_cmp_gt_u32_e32 vcc, 60, v3
	v_add_u32_e32 v6, 4, v3
	s_waitcnt lgkmcnt(0)
	v_cndmask_b32_e64 v5, 0, 4, vcc
	v_add_lshl_u32 v5, v5, v1, 2
	s_waitcnt vmcnt(0)
	ds_bpermute_b32 v5, v5, v2
	v_cmp_lt_u32_e32 vcc, v6, v4
	s_and_saveexec_b64 s[4:5], vcc
	;; [unrolled: 18-line block ×4, first 2 shown]
	s_cbranch_execz .LBB920_264
; %bb.263:
	s_waitcnt lgkmcnt(0)
	v_add_u32_e32 v6, v5, v2
	v_ashrrev_i32_e32 v7, 31, v6
	v_lshl_add_u64 v[6:7], v[6:7], 2, s[66:67]
	global_load_dword v2, v[6:7], off
.LBB920_264:
	s_or_b64 exec, exec, s[4:5]
	s_waitcnt lgkmcnt(0)
	v_lshlrev_b32_e32 v5, 2, v1
	v_or_b32_e32 v6, 0x80, v5
	s_waitcnt vmcnt(0)
	ds_bpermute_b32 v6, v6, v2
	v_add_u32_e32 v3, 32, v3
	v_cmp_lt_u32_e32 vcc, v3, v4
	s_and_saveexec_b64 s[4:5], vcc
	s_cbranch_execz .LBB920_266
; %bb.265:
	s_waitcnt lgkmcnt(0)
	v_add_u32_e32 v2, v6, v2
	v_ashrrev_i32_e32 v3, 31, v2
	v_lshl_add_u64 v[2:3], v[2:3], 2, s[66:67]
	global_load_dword v2, v[2:3], off
.LBB920_266:
	s_or_b64 exec, exec, s[4:5]
	v_cmp_eq_u32_e32 vcc, 0, v1
	s_and_saveexec_b64 s[4:5], vcc
	s_cbranch_execz .LBB920_268
; %bb.267:
	v_lshrrev_b32_e32 v3, 4, v0
	v_and_b32_e32 v3, 12, v3
	s_waitcnt vmcnt(0)
	ds_write_b32 v3, v2
.LBB920_268:
	s_or_b64 exec, exec, s[4:5]
	v_cmp_gt_u32_e32 vcc, 4, v0
	s_waitcnt lgkmcnt(0)
	s_barrier
                                        ; implicit-def: $vgpr4
	s_and_saveexec_b64 s[4:5], vcc
	s_cbranch_execz .LBB920_274
; %bb.269:
	s_waitcnt vmcnt(0)
	ds_read_b32 v2, v5
	v_and_b32_e32 v3, 3, v1
	v_cmp_ne_u32_e32 vcc, 3, v3
	s_add_i32 s6, s6, 63
	s_lshr_b32 s8, s6, 6
	v_addc_co_u32_e32 v1, vcc, 0, v1, vcc
	v_lshlrev_b32_e32 v1, 2, v1
	s_waitcnt lgkmcnt(0)
	ds_bpermute_b32 v1, v1, v2
	v_add_u32_e32 v4, 1, v3
	v_cmp_gt_u32_e32 vcc, s8, v4
	s_and_saveexec_b64 s[6:7], vcc
	s_cbranch_execz .LBB920_271
; %bb.270:
	s_waitcnt lgkmcnt(0)
	v_add_u32_e32 v6, v1, v2
	v_ashrrev_i32_e32 v7, 31, v6
	v_lshl_add_u64 v[6:7], v[6:7], 2, s[66:67]
	global_load_dword v2, v[6:7], off
.LBB920_271:
	s_or_b64 exec, exec, s[6:7]
	s_waitcnt lgkmcnt(0)
	v_or_b32_e32 v1, 8, v5
	s_waitcnt vmcnt(0)
	ds_bpermute_b32 v1, v1, v2
	v_add_u32_e32 v3, 2, v3
	v_cmp_gt_u32_e32 vcc, s8, v3
	s_mov_b64 s[6:7], s[16:17]
                                        ; implicit-def: $vgpr4
	s_and_saveexec_b64 s[8:9], vcc
	s_cbranch_execz .LBB920_273
; %bb.272:
	s_waitcnt lgkmcnt(0)
	v_add_u32_e32 v4, v1, v2
	s_or_b64 s[6:7], s[16:17], exec
.LBB920_273:
	s_or_b64 exec, exec, s[8:9]
	s_andn2_b64 s[8:9], s[16:17], exec
	s_and_b64 s[6:7], s[6:7], exec
	s_or_b64 s[16:17], s[8:9], s[6:7]
.LBB920_274:
	s_or_b64 exec, exec, s[4:5]
.LBB920_275:
	s_and_saveexec_b64 s[4:5], s[16:17]
	s_cbranch_execz .LBB920_277
; %bb.276:
	v_ashrrev_i32_e32 v5, 31, v4
	s_waitcnt vmcnt(0)
	v_lshl_add_u64 v[2:3], v[4:5], 2, s[66:67]
	global_load_dword v2, v[2:3], off
.LBB920_277:
	s_or_b64 exec, exec, s[4:5]
	v_cmp_eq_u32_e32 vcc, 0, v0
	s_and_saveexec_b64 s[4:5], vcc
	s_xor_b64 s[4:5], exec, s[4:5]
	s_cbranch_execz .LBB920_279
; %bb.278:
	s_cmp_eq_u64 s[70:71], 0
	s_cselect_b64 s[6:7], -1, 0
	s_cmp_lg_u64 s[70:71], 0
	s_cselect_b64 s[8:9], -1, 0
	s_andn2_b64 s[10:11], s[34:35], exec
	s_and_b64 s[6:7], s[6:7], exec
	s_or_b64 s[34:35], s[10:11], s[6:7]
	s_andn2_b64 s[6:7], s[36:37], exec
	s_and_b64 s[8:9], s[8:9], exec
	s_or_b64 s[36:37], s[6:7], s[8:9]
.LBB920_279:
	s_or_b64 exec, exec, s[4:5]
	s_branch .LBB920_389
.LBB920_280:
	s_cmp_gt_i32 s80, 1
	s_cbranch_scc0 .LBB920_289
; %bb.281:
	s_cmp_gt_i32 s80, 3
	s_cbranch_scc0 .LBB920_290
; %bb.282:
	s_cmp_eq_u32 s80, 4
	s_cbranch_scc0 .LBB920_291
; %bb.283:
	s_mov_b32 s3, 0
	s_lshl_b32 s4, s2, 10
	s_mov_b32 s5, s3
	s_lshr_b64 s[6:7], s[70:71], 10
	s_lshl_b64 s[8:9], s[4:5], 2
	s_add_u32 s10, s68, s8
	s_addc_u32 s11, s69, s9
	s_cmp_lg_u64 s[6:7], s[2:3]
	s_cbranch_scc0 .LBB920_300
; %bb.284:
	s_waitcnt lgkmcnt(0)
	v_lshlrev_b32_e32 v1, 2, v0
	global_load_dword v2, v1, s[10:11]
	global_load_dword v3, v1, s[10:11] offset:1024
	global_load_dword v4, v1, s[10:11] offset:2048
	;; [unrolled: 1-line block ×3, first 2 shown]
	s_waitcnt vmcnt(2)
	v_add_u32_e32 v2, v3, v2
	v_ashrrev_i32_e32 v3, 31, v2
	v_lshl_add_u64 v[2:3], v[2:3], 2, s[66:67]
	global_load_dword v1, v[2:3], off
	s_waitcnt vmcnt(0)
	v_add_u32_e32 v2, v1, v4
	v_ashrrev_i32_e32 v3, 31, v2
	v_lshl_add_u64 v[2:3], v[2:3], 2, s[66:67]
	global_load_dword v1, v[2:3], off
	;; [unrolled: 5-line block ×3, first 2 shown]
	s_waitcnt vmcnt(0)
	s_nop 0
	v_add_u32_dpp v2, v1, v1 quad_perm:[1,0,3,2] row_mask:0xf bank_mask:0xf bound_ctrl:1
	v_ashrrev_i32_e32 v3, 31, v2
	v_lshl_add_u64 v[2:3], v[2:3], 2, s[66:67]
	global_load_dword v1, v[2:3], off
	s_waitcnt vmcnt(0)
	s_nop 0
	v_add_u32_dpp v2, v1, v1 quad_perm:[2,3,0,1] row_mask:0xf bank_mask:0xf bound_ctrl:1
	v_ashrrev_i32_e32 v3, 31, v2
	v_lshl_add_u64 v[2:3], v[2:3], 2, s[66:67]
	global_load_dword v1, v[2:3], off
	s_waitcnt vmcnt(0)
	s_nop 0
	v_add_u32_dpp v2, v1, v1 row_ror:4 row_mask:0xf bank_mask:0xf bound_ctrl:1
	v_ashrrev_i32_e32 v3, 31, v2
	v_lshl_add_u64 v[2:3], v[2:3], 2, s[66:67]
	global_load_dword v1, v[2:3], off
	s_waitcnt vmcnt(0)
	s_nop 0
	v_add_u32_dpp v2, v1, v1 row_ror:8 row_mask:0xf bank_mask:0xf bound_ctrl:1
	v_ashrrev_i32_e32 v3, 31, v2
	v_lshl_add_u64 v[2:3], v[2:3], 2, s[66:67]
	global_load_dword v1, v[2:3], off
	s_waitcnt vmcnt(0)
	s_nop 0
	v_add_u32_dpp v2, v1, v1 row_bcast:15 row_mask:0xf bank_mask:0xf bound_ctrl:1
	v_ashrrev_i32_e32 v3, 31, v2
	v_lshl_add_u64 v[2:3], v[2:3], 2, s[66:67]
	global_load_dword v1, v[2:3], off
	s_waitcnt vmcnt(0)
	s_nop 0
	v_add_u32_dpp v2, v1, v1 row_bcast:31 row_mask:0xf bank_mask:0xf bound_ctrl:1
	v_ashrrev_i32_e32 v3, 31, v2
	v_lshl_add_u64 v[2:3], v[2:3], 2, s[66:67]
	global_load_dword v2, v[2:3], off
	v_mbcnt_lo_u32_b32 v1, -1, 0
	v_mbcnt_hi_u32_b32 v3, -1, v1
	v_lshlrev_b32_e32 v1, 2, v3
	v_or_b32_e32 v4, 0xfc, v1
	v_cmp_eq_u32_e32 vcc, 0, v3
	s_waitcnt vmcnt(0)
	ds_bpermute_b32 v2, v4, v2
	s_and_saveexec_b64 s[6:7], vcc
	s_cbranch_execz .LBB920_286
; %bb.285:
	v_lshrrev_b32_e32 v4, 4, v0
	v_and_b32_e32 v4, 12, v4
	s_waitcnt lgkmcnt(0)
	ds_write_b32 v4, v2 offset:80
.LBB920_286:
	s_or_b64 exec, exec, s[6:7]
	v_cmp_gt_u32_e32 vcc, 64, v0
	s_mov_b64 s[6:7], 0
	s_mov_b64 s[8:9], 0
	s_waitcnt lgkmcnt(0)
	s_barrier
                                        ; implicit-def: $vgpr4
	s_and_saveexec_b64 s[12:13], vcc
	s_xor_b64 s[12:13], exec, s[12:13]
	s_cbranch_execz .LBB920_288
; %bb.287:
	v_and_b32_e32 v4, 3, v3
	v_lshlrev_b32_e32 v5, 2, v4
	ds_read_b32 v5, v5 offset:80
	v_cmp_ne_u32_e32 vcc, 3, v4
	v_or_b32_e32 v1, 8, v1
	s_mov_b64 s[8:9], exec
	v_addc_co_u32_e32 v3, vcc, 0, v3, vcc
	v_lshlrev_b32_e32 v3, 2, v3
	s_waitcnt lgkmcnt(0)
	ds_bpermute_b32 v3, v3, v5
	s_waitcnt lgkmcnt(0)
	v_add_u32_e32 v4, v3, v5
	v_ashrrev_i32_e32 v5, 31, v4
	v_lshl_add_u64 v[4:5], v[4:5], 2, s[66:67]
	global_load_dword v3, v[4:5], off
	s_waitcnt vmcnt(0)
	ds_bpermute_b32 v1, v1, v3
	s_waitcnt lgkmcnt(0)
	v_add_u32_e32 v4, v1, v3
.LBB920_288:
	s_or_b64 exec, exec, s[12:13]
	s_branch .LBB920_301
.LBB920_289:
                                        ; implicit-def: $vgpr2
	s_cbranch_execnz .LBB920_381
	s_branch .LBB920_389
.LBB920_290:
                                        ; implicit-def: $vgpr2
	s_cbranch_execz .LBB920_292
	s_branch .LBB920_339
.LBB920_291:
                                        ; implicit-def: $vgpr2
.LBB920_292:
	s_branch .LBB920_389
.LBB920_293:
	v_lshlrev_b32_e32 v1, 2, v1
	global_load_dword v9, v1, s[18:19]
	s_or_b64 exec, exec, s[20:21]
	s_and_saveexec_b64 s[18:19], vcc
	s_cbranch_execz .LBB920_247
.LBB920_294:
	s_waitcnt vmcnt(0)
	v_add_u32_e32 v2, v3, v2
	v_ashrrev_i32_e32 v3, 31, v2
	v_lshl_add_u64 v[2:3], v[2:3], 2, s[66:67]
	global_load_dword v2, v[2:3], off
	s_or_b64 exec, exec, s[18:19]
	s_and_saveexec_b64 s[18:19], s[4:5]
	s_cbranch_execz .LBB920_248
.LBB920_295:
	s_waitcnt vmcnt(0)
	v_add_u32_e32 v2, v2, v4
	v_ashrrev_i32_e32 v3, 31, v2
	v_lshl_add_u64 v[2:3], v[2:3], 2, s[66:67]
	global_load_dword v2, v[2:3], off
	s_or_b64 exec, exec, s[18:19]
	s_and_saveexec_b64 s[4:5], s[6:7]
	s_cbranch_execz .LBB920_249
.LBB920_296:
	s_waitcnt vmcnt(0)
	v_add_u32_e32 v2, v2, v5
	v_ashrrev_i32_e32 v3, 31, v2
	v_lshl_add_u64 v[2:3], v[2:3], 2, s[66:67]
	global_load_dword v2, v[2:3], off
	s_or_b64 exec, exec, s[4:5]
	s_and_saveexec_b64 s[4:5], s[8:9]
	s_cbranch_execz .LBB920_250
.LBB920_297:
	s_waitcnt vmcnt(0)
	v_add_u32_e32 v2, v2, v6
	v_ashrrev_i32_e32 v3, 31, v2
	v_lshl_add_u64 v[2:3], v[2:3], 2, s[66:67]
	global_load_dword v2, v[2:3], off
	s_or_b64 exec, exec, s[4:5]
	s_and_saveexec_b64 s[4:5], s[10:11]
	s_cbranch_execz .LBB920_251
.LBB920_298:
	s_waitcnt vmcnt(0)
	v_add_u32_e32 v2, v2, v7
	v_ashrrev_i32_e32 v3, 31, v2
	v_lshl_add_u64 v[2:3], v[2:3], 2, s[66:67]
	global_load_dword v2, v[2:3], off
	s_or_b64 exec, exec, s[4:5]
	s_and_saveexec_b64 s[4:5], s[12:13]
	s_cbranch_execz .LBB920_252
.LBB920_299:
	s_waitcnt vmcnt(0)
	v_add_u32_e32 v2, v2, v8
	v_ashrrev_i32_e32 v3, 31, v2
	v_lshl_add_u64 v[2:3], v[2:3], 2, s[66:67]
	global_load_dword v2, v[2:3], off
	s_or_b64 exec, exec, s[4:5]
	s_and_saveexec_b64 s[4:5], s[14:15]
	s_cbranch_execnz .LBB920_253
	s_branch .LBB920_254
.LBB920_300:
	s_mov_b64 s[6:7], -1
	s_mov_b64 s[8:9], 0
                                        ; implicit-def: $vgpr4
                                        ; implicit-def: $vgpr2
.LBB920_301:
	s_and_b64 vcc, exec, s[6:7]
	s_cbranch_vccz .LBB920_334
; %bb.302:
	s_sub_i32 s14, s70, s4
	s_waitcnt vmcnt(0)
	v_mov_b32_e32 v2, 0
	v_cmp_gt_u32_e32 vcc, s14, v0
	v_mov_b32_e32 v3, v2
	v_mov_b32_e32 v4, v2
	;; [unrolled: 1-line block ×3, first 2 shown]
	s_and_saveexec_b64 s[4:5], vcc
	s_cbranch_execz .LBB920_304
; %bb.303:
	s_waitcnt lgkmcnt(0)
	v_lshlrev_b32_e32 v1, 2, v0
	global_load_dword v4, v1, s[10:11]
	v_mov_b32_e32 v5, v2
	v_mov_b32_e32 v6, v2
	;; [unrolled: 1-line block ×3, first 2 shown]
	s_waitcnt vmcnt(0)
	v_mov_b64_e32 v[2:3], v[4:5]
	v_mov_b64_e32 v[4:5], v[6:7]
.LBB920_304:
	s_or_b64 exec, exec, s[4:5]
	s_waitcnt lgkmcnt(0)
	v_or_b32_e32 v1, 0x100, v0
	v_cmp_gt_u32_e32 vcc, s14, v1
	s_and_saveexec_b64 s[4:5], vcc
	s_cbranch_execz .LBB920_306
; %bb.305:
	v_lshlrev_b32_e32 v1, 2, v0
	global_load_dword v3, v1, s[10:11] offset:1024
.LBB920_306:
	s_or_b64 exec, exec, s[4:5]
	v_or_b32_e32 v1, 0x200, v0
	v_cmp_gt_u32_e64 s[4:5], s14, v1
	s_and_saveexec_b64 s[6:7], s[4:5]
	s_cbranch_execz .LBB920_308
; %bb.307:
	v_lshlrev_b32_e32 v1, 2, v0
	global_load_dword v4, v1, s[10:11] offset:2048
.LBB920_308:
	s_or_b64 exec, exec, s[6:7]
	v_or_b32_e32 v1, 0x300, v0
	v_cmp_gt_u32_e64 s[6:7], s14, v1
	s_and_saveexec_b64 s[12:13], s[6:7]
	s_cbranch_execnz .LBB920_469
; %bb.309:
	s_or_b64 exec, exec, s[12:13]
	s_and_saveexec_b64 s[10:11], vcc
	s_cbranch_execnz .LBB920_470
.LBB920_310:
	s_or_b64 exec, exec, s[10:11]
	s_and_saveexec_b64 s[10:11], s[4:5]
	s_cbranch_execnz .LBB920_471
.LBB920_311:
	s_or_b64 exec, exec, s[10:11]
	s_and_saveexec_b64 s[4:5], s[6:7]
	s_cbranch_execz .LBB920_313
.LBB920_312:
	s_waitcnt vmcnt(0)
	v_add_u32_e32 v2, v2, v5
	v_ashrrev_i32_e32 v3, 31, v2
	v_lshl_add_u64 v[2:3], v[2:3], 2, s[66:67]
	global_load_dword v2, v[2:3], off
.LBB920_313:
	s_or_b64 exec, exec, s[4:5]
	v_mbcnt_lo_u32_b32 v1, -1, 0
	v_mbcnt_hi_u32_b32 v1, -1, v1
	s_waitcnt vmcnt(0)
	v_and_b32_e32 v3, 63, v1
	v_cmp_ne_u32_e32 vcc, 63, v3
	s_min_u32 s6, s14, 0x100
	v_add_u32_e32 v6, 1, v3
	v_addc_co_u32_e32 v4, vcc, 0, v1, vcc
	v_lshlrev_b32_e32 v4, 2, v4
	ds_bpermute_b32 v5, v4, v2
	v_and_b32_e32 v4, 0xc0, v0
	v_sub_u32_e64 v4, s6, v4 clamp
	v_cmp_lt_u32_e32 vcc, v6, v4
	s_and_saveexec_b64 s[4:5], vcc
	s_xor_b64 s[4:5], exec, s[4:5]
	s_cbranch_execz .LBB920_315
; %bb.314:
	s_waitcnt lgkmcnt(0)
	v_add_u32_e32 v6, v5, v2
	v_ashrrev_i32_e32 v7, 31, v6
	v_lshl_add_u64 v[6:7], v[6:7], 2, s[66:67]
	global_load_dword v2, v[6:7], off
.LBB920_315:
	s_or_b64 exec, exec, s[4:5]
	v_cmp_gt_u32_e32 vcc, 62, v3
	v_add_u32_e32 v6, 2, v3
	s_waitcnt lgkmcnt(0)
	v_cndmask_b32_e64 v5, 0, 2, vcc
	v_add_lshl_u32 v5, v5, v1, 2
	s_waitcnt vmcnt(0)
	ds_bpermute_b32 v5, v5, v2
	v_cmp_lt_u32_e32 vcc, v6, v4
	s_and_saveexec_b64 s[4:5], vcc
	s_cbranch_execz .LBB920_317
; %bb.316:
	s_waitcnt lgkmcnt(0)
	v_add_u32_e32 v6, v5, v2
	v_ashrrev_i32_e32 v7, 31, v6
	v_lshl_add_u64 v[6:7], v[6:7], 2, s[66:67]
	global_load_dword v2, v[6:7], off
.LBB920_317:
	s_or_b64 exec, exec, s[4:5]
	v_cmp_gt_u32_e32 vcc, 60, v3
	v_add_u32_e32 v6, 4, v3
	s_waitcnt lgkmcnt(0)
	v_cndmask_b32_e64 v5, 0, 4, vcc
	v_add_lshl_u32 v5, v5, v1, 2
	s_waitcnt vmcnt(0)
	ds_bpermute_b32 v5, v5, v2
	v_cmp_lt_u32_e32 vcc, v6, v4
	s_and_saveexec_b64 s[4:5], vcc
	;; [unrolled: 18-line block ×4, first 2 shown]
	s_cbranch_execz .LBB920_323
; %bb.322:
	s_waitcnt lgkmcnt(0)
	v_add_u32_e32 v6, v5, v2
	v_ashrrev_i32_e32 v7, 31, v6
	v_lshl_add_u64 v[6:7], v[6:7], 2, s[66:67]
	global_load_dword v2, v[6:7], off
.LBB920_323:
	s_or_b64 exec, exec, s[4:5]
	s_waitcnt lgkmcnt(0)
	v_lshlrev_b32_e32 v5, 2, v1
	v_or_b32_e32 v6, 0x80, v5
	s_waitcnt vmcnt(0)
	ds_bpermute_b32 v6, v6, v2
	v_add_u32_e32 v3, 32, v3
	v_cmp_lt_u32_e32 vcc, v3, v4
	s_and_saveexec_b64 s[4:5], vcc
	s_cbranch_execz .LBB920_325
; %bb.324:
	s_waitcnt lgkmcnt(0)
	v_add_u32_e32 v2, v6, v2
	v_ashrrev_i32_e32 v3, 31, v2
	v_lshl_add_u64 v[2:3], v[2:3], 2, s[66:67]
	global_load_dword v2, v[2:3], off
.LBB920_325:
	s_or_b64 exec, exec, s[4:5]
	v_cmp_eq_u32_e32 vcc, 0, v1
	s_and_saveexec_b64 s[4:5], vcc
	s_cbranch_execz .LBB920_327
; %bb.326:
	v_lshrrev_b32_e32 v3, 4, v0
	v_and_b32_e32 v3, 12, v3
	s_waitcnt vmcnt(0)
	ds_write_b32 v3, v2
.LBB920_327:
	s_or_b64 exec, exec, s[4:5]
	v_cmp_gt_u32_e32 vcc, 4, v0
	s_waitcnt lgkmcnt(0)
	s_barrier
                                        ; implicit-def: $vgpr4
	s_and_saveexec_b64 s[4:5], vcc
	s_cbranch_execz .LBB920_333
; %bb.328:
	s_waitcnt vmcnt(0)
	ds_read_b32 v2, v5
	v_and_b32_e32 v3, 3, v1
	v_cmp_ne_u32_e32 vcc, 3, v3
	s_add_i32 s6, s6, 63
	s_lshr_b32 s10, s6, 6
	v_addc_co_u32_e32 v1, vcc, 0, v1, vcc
	v_lshlrev_b32_e32 v1, 2, v1
	s_waitcnt lgkmcnt(0)
	ds_bpermute_b32 v1, v1, v2
	v_add_u32_e32 v4, 1, v3
	v_cmp_gt_u32_e32 vcc, s10, v4
	s_and_saveexec_b64 s[6:7], vcc
	s_cbranch_execz .LBB920_330
; %bb.329:
	s_waitcnt lgkmcnt(0)
	v_add_u32_e32 v6, v1, v2
	v_ashrrev_i32_e32 v7, 31, v6
	v_lshl_add_u64 v[6:7], v[6:7], 2, s[66:67]
	global_load_dword v2, v[6:7], off
.LBB920_330:
	s_or_b64 exec, exec, s[6:7]
	s_waitcnt lgkmcnt(0)
	v_or_b32_e32 v1, 8, v5
	s_waitcnt vmcnt(0)
	ds_bpermute_b32 v1, v1, v2
	v_add_u32_e32 v3, 2, v3
	v_cmp_gt_u32_e32 vcc, s10, v3
	s_mov_b64 s[6:7], s[8:9]
                                        ; implicit-def: $vgpr4
	s_and_saveexec_b64 s[10:11], vcc
	s_cbranch_execz .LBB920_332
; %bb.331:
	s_waitcnt lgkmcnt(0)
	v_add_u32_e32 v4, v1, v2
	s_or_b64 s[6:7], s[8:9], exec
.LBB920_332:
	s_or_b64 exec, exec, s[10:11]
	s_andn2_b64 s[8:9], s[8:9], exec
	s_and_b64 s[6:7], s[6:7], exec
	s_or_b64 s[8:9], s[8:9], s[6:7]
.LBB920_333:
	s_or_b64 exec, exec, s[4:5]
.LBB920_334:
	s_and_saveexec_b64 s[4:5], s[8:9]
	s_cbranch_execz .LBB920_336
; %bb.335:
	v_ashrrev_i32_e32 v5, 31, v4
	s_waitcnt vmcnt(0)
	v_lshl_add_u64 v[2:3], v[4:5], 2, s[66:67]
	global_load_dword v2, v[2:3], off
.LBB920_336:
	s_or_b64 exec, exec, s[4:5]
	v_cmp_eq_u32_e32 vcc, 0, v0
	s_and_saveexec_b64 s[4:5], vcc
	s_xor_b64 s[4:5], exec, s[4:5]
	s_cbranch_execz .LBB920_338
; %bb.337:
	s_cmp_eq_u64 s[70:71], 0
	s_cselect_b64 s[6:7], -1, 0
	s_cmp_lg_u64 s[70:71], 0
	s_cselect_b64 s[8:9], -1, 0
	s_andn2_b64 s[10:11], s[34:35], exec
	s_and_b64 s[6:7], s[6:7], exec
	s_or_b64 s[34:35], s[10:11], s[6:7]
	s_andn2_b64 s[6:7], s[36:37], exec
	s_and_b64 s[8:9], s[8:9], exec
	s_or_b64 s[36:37], s[6:7], s[8:9]
.LBB920_338:
	s_or_b64 exec, exec, s[4:5]
	s_branch .LBB920_292
.LBB920_339:
	s_cmp_eq_u32 s80, 2
	s_cbranch_scc0 .LBB920_346
; %bb.340:
	s_mov_b32 s3, 0
	s_lshl_b32 s8, s2, 9
	s_mov_b32 s9, s3
	s_lshr_b64 s[4:5], s[70:71], 9
	s_lshl_b64 s[6:7], s[8:9], 2
	s_add_u32 s6, s68, s6
	s_addc_u32 s7, s69, s7
	s_cmp_lg_u64 s[4:5], s[2:3]
	s_cbranch_scc0 .LBB920_347
; %bb.341:
	s_waitcnt lgkmcnt(0)
	v_lshlrev_b32_e32 v1, 2, v0
	global_load_dword v2, v1, s[6:7]
	global_load_dword v3, v1, s[6:7] offset:1024
	s_waitcnt vmcnt(0)
	v_add_u32_e32 v2, v3, v2
	v_ashrrev_i32_e32 v3, 31, v2
	v_lshl_add_u64 v[2:3], v[2:3], 2, s[66:67]
	global_load_dword v1, v[2:3], off
	s_waitcnt vmcnt(0)
	s_nop 0
	v_add_u32_dpp v2, v1, v1 quad_perm:[1,0,3,2] row_mask:0xf bank_mask:0xf bound_ctrl:1
	v_ashrrev_i32_e32 v3, 31, v2
	v_lshl_add_u64 v[2:3], v[2:3], 2, s[66:67]
	global_load_dword v1, v[2:3], off
	s_waitcnt vmcnt(0)
	s_nop 0
	v_add_u32_dpp v2, v1, v1 quad_perm:[2,3,0,1] row_mask:0xf bank_mask:0xf bound_ctrl:1
	v_ashrrev_i32_e32 v3, 31, v2
	v_lshl_add_u64 v[2:3], v[2:3], 2, s[66:67]
	global_load_dword v1, v[2:3], off
	s_waitcnt vmcnt(0)
	s_nop 0
	v_add_u32_dpp v2, v1, v1 row_ror:4 row_mask:0xf bank_mask:0xf bound_ctrl:1
	v_ashrrev_i32_e32 v3, 31, v2
	v_lshl_add_u64 v[2:3], v[2:3], 2, s[66:67]
	global_load_dword v1, v[2:3], off
	s_waitcnt vmcnt(0)
	s_nop 0
	v_add_u32_dpp v2, v1, v1 row_ror:8 row_mask:0xf bank_mask:0xf bound_ctrl:1
	v_ashrrev_i32_e32 v3, 31, v2
	v_lshl_add_u64 v[2:3], v[2:3], 2, s[66:67]
	global_load_dword v1, v[2:3], off
	s_waitcnt vmcnt(0)
	s_nop 0
	v_add_u32_dpp v2, v1, v1 row_bcast:15 row_mask:0xf bank_mask:0xf bound_ctrl:1
	v_ashrrev_i32_e32 v3, 31, v2
	v_lshl_add_u64 v[2:3], v[2:3], 2, s[66:67]
	global_load_dword v1, v[2:3], off
	s_waitcnt vmcnt(0)
	s_nop 0
	v_add_u32_dpp v2, v1, v1 row_bcast:31 row_mask:0xf bank_mask:0xf bound_ctrl:1
	v_ashrrev_i32_e32 v3, 31, v2
	v_lshl_add_u64 v[2:3], v[2:3], 2, s[66:67]
	global_load_dword v2, v[2:3], off
	v_mbcnt_lo_u32_b32 v1, -1, 0
	v_mbcnt_hi_u32_b32 v3, -1, v1
	v_lshlrev_b32_e32 v1, 2, v3
	v_or_b32_e32 v4, 0xfc, v1
	v_cmp_eq_u32_e32 vcc, 0, v3
	s_waitcnt vmcnt(0)
	ds_bpermute_b32 v2, v4, v2
	s_and_saveexec_b64 s[4:5], vcc
	s_cbranch_execz .LBB920_343
; %bb.342:
	v_lshrrev_b32_e32 v4, 4, v0
	v_and_b32_e32 v4, 12, v4
	s_waitcnt lgkmcnt(0)
	ds_write_b32 v4, v2 offset:48
.LBB920_343:
	s_or_b64 exec, exec, s[4:5]
	v_cmp_gt_u32_e32 vcc, 64, v0
	s_mov_b64 s[10:11], 0
	s_mov_b64 s[4:5], 0
	s_waitcnt lgkmcnt(0)
	s_barrier
                                        ; implicit-def: $vgpr4
	s_and_saveexec_b64 s[12:13], vcc
	s_xor_b64 s[12:13], exec, s[12:13]
	s_cbranch_execz .LBB920_345
; %bb.344:
	v_and_b32_e32 v4, 3, v3
	v_lshlrev_b32_e32 v5, 2, v4
	ds_read_b32 v5, v5 offset:48
	v_cmp_ne_u32_e32 vcc, 3, v4
	v_or_b32_e32 v1, 8, v1
	s_mov_b64 s[4:5], exec
	v_addc_co_u32_e32 v3, vcc, 0, v3, vcc
	v_lshlrev_b32_e32 v3, 2, v3
	s_waitcnt lgkmcnt(0)
	ds_bpermute_b32 v3, v3, v5
	s_waitcnt lgkmcnt(0)
	v_add_u32_e32 v4, v3, v5
	v_ashrrev_i32_e32 v5, 31, v4
	v_lshl_add_u64 v[4:5], v[4:5], 2, s[66:67]
	global_load_dword v3, v[4:5], off
	s_waitcnt vmcnt(0)
	ds_bpermute_b32 v1, v1, v3
	s_waitcnt lgkmcnt(0)
	v_add_u32_e32 v4, v1, v3
.LBB920_345:
	s_or_b64 exec, exec, s[12:13]
	s_branch .LBB920_348
.LBB920_346:
                                        ; implicit-def: $vgpr2
	s_branch .LBB920_389
.LBB920_347:
	s_mov_b64 s[10:11], -1
	s_mov_b64 s[4:5], 0
                                        ; implicit-def: $vgpr4
                                        ; implicit-def: $vgpr2
.LBB920_348:
	s_and_b64 vcc, exec, s[10:11]
	s_cbranch_vccz .LBB920_376
; %bb.349:
	s_sub_i32 s10, s70, s8
	s_waitcnt vmcnt(0)
	v_mov_b32_e32 v2, 0
	v_cmp_gt_u32_e32 vcc, s10, v0
	v_mov_b32_e32 v3, v2
	s_and_saveexec_b64 s[8:9], vcc
	s_cbranch_execz .LBB920_351
; %bb.350:
	s_waitcnt lgkmcnt(0)
	v_lshlrev_b32_e32 v1, 2, v0
	global_load_dword v4, v1, s[6:7]
	v_mov_b32_e32 v5, v2
	s_waitcnt vmcnt(0)
	v_mov_b64_e32 v[2:3], v[4:5]
.LBB920_351:
	s_or_b64 exec, exec, s[8:9]
	s_waitcnt lgkmcnt(0)
	v_or_b32_e32 v1, 0x100, v0
	v_cmp_gt_u32_e32 vcc, s10, v1
	s_and_saveexec_b64 s[8:9], vcc
	s_cbranch_execz .LBB920_353
; %bb.352:
	v_lshlrev_b32_e32 v1, 2, v0
	global_load_dword v3, v1, s[6:7] offset:1024
.LBB920_353:
	s_or_b64 exec, exec, s[8:9]
	s_and_saveexec_b64 s[6:7], vcc
	s_cbranch_execz .LBB920_355
; %bb.354:
	s_waitcnt vmcnt(0)
	v_add_u32_e32 v2, v2, v3
	v_ashrrev_i32_e32 v3, 31, v2
	v_lshl_add_u64 v[2:3], v[2:3], 2, s[66:67]
	global_load_dword v2, v[2:3], off
.LBB920_355:
	s_or_b64 exec, exec, s[6:7]
	v_mbcnt_lo_u32_b32 v1, -1, 0
	v_mbcnt_hi_u32_b32 v1, -1, v1
	s_waitcnt vmcnt(0)
	v_and_b32_e32 v3, 63, v1
	v_cmp_ne_u32_e32 vcc, 63, v3
	s_min_u32 s8, s10, 0x100
	v_add_u32_e32 v6, 1, v3
	v_addc_co_u32_e32 v4, vcc, 0, v1, vcc
	v_lshlrev_b32_e32 v4, 2, v4
	ds_bpermute_b32 v5, v4, v2
	v_and_b32_e32 v4, 0xc0, v0
	v_sub_u32_e64 v4, s8, v4 clamp
	v_cmp_lt_u32_e32 vcc, v6, v4
	s_and_saveexec_b64 s[6:7], vcc
	s_xor_b64 s[6:7], exec, s[6:7]
	s_cbranch_execz .LBB920_357
; %bb.356:
	s_waitcnt lgkmcnt(0)
	v_add_u32_e32 v6, v5, v2
	v_ashrrev_i32_e32 v7, 31, v6
	v_lshl_add_u64 v[6:7], v[6:7], 2, s[66:67]
	global_load_dword v2, v[6:7], off
.LBB920_357:
	s_or_b64 exec, exec, s[6:7]
	v_cmp_gt_u32_e32 vcc, 62, v3
	v_add_u32_e32 v6, 2, v3
	s_waitcnt lgkmcnt(0)
	v_cndmask_b32_e64 v5, 0, 2, vcc
	v_add_lshl_u32 v5, v5, v1, 2
	s_waitcnt vmcnt(0)
	ds_bpermute_b32 v5, v5, v2
	v_cmp_lt_u32_e32 vcc, v6, v4
	s_and_saveexec_b64 s[6:7], vcc
	s_cbranch_execz .LBB920_359
; %bb.358:
	s_waitcnt lgkmcnt(0)
	v_add_u32_e32 v6, v5, v2
	v_ashrrev_i32_e32 v7, 31, v6
	v_lshl_add_u64 v[6:7], v[6:7], 2, s[66:67]
	global_load_dword v2, v[6:7], off
.LBB920_359:
	s_or_b64 exec, exec, s[6:7]
	v_cmp_gt_u32_e32 vcc, 60, v3
	v_add_u32_e32 v6, 4, v3
	s_waitcnt lgkmcnt(0)
	v_cndmask_b32_e64 v5, 0, 4, vcc
	v_add_lshl_u32 v5, v5, v1, 2
	s_waitcnt vmcnt(0)
	ds_bpermute_b32 v5, v5, v2
	v_cmp_lt_u32_e32 vcc, v6, v4
	s_and_saveexec_b64 s[6:7], vcc
	;; [unrolled: 18-line block ×4, first 2 shown]
	s_cbranch_execz .LBB920_365
; %bb.364:
	s_waitcnt lgkmcnt(0)
	v_add_u32_e32 v6, v5, v2
	v_ashrrev_i32_e32 v7, 31, v6
	v_lshl_add_u64 v[6:7], v[6:7], 2, s[66:67]
	global_load_dword v2, v[6:7], off
.LBB920_365:
	s_or_b64 exec, exec, s[6:7]
	s_waitcnt lgkmcnt(0)
	v_lshlrev_b32_e32 v5, 2, v1
	v_or_b32_e32 v6, 0x80, v5
	s_waitcnt vmcnt(0)
	ds_bpermute_b32 v6, v6, v2
	v_add_u32_e32 v3, 32, v3
	v_cmp_lt_u32_e32 vcc, v3, v4
	s_and_saveexec_b64 s[6:7], vcc
	s_cbranch_execz .LBB920_367
; %bb.366:
	s_waitcnt lgkmcnt(0)
	v_add_u32_e32 v2, v6, v2
	v_ashrrev_i32_e32 v3, 31, v2
	v_lshl_add_u64 v[2:3], v[2:3], 2, s[66:67]
	global_load_dword v2, v[2:3], off
.LBB920_367:
	s_or_b64 exec, exec, s[6:7]
	v_cmp_eq_u32_e32 vcc, 0, v1
	s_and_saveexec_b64 s[6:7], vcc
	s_cbranch_execz .LBB920_369
; %bb.368:
	v_lshrrev_b32_e32 v3, 4, v0
	v_and_b32_e32 v3, 12, v3
	s_waitcnt vmcnt(0)
	ds_write_b32 v3, v2
.LBB920_369:
	s_or_b64 exec, exec, s[6:7]
	v_cmp_gt_u32_e32 vcc, 4, v0
	s_waitcnt lgkmcnt(0)
	s_barrier
                                        ; implicit-def: $vgpr4
	s_and_saveexec_b64 s[6:7], vcc
	s_cbranch_execz .LBB920_375
; %bb.370:
	s_waitcnt vmcnt(0)
	ds_read_b32 v2, v5
	v_and_b32_e32 v3, 3, v1
	v_cmp_ne_u32_e32 vcc, 3, v3
	s_add_i32 s8, s8, 63
	s_lshr_b32 s10, s8, 6
	v_addc_co_u32_e32 v1, vcc, 0, v1, vcc
	v_lshlrev_b32_e32 v1, 2, v1
	s_waitcnt lgkmcnt(0)
	ds_bpermute_b32 v1, v1, v2
	v_add_u32_e32 v4, 1, v3
	v_cmp_gt_u32_e32 vcc, s10, v4
	s_and_saveexec_b64 s[8:9], vcc
	s_cbranch_execz .LBB920_372
; %bb.371:
	s_waitcnt lgkmcnt(0)
	v_add_u32_e32 v6, v1, v2
	v_ashrrev_i32_e32 v7, 31, v6
	v_lshl_add_u64 v[6:7], v[6:7], 2, s[66:67]
	global_load_dword v2, v[6:7], off
.LBB920_372:
	s_or_b64 exec, exec, s[8:9]
	s_waitcnt lgkmcnt(0)
	v_or_b32_e32 v1, 8, v5
	s_waitcnt vmcnt(0)
	ds_bpermute_b32 v1, v1, v2
	v_add_u32_e32 v3, 2, v3
	v_cmp_gt_u32_e32 vcc, s10, v3
	s_mov_b64 s[8:9], s[4:5]
                                        ; implicit-def: $vgpr4
	s_and_saveexec_b64 s[10:11], vcc
	s_cbranch_execz .LBB920_374
; %bb.373:
	s_waitcnt lgkmcnt(0)
	v_add_u32_e32 v4, v1, v2
	s_or_b64 s[8:9], s[4:5], exec
.LBB920_374:
	s_or_b64 exec, exec, s[10:11]
	s_andn2_b64 s[4:5], s[4:5], exec
	s_and_b64 s[8:9], s[8:9], exec
	s_or_b64 s[4:5], s[4:5], s[8:9]
.LBB920_375:
	s_or_b64 exec, exec, s[6:7]
.LBB920_376:
	s_and_saveexec_b64 s[6:7], s[4:5]
	s_cbranch_execz .LBB920_378
; %bb.377:
	v_ashrrev_i32_e32 v5, 31, v4
	s_waitcnt vmcnt(0)
	v_lshl_add_u64 v[2:3], v[4:5], 2, s[66:67]
	global_load_dword v2, v[2:3], off
.LBB920_378:
	s_or_b64 exec, exec, s[6:7]
	v_cmp_eq_u32_e32 vcc, 0, v0
	s_and_saveexec_b64 s[4:5], vcc
	s_xor_b64 s[4:5], exec, s[4:5]
	s_cbranch_execz .LBB920_380
; %bb.379:
	s_cmp_eq_u64 s[70:71], 0
	s_cselect_b64 s[6:7], -1, 0
	s_cmp_lg_u64 s[70:71], 0
	s_cselect_b64 s[8:9], -1, 0
	s_andn2_b64 s[10:11], s[34:35], exec
	s_and_b64 s[6:7], s[6:7], exec
	s_or_b64 s[34:35], s[10:11], s[6:7]
	s_andn2_b64 s[6:7], s[36:37], exec
	s_and_b64 s[8:9], s[8:9], exec
	s_or_b64 s[36:37], s[6:7], s[8:9]
.LBB920_380:
	s_or_b64 exec, exec, s[4:5]
	s_branch .LBB920_389
.LBB920_381:
	s_cmp_eq_u32 s80, 1
	s_cbranch_scc0 .LBB920_388
; %bb.382:
	s_mov_b32 s7, 0
	s_lshl_b32 s6, s2, 8
	s_mov_b32 s3, s7
	s_lshr_b64 s[4:5], s[70:71], 8
	s_cmp_lg_u64 s[4:5], s[2:3]
	s_waitcnt lgkmcnt(0)
	v_mbcnt_lo_u32_b32 v1, -1, 0
	s_cbranch_scc0 .LBB920_392
; %bb.383:
	s_lshl_b64 s[4:5], s[6:7], 2
	s_add_u32 s4, s68, s4
	s_addc_u32 s5, s69, s5
	s_waitcnt vmcnt(0)
	v_lshlrev_b32_e32 v2, 2, v0
	global_load_dword v2, v2, s[4:5]
	v_mbcnt_hi_u32_b32 v5, -1, v1
	v_cmp_eq_u32_e32 vcc, 0, v5
	s_waitcnt vmcnt(0)
	v_add_u32_dpp v2, v2, v2 quad_perm:[1,0,3,2] row_mask:0xf bank_mask:0xf bound_ctrl:1
	v_ashrrev_i32_e32 v3, 31, v2
	v_lshl_add_u64 v[2:3], v[2:3], 2, s[66:67]
	global_load_dword v2, v[2:3], off
	s_waitcnt vmcnt(0)
	s_nop 0
	v_add_u32_dpp v2, v2, v2 quad_perm:[2,3,0,1] row_mask:0xf bank_mask:0xf bound_ctrl:1
	v_ashrrev_i32_e32 v3, 31, v2
	v_lshl_add_u64 v[2:3], v[2:3], 2, s[66:67]
	global_load_dword v2, v[2:3], off
	s_waitcnt vmcnt(0)
	s_nop 0
	v_add_u32_dpp v2, v2, v2 row_ror:4 row_mask:0xf bank_mask:0xf bound_ctrl:1
	v_ashrrev_i32_e32 v3, 31, v2
	v_lshl_add_u64 v[2:3], v[2:3], 2, s[66:67]
	global_load_dword v2, v[2:3], off
	s_waitcnt vmcnt(0)
	s_nop 0
	v_add_u32_dpp v2, v2, v2 row_ror:8 row_mask:0xf bank_mask:0xf bound_ctrl:1
	v_ashrrev_i32_e32 v3, 31, v2
	v_lshl_add_u64 v[2:3], v[2:3], 2, s[66:67]
	global_load_dword v2, v[2:3], off
	s_waitcnt vmcnt(0)
	s_nop 0
	v_add_u32_dpp v2, v2, v2 row_bcast:15 row_mask:0xf bank_mask:0xf bound_ctrl:1
	v_ashrrev_i32_e32 v3, 31, v2
	v_lshl_add_u64 v[2:3], v[2:3], 2, s[66:67]
	global_load_dword v2, v[2:3], off
	s_waitcnt vmcnt(0)
	s_nop 0
	v_add_u32_dpp v2, v2, v2 row_bcast:31 row_mask:0xf bank_mask:0xf bound_ctrl:1
	v_ashrrev_i32_e32 v3, 31, v2
	v_lshl_add_u64 v[2:3], v[2:3], 2, s[66:67]
	global_load_dword v2, v[2:3], off
	v_lshlrev_b32_e32 v3, 2, v5
	v_or_b32_e32 v4, 0xfc, v3
	s_waitcnt vmcnt(0)
	ds_bpermute_b32 v2, v4, v2
	s_and_saveexec_b64 s[4:5], vcc
	s_cbranch_execz .LBB920_385
; %bb.384:
	v_lshrrev_b32_e32 v4, 4, v0
	v_and_b32_e32 v4, 12, v4
	s_waitcnt lgkmcnt(0)
	ds_write_b32 v4, v2 offset:32
.LBB920_385:
	s_or_b64 exec, exec, s[4:5]
	v_cmp_gt_u32_e32 vcc, 64, v0
	s_mov_b64 s[8:9], 0
	s_mov_b64 s[4:5], 0
	s_waitcnt lgkmcnt(0)
	s_barrier
                                        ; implicit-def: $vgpr4
	s_and_saveexec_b64 s[10:11], vcc
	s_xor_b64 s[10:11], exec, s[10:11]
	s_cbranch_execz .LBB920_387
; %bb.386:
	v_and_b32_e32 v4, 3, v5
	v_lshlrev_b32_e32 v6, 2, v4
	ds_read_b32 v6, v6 offset:32
	v_cmp_ne_u32_e32 vcc, 3, v4
	v_or_b32_e32 v3, 8, v3
	s_mov_b64 s[4:5], exec
	v_addc_co_u32_e32 v4, vcc, 0, v5, vcc
	v_lshlrev_b32_e32 v4, 2, v4
	s_waitcnt lgkmcnt(0)
	ds_bpermute_b32 v4, v4, v6
	s_waitcnt lgkmcnt(0)
	v_add_u32_e32 v4, v4, v6
	v_ashrrev_i32_e32 v5, 31, v4
	v_lshl_add_u64 v[4:5], v[4:5], 2, s[66:67]
	global_load_dword v4, v[4:5], off
	s_waitcnt vmcnt(0)
	ds_bpermute_b32 v3, v3, v4
	s_waitcnt lgkmcnt(0)
	v_add_u32_e32 v4, v3, v4
.LBB920_387:
	s_or_b64 exec, exec, s[10:11]
	s_and_b64 vcc, exec, s[8:9]
	s_cbranch_vccnz .LBB920_393
	s_branch .LBB920_416
.LBB920_388:
                                        ; implicit-def: $sgpr2_sgpr3
                                        ; implicit-def: $vgpr2
.LBB920_389:
	v_mov_b32_e32 v0, s33
	s_and_saveexec_b64 s[4:5], s[36:37]
	s_cbranch_execnz .LBB920_421
.LBB920_390:
	s_or_b64 exec, exec, s[4:5]
	s_and_saveexec_b64 s[4:5], s[34:35]
	s_cbranch_execnz .LBB920_422
.LBB920_391:
	s_endpgm
.LBB920_392:
	s_mov_b64 s[4:5], 0
                                        ; implicit-def: $vgpr4
                                        ; implicit-def: $vgpr2
	s_cbranch_execz .LBB920_416
.LBB920_393:
	s_sub_i32 s10, s70, s6
	v_cmp_gt_u32_e32 vcc, s10, v0
                                        ; implicit-def: $vgpr2
	s_and_saveexec_b64 s[8:9], vcc
	s_cbranch_execz .LBB920_395
; %bb.394:
	s_lshl_b64 s[6:7], s[6:7], 2
	s_add_u32 s6, s68, s6
	s_addc_u32 s7, s69, s7
	s_waitcnt vmcnt(0)
	v_lshlrev_b32_e32 v2, 2, v0
	global_load_dword v2, v2, s[6:7]
.LBB920_395:
	s_or_b64 exec, exec, s[8:9]
	v_mbcnt_hi_u32_b32 v1, -1, v1
	v_and_b32_e32 v3, 63, v1
	v_cmp_ne_u32_e32 vcc, 63, v3
	s_min_u32 s8, s10, 0x100
	v_add_u32_e32 v6, 1, v3
	v_addc_co_u32_e32 v4, vcc, 0, v1, vcc
	v_lshlrev_b32_e32 v4, 2, v4
	s_waitcnt vmcnt(0)
	ds_bpermute_b32 v5, v4, v2
	v_and_b32_e32 v4, 0xc0, v0
	v_sub_u32_e64 v4, s8, v4 clamp
	v_cmp_lt_u32_e32 vcc, v6, v4
	s_and_saveexec_b64 s[6:7], vcc
	s_cbranch_execz .LBB920_397
; %bb.396:
	s_waitcnt lgkmcnt(0)
	v_add_u32_e32 v6, v5, v2
	v_ashrrev_i32_e32 v7, 31, v6
	v_lshl_add_u64 v[6:7], v[6:7], 2, s[66:67]
	global_load_dword v2, v[6:7], off
.LBB920_397:
	s_or_b64 exec, exec, s[6:7]
	v_cmp_gt_u32_e32 vcc, 62, v3
	v_add_u32_e32 v6, 2, v3
	s_waitcnt lgkmcnt(0)
	v_cndmask_b32_e64 v5, 0, 2, vcc
	v_add_lshl_u32 v5, v5, v1, 2
	s_waitcnt vmcnt(0)
	ds_bpermute_b32 v5, v5, v2
	v_cmp_lt_u32_e32 vcc, v6, v4
	s_and_saveexec_b64 s[6:7], vcc
	s_cbranch_execz .LBB920_399
; %bb.398:
	s_waitcnt lgkmcnt(0)
	v_add_u32_e32 v6, v5, v2
	v_ashrrev_i32_e32 v7, 31, v6
	v_lshl_add_u64 v[6:7], v[6:7], 2, s[66:67]
	global_load_dword v2, v[6:7], off
.LBB920_399:
	s_or_b64 exec, exec, s[6:7]
	v_cmp_gt_u32_e32 vcc, 60, v3
	v_add_u32_e32 v6, 4, v3
	s_waitcnt lgkmcnt(0)
	v_cndmask_b32_e64 v5, 0, 4, vcc
	v_add_lshl_u32 v5, v5, v1, 2
	s_waitcnt vmcnt(0)
	ds_bpermute_b32 v5, v5, v2
	;; [unrolled: 18-line block ×4, first 2 shown]
	v_cmp_lt_u32_e32 vcc, v6, v4
	s_and_saveexec_b64 s[6:7], vcc
	s_cbranch_execz .LBB920_405
; %bb.404:
	s_waitcnt lgkmcnt(0)
	v_add_u32_e32 v6, v5, v2
	v_ashrrev_i32_e32 v7, 31, v6
	v_lshl_add_u64 v[6:7], v[6:7], 2, s[66:67]
	global_load_dword v2, v[6:7], off
.LBB920_405:
	s_or_b64 exec, exec, s[6:7]
	s_waitcnt lgkmcnt(0)
	v_lshlrev_b32_e32 v5, 2, v1
	v_or_b32_e32 v6, 0x80, v5
	s_waitcnt vmcnt(0)
	ds_bpermute_b32 v6, v6, v2
	v_add_u32_e32 v3, 32, v3
	v_cmp_lt_u32_e32 vcc, v3, v4
	s_and_saveexec_b64 s[6:7], vcc
	s_cbranch_execz .LBB920_407
; %bb.406:
	s_waitcnt lgkmcnt(0)
	v_add_u32_e32 v2, v6, v2
	v_ashrrev_i32_e32 v3, 31, v2
	v_lshl_add_u64 v[2:3], v[2:3], 2, s[66:67]
	global_load_dword v2, v[2:3], off
.LBB920_407:
	s_or_b64 exec, exec, s[6:7]
	v_cmp_eq_u32_e32 vcc, 0, v1
	s_and_saveexec_b64 s[6:7], vcc
	s_cbranch_execz .LBB920_409
; %bb.408:
	v_lshrrev_b32_e32 v3, 4, v0
	v_and_b32_e32 v3, 12, v3
	s_waitcnt vmcnt(0)
	ds_write_b32 v3, v2
.LBB920_409:
	s_or_b64 exec, exec, s[6:7]
	v_cmp_gt_u32_e32 vcc, 4, v0
	s_waitcnt lgkmcnt(0)
	s_barrier
                                        ; implicit-def: $vgpr4
	s_and_saveexec_b64 s[6:7], vcc
	s_cbranch_execz .LBB920_415
; %bb.410:
	s_waitcnt vmcnt(0)
	ds_read_b32 v2, v5
	v_and_b32_e32 v3, 3, v1
	v_cmp_ne_u32_e32 vcc, 3, v3
	s_add_i32 s8, s8, 63
	s_lshr_b32 s10, s8, 6
	v_addc_co_u32_e32 v1, vcc, 0, v1, vcc
	v_lshlrev_b32_e32 v1, 2, v1
	s_waitcnt lgkmcnt(0)
	ds_bpermute_b32 v1, v1, v2
	v_add_u32_e32 v4, 1, v3
	v_cmp_gt_u32_e32 vcc, s10, v4
	s_and_saveexec_b64 s[8:9], vcc
	s_cbranch_execz .LBB920_412
; %bb.411:
	s_waitcnt lgkmcnt(0)
	v_add_u32_e32 v6, v1, v2
	v_ashrrev_i32_e32 v7, 31, v6
	v_lshl_add_u64 v[6:7], v[6:7], 2, s[66:67]
	global_load_dword v2, v[6:7], off
.LBB920_412:
	s_or_b64 exec, exec, s[8:9]
	s_waitcnt lgkmcnt(0)
	v_or_b32_e32 v1, 8, v5
	s_waitcnt vmcnt(0)
	ds_bpermute_b32 v1, v1, v2
	v_add_u32_e32 v3, 2, v3
	v_cmp_gt_u32_e32 vcc, s10, v3
	s_mov_b64 s[8:9], s[4:5]
                                        ; implicit-def: $vgpr4
	s_and_saveexec_b64 s[10:11], vcc
	s_cbranch_execz .LBB920_414
; %bb.413:
	s_waitcnt lgkmcnt(0)
	v_add_u32_e32 v4, v1, v2
	s_or_b64 s[8:9], s[4:5], exec
.LBB920_414:
	s_or_b64 exec, exec, s[10:11]
	s_andn2_b64 s[4:5], s[4:5], exec
	s_and_b64 s[8:9], s[8:9], exec
	s_or_b64 s[4:5], s[4:5], s[8:9]
.LBB920_415:
	s_or_b64 exec, exec, s[6:7]
.LBB920_416:
	s_and_saveexec_b64 s[6:7], s[4:5]
	s_cbranch_execz .LBB920_418
; %bb.417:
	v_ashrrev_i32_e32 v5, 31, v4
	s_waitcnt vmcnt(0)
	v_lshl_add_u64 v[2:3], v[4:5], 2, s[66:67]
	global_load_dword v2, v[2:3], off
.LBB920_418:
	s_or_b64 exec, exec, s[6:7]
	v_cmp_eq_u32_e32 vcc, 0, v0
	s_and_saveexec_b64 s[4:5], vcc
	s_cbranch_execz .LBB920_420
; %bb.419:
	s_cmp_eq_u64 s[70:71], 0
	s_cselect_b64 s[6:7], -1, 0
	s_cmp_lg_u64 s[70:71], 0
	s_cselect_b64 s[8:9], -1, 0
	s_andn2_b64 s[10:11], s[34:35], exec
	s_and_b64 s[6:7], s[6:7], exec
	s_or_b64 s[34:35], s[10:11], s[6:7]
	s_andn2_b64 s[6:7], s[36:37], exec
	s_and_b64 s[8:9], s[8:9], exec
	s_or_b64 s[36:37], s[6:7], s[8:9]
.LBB920_420:
	s_or_b64 exec, exec, s[4:5]
	v_mov_b32_e32 v0, s33
	s_and_saveexec_b64 s[4:5], s[36:37]
	s_cbranch_execz .LBB920_390
.LBB920_421:
	s_waitcnt vmcnt(0)
	v_add_u32_e32 v0, s33, v2
	s_waitcnt lgkmcnt(0)
	v_ashrrev_i32_e32 v1, 31, v0
	v_lshl_add_u64 v[0:1], v[0:1], 2, s[66:67]
	global_load_dword v0, v[0:1], off
	s_or_b64 s[34:35], s[34:35], exec
	s_or_b64 exec, exec, s[4:5]
	s_and_saveexec_b64 s[4:5], s[34:35]
	s_cbranch_execz .LBB920_391
.LBB920_422:
	s_load_dwordx2 s[0:1], s[0:1], 0x18
	s_lshl_b64 s[2:3], s[2:3], 2
	s_waitcnt lgkmcnt(0)
	v_mov_b32_e32 v1, 0
	s_add_u32 s0, s0, s2
	s_addc_u32 s1, s1, s3
	s_waitcnt vmcnt(0)
	global_store_dword v1, v0, s[0:1]
	s_endpgm
.LBB920_423:
	v_lshlrev_b32_e32 v1, 2, v1
	global_load_dword v33, v1, s[76:77]
	s_or_b64 exec, exec, s[78:79]
	s_and_saveexec_b64 s[76:77], vcc
	s_cbranch_execz .LBB920_88
.LBB920_424:
	s_waitcnt vmcnt(0)
	v_add_u32_e32 v2, v3, v2
	v_ashrrev_i32_e32 v3, 31, v2
	v_lshl_add_u64 v[2:3], v[2:3], 2, s[66:67]
	global_load_dword v2, v[2:3], off
	s_or_b64 exec, exec, s[76:77]
	s_and_saveexec_b64 s[76:77], s[4:5]
	s_cbranch_execz .LBB920_89
.LBB920_425:
	s_waitcnt vmcnt(0)
	v_add_u32_e32 v2, v2, v4
	v_ashrrev_i32_e32 v3, 31, v2
	v_lshl_add_u64 v[2:3], v[2:3], 2, s[66:67]
	global_load_dword v2, v[2:3], off
	s_or_b64 exec, exec, s[76:77]
	s_and_saveexec_b64 s[4:5], s[6:7]
	s_cbranch_execz .LBB920_90
.LBB920_426:
	s_waitcnt vmcnt(0)
	v_add_u32_e32 v2, v2, v5
	v_ashrrev_i32_e32 v3, 31, v2
	v_lshl_add_u64 v[2:3], v[2:3], 2, s[66:67]
	global_load_dword v2, v[2:3], off
	s_or_b64 exec, exec, s[4:5]
	s_and_saveexec_b64 s[4:5], s[8:9]
	s_cbranch_execz .LBB920_91
.LBB920_427:
	s_waitcnt vmcnt(0)
	v_add_u32_e32 v2, v2, v6
	v_ashrrev_i32_e32 v3, 31, v2
	v_lshl_add_u64 v[2:3], v[2:3], 2, s[66:67]
	global_load_dword v2, v[2:3], off
	s_or_b64 exec, exec, s[4:5]
	s_and_saveexec_b64 s[4:5], s[10:11]
	s_cbranch_execz .LBB920_92
.LBB920_428:
	s_waitcnt vmcnt(0)
	v_add_u32_e32 v2, v2, v7
	v_ashrrev_i32_e32 v3, 31, v2
	v_lshl_add_u64 v[2:3], v[2:3], 2, s[66:67]
	global_load_dword v2, v[2:3], off
	s_or_b64 exec, exec, s[4:5]
	s_and_saveexec_b64 s[4:5], s[12:13]
	s_cbranch_execz .LBB920_93
.LBB920_429:
	s_waitcnt vmcnt(0)
	v_add_u32_e32 v2, v2, v8
	v_ashrrev_i32_e32 v3, 31, v2
	v_lshl_add_u64 v[2:3], v[2:3], 2, s[66:67]
	global_load_dword v2, v[2:3], off
	s_or_b64 exec, exec, s[4:5]
	s_and_saveexec_b64 s[4:5], s[14:15]
	s_cbranch_execz .LBB920_94
.LBB920_430:
	s_waitcnt vmcnt(0)
	v_add_u32_e32 v2, v2, v9
	v_ashrrev_i32_e32 v3, 31, v2
	v_lshl_add_u64 v[2:3], v[2:3], 2, s[66:67]
	global_load_dword v2, v[2:3], off
	s_or_b64 exec, exec, s[4:5]
	s_and_saveexec_b64 s[4:5], s[16:17]
	s_cbranch_execz .LBB920_95
.LBB920_431:
	s_waitcnt vmcnt(0)
	v_add_u32_e32 v2, v2, v10
	v_ashrrev_i32_e32 v3, 31, v2
	v_lshl_add_u64 v[2:3], v[2:3], 2, s[66:67]
	global_load_dword v2, v[2:3], off
	s_or_b64 exec, exec, s[4:5]
	s_and_saveexec_b64 s[4:5], s[18:19]
	s_cbranch_execz .LBB920_96
.LBB920_432:
	s_waitcnt vmcnt(0)
	v_add_u32_e32 v2, v2, v11
	v_ashrrev_i32_e32 v3, 31, v2
	v_lshl_add_u64 v[2:3], v[2:3], 2, s[66:67]
	global_load_dword v2, v[2:3], off
	s_or_b64 exec, exec, s[4:5]
	s_and_saveexec_b64 s[4:5], s[20:21]
	s_cbranch_execz .LBB920_97
.LBB920_433:
	s_waitcnt vmcnt(0)
	v_add_u32_e32 v2, v2, v12
	v_ashrrev_i32_e32 v3, 31, v2
	v_lshl_add_u64 v[2:3], v[2:3], 2, s[66:67]
	global_load_dword v2, v[2:3], off
	s_or_b64 exec, exec, s[4:5]
	s_and_saveexec_b64 s[4:5], s[22:23]
	s_cbranch_execz .LBB920_98
.LBB920_434:
	s_waitcnt vmcnt(0)
	v_add_u32_e32 v2, v2, v13
	v_ashrrev_i32_e32 v3, 31, v2
	v_lshl_add_u64 v[2:3], v[2:3], 2, s[66:67]
	global_load_dword v2, v[2:3], off
	s_or_b64 exec, exec, s[4:5]
	s_and_saveexec_b64 s[4:5], s[24:25]
	s_cbranch_execz .LBB920_99
.LBB920_435:
	s_waitcnt vmcnt(0)
	v_add_u32_e32 v2, v2, v14
	v_ashrrev_i32_e32 v3, 31, v2
	v_lshl_add_u64 v[2:3], v[2:3], 2, s[66:67]
	global_load_dword v2, v[2:3], off
	s_or_b64 exec, exec, s[4:5]
	s_and_saveexec_b64 s[4:5], s[26:27]
	s_cbranch_execz .LBB920_100
.LBB920_436:
	s_waitcnt vmcnt(0)
	v_add_u32_e32 v2, v2, v15
	v_ashrrev_i32_e32 v3, 31, v2
	v_lshl_add_u64 v[2:3], v[2:3], 2, s[66:67]
	global_load_dword v2, v[2:3], off
	s_or_b64 exec, exec, s[4:5]
	s_and_saveexec_b64 s[4:5], s[28:29]
	s_cbranch_execz .LBB920_101
.LBB920_437:
	s_waitcnt vmcnt(0)
	v_add_u32_e32 v2, v2, v16
	v_ashrrev_i32_e32 v3, 31, v2
	v_lshl_add_u64 v[2:3], v[2:3], 2, s[66:67]
	global_load_dword v2, v[2:3], off
	s_or_b64 exec, exec, s[4:5]
	s_and_saveexec_b64 s[4:5], s[30:31]
	s_cbranch_execz .LBB920_102
.LBB920_438:
	s_waitcnt vmcnt(0)
	v_add_u32_e32 v2, v2, v17
	v_ashrrev_i32_e32 v3, 31, v2
	v_lshl_add_u64 v[2:3], v[2:3], 2, s[66:67]
	global_load_dword v2, v[2:3], off
	s_or_b64 exec, exec, s[4:5]
	s_and_saveexec_b64 s[4:5], s[34:35]
	s_cbranch_execz .LBB920_103
.LBB920_439:
	s_waitcnt vmcnt(0)
	v_add_u32_e32 v2, v2, v18
	v_ashrrev_i32_e32 v3, 31, v2
	v_lshl_add_u64 v[2:3], v[2:3], 2, s[66:67]
	global_load_dword v2, v[2:3], off
	s_or_b64 exec, exec, s[4:5]
	s_and_saveexec_b64 s[4:5], s[36:37]
	s_cbranch_execz .LBB920_104
.LBB920_440:
	s_waitcnt vmcnt(0)
	v_add_u32_e32 v2, v2, v19
	v_ashrrev_i32_e32 v3, 31, v2
	v_lshl_add_u64 v[2:3], v[2:3], 2, s[66:67]
	global_load_dword v2, v[2:3], off
	s_or_b64 exec, exec, s[4:5]
	s_and_saveexec_b64 s[4:5], s[38:39]
	s_cbranch_execz .LBB920_105
.LBB920_441:
	s_waitcnt vmcnt(0)
	v_add_u32_e32 v2, v2, v20
	v_ashrrev_i32_e32 v3, 31, v2
	v_lshl_add_u64 v[2:3], v[2:3], 2, s[66:67]
	global_load_dword v2, v[2:3], off
	s_or_b64 exec, exec, s[4:5]
	s_and_saveexec_b64 s[4:5], s[40:41]
	s_cbranch_execz .LBB920_106
.LBB920_442:
	s_waitcnt vmcnt(0)
	v_add_u32_e32 v2, v2, v21
	v_ashrrev_i32_e32 v3, 31, v2
	v_lshl_add_u64 v[2:3], v[2:3], 2, s[66:67]
	global_load_dword v2, v[2:3], off
	s_or_b64 exec, exec, s[4:5]
	s_and_saveexec_b64 s[4:5], s[42:43]
	s_cbranch_execz .LBB920_107
.LBB920_443:
	s_waitcnt vmcnt(0)
	v_add_u32_e32 v2, v2, v22
	v_ashrrev_i32_e32 v3, 31, v2
	v_lshl_add_u64 v[2:3], v[2:3], 2, s[66:67]
	global_load_dword v2, v[2:3], off
	s_or_b64 exec, exec, s[4:5]
	s_and_saveexec_b64 s[4:5], s[44:45]
	s_cbranch_execz .LBB920_108
.LBB920_444:
	s_waitcnt vmcnt(0)
	v_add_u32_e32 v2, v2, v23
	v_ashrrev_i32_e32 v3, 31, v2
	v_lshl_add_u64 v[2:3], v[2:3], 2, s[66:67]
	global_load_dword v2, v[2:3], off
	s_or_b64 exec, exec, s[4:5]
	s_and_saveexec_b64 s[4:5], s[46:47]
	s_cbranch_execz .LBB920_109
.LBB920_445:
	s_waitcnt vmcnt(0)
	v_add_u32_e32 v2, v2, v24
	v_ashrrev_i32_e32 v3, 31, v2
	v_lshl_add_u64 v[2:3], v[2:3], 2, s[66:67]
	global_load_dword v2, v[2:3], off
	s_or_b64 exec, exec, s[4:5]
	s_and_saveexec_b64 s[4:5], s[48:49]
	s_cbranch_execz .LBB920_110
.LBB920_446:
	s_waitcnt vmcnt(0)
	v_add_u32_e32 v2, v2, v25
	v_ashrrev_i32_e32 v3, 31, v2
	v_lshl_add_u64 v[2:3], v[2:3], 2, s[66:67]
	global_load_dword v2, v[2:3], off
	s_or_b64 exec, exec, s[4:5]
	s_and_saveexec_b64 s[4:5], s[50:51]
	s_cbranch_execz .LBB920_111
.LBB920_447:
	s_waitcnt vmcnt(0)
	v_add_u32_e32 v2, v2, v26
	v_ashrrev_i32_e32 v3, 31, v2
	v_lshl_add_u64 v[2:3], v[2:3], 2, s[66:67]
	global_load_dword v2, v[2:3], off
	s_or_b64 exec, exec, s[4:5]
	s_and_saveexec_b64 s[4:5], s[52:53]
	s_cbranch_execz .LBB920_112
.LBB920_448:
	s_waitcnt vmcnt(0)
	v_add_u32_e32 v2, v2, v27
	v_ashrrev_i32_e32 v3, 31, v2
	v_lshl_add_u64 v[2:3], v[2:3], 2, s[66:67]
	global_load_dword v2, v[2:3], off
	s_or_b64 exec, exec, s[4:5]
	s_and_saveexec_b64 s[4:5], s[54:55]
	s_cbranch_execz .LBB920_113
.LBB920_449:
	s_waitcnt vmcnt(0)
	v_add_u32_e32 v2, v2, v28
	v_ashrrev_i32_e32 v3, 31, v2
	v_lshl_add_u64 v[2:3], v[2:3], 2, s[66:67]
	global_load_dword v2, v[2:3], off
	s_or_b64 exec, exec, s[4:5]
	s_and_saveexec_b64 s[4:5], s[56:57]
	s_cbranch_execz .LBB920_114
.LBB920_450:
	s_waitcnt vmcnt(0)
	v_add_u32_e32 v2, v2, v29
	v_ashrrev_i32_e32 v3, 31, v2
	v_lshl_add_u64 v[2:3], v[2:3], 2, s[66:67]
	global_load_dword v2, v[2:3], off
	s_or_b64 exec, exec, s[4:5]
	s_and_saveexec_b64 s[4:5], s[58:59]
	s_cbranch_execz .LBB920_115
.LBB920_451:
	s_waitcnt vmcnt(0)
	v_add_u32_e32 v2, v2, v30
	v_ashrrev_i32_e32 v3, 31, v2
	v_lshl_add_u64 v[2:3], v[2:3], 2, s[66:67]
	global_load_dword v2, v[2:3], off
	s_or_b64 exec, exec, s[4:5]
	s_and_saveexec_b64 s[4:5], s[60:61]
	s_cbranch_execz .LBB920_116
.LBB920_452:
	s_waitcnt vmcnt(0)
	v_add_u32_e32 v2, v2, v31
	v_ashrrev_i32_e32 v3, 31, v2
	v_lshl_add_u64 v[2:3], v[2:3], 2, s[66:67]
	global_load_dword v2, v[2:3], off
	s_or_b64 exec, exec, s[4:5]
	s_and_saveexec_b64 s[4:5], s[62:63]
	s_cbranch_execz .LBB920_117
.LBB920_453:
	s_waitcnt vmcnt(0)
	v_add_u32_e32 v2, v2, v32
	v_ashrrev_i32_e32 v3, 31, v2
	v_lshl_add_u64 v[2:3], v[2:3], 2, s[66:67]
	global_load_dword v2, v[2:3], off
	s_or_b64 exec, exec, s[4:5]
	s_and_saveexec_b64 s[4:5], s[64:65]
	s_cbranch_execnz .LBB920_118
	s_branch .LBB920_119
.LBB920_454:
	v_lshlrev_b32_e32 v1, 2, v1
	global_load_dword v17, v1, s[40:41]
	s_or_b64 exec, exec, s[42:43]
	s_and_saveexec_b64 s[40:41], vcc
	s_cbranch_execz .LBB920_180
.LBB920_455:
	s_waitcnt vmcnt(0)
	v_add_u32_e32 v2, v3, v2
	v_ashrrev_i32_e32 v3, 31, v2
	v_lshl_add_u64 v[2:3], v[2:3], 2, s[66:67]
	global_load_dword v2, v[2:3], off
	s_or_b64 exec, exec, s[40:41]
	s_and_saveexec_b64 s[40:41], s[4:5]
	s_cbranch_execz .LBB920_181
.LBB920_456:
	s_waitcnt vmcnt(0)
	v_add_u32_e32 v2, v2, v4
	v_ashrrev_i32_e32 v3, 31, v2
	v_lshl_add_u64 v[2:3], v[2:3], 2, s[66:67]
	global_load_dword v2, v[2:3], off
	s_or_b64 exec, exec, s[40:41]
	s_and_saveexec_b64 s[4:5], s[6:7]
	s_cbranch_execz .LBB920_182
.LBB920_457:
	s_waitcnt vmcnt(0)
	v_add_u32_e32 v2, v2, v5
	v_ashrrev_i32_e32 v3, 31, v2
	v_lshl_add_u64 v[2:3], v[2:3], 2, s[66:67]
	global_load_dword v2, v[2:3], off
	s_or_b64 exec, exec, s[4:5]
	s_and_saveexec_b64 s[4:5], s[8:9]
	s_cbranch_execz .LBB920_183
.LBB920_458:
	s_waitcnt vmcnt(0)
	v_add_u32_e32 v2, v2, v6
	v_ashrrev_i32_e32 v3, 31, v2
	v_lshl_add_u64 v[2:3], v[2:3], 2, s[66:67]
	global_load_dword v2, v[2:3], off
	s_or_b64 exec, exec, s[4:5]
	s_and_saveexec_b64 s[4:5], s[10:11]
	s_cbranch_execz .LBB920_184
.LBB920_459:
	s_waitcnt vmcnt(0)
	v_add_u32_e32 v2, v2, v7
	v_ashrrev_i32_e32 v3, 31, v2
	v_lshl_add_u64 v[2:3], v[2:3], 2, s[66:67]
	global_load_dword v2, v[2:3], off
	s_or_b64 exec, exec, s[4:5]
	s_and_saveexec_b64 s[4:5], s[12:13]
	s_cbranch_execz .LBB920_185
.LBB920_460:
	s_waitcnt vmcnt(0)
	v_add_u32_e32 v2, v2, v8
	v_ashrrev_i32_e32 v3, 31, v2
	v_lshl_add_u64 v[2:3], v[2:3], 2, s[66:67]
	global_load_dword v2, v[2:3], off
	s_or_b64 exec, exec, s[4:5]
	s_and_saveexec_b64 s[4:5], s[14:15]
	s_cbranch_execz .LBB920_186
.LBB920_461:
	s_waitcnt vmcnt(0)
	v_add_u32_e32 v2, v2, v9
	v_ashrrev_i32_e32 v3, 31, v2
	v_lshl_add_u64 v[2:3], v[2:3], 2, s[66:67]
	global_load_dword v2, v[2:3], off
	s_or_b64 exec, exec, s[4:5]
	s_and_saveexec_b64 s[4:5], s[16:17]
	s_cbranch_execz .LBB920_187
.LBB920_462:
	s_waitcnt vmcnt(0)
	v_add_u32_e32 v2, v2, v10
	v_ashrrev_i32_e32 v3, 31, v2
	v_lshl_add_u64 v[2:3], v[2:3], 2, s[66:67]
	global_load_dword v2, v[2:3], off
	s_or_b64 exec, exec, s[4:5]
	s_and_saveexec_b64 s[4:5], s[18:19]
	s_cbranch_execz .LBB920_188
.LBB920_463:
	s_waitcnt vmcnt(0)
	v_add_u32_e32 v2, v2, v11
	v_ashrrev_i32_e32 v3, 31, v2
	v_lshl_add_u64 v[2:3], v[2:3], 2, s[66:67]
	global_load_dword v2, v[2:3], off
	s_or_b64 exec, exec, s[4:5]
	s_and_saveexec_b64 s[4:5], s[20:21]
	s_cbranch_execz .LBB920_189
.LBB920_464:
	s_waitcnt vmcnt(0)
	v_add_u32_e32 v2, v2, v12
	v_ashrrev_i32_e32 v3, 31, v2
	v_lshl_add_u64 v[2:3], v[2:3], 2, s[66:67]
	global_load_dword v2, v[2:3], off
	s_or_b64 exec, exec, s[4:5]
	s_and_saveexec_b64 s[4:5], s[22:23]
	s_cbranch_execz .LBB920_190
.LBB920_465:
	s_waitcnt vmcnt(0)
	v_add_u32_e32 v2, v2, v13
	v_ashrrev_i32_e32 v3, 31, v2
	v_lshl_add_u64 v[2:3], v[2:3], 2, s[66:67]
	global_load_dword v2, v[2:3], off
	s_or_b64 exec, exec, s[4:5]
	s_and_saveexec_b64 s[4:5], s[24:25]
	s_cbranch_execz .LBB920_191
.LBB920_466:
	s_waitcnt vmcnt(0)
	v_add_u32_e32 v2, v2, v14
	v_ashrrev_i32_e32 v3, 31, v2
	v_lshl_add_u64 v[2:3], v[2:3], 2, s[66:67]
	global_load_dword v2, v[2:3], off
	s_or_b64 exec, exec, s[4:5]
	s_and_saveexec_b64 s[4:5], s[26:27]
	s_cbranch_execz .LBB920_192
.LBB920_467:
	s_waitcnt vmcnt(0)
	v_add_u32_e32 v2, v2, v15
	v_ashrrev_i32_e32 v3, 31, v2
	v_lshl_add_u64 v[2:3], v[2:3], 2, s[66:67]
	global_load_dword v2, v[2:3], off
	s_or_b64 exec, exec, s[4:5]
	s_and_saveexec_b64 s[4:5], s[28:29]
	s_cbranch_execz .LBB920_193
.LBB920_468:
	s_waitcnt vmcnt(0)
	v_add_u32_e32 v2, v2, v16
	v_ashrrev_i32_e32 v3, 31, v2
	v_lshl_add_u64 v[2:3], v[2:3], 2, s[66:67]
	global_load_dword v2, v[2:3], off
	s_or_b64 exec, exec, s[4:5]
	s_and_saveexec_b64 s[4:5], s[30:31]
	s_cbranch_execnz .LBB920_194
	s_branch .LBB920_195
.LBB920_469:
	v_lshlrev_b32_e32 v1, 2, v0
	global_load_dword v5, v1, s[10:11] offset:3072
	s_or_b64 exec, exec, s[12:13]
	s_and_saveexec_b64 s[10:11], vcc
	s_cbranch_execz .LBB920_310
.LBB920_470:
	s_waitcnt vmcnt(0)
	v_add_u32_e32 v2, v3, v2
	v_ashrrev_i32_e32 v3, 31, v2
	v_lshl_add_u64 v[2:3], v[2:3], 2, s[66:67]
	global_load_dword v2, v[2:3], off
	s_or_b64 exec, exec, s[10:11]
	s_and_saveexec_b64 s[10:11], s[4:5]
	s_cbranch_execz .LBB920_311
.LBB920_471:
	s_waitcnt vmcnt(0)
	v_add_u32_e32 v2, v2, v4
	v_ashrrev_i32_e32 v3, 31, v2
	v_lshl_add_u64 v[2:3], v[2:3], 2, s[66:67]
	global_load_dword v2, v[2:3], off
	s_or_b64 exec, exec, s[10:11]
	s_and_saveexec_b64 s[4:5], s[6:7]
	s_cbranch_execnz .LBB920_312
	s_branch .LBB920_313
	.section	.rodata,"a",@progbits
	.p2align	6, 0x0
	.amdhsa_kernel _ZN7rocprim17ROCPRIM_400000_NS6detail17trampoline_kernelINS0_14default_configENS1_22reduce_config_selectorIiEEZNS1_11reduce_implILb1ES3_PiS7_i9plus_mod3IiEEE10hipError_tPvRmT1_T2_T3_mT4_P12ihipStream_tbEUlT_E1_NS1_11comp_targetILNS1_3genE0ELNS1_11target_archE4294967295ELNS1_3gpuE0ELNS1_3repE0EEENS1_30default_config_static_selectorELNS0_4arch9wavefront6targetE1EEEvSD_
		.amdhsa_group_segment_fixed_size 112
		.amdhsa_private_segment_fixed_size 0
		.amdhsa_kernarg_size 48
		.amdhsa_user_sgpr_count 2
		.amdhsa_user_sgpr_dispatch_ptr 0
		.amdhsa_user_sgpr_queue_ptr 0
		.amdhsa_user_sgpr_kernarg_segment_ptr 1
		.amdhsa_user_sgpr_dispatch_id 0
		.amdhsa_user_sgpr_kernarg_preload_length 0
		.amdhsa_user_sgpr_kernarg_preload_offset 0
		.amdhsa_user_sgpr_private_segment_size 0
		.amdhsa_uses_dynamic_stack 0
		.amdhsa_enable_private_segment 0
		.amdhsa_system_sgpr_workgroup_id_x 1
		.amdhsa_system_sgpr_workgroup_id_y 0
		.amdhsa_system_sgpr_workgroup_id_z 0
		.amdhsa_system_sgpr_workgroup_info 0
		.amdhsa_system_vgpr_workitem_id 0
		.amdhsa_next_free_vgpr 36
		.amdhsa_next_free_sgpr 82
		.amdhsa_accum_offset 36
		.amdhsa_reserve_vcc 1
		.amdhsa_float_round_mode_32 0
		.amdhsa_float_round_mode_16_64 0
		.amdhsa_float_denorm_mode_32 3
		.amdhsa_float_denorm_mode_16_64 3
		.amdhsa_dx10_clamp 1
		.amdhsa_ieee_mode 1
		.amdhsa_fp16_overflow 0
		.amdhsa_tg_split 0
		.amdhsa_exception_fp_ieee_invalid_op 0
		.amdhsa_exception_fp_denorm_src 0
		.amdhsa_exception_fp_ieee_div_zero 0
		.amdhsa_exception_fp_ieee_overflow 0
		.amdhsa_exception_fp_ieee_underflow 0
		.amdhsa_exception_fp_ieee_inexact 0
		.amdhsa_exception_int_div_zero 0
	.end_amdhsa_kernel
	.section	.text._ZN7rocprim17ROCPRIM_400000_NS6detail17trampoline_kernelINS0_14default_configENS1_22reduce_config_selectorIiEEZNS1_11reduce_implILb1ES3_PiS7_i9plus_mod3IiEEE10hipError_tPvRmT1_T2_T3_mT4_P12ihipStream_tbEUlT_E1_NS1_11comp_targetILNS1_3genE0ELNS1_11target_archE4294967295ELNS1_3gpuE0ELNS1_3repE0EEENS1_30default_config_static_selectorELNS0_4arch9wavefront6targetE1EEEvSD_,"axG",@progbits,_ZN7rocprim17ROCPRIM_400000_NS6detail17trampoline_kernelINS0_14default_configENS1_22reduce_config_selectorIiEEZNS1_11reduce_implILb1ES3_PiS7_i9plus_mod3IiEEE10hipError_tPvRmT1_T2_T3_mT4_P12ihipStream_tbEUlT_E1_NS1_11comp_targetILNS1_3genE0ELNS1_11target_archE4294967295ELNS1_3gpuE0ELNS1_3repE0EEENS1_30default_config_static_selectorELNS0_4arch9wavefront6targetE1EEEvSD_,comdat
.Lfunc_end920:
	.size	_ZN7rocprim17ROCPRIM_400000_NS6detail17trampoline_kernelINS0_14default_configENS1_22reduce_config_selectorIiEEZNS1_11reduce_implILb1ES3_PiS7_i9plus_mod3IiEEE10hipError_tPvRmT1_T2_T3_mT4_P12ihipStream_tbEUlT_E1_NS1_11comp_targetILNS1_3genE0ELNS1_11target_archE4294967295ELNS1_3gpuE0ELNS1_3repE0EEENS1_30default_config_static_selectorELNS0_4arch9wavefront6targetE1EEEvSD_, .Lfunc_end920-_ZN7rocprim17ROCPRIM_400000_NS6detail17trampoline_kernelINS0_14default_configENS1_22reduce_config_selectorIiEEZNS1_11reduce_implILb1ES3_PiS7_i9plus_mod3IiEEE10hipError_tPvRmT1_T2_T3_mT4_P12ihipStream_tbEUlT_E1_NS1_11comp_targetILNS1_3genE0ELNS1_11target_archE4294967295ELNS1_3gpuE0ELNS1_3repE0EEENS1_30default_config_static_selectorELNS0_4arch9wavefront6targetE1EEEvSD_
                                        ; -- End function
	.set _ZN7rocprim17ROCPRIM_400000_NS6detail17trampoline_kernelINS0_14default_configENS1_22reduce_config_selectorIiEEZNS1_11reduce_implILb1ES3_PiS7_i9plus_mod3IiEEE10hipError_tPvRmT1_T2_T3_mT4_P12ihipStream_tbEUlT_E1_NS1_11comp_targetILNS1_3genE0ELNS1_11target_archE4294967295ELNS1_3gpuE0ELNS1_3repE0EEENS1_30default_config_static_selectorELNS0_4arch9wavefront6targetE1EEEvSD_.num_vgpr, 36
	.set _ZN7rocprim17ROCPRIM_400000_NS6detail17trampoline_kernelINS0_14default_configENS1_22reduce_config_selectorIiEEZNS1_11reduce_implILb1ES3_PiS7_i9plus_mod3IiEEE10hipError_tPvRmT1_T2_T3_mT4_P12ihipStream_tbEUlT_E1_NS1_11comp_targetILNS1_3genE0ELNS1_11target_archE4294967295ELNS1_3gpuE0ELNS1_3repE0EEENS1_30default_config_static_selectorELNS0_4arch9wavefront6targetE1EEEvSD_.num_agpr, 0
	.set _ZN7rocprim17ROCPRIM_400000_NS6detail17trampoline_kernelINS0_14default_configENS1_22reduce_config_selectorIiEEZNS1_11reduce_implILb1ES3_PiS7_i9plus_mod3IiEEE10hipError_tPvRmT1_T2_T3_mT4_P12ihipStream_tbEUlT_E1_NS1_11comp_targetILNS1_3genE0ELNS1_11target_archE4294967295ELNS1_3gpuE0ELNS1_3repE0EEENS1_30default_config_static_selectorELNS0_4arch9wavefront6targetE1EEEvSD_.numbered_sgpr, 82
	.set _ZN7rocprim17ROCPRIM_400000_NS6detail17trampoline_kernelINS0_14default_configENS1_22reduce_config_selectorIiEEZNS1_11reduce_implILb1ES3_PiS7_i9plus_mod3IiEEE10hipError_tPvRmT1_T2_T3_mT4_P12ihipStream_tbEUlT_E1_NS1_11comp_targetILNS1_3genE0ELNS1_11target_archE4294967295ELNS1_3gpuE0ELNS1_3repE0EEENS1_30default_config_static_selectorELNS0_4arch9wavefront6targetE1EEEvSD_.num_named_barrier, 0
	.set _ZN7rocprim17ROCPRIM_400000_NS6detail17trampoline_kernelINS0_14default_configENS1_22reduce_config_selectorIiEEZNS1_11reduce_implILb1ES3_PiS7_i9plus_mod3IiEEE10hipError_tPvRmT1_T2_T3_mT4_P12ihipStream_tbEUlT_E1_NS1_11comp_targetILNS1_3genE0ELNS1_11target_archE4294967295ELNS1_3gpuE0ELNS1_3repE0EEENS1_30default_config_static_selectorELNS0_4arch9wavefront6targetE1EEEvSD_.private_seg_size, 0
	.set _ZN7rocprim17ROCPRIM_400000_NS6detail17trampoline_kernelINS0_14default_configENS1_22reduce_config_selectorIiEEZNS1_11reduce_implILb1ES3_PiS7_i9plus_mod3IiEEE10hipError_tPvRmT1_T2_T3_mT4_P12ihipStream_tbEUlT_E1_NS1_11comp_targetILNS1_3genE0ELNS1_11target_archE4294967295ELNS1_3gpuE0ELNS1_3repE0EEENS1_30default_config_static_selectorELNS0_4arch9wavefront6targetE1EEEvSD_.uses_vcc, 1
	.set _ZN7rocprim17ROCPRIM_400000_NS6detail17trampoline_kernelINS0_14default_configENS1_22reduce_config_selectorIiEEZNS1_11reduce_implILb1ES3_PiS7_i9plus_mod3IiEEE10hipError_tPvRmT1_T2_T3_mT4_P12ihipStream_tbEUlT_E1_NS1_11comp_targetILNS1_3genE0ELNS1_11target_archE4294967295ELNS1_3gpuE0ELNS1_3repE0EEENS1_30default_config_static_selectorELNS0_4arch9wavefront6targetE1EEEvSD_.uses_flat_scratch, 0
	.set _ZN7rocprim17ROCPRIM_400000_NS6detail17trampoline_kernelINS0_14default_configENS1_22reduce_config_selectorIiEEZNS1_11reduce_implILb1ES3_PiS7_i9plus_mod3IiEEE10hipError_tPvRmT1_T2_T3_mT4_P12ihipStream_tbEUlT_E1_NS1_11comp_targetILNS1_3genE0ELNS1_11target_archE4294967295ELNS1_3gpuE0ELNS1_3repE0EEENS1_30default_config_static_selectorELNS0_4arch9wavefront6targetE1EEEvSD_.has_dyn_sized_stack, 0
	.set _ZN7rocprim17ROCPRIM_400000_NS6detail17trampoline_kernelINS0_14default_configENS1_22reduce_config_selectorIiEEZNS1_11reduce_implILb1ES3_PiS7_i9plus_mod3IiEEE10hipError_tPvRmT1_T2_T3_mT4_P12ihipStream_tbEUlT_E1_NS1_11comp_targetILNS1_3genE0ELNS1_11target_archE4294967295ELNS1_3gpuE0ELNS1_3repE0EEENS1_30default_config_static_selectorELNS0_4arch9wavefront6targetE1EEEvSD_.has_recursion, 0
	.set _ZN7rocprim17ROCPRIM_400000_NS6detail17trampoline_kernelINS0_14default_configENS1_22reduce_config_selectorIiEEZNS1_11reduce_implILb1ES3_PiS7_i9plus_mod3IiEEE10hipError_tPvRmT1_T2_T3_mT4_P12ihipStream_tbEUlT_E1_NS1_11comp_targetILNS1_3genE0ELNS1_11target_archE4294967295ELNS1_3gpuE0ELNS1_3repE0EEENS1_30default_config_static_selectorELNS0_4arch9wavefront6targetE1EEEvSD_.has_indirect_call, 0
	.section	.AMDGPU.csdata,"",@progbits
; Kernel info:
; codeLenInByte = 16776
; TotalNumSgprs: 88
; NumVgprs: 36
; NumAgprs: 0
; TotalNumVgprs: 36
; ScratchSize: 0
; MemoryBound: 0
; FloatMode: 240
; IeeeMode: 1
; LDSByteSize: 112 bytes/workgroup (compile time only)
; SGPRBlocks: 10
; VGPRBlocks: 4
; NumSGPRsForWavesPerEU: 88
; NumVGPRsForWavesPerEU: 36
; AccumOffset: 36
; Occupancy: 8
; WaveLimiterHint : 1
; COMPUTE_PGM_RSRC2:SCRATCH_EN: 0
; COMPUTE_PGM_RSRC2:USER_SGPR: 2
; COMPUTE_PGM_RSRC2:TRAP_HANDLER: 0
; COMPUTE_PGM_RSRC2:TGID_X_EN: 1
; COMPUTE_PGM_RSRC2:TGID_Y_EN: 0
; COMPUTE_PGM_RSRC2:TGID_Z_EN: 0
; COMPUTE_PGM_RSRC2:TIDIG_COMP_CNT: 0
; COMPUTE_PGM_RSRC3_GFX90A:ACCUM_OFFSET: 8
; COMPUTE_PGM_RSRC3_GFX90A:TG_SPLIT: 0
	.section	.text._ZN7rocprim17ROCPRIM_400000_NS6detail17trampoline_kernelINS0_14default_configENS1_22reduce_config_selectorIiEEZNS1_11reduce_implILb1ES3_PiS7_i9plus_mod3IiEEE10hipError_tPvRmT1_T2_T3_mT4_P12ihipStream_tbEUlT_E1_NS1_11comp_targetILNS1_3genE5ELNS1_11target_archE942ELNS1_3gpuE9ELNS1_3repE0EEENS1_30default_config_static_selectorELNS0_4arch9wavefront6targetE1EEEvSD_,"axG",@progbits,_ZN7rocprim17ROCPRIM_400000_NS6detail17trampoline_kernelINS0_14default_configENS1_22reduce_config_selectorIiEEZNS1_11reduce_implILb1ES3_PiS7_i9plus_mod3IiEEE10hipError_tPvRmT1_T2_T3_mT4_P12ihipStream_tbEUlT_E1_NS1_11comp_targetILNS1_3genE5ELNS1_11target_archE942ELNS1_3gpuE9ELNS1_3repE0EEENS1_30default_config_static_selectorELNS0_4arch9wavefront6targetE1EEEvSD_,comdat
	.protected	_ZN7rocprim17ROCPRIM_400000_NS6detail17trampoline_kernelINS0_14default_configENS1_22reduce_config_selectorIiEEZNS1_11reduce_implILb1ES3_PiS7_i9plus_mod3IiEEE10hipError_tPvRmT1_T2_T3_mT4_P12ihipStream_tbEUlT_E1_NS1_11comp_targetILNS1_3genE5ELNS1_11target_archE942ELNS1_3gpuE9ELNS1_3repE0EEENS1_30default_config_static_selectorELNS0_4arch9wavefront6targetE1EEEvSD_ ; -- Begin function _ZN7rocprim17ROCPRIM_400000_NS6detail17trampoline_kernelINS0_14default_configENS1_22reduce_config_selectorIiEEZNS1_11reduce_implILb1ES3_PiS7_i9plus_mod3IiEEE10hipError_tPvRmT1_T2_T3_mT4_P12ihipStream_tbEUlT_E1_NS1_11comp_targetILNS1_3genE5ELNS1_11target_archE942ELNS1_3gpuE9ELNS1_3repE0EEENS1_30default_config_static_selectorELNS0_4arch9wavefront6targetE1EEEvSD_
	.globl	_ZN7rocprim17ROCPRIM_400000_NS6detail17trampoline_kernelINS0_14default_configENS1_22reduce_config_selectorIiEEZNS1_11reduce_implILb1ES3_PiS7_i9plus_mod3IiEEE10hipError_tPvRmT1_T2_T3_mT4_P12ihipStream_tbEUlT_E1_NS1_11comp_targetILNS1_3genE5ELNS1_11target_archE942ELNS1_3gpuE9ELNS1_3repE0EEENS1_30default_config_static_selectorELNS0_4arch9wavefront6targetE1EEEvSD_
	.p2align	8
	.type	_ZN7rocprim17ROCPRIM_400000_NS6detail17trampoline_kernelINS0_14default_configENS1_22reduce_config_selectorIiEEZNS1_11reduce_implILb1ES3_PiS7_i9plus_mod3IiEEE10hipError_tPvRmT1_T2_T3_mT4_P12ihipStream_tbEUlT_E1_NS1_11comp_targetILNS1_3genE5ELNS1_11target_archE942ELNS1_3gpuE9ELNS1_3repE0EEENS1_30default_config_static_selectorELNS0_4arch9wavefront6targetE1EEEvSD_,@function
_ZN7rocprim17ROCPRIM_400000_NS6detail17trampoline_kernelINS0_14default_configENS1_22reduce_config_selectorIiEEZNS1_11reduce_implILb1ES3_PiS7_i9plus_mod3IiEEE10hipError_tPvRmT1_T2_T3_mT4_P12ihipStream_tbEUlT_E1_NS1_11comp_targetILNS1_3genE5ELNS1_11target_archE942ELNS1_3gpuE9ELNS1_3repE0EEENS1_30default_config_static_selectorELNS0_4arch9wavefront6targetE1EEEvSD_: ; @_ZN7rocprim17ROCPRIM_400000_NS6detail17trampoline_kernelINS0_14default_configENS1_22reduce_config_selectorIiEEZNS1_11reduce_implILb1ES3_PiS7_i9plus_mod3IiEEE10hipError_tPvRmT1_T2_T3_mT4_P12ihipStream_tbEUlT_E1_NS1_11comp_targetILNS1_3genE5ELNS1_11target_archE942ELNS1_3gpuE9ELNS1_3repE0EEENS1_30default_config_static_selectorELNS0_4arch9wavefront6targetE1EEEvSD_
; %bb.0:
	.section	.rodata,"a",@progbits
	.p2align	6, 0x0
	.amdhsa_kernel _ZN7rocprim17ROCPRIM_400000_NS6detail17trampoline_kernelINS0_14default_configENS1_22reduce_config_selectorIiEEZNS1_11reduce_implILb1ES3_PiS7_i9plus_mod3IiEEE10hipError_tPvRmT1_T2_T3_mT4_P12ihipStream_tbEUlT_E1_NS1_11comp_targetILNS1_3genE5ELNS1_11target_archE942ELNS1_3gpuE9ELNS1_3repE0EEENS1_30default_config_static_selectorELNS0_4arch9wavefront6targetE1EEEvSD_
		.amdhsa_group_segment_fixed_size 0
		.amdhsa_private_segment_fixed_size 0
		.amdhsa_kernarg_size 48
		.amdhsa_user_sgpr_count 2
		.amdhsa_user_sgpr_dispatch_ptr 0
		.amdhsa_user_sgpr_queue_ptr 0
		.amdhsa_user_sgpr_kernarg_segment_ptr 1
		.amdhsa_user_sgpr_dispatch_id 0
		.amdhsa_user_sgpr_kernarg_preload_length 0
		.amdhsa_user_sgpr_kernarg_preload_offset 0
		.amdhsa_user_sgpr_private_segment_size 0
		.amdhsa_uses_dynamic_stack 0
		.amdhsa_enable_private_segment 0
		.amdhsa_system_sgpr_workgroup_id_x 1
		.amdhsa_system_sgpr_workgroup_id_y 0
		.amdhsa_system_sgpr_workgroup_id_z 0
		.amdhsa_system_sgpr_workgroup_info 0
		.amdhsa_system_vgpr_workitem_id 0
		.amdhsa_next_free_vgpr 1
		.amdhsa_next_free_sgpr 0
		.amdhsa_accum_offset 4
		.amdhsa_reserve_vcc 0
		.amdhsa_float_round_mode_32 0
		.amdhsa_float_round_mode_16_64 0
		.amdhsa_float_denorm_mode_32 3
		.amdhsa_float_denorm_mode_16_64 3
		.amdhsa_dx10_clamp 1
		.amdhsa_ieee_mode 1
		.amdhsa_fp16_overflow 0
		.amdhsa_tg_split 0
		.amdhsa_exception_fp_ieee_invalid_op 0
		.amdhsa_exception_fp_denorm_src 0
		.amdhsa_exception_fp_ieee_div_zero 0
		.amdhsa_exception_fp_ieee_overflow 0
		.amdhsa_exception_fp_ieee_underflow 0
		.amdhsa_exception_fp_ieee_inexact 0
		.amdhsa_exception_int_div_zero 0
	.end_amdhsa_kernel
	.section	.text._ZN7rocprim17ROCPRIM_400000_NS6detail17trampoline_kernelINS0_14default_configENS1_22reduce_config_selectorIiEEZNS1_11reduce_implILb1ES3_PiS7_i9plus_mod3IiEEE10hipError_tPvRmT1_T2_T3_mT4_P12ihipStream_tbEUlT_E1_NS1_11comp_targetILNS1_3genE5ELNS1_11target_archE942ELNS1_3gpuE9ELNS1_3repE0EEENS1_30default_config_static_selectorELNS0_4arch9wavefront6targetE1EEEvSD_,"axG",@progbits,_ZN7rocprim17ROCPRIM_400000_NS6detail17trampoline_kernelINS0_14default_configENS1_22reduce_config_selectorIiEEZNS1_11reduce_implILb1ES3_PiS7_i9plus_mod3IiEEE10hipError_tPvRmT1_T2_T3_mT4_P12ihipStream_tbEUlT_E1_NS1_11comp_targetILNS1_3genE5ELNS1_11target_archE942ELNS1_3gpuE9ELNS1_3repE0EEENS1_30default_config_static_selectorELNS0_4arch9wavefront6targetE1EEEvSD_,comdat
.Lfunc_end921:
	.size	_ZN7rocprim17ROCPRIM_400000_NS6detail17trampoline_kernelINS0_14default_configENS1_22reduce_config_selectorIiEEZNS1_11reduce_implILb1ES3_PiS7_i9plus_mod3IiEEE10hipError_tPvRmT1_T2_T3_mT4_P12ihipStream_tbEUlT_E1_NS1_11comp_targetILNS1_3genE5ELNS1_11target_archE942ELNS1_3gpuE9ELNS1_3repE0EEENS1_30default_config_static_selectorELNS0_4arch9wavefront6targetE1EEEvSD_, .Lfunc_end921-_ZN7rocprim17ROCPRIM_400000_NS6detail17trampoline_kernelINS0_14default_configENS1_22reduce_config_selectorIiEEZNS1_11reduce_implILb1ES3_PiS7_i9plus_mod3IiEEE10hipError_tPvRmT1_T2_T3_mT4_P12ihipStream_tbEUlT_E1_NS1_11comp_targetILNS1_3genE5ELNS1_11target_archE942ELNS1_3gpuE9ELNS1_3repE0EEENS1_30default_config_static_selectorELNS0_4arch9wavefront6targetE1EEEvSD_
                                        ; -- End function
	.set _ZN7rocprim17ROCPRIM_400000_NS6detail17trampoline_kernelINS0_14default_configENS1_22reduce_config_selectorIiEEZNS1_11reduce_implILb1ES3_PiS7_i9plus_mod3IiEEE10hipError_tPvRmT1_T2_T3_mT4_P12ihipStream_tbEUlT_E1_NS1_11comp_targetILNS1_3genE5ELNS1_11target_archE942ELNS1_3gpuE9ELNS1_3repE0EEENS1_30default_config_static_selectorELNS0_4arch9wavefront6targetE1EEEvSD_.num_vgpr, 0
	.set _ZN7rocprim17ROCPRIM_400000_NS6detail17trampoline_kernelINS0_14default_configENS1_22reduce_config_selectorIiEEZNS1_11reduce_implILb1ES3_PiS7_i9plus_mod3IiEEE10hipError_tPvRmT1_T2_T3_mT4_P12ihipStream_tbEUlT_E1_NS1_11comp_targetILNS1_3genE5ELNS1_11target_archE942ELNS1_3gpuE9ELNS1_3repE0EEENS1_30default_config_static_selectorELNS0_4arch9wavefront6targetE1EEEvSD_.num_agpr, 0
	.set _ZN7rocprim17ROCPRIM_400000_NS6detail17trampoline_kernelINS0_14default_configENS1_22reduce_config_selectorIiEEZNS1_11reduce_implILb1ES3_PiS7_i9plus_mod3IiEEE10hipError_tPvRmT1_T2_T3_mT4_P12ihipStream_tbEUlT_E1_NS1_11comp_targetILNS1_3genE5ELNS1_11target_archE942ELNS1_3gpuE9ELNS1_3repE0EEENS1_30default_config_static_selectorELNS0_4arch9wavefront6targetE1EEEvSD_.numbered_sgpr, 0
	.set _ZN7rocprim17ROCPRIM_400000_NS6detail17trampoline_kernelINS0_14default_configENS1_22reduce_config_selectorIiEEZNS1_11reduce_implILb1ES3_PiS7_i9plus_mod3IiEEE10hipError_tPvRmT1_T2_T3_mT4_P12ihipStream_tbEUlT_E1_NS1_11comp_targetILNS1_3genE5ELNS1_11target_archE942ELNS1_3gpuE9ELNS1_3repE0EEENS1_30default_config_static_selectorELNS0_4arch9wavefront6targetE1EEEvSD_.num_named_barrier, 0
	.set _ZN7rocprim17ROCPRIM_400000_NS6detail17trampoline_kernelINS0_14default_configENS1_22reduce_config_selectorIiEEZNS1_11reduce_implILb1ES3_PiS7_i9plus_mod3IiEEE10hipError_tPvRmT1_T2_T3_mT4_P12ihipStream_tbEUlT_E1_NS1_11comp_targetILNS1_3genE5ELNS1_11target_archE942ELNS1_3gpuE9ELNS1_3repE0EEENS1_30default_config_static_selectorELNS0_4arch9wavefront6targetE1EEEvSD_.private_seg_size, 0
	.set _ZN7rocprim17ROCPRIM_400000_NS6detail17trampoline_kernelINS0_14default_configENS1_22reduce_config_selectorIiEEZNS1_11reduce_implILb1ES3_PiS7_i9plus_mod3IiEEE10hipError_tPvRmT1_T2_T3_mT4_P12ihipStream_tbEUlT_E1_NS1_11comp_targetILNS1_3genE5ELNS1_11target_archE942ELNS1_3gpuE9ELNS1_3repE0EEENS1_30default_config_static_selectorELNS0_4arch9wavefront6targetE1EEEvSD_.uses_vcc, 0
	.set _ZN7rocprim17ROCPRIM_400000_NS6detail17trampoline_kernelINS0_14default_configENS1_22reduce_config_selectorIiEEZNS1_11reduce_implILb1ES3_PiS7_i9plus_mod3IiEEE10hipError_tPvRmT1_T2_T3_mT4_P12ihipStream_tbEUlT_E1_NS1_11comp_targetILNS1_3genE5ELNS1_11target_archE942ELNS1_3gpuE9ELNS1_3repE0EEENS1_30default_config_static_selectorELNS0_4arch9wavefront6targetE1EEEvSD_.uses_flat_scratch, 0
	.set _ZN7rocprim17ROCPRIM_400000_NS6detail17trampoline_kernelINS0_14default_configENS1_22reduce_config_selectorIiEEZNS1_11reduce_implILb1ES3_PiS7_i9plus_mod3IiEEE10hipError_tPvRmT1_T2_T3_mT4_P12ihipStream_tbEUlT_E1_NS1_11comp_targetILNS1_3genE5ELNS1_11target_archE942ELNS1_3gpuE9ELNS1_3repE0EEENS1_30default_config_static_selectorELNS0_4arch9wavefront6targetE1EEEvSD_.has_dyn_sized_stack, 0
	.set _ZN7rocprim17ROCPRIM_400000_NS6detail17trampoline_kernelINS0_14default_configENS1_22reduce_config_selectorIiEEZNS1_11reduce_implILb1ES3_PiS7_i9plus_mod3IiEEE10hipError_tPvRmT1_T2_T3_mT4_P12ihipStream_tbEUlT_E1_NS1_11comp_targetILNS1_3genE5ELNS1_11target_archE942ELNS1_3gpuE9ELNS1_3repE0EEENS1_30default_config_static_selectorELNS0_4arch9wavefront6targetE1EEEvSD_.has_recursion, 0
	.set _ZN7rocprim17ROCPRIM_400000_NS6detail17trampoline_kernelINS0_14default_configENS1_22reduce_config_selectorIiEEZNS1_11reduce_implILb1ES3_PiS7_i9plus_mod3IiEEE10hipError_tPvRmT1_T2_T3_mT4_P12ihipStream_tbEUlT_E1_NS1_11comp_targetILNS1_3genE5ELNS1_11target_archE942ELNS1_3gpuE9ELNS1_3repE0EEENS1_30default_config_static_selectorELNS0_4arch9wavefront6targetE1EEEvSD_.has_indirect_call, 0
	.section	.AMDGPU.csdata,"",@progbits
; Kernel info:
; codeLenInByte = 0
; TotalNumSgprs: 6
; NumVgprs: 0
; NumAgprs: 0
; TotalNumVgprs: 0
; ScratchSize: 0
; MemoryBound: 0
; FloatMode: 240
; IeeeMode: 1
; LDSByteSize: 0 bytes/workgroup (compile time only)
; SGPRBlocks: 0
; VGPRBlocks: 0
; NumSGPRsForWavesPerEU: 6
; NumVGPRsForWavesPerEU: 1
; AccumOffset: 4
; Occupancy: 8
; WaveLimiterHint : 0
; COMPUTE_PGM_RSRC2:SCRATCH_EN: 0
; COMPUTE_PGM_RSRC2:USER_SGPR: 2
; COMPUTE_PGM_RSRC2:TRAP_HANDLER: 0
; COMPUTE_PGM_RSRC2:TGID_X_EN: 1
; COMPUTE_PGM_RSRC2:TGID_Y_EN: 0
; COMPUTE_PGM_RSRC2:TGID_Z_EN: 0
; COMPUTE_PGM_RSRC2:TIDIG_COMP_CNT: 0
; COMPUTE_PGM_RSRC3_GFX90A:ACCUM_OFFSET: 0
; COMPUTE_PGM_RSRC3_GFX90A:TG_SPLIT: 0
	.section	.text._ZN7rocprim17ROCPRIM_400000_NS6detail17trampoline_kernelINS0_14default_configENS1_22reduce_config_selectorIiEEZNS1_11reduce_implILb1ES3_PiS7_i9plus_mod3IiEEE10hipError_tPvRmT1_T2_T3_mT4_P12ihipStream_tbEUlT_E1_NS1_11comp_targetILNS1_3genE4ELNS1_11target_archE910ELNS1_3gpuE8ELNS1_3repE0EEENS1_30default_config_static_selectorELNS0_4arch9wavefront6targetE1EEEvSD_,"axG",@progbits,_ZN7rocprim17ROCPRIM_400000_NS6detail17trampoline_kernelINS0_14default_configENS1_22reduce_config_selectorIiEEZNS1_11reduce_implILb1ES3_PiS7_i9plus_mod3IiEEE10hipError_tPvRmT1_T2_T3_mT4_P12ihipStream_tbEUlT_E1_NS1_11comp_targetILNS1_3genE4ELNS1_11target_archE910ELNS1_3gpuE8ELNS1_3repE0EEENS1_30default_config_static_selectorELNS0_4arch9wavefront6targetE1EEEvSD_,comdat
	.protected	_ZN7rocprim17ROCPRIM_400000_NS6detail17trampoline_kernelINS0_14default_configENS1_22reduce_config_selectorIiEEZNS1_11reduce_implILb1ES3_PiS7_i9plus_mod3IiEEE10hipError_tPvRmT1_T2_T3_mT4_P12ihipStream_tbEUlT_E1_NS1_11comp_targetILNS1_3genE4ELNS1_11target_archE910ELNS1_3gpuE8ELNS1_3repE0EEENS1_30default_config_static_selectorELNS0_4arch9wavefront6targetE1EEEvSD_ ; -- Begin function _ZN7rocprim17ROCPRIM_400000_NS6detail17trampoline_kernelINS0_14default_configENS1_22reduce_config_selectorIiEEZNS1_11reduce_implILb1ES3_PiS7_i9plus_mod3IiEEE10hipError_tPvRmT1_T2_T3_mT4_P12ihipStream_tbEUlT_E1_NS1_11comp_targetILNS1_3genE4ELNS1_11target_archE910ELNS1_3gpuE8ELNS1_3repE0EEENS1_30default_config_static_selectorELNS0_4arch9wavefront6targetE1EEEvSD_
	.globl	_ZN7rocprim17ROCPRIM_400000_NS6detail17trampoline_kernelINS0_14default_configENS1_22reduce_config_selectorIiEEZNS1_11reduce_implILb1ES3_PiS7_i9plus_mod3IiEEE10hipError_tPvRmT1_T2_T3_mT4_P12ihipStream_tbEUlT_E1_NS1_11comp_targetILNS1_3genE4ELNS1_11target_archE910ELNS1_3gpuE8ELNS1_3repE0EEENS1_30default_config_static_selectorELNS0_4arch9wavefront6targetE1EEEvSD_
	.p2align	8
	.type	_ZN7rocprim17ROCPRIM_400000_NS6detail17trampoline_kernelINS0_14default_configENS1_22reduce_config_selectorIiEEZNS1_11reduce_implILb1ES3_PiS7_i9plus_mod3IiEEE10hipError_tPvRmT1_T2_T3_mT4_P12ihipStream_tbEUlT_E1_NS1_11comp_targetILNS1_3genE4ELNS1_11target_archE910ELNS1_3gpuE8ELNS1_3repE0EEENS1_30default_config_static_selectorELNS0_4arch9wavefront6targetE1EEEvSD_,@function
_ZN7rocprim17ROCPRIM_400000_NS6detail17trampoline_kernelINS0_14default_configENS1_22reduce_config_selectorIiEEZNS1_11reduce_implILb1ES3_PiS7_i9plus_mod3IiEEE10hipError_tPvRmT1_T2_T3_mT4_P12ihipStream_tbEUlT_E1_NS1_11comp_targetILNS1_3genE4ELNS1_11target_archE910ELNS1_3gpuE8ELNS1_3repE0EEENS1_30default_config_static_selectorELNS0_4arch9wavefront6targetE1EEEvSD_: ; @_ZN7rocprim17ROCPRIM_400000_NS6detail17trampoline_kernelINS0_14default_configENS1_22reduce_config_selectorIiEEZNS1_11reduce_implILb1ES3_PiS7_i9plus_mod3IiEEE10hipError_tPvRmT1_T2_T3_mT4_P12ihipStream_tbEUlT_E1_NS1_11comp_targetILNS1_3genE4ELNS1_11target_archE910ELNS1_3gpuE8ELNS1_3repE0EEENS1_30default_config_static_selectorELNS0_4arch9wavefront6targetE1EEEvSD_
; %bb.0:
	.section	.rodata,"a",@progbits
	.p2align	6, 0x0
	.amdhsa_kernel _ZN7rocprim17ROCPRIM_400000_NS6detail17trampoline_kernelINS0_14default_configENS1_22reduce_config_selectorIiEEZNS1_11reduce_implILb1ES3_PiS7_i9plus_mod3IiEEE10hipError_tPvRmT1_T2_T3_mT4_P12ihipStream_tbEUlT_E1_NS1_11comp_targetILNS1_3genE4ELNS1_11target_archE910ELNS1_3gpuE8ELNS1_3repE0EEENS1_30default_config_static_selectorELNS0_4arch9wavefront6targetE1EEEvSD_
		.amdhsa_group_segment_fixed_size 0
		.amdhsa_private_segment_fixed_size 0
		.amdhsa_kernarg_size 48
		.amdhsa_user_sgpr_count 2
		.amdhsa_user_sgpr_dispatch_ptr 0
		.amdhsa_user_sgpr_queue_ptr 0
		.amdhsa_user_sgpr_kernarg_segment_ptr 1
		.amdhsa_user_sgpr_dispatch_id 0
		.amdhsa_user_sgpr_kernarg_preload_length 0
		.amdhsa_user_sgpr_kernarg_preload_offset 0
		.amdhsa_user_sgpr_private_segment_size 0
		.amdhsa_uses_dynamic_stack 0
		.amdhsa_enable_private_segment 0
		.amdhsa_system_sgpr_workgroup_id_x 1
		.amdhsa_system_sgpr_workgroup_id_y 0
		.amdhsa_system_sgpr_workgroup_id_z 0
		.amdhsa_system_sgpr_workgroup_info 0
		.amdhsa_system_vgpr_workitem_id 0
		.amdhsa_next_free_vgpr 1
		.amdhsa_next_free_sgpr 0
		.amdhsa_accum_offset 4
		.amdhsa_reserve_vcc 0
		.amdhsa_float_round_mode_32 0
		.amdhsa_float_round_mode_16_64 0
		.amdhsa_float_denorm_mode_32 3
		.amdhsa_float_denorm_mode_16_64 3
		.amdhsa_dx10_clamp 1
		.amdhsa_ieee_mode 1
		.amdhsa_fp16_overflow 0
		.amdhsa_tg_split 0
		.amdhsa_exception_fp_ieee_invalid_op 0
		.amdhsa_exception_fp_denorm_src 0
		.amdhsa_exception_fp_ieee_div_zero 0
		.amdhsa_exception_fp_ieee_overflow 0
		.amdhsa_exception_fp_ieee_underflow 0
		.amdhsa_exception_fp_ieee_inexact 0
		.amdhsa_exception_int_div_zero 0
	.end_amdhsa_kernel
	.section	.text._ZN7rocprim17ROCPRIM_400000_NS6detail17trampoline_kernelINS0_14default_configENS1_22reduce_config_selectorIiEEZNS1_11reduce_implILb1ES3_PiS7_i9plus_mod3IiEEE10hipError_tPvRmT1_T2_T3_mT4_P12ihipStream_tbEUlT_E1_NS1_11comp_targetILNS1_3genE4ELNS1_11target_archE910ELNS1_3gpuE8ELNS1_3repE0EEENS1_30default_config_static_selectorELNS0_4arch9wavefront6targetE1EEEvSD_,"axG",@progbits,_ZN7rocprim17ROCPRIM_400000_NS6detail17trampoline_kernelINS0_14default_configENS1_22reduce_config_selectorIiEEZNS1_11reduce_implILb1ES3_PiS7_i9plus_mod3IiEEE10hipError_tPvRmT1_T2_T3_mT4_P12ihipStream_tbEUlT_E1_NS1_11comp_targetILNS1_3genE4ELNS1_11target_archE910ELNS1_3gpuE8ELNS1_3repE0EEENS1_30default_config_static_selectorELNS0_4arch9wavefront6targetE1EEEvSD_,comdat
.Lfunc_end922:
	.size	_ZN7rocprim17ROCPRIM_400000_NS6detail17trampoline_kernelINS0_14default_configENS1_22reduce_config_selectorIiEEZNS1_11reduce_implILb1ES3_PiS7_i9plus_mod3IiEEE10hipError_tPvRmT1_T2_T3_mT4_P12ihipStream_tbEUlT_E1_NS1_11comp_targetILNS1_3genE4ELNS1_11target_archE910ELNS1_3gpuE8ELNS1_3repE0EEENS1_30default_config_static_selectorELNS0_4arch9wavefront6targetE1EEEvSD_, .Lfunc_end922-_ZN7rocprim17ROCPRIM_400000_NS6detail17trampoline_kernelINS0_14default_configENS1_22reduce_config_selectorIiEEZNS1_11reduce_implILb1ES3_PiS7_i9plus_mod3IiEEE10hipError_tPvRmT1_T2_T3_mT4_P12ihipStream_tbEUlT_E1_NS1_11comp_targetILNS1_3genE4ELNS1_11target_archE910ELNS1_3gpuE8ELNS1_3repE0EEENS1_30default_config_static_selectorELNS0_4arch9wavefront6targetE1EEEvSD_
                                        ; -- End function
	.set _ZN7rocprim17ROCPRIM_400000_NS6detail17trampoline_kernelINS0_14default_configENS1_22reduce_config_selectorIiEEZNS1_11reduce_implILb1ES3_PiS7_i9plus_mod3IiEEE10hipError_tPvRmT1_T2_T3_mT4_P12ihipStream_tbEUlT_E1_NS1_11comp_targetILNS1_3genE4ELNS1_11target_archE910ELNS1_3gpuE8ELNS1_3repE0EEENS1_30default_config_static_selectorELNS0_4arch9wavefront6targetE1EEEvSD_.num_vgpr, 0
	.set _ZN7rocprim17ROCPRIM_400000_NS6detail17trampoline_kernelINS0_14default_configENS1_22reduce_config_selectorIiEEZNS1_11reduce_implILb1ES3_PiS7_i9plus_mod3IiEEE10hipError_tPvRmT1_T2_T3_mT4_P12ihipStream_tbEUlT_E1_NS1_11comp_targetILNS1_3genE4ELNS1_11target_archE910ELNS1_3gpuE8ELNS1_3repE0EEENS1_30default_config_static_selectorELNS0_4arch9wavefront6targetE1EEEvSD_.num_agpr, 0
	.set _ZN7rocprim17ROCPRIM_400000_NS6detail17trampoline_kernelINS0_14default_configENS1_22reduce_config_selectorIiEEZNS1_11reduce_implILb1ES3_PiS7_i9plus_mod3IiEEE10hipError_tPvRmT1_T2_T3_mT4_P12ihipStream_tbEUlT_E1_NS1_11comp_targetILNS1_3genE4ELNS1_11target_archE910ELNS1_3gpuE8ELNS1_3repE0EEENS1_30default_config_static_selectorELNS0_4arch9wavefront6targetE1EEEvSD_.numbered_sgpr, 0
	.set _ZN7rocprim17ROCPRIM_400000_NS6detail17trampoline_kernelINS0_14default_configENS1_22reduce_config_selectorIiEEZNS1_11reduce_implILb1ES3_PiS7_i9plus_mod3IiEEE10hipError_tPvRmT1_T2_T3_mT4_P12ihipStream_tbEUlT_E1_NS1_11comp_targetILNS1_3genE4ELNS1_11target_archE910ELNS1_3gpuE8ELNS1_3repE0EEENS1_30default_config_static_selectorELNS0_4arch9wavefront6targetE1EEEvSD_.num_named_barrier, 0
	.set _ZN7rocprim17ROCPRIM_400000_NS6detail17trampoline_kernelINS0_14default_configENS1_22reduce_config_selectorIiEEZNS1_11reduce_implILb1ES3_PiS7_i9plus_mod3IiEEE10hipError_tPvRmT1_T2_T3_mT4_P12ihipStream_tbEUlT_E1_NS1_11comp_targetILNS1_3genE4ELNS1_11target_archE910ELNS1_3gpuE8ELNS1_3repE0EEENS1_30default_config_static_selectorELNS0_4arch9wavefront6targetE1EEEvSD_.private_seg_size, 0
	.set _ZN7rocprim17ROCPRIM_400000_NS6detail17trampoline_kernelINS0_14default_configENS1_22reduce_config_selectorIiEEZNS1_11reduce_implILb1ES3_PiS7_i9plus_mod3IiEEE10hipError_tPvRmT1_T2_T3_mT4_P12ihipStream_tbEUlT_E1_NS1_11comp_targetILNS1_3genE4ELNS1_11target_archE910ELNS1_3gpuE8ELNS1_3repE0EEENS1_30default_config_static_selectorELNS0_4arch9wavefront6targetE1EEEvSD_.uses_vcc, 0
	.set _ZN7rocprim17ROCPRIM_400000_NS6detail17trampoline_kernelINS0_14default_configENS1_22reduce_config_selectorIiEEZNS1_11reduce_implILb1ES3_PiS7_i9plus_mod3IiEEE10hipError_tPvRmT1_T2_T3_mT4_P12ihipStream_tbEUlT_E1_NS1_11comp_targetILNS1_3genE4ELNS1_11target_archE910ELNS1_3gpuE8ELNS1_3repE0EEENS1_30default_config_static_selectorELNS0_4arch9wavefront6targetE1EEEvSD_.uses_flat_scratch, 0
	.set _ZN7rocprim17ROCPRIM_400000_NS6detail17trampoline_kernelINS0_14default_configENS1_22reduce_config_selectorIiEEZNS1_11reduce_implILb1ES3_PiS7_i9plus_mod3IiEEE10hipError_tPvRmT1_T2_T3_mT4_P12ihipStream_tbEUlT_E1_NS1_11comp_targetILNS1_3genE4ELNS1_11target_archE910ELNS1_3gpuE8ELNS1_3repE0EEENS1_30default_config_static_selectorELNS0_4arch9wavefront6targetE1EEEvSD_.has_dyn_sized_stack, 0
	.set _ZN7rocprim17ROCPRIM_400000_NS6detail17trampoline_kernelINS0_14default_configENS1_22reduce_config_selectorIiEEZNS1_11reduce_implILb1ES3_PiS7_i9plus_mod3IiEEE10hipError_tPvRmT1_T2_T3_mT4_P12ihipStream_tbEUlT_E1_NS1_11comp_targetILNS1_3genE4ELNS1_11target_archE910ELNS1_3gpuE8ELNS1_3repE0EEENS1_30default_config_static_selectorELNS0_4arch9wavefront6targetE1EEEvSD_.has_recursion, 0
	.set _ZN7rocprim17ROCPRIM_400000_NS6detail17trampoline_kernelINS0_14default_configENS1_22reduce_config_selectorIiEEZNS1_11reduce_implILb1ES3_PiS7_i9plus_mod3IiEEE10hipError_tPvRmT1_T2_T3_mT4_P12ihipStream_tbEUlT_E1_NS1_11comp_targetILNS1_3genE4ELNS1_11target_archE910ELNS1_3gpuE8ELNS1_3repE0EEENS1_30default_config_static_selectorELNS0_4arch9wavefront6targetE1EEEvSD_.has_indirect_call, 0
	.section	.AMDGPU.csdata,"",@progbits
; Kernel info:
; codeLenInByte = 0
; TotalNumSgprs: 6
; NumVgprs: 0
; NumAgprs: 0
; TotalNumVgprs: 0
; ScratchSize: 0
; MemoryBound: 0
; FloatMode: 240
; IeeeMode: 1
; LDSByteSize: 0 bytes/workgroup (compile time only)
; SGPRBlocks: 0
; VGPRBlocks: 0
; NumSGPRsForWavesPerEU: 6
; NumVGPRsForWavesPerEU: 1
; AccumOffset: 4
; Occupancy: 8
; WaveLimiterHint : 0
; COMPUTE_PGM_RSRC2:SCRATCH_EN: 0
; COMPUTE_PGM_RSRC2:USER_SGPR: 2
; COMPUTE_PGM_RSRC2:TRAP_HANDLER: 0
; COMPUTE_PGM_RSRC2:TGID_X_EN: 1
; COMPUTE_PGM_RSRC2:TGID_Y_EN: 0
; COMPUTE_PGM_RSRC2:TGID_Z_EN: 0
; COMPUTE_PGM_RSRC2:TIDIG_COMP_CNT: 0
; COMPUTE_PGM_RSRC3_GFX90A:ACCUM_OFFSET: 0
; COMPUTE_PGM_RSRC3_GFX90A:TG_SPLIT: 0
	.section	.text._ZN7rocprim17ROCPRIM_400000_NS6detail17trampoline_kernelINS0_14default_configENS1_22reduce_config_selectorIiEEZNS1_11reduce_implILb1ES3_PiS7_i9plus_mod3IiEEE10hipError_tPvRmT1_T2_T3_mT4_P12ihipStream_tbEUlT_E1_NS1_11comp_targetILNS1_3genE3ELNS1_11target_archE908ELNS1_3gpuE7ELNS1_3repE0EEENS1_30default_config_static_selectorELNS0_4arch9wavefront6targetE1EEEvSD_,"axG",@progbits,_ZN7rocprim17ROCPRIM_400000_NS6detail17trampoline_kernelINS0_14default_configENS1_22reduce_config_selectorIiEEZNS1_11reduce_implILb1ES3_PiS7_i9plus_mod3IiEEE10hipError_tPvRmT1_T2_T3_mT4_P12ihipStream_tbEUlT_E1_NS1_11comp_targetILNS1_3genE3ELNS1_11target_archE908ELNS1_3gpuE7ELNS1_3repE0EEENS1_30default_config_static_selectorELNS0_4arch9wavefront6targetE1EEEvSD_,comdat
	.protected	_ZN7rocprim17ROCPRIM_400000_NS6detail17trampoline_kernelINS0_14default_configENS1_22reduce_config_selectorIiEEZNS1_11reduce_implILb1ES3_PiS7_i9plus_mod3IiEEE10hipError_tPvRmT1_T2_T3_mT4_P12ihipStream_tbEUlT_E1_NS1_11comp_targetILNS1_3genE3ELNS1_11target_archE908ELNS1_3gpuE7ELNS1_3repE0EEENS1_30default_config_static_selectorELNS0_4arch9wavefront6targetE1EEEvSD_ ; -- Begin function _ZN7rocprim17ROCPRIM_400000_NS6detail17trampoline_kernelINS0_14default_configENS1_22reduce_config_selectorIiEEZNS1_11reduce_implILb1ES3_PiS7_i9plus_mod3IiEEE10hipError_tPvRmT1_T2_T3_mT4_P12ihipStream_tbEUlT_E1_NS1_11comp_targetILNS1_3genE3ELNS1_11target_archE908ELNS1_3gpuE7ELNS1_3repE0EEENS1_30default_config_static_selectorELNS0_4arch9wavefront6targetE1EEEvSD_
	.globl	_ZN7rocprim17ROCPRIM_400000_NS6detail17trampoline_kernelINS0_14default_configENS1_22reduce_config_selectorIiEEZNS1_11reduce_implILb1ES3_PiS7_i9plus_mod3IiEEE10hipError_tPvRmT1_T2_T3_mT4_P12ihipStream_tbEUlT_E1_NS1_11comp_targetILNS1_3genE3ELNS1_11target_archE908ELNS1_3gpuE7ELNS1_3repE0EEENS1_30default_config_static_selectorELNS0_4arch9wavefront6targetE1EEEvSD_
	.p2align	8
	.type	_ZN7rocprim17ROCPRIM_400000_NS6detail17trampoline_kernelINS0_14default_configENS1_22reduce_config_selectorIiEEZNS1_11reduce_implILb1ES3_PiS7_i9plus_mod3IiEEE10hipError_tPvRmT1_T2_T3_mT4_P12ihipStream_tbEUlT_E1_NS1_11comp_targetILNS1_3genE3ELNS1_11target_archE908ELNS1_3gpuE7ELNS1_3repE0EEENS1_30default_config_static_selectorELNS0_4arch9wavefront6targetE1EEEvSD_,@function
_ZN7rocprim17ROCPRIM_400000_NS6detail17trampoline_kernelINS0_14default_configENS1_22reduce_config_selectorIiEEZNS1_11reduce_implILb1ES3_PiS7_i9plus_mod3IiEEE10hipError_tPvRmT1_T2_T3_mT4_P12ihipStream_tbEUlT_E1_NS1_11comp_targetILNS1_3genE3ELNS1_11target_archE908ELNS1_3gpuE7ELNS1_3repE0EEENS1_30default_config_static_selectorELNS0_4arch9wavefront6targetE1EEEvSD_: ; @_ZN7rocprim17ROCPRIM_400000_NS6detail17trampoline_kernelINS0_14default_configENS1_22reduce_config_selectorIiEEZNS1_11reduce_implILb1ES3_PiS7_i9plus_mod3IiEEE10hipError_tPvRmT1_T2_T3_mT4_P12ihipStream_tbEUlT_E1_NS1_11comp_targetILNS1_3genE3ELNS1_11target_archE908ELNS1_3gpuE7ELNS1_3repE0EEENS1_30default_config_static_selectorELNS0_4arch9wavefront6targetE1EEEvSD_
; %bb.0:
	.section	.rodata,"a",@progbits
	.p2align	6, 0x0
	.amdhsa_kernel _ZN7rocprim17ROCPRIM_400000_NS6detail17trampoline_kernelINS0_14default_configENS1_22reduce_config_selectorIiEEZNS1_11reduce_implILb1ES3_PiS7_i9plus_mod3IiEEE10hipError_tPvRmT1_T2_T3_mT4_P12ihipStream_tbEUlT_E1_NS1_11comp_targetILNS1_3genE3ELNS1_11target_archE908ELNS1_3gpuE7ELNS1_3repE0EEENS1_30default_config_static_selectorELNS0_4arch9wavefront6targetE1EEEvSD_
		.amdhsa_group_segment_fixed_size 0
		.amdhsa_private_segment_fixed_size 0
		.amdhsa_kernarg_size 48
		.amdhsa_user_sgpr_count 2
		.amdhsa_user_sgpr_dispatch_ptr 0
		.amdhsa_user_sgpr_queue_ptr 0
		.amdhsa_user_sgpr_kernarg_segment_ptr 1
		.amdhsa_user_sgpr_dispatch_id 0
		.amdhsa_user_sgpr_kernarg_preload_length 0
		.amdhsa_user_sgpr_kernarg_preload_offset 0
		.amdhsa_user_sgpr_private_segment_size 0
		.amdhsa_uses_dynamic_stack 0
		.amdhsa_enable_private_segment 0
		.amdhsa_system_sgpr_workgroup_id_x 1
		.amdhsa_system_sgpr_workgroup_id_y 0
		.amdhsa_system_sgpr_workgroup_id_z 0
		.amdhsa_system_sgpr_workgroup_info 0
		.amdhsa_system_vgpr_workitem_id 0
		.amdhsa_next_free_vgpr 1
		.amdhsa_next_free_sgpr 0
		.amdhsa_accum_offset 4
		.amdhsa_reserve_vcc 0
		.amdhsa_float_round_mode_32 0
		.amdhsa_float_round_mode_16_64 0
		.amdhsa_float_denorm_mode_32 3
		.amdhsa_float_denorm_mode_16_64 3
		.amdhsa_dx10_clamp 1
		.amdhsa_ieee_mode 1
		.amdhsa_fp16_overflow 0
		.amdhsa_tg_split 0
		.amdhsa_exception_fp_ieee_invalid_op 0
		.amdhsa_exception_fp_denorm_src 0
		.amdhsa_exception_fp_ieee_div_zero 0
		.amdhsa_exception_fp_ieee_overflow 0
		.amdhsa_exception_fp_ieee_underflow 0
		.amdhsa_exception_fp_ieee_inexact 0
		.amdhsa_exception_int_div_zero 0
	.end_amdhsa_kernel
	.section	.text._ZN7rocprim17ROCPRIM_400000_NS6detail17trampoline_kernelINS0_14default_configENS1_22reduce_config_selectorIiEEZNS1_11reduce_implILb1ES3_PiS7_i9plus_mod3IiEEE10hipError_tPvRmT1_T2_T3_mT4_P12ihipStream_tbEUlT_E1_NS1_11comp_targetILNS1_3genE3ELNS1_11target_archE908ELNS1_3gpuE7ELNS1_3repE0EEENS1_30default_config_static_selectorELNS0_4arch9wavefront6targetE1EEEvSD_,"axG",@progbits,_ZN7rocprim17ROCPRIM_400000_NS6detail17trampoline_kernelINS0_14default_configENS1_22reduce_config_selectorIiEEZNS1_11reduce_implILb1ES3_PiS7_i9plus_mod3IiEEE10hipError_tPvRmT1_T2_T3_mT4_P12ihipStream_tbEUlT_E1_NS1_11comp_targetILNS1_3genE3ELNS1_11target_archE908ELNS1_3gpuE7ELNS1_3repE0EEENS1_30default_config_static_selectorELNS0_4arch9wavefront6targetE1EEEvSD_,comdat
.Lfunc_end923:
	.size	_ZN7rocprim17ROCPRIM_400000_NS6detail17trampoline_kernelINS0_14default_configENS1_22reduce_config_selectorIiEEZNS1_11reduce_implILb1ES3_PiS7_i9plus_mod3IiEEE10hipError_tPvRmT1_T2_T3_mT4_P12ihipStream_tbEUlT_E1_NS1_11comp_targetILNS1_3genE3ELNS1_11target_archE908ELNS1_3gpuE7ELNS1_3repE0EEENS1_30default_config_static_selectorELNS0_4arch9wavefront6targetE1EEEvSD_, .Lfunc_end923-_ZN7rocprim17ROCPRIM_400000_NS6detail17trampoline_kernelINS0_14default_configENS1_22reduce_config_selectorIiEEZNS1_11reduce_implILb1ES3_PiS7_i9plus_mod3IiEEE10hipError_tPvRmT1_T2_T3_mT4_P12ihipStream_tbEUlT_E1_NS1_11comp_targetILNS1_3genE3ELNS1_11target_archE908ELNS1_3gpuE7ELNS1_3repE0EEENS1_30default_config_static_selectorELNS0_4arch9wavefront6targetE1EEEvSD_
                                        ; -- End function
	.set _ZN7rocprim17ROCPRIM_400000_NS6detail17trampoline_kernelINS0_14default_configENS1_22reduce_config_selectorIiEEZNS1_11reduce_implILb1ES3_PiS7_i9plus_mod3IiEEE10hipError_tPvRmT1_T2_T3_mT4_P12ihipStream_tbEUlT_E1_NS1_11comp_targetILNS1_3genE3ELNS1_11target_archE908ELNS1_3gpuE7ELNS1_3repE0EEENS1_30default_config_static_selectorELNS0_4arch9wavefront6targetE1EEEvSD_.num_vgpr, 0
	.set _ZN7rocprim17ROCPRIM_400000_NS6detail17trampoline_kernelINS0_14default_configENS1_22reduce_config_selectorIiEEZNS1_11reduce_implILb1ES3_PiS7_i9plus_mod3IiEEE10hipError_tPvRmT1_T2_T3_mT4_P12ihipStream_tbEUlT_E1_NS1_11comp_targetILNS1_3genE3ELNS1_11target_archE908ELNS1_3gpuE7ELNS1_3repE0EEENS1_30default_config_static_selectorELNS0_4arch9wavefront6targetE1EEEvSD_.num_agpr, 0
	.set _ZN7rocprim17ROCPRIM_400000_NS6detail17trampoline_kernelINS0_14default_configENS1_22reduce_config_selectorIiEEZNS1_11reduce_implILb1ES3_PiS7_i9plus_mod3IiEEE10hipError_tPvRmT1_T2_T3_mT4_P12ihipStream_tbEUlT_E1_NS1_11comp_targetILNS1_3genE3ELNS1_11target_archE908ELNS1_3gpuE7ELNS1_3repE0EEENS1_30default_config_static_selectorELNS0_4arch9wavefront6targetE1EEEvSD_.numbered_sgpr, 0
	.set _ZN7rocprim17ROCPRIM_400000_NS6detail17trampoline_kernelINS0_14default_configENS1_22reduce_config_selectorIiEEZNS1_11reduce_implILb1ES3_PiS7_i9plus_mod3IiEEE10hipError_tPvRmT1_T2_T3_mT4_P12ihipStream_tbEUlT_E1_NS1_11comp_targetILNS1_3genE3ELNS1_11target_archE908ELNS1_3gpuE7ELNS1_3repE0EEENS1_30default_config_static_selectorELNS0_4arch9wavefront6targetE1EEEvSD_.num_named_barrier, 0
	.set _ZN7rocprim17ROCPRIM_400000_NS6detail17trampoline_kernelINS0_14default_configENS1_22reduce_config_selectorIiEEZNS1_11reduce_implILb1ES3_PiS7_i9plus_mod3IiEEE10hipError_tPvRmT1_T2_T3_mT4_P12ihipStream_tbEUlT_E1_NS1_11comp_targetILNS1_3genE3ELNS1_11target_archE908ELNS1_3gpuE7ELNS1_3repE0EEENS1_30default_config_static_selectorELNS0_4arch9wavefront6targetE1EEEvSD_.private_seg_size, 0
	.set _ZN7rocprim17ROCPRIM_400000_NS6detail17trampoline_kernelINS0_14default_configENS1_22reduce_config_selectorIiEEZNS1_11reduce_implILb1ES3_PiS7_i9plus_mod3IiEEE10hipError_tPvRmT1_T2_T3_mT4_P12ihipStream_tbEUlT_E1_NS1_11comp_targetILNS1_3genE3ELNS1_11target_archE908ELNS1_3gpuE7ELNS1_3repE0EEENS1_30default_config_static_selectorELNS0_4arch9wavefront6targetE1EEEvSD_.uses_vcc, 0
	.set _ZN7rocprim17ROCPRIM_400000_NS6detail17trampoline_kernelINS0_14default_configENS1_22reduce_config_selectorIiEEZNS1_11reduce_implILb1ES3_PiS7_i9plus_mod3IiEEE10hipError_tPvRmT1_T2_T3_mT4_P12ihipStream_tbEUlT_E1_NS1_11comp_targetILNS1_3genE3ELNS1_11target_archE908ELNS1_3gpuE7ELNS1_3repE0EEENS1_30default_config_static_selectorELNS0_4arch9wavefront6targetE1EEEvSD_.uses_flat_scratch, 0
	.set _ZN7rocprim17ROCPRIM_400000_NS6detail17trampoline_kernelINS0_14default_configENS1_22reduce_config_selectorIiEEZNS1_11reduce_implILb1ES3_PiS7_i9plus_mod3IiEEE10hipError_tPvRmT1_T2_T3_mT4_P12ihipStream_tbEUlT_E1_NS1_11comp_targetILNS1_3genE3ELNS1_11target_archE908ELNS1_3gpuE7ELNS1_3repE0EEENS1_30default_config_static_selectorELNS0_4arch9wavefront6targetE1EEEvSD_.has_dyn_sized_stack, 0
	.set _ZN7rocprim17ROCPRIM_400000_NS6detail17trampoline_kernelINS0_14default_configENS1_22reduce_config_selectorIiEEZNS1_11reduce_implILb1ES3_PiS7_i9plus_mod3IiEEE10hipError_tPvRmT1_T2_T3_mT4_P12ihipStream_tbEUlT_E1_NS1_11comp_targetILNS1_3genE3ELNS1_11target_archE908ELNS1_3gpuE7ELNS1_3repE0EEENS1_30default_config_static_selectorELNS0_4arch9wavefront6targetE1EEEvSD_.has_recursion, 0
	.set _ZN7rocprim17ROCPRIM_400000_NS6detail17trampoline_kernelINS0_14default_configENS1_22reduce_config_selectorIiEEZNS1_11reduce_implILb1ES3_PiS7_i9plus_mod3IiEEE10hipError_tPvRmT1_T2_T3_mT4_P12ihipStream_tbEUlT_E1_NS1_11comp_targetILNS1_3genE3ELNS1_11target_archE908ELNS1_3gpuE7ELNS1_3repE0EEENS1_30default_config_static_selectorELNS0_4arch9wavefront6targetE1EEEvSD_.has_indirect_call, 0
	.section	.AMDGPU.csdata,"",@progbits
; Kernel info:
; codeLenInByte = 0
; TotalNumSgprs: 6
; NumVgprs: 0
; NumAgprs: 0
; TotalNumVgprs: 0
; ScratchSize: 0
; MemoryBound: 0
; FloatMode: 240
; IeeeMode: 1
; LDSByteSize: 0 bytes/workgroup (compile time only)
; SGPRBlocks: 0
; VGPRBlocks: 0
; NumSGPRsForWavesPerEU: 6
; NumVGPRsForWavesPerEU: 1
; AccumOffset: 4
; Occupancy: 8
; WaveLimiterHint : 0
; COMPUTE_PGM_RSRC2:SCRATCH_EN: 0
; COMPUTE_PGM_RSRC2:USER_SGPR: 2
; COMPUTE_PGM_RSRC2:TRAP_HANDLER: 0
; COMPUTE_PGM_RSRC2:TGID_X_EN: 1
; COMPUTE_PGM_RSRC2:TGID_Y_EN: 0
; COMPUTE_PGM_RSRC2:TGID_Z_EN: 0
; COMPUTE_PGM_RSRC2:TIDIG_COMP_CNT: 0
; COMPUTE_PGM_RSRC3_GFX90A:ACCUM_OFFSET: 0
; COMPUTE_PGM_RSRC3_GFX90A:TG_SPLIT: 0
	.section	.text._ZN7rocprim17ROCPRIM_400000_NS6detail17trampoline_kernelINS0_14default_configENS1_22reduce_config_selectorIiEEZNS1_11reduce_implILb1ES3_PiS7_i9plus_mod3IiEEE10hipError_tPvRmT1_T2_T3_mT4_P12ihipStream_tbEUlT_E1_NS1_11comp_targetILNS1_3genE2ELNS1_11target_archE906ELNS1_3gpuE6ELNS1_3repE0EEENS1_30default_config_static_selectorELNS0_4arch9wavefront6targetE1EEEvSD_,"axG",@progbits,_ZN7rocprim17ROCPRIM_400000_NS6detail17trampoline_kernelINS0_14default_configENS1_22reduce_config_selectorIiEEZNS1_11reduce_implILb1ES3_PiS7_i9plus_mod3IiEEE10hipError_tPvRmT1_T2_T3_mT4_P12ihipStream_tbEUlT_E1_NS1_11comp_targetILNS1_3genE2ELNS1_11target_archE906ELNS1_3gpuE6ELNS1_3repE0EEENS1_30default_config_static_selectorELNS0_4arch9wavefront6targetE1EEEvSD_,comdat
	.protected	_ZN7rocprim17ROCPRIM_400000_NS6detail17trampoline_kernelINS0_14default_configENS1_22reduce_config_selectorIiEEZNS1_11reduce_implILb1ES3_PiS7_i9plus_mod3IiEEE10hipError_tPvRmT1_T2_T3_mT4_P12ihipStream_tbEUlT_E1_NS1_11comp_targetILNS1_3genE2ELNS1_11target_archE906ELNS1_3gpuE6ELNS1_3repE0EEENS1_30default_config_static_selectorELNS0_4arch9wavefront6targetE1EEEvSD_ ; -- Begin function _ZN7rocprim17ROCPRIM_400000_NS6detail17trampoline_kernelINS0_14default_configENS1_22reduce_config_selectorIiEEZNS1_11reduce_implILb1ES3_PiS7_i9plus_mod3IiEEE10hipError_tPvRmT1_T2_T3_mT4_P12ihipStream_tbEUlT_E1_NS1_11comp_targetILNS1_3genE2ELNS1_11target_archE906ELNS1_3gpuE6ELNS1_3repE0EEENS1_30default_config_static_selectorELNS0_4arch9wavefront6targetE1EEEvSD_
	.globl	_ZN7rocprim17ROCPRIM_400000_NS6detail17trampoline_kernelINS0_14default_configENS1_22reduce_config_selectorIiEEZNS1_11reduce_implILb1ES3_PiS7_i9plus_mod3IiEEE10hipError_tPvRmT1_T2_T3_mT4_P12ihipStream_tbEUlT_E1_NS1_11comp_targetILNS1_3genE2ELNS1_11target_archE906ELNS1_3gpuE6ELNS1_3repE0EEENS1_30default_config_static_selectorELNS0_4arch9wavefront6targetE1EEEvSD_
	.p2align	8
	.type	_ZN7rocprim17ROCPRIM_400000_NS6detail17trampoline_kernelINS0_14default_configENS1_22reduce_config_selectorIiEEZNS1_11reduce_implILb1ES3_PiS7_i9plus_mod3IiEEE10hipError_tPvRmT1_T2_T3_mT4_P12ihipStream_tbEUlT_E1_NS1_11comp_targetILNS1_3genE2ELNS1_11target_archE906ELNS1_3gpuE6ELNS1_3repE0EEENS1_30default_config_static_selectorELNS0_4arch9wavefront6targetE1EEEvSD_,@function
_ZN7rocprim17ROCPRIM_400000_NS6detail17trampoline_kernelINS0_14default_configENS1_22reduce_config_selectorIiEEZNS1_11reduce_implILb1ES3_PiS7_i9plus_mod3IiEEE10hipError_tPvRmT1_T2_T3_mT4_P12ihipStream_tbEUlT_E1_NS1_11comp_targetILNS1_3genE2ELNS1_11target_archE906ELNS1_3gpuE6ELNS1_3repE0EEENS1_30default_config_static_selectorELNS0_4arch9wavefront6targetE1EEEvSD_: ; @_ZN7rocprim17ROCPRIM_400000_NS6detail17trampoline_kernelINS0_14default_configENS1_22reduce_config_selectorIiEEZNS1_11reduce_implILb1ES3_PiS7_i9plus_mod3IiEEE10hipError_tPvRmT1_T2_T3_mT4_P12ihipStream_tbEUlT_E1_NS1_11comp_targetILNS1_3genE2ELNS1_11target_archE906ELNS1_3gpuE6ELNS1_3repE0EEENS1_30default_config_static_selectorELNS0_4arch9wavefront6targetE1EEEvSD_
; %bb.0:
	.section	.rodata,"a",@progbits
	.p2align	6, 0x0
	.amdhsa_kernel _ZN7rocprim17ROCPRIM_400000_NS6detail17trampoline_kernelINS0_14default_configENS1_22reduce_config_selectorIiEEZNS1_11reduce_implILb1ES3_PiS7_i9plus_mod3IiEEE10hipError_tPvRmT1_T2_T3_mT4_P12ihipStream_tbEUlT_E1_NS1_11comp_targetILNS1_3genE2ELNS1_11target_archE906ELNS1_3gpuE6ELNS1_3repE0EEENS1_30default_config_static_selectorELNS0_4arch9wavefront6targetE1EEEvSD_
		.amdhsa_group_segment_fixed_size 0
		.amdhsa_private_segment_fixed_size 0
		.amdhsa_kernarg_size 48
		.amdhsa_user_sgpr_count 2
		.amdhsa_user_sgpr_dispatch_ptr 0
		.amdhsa_user_sgpr_queue_ptr 0
		.amdhsa_user_sgpr_kernarg_segment_ptr 1
		.amdhsa_user_sgpr_dispatch_id 0
		.amdhsa_user_sgpr_kernarg_preload_length 0
		.amdhsa_user_sgpr_kernarg_preload_offset 0
		.amdhsa_user_sgpr_private_segment_size 0
		.amdhsa_uses_dynamic_stack 0
		.amdhsa_enable_private_segment 0
		.amdhsa_system_sgpr_workgroup_id_x 1
		.amdhsa_system_sgpr_workgroup_id_y 0
		.amdhsa_system_sgpr_workgroup_id_z 0
		.amdhsa_system_sgpr_workgroup_info 0
		.amdhsa_system_vgpr_workitem_id 0
		.amdhsa_next_free_vgpr 1
		.amdhsa_next_free_sgpr 0
		.amdhsa_accum_offset 4
		.amdhsa_reserve_vcc 0
		.amdhsa_float_round_mode_32 0
		.amdhsa_float_round_mode_16_64 0
		.amdhsa_float_denorm_mode_32 3
		.amdhsa_float_denorm_mode_16_64 3
		.amdhsa_dx10_clamp 1
		.amdhsa_ieee_mode 1
		.amdhsa_fp16_overflow 0
		.amdhsa_tg_split 0
		.amdhsa_exception_fp_ieee_invalid_op 0
		.amdhsa_exception_fp_denorm_src 0
		.amdhsa_exception_fp_ieee_div_zero 0
		.amdhsa_exception_fp_ieee_overflow 0
		.amdhsa_exception_fp_ieee_underflow 0
		.amdhsa_exception_fp_ieee_inexact 0
		.amdhsa_exception_int_div_zero 0
	.end_amdhsa_kernel
	.section	.text._ZN7rocprim17ROCPRIM_400000_NS6detail17trampoline_kernelINS0_14default_configENS1_22reduce_config_selectorIiEEZNS1_11reduce_implILb1ES3_PiS7_i9plus_mod3IiEEE10hipError_tPvRmT1_T2_T3_mT4_P12ihipStream_tbEUlT_E1_NS1_11comp_targetILNS1_3genE2ELNS1_11target_archE906ELNS1_3gpuE6ELNS1_3repE0EEENS1_30default_config_static_selectorELNS0_4arch9wavefront6targetE1EEEvSD_,"axG",@progbits,_ZN7rocprim17ROCPRIM_400000_NS6detail17trampoline_kernelINS0_14default_configENS1_22reduce_config_selectorIiEEZNS1_11reduce_implILb1ES3_PiS7_i9plus_mod3IiEEE10hipError_tPvRmT1_T2_T3_mT4_P12ihipStream_tbEUlT_E1_NS1_11comp_targetILNS1_3genE2ELNS1_11target_archE906ELNS1_3gpuE6ELNS1_3repE0EEENS1_30default_config_static_selectorELNS0_4arch9wavefront6targetE1EEEvSD_,comdat
.Lfunc_end924:
	.size	_ZN7rocprim17ROCPRIM_400000_NS6detail17trampoline_kernelINS0_14default_configENS1_22reduce_config_selectorIiEEZNS1_11reduce_implILb1ES3_PiS7_i9plus_mod3IiEEE10hipError_tPvRmT1_T2_T3_mT4_P12ihipStream_tbEUlT_E1_NS1_11comp_targetILNS1_3genE2ELNS1_11target_archE906ELNS1_3gpuE6ELNS1_3repE0EEENS1_30default_config_static_selectorELNS0_4arch9wavefront6targetE1EEEvSD_, .Lfunc_end924-_ZN7rocprim17ROCPRIM_400000_NS6detail17trampoline_kernelINS0_14default_configENS1_22reduce_config_selectorIiEEZNS1_11reduce_implILb1ES3_PiS7_i9plus_mod3IiEEE10hipError_tPvRmT1_T2_T3_mT4_P12ihipStream_tbEUlT_E1_NS1_11comp_targetILNS1_3genE2ELNS1_11target_archE906ELNS1_3gpuE6ELNS1_3repE0EEENS1_30default_config_static_selectorELNS0_4arch9wavefront6targetE1EEEvSD_
                                        ; -- End function
	.set _ZN7rocprim17ROCPRIM_400000_NS6detail17trampoline_kernelINS0_14default_configENS1_22reduce_config_selectorIiEEZNS1_11reduce_implILb1ES3_PiS7_i9plus_mod3IiEEE10hipError_tPvRmT1_T2_T3_mT4_P12ihipStream_tbEUlT_E1_NS1_11comp_targetILNS1_3genE2ELNS1_11target_archE906ELNS1_3gpuE6ELNS1_3repE0EEENS1_30default_config_static_selectorELNS0_4arch9wavefront6targetE1EEEvSD_.num_vgpr, 0
	.set _ZN7rocprim17ROCPRIM_400000_NS6detail17trampoline_kernelINS0_14default_configENS1_22reduce_config_selectorIiEEZNS1_11reduce_implILb1ES3_PiS7_i9plus_mod3IiEEE10hipError_tPvRmT1_T2_T3_mT4_P12ihipStream_tbEUlT_E1_NS1_11comp_targetILNS1_3genE2ELNS1_11target_archE906ELNS1_3gpuE6ELNS1_3repE0EEENS1_30default_config_static_selectorELNS0_4arch9wavefront6targetE1EEEvSD_.num_agpr, 0
	.set _ZN7rocprim17ROCPRIM_400000_NS6detail17trampoline_kernelINS0_14default_configENS1_22reduce_config_selectorIiEEZNS1_11reduce_implILb1ES3_PiS7_i9plus_mod3IiEEE10hipError_tPvRmT1_T2_T3_mT4_P12ihipStream_tbEUlT_E1_NS1_11comp_targetILNS1_3genE2ELNS1_11target_archE906ELNS1_3gpuE6ELNS1_3repE0EEENS1_30default_config_static_selectorELNS0_4arch9wavefront6targetE1EEEvSD_.numbered_sgpr, 0
	.set _ZN7rocprim17ROCPRIM_400000_NS6detail17trampoline_kernelINS0_14default_configENS1_22reduce_config_selectorIiEEZNS1_11reduce_implILb1ES3_PiS7_i9plus_mod3IiEEE10hipError_tPvRmT1_T2_T3_mT4_P12ihipStream_tbEUlT_E1_NS1_11comp_targetILNS1_3genE2ELNS1_11target_archE906ELNS1_3gpuE6ELNS1_3repE0EEENS1_30default_config_static_selectorELNS0_4arch9wavefront6targetE1EEEvSD_.num_named_barrier, 0
	.set _ZN7rocprim17ROCPRIM_400000_NS6detail17trampoline_kernelINS0_14default_configENS1_22reduce_config_selectorIiEEZNS1_11reduce_implILb1ES3_PiS7_i9plus_mod3IiEEE10hipError_tPvRmT1_T2_T3_mT4_P12ihipStream_tbEUlT_E1_NS1_11comp_targetILNS1_3genE2ELNS1_11target_archE906ELNS1_3gpuE6ELNS1_3repE0EEENS1_30default_config_static_selectorELNS0_4arch9wavefront6targetE1EEEvSD_.private_seg_size, 0
	.set _ZN7rocprim17ROCPRIM_400000_NS6detail17trampoline_kernelINS0_14default_configENS1_22reduce_config_selectorIiEEZNS1_11reduce_implILb1ES3_PiS7_i9plus_mod3IiEEE10hipError_tPvRmT1_T2_T3_mT4_P12ihipStream_tbEUlT_E1_NS1_11comp_targetILNS1_3genE2ELNS1_11target_archE906ELNS1_3gpuE6ELNS1_3repE0EEENS1_30default_config_static_selectorELNS0_4arch9wavefront6targetE1EEEvSD_.uses_vcc, 0
	.set _ZN7rocprim17ROCPRIM_400000_NS6detail17trampoline_kernelINS0_14default_configENS1_22reduce_config_selectorIiEEZNS1_11reduce_implILb1ES3_PiS7_i9plus_mod3IiEEE10hipError_tPvRmT1_T2_T3_mT4_P12ihipStream_tbEUlT_E1_NS1_11comp_targetILNS1_3genE2ELNS1_11target_archE906ELNS1_3gpuE6ELNS1_3repE0EEENS1_30default_config_static_selectorELNS0_4arch9wavefront6targetE1EEEvSD_.uses_flat_scratch, 0
	.set _ZN7rocprim17ROCPRIM_400000_NS6detail17trampoline_kernelINS0_14default_configENS1_22reduce_config_selectorIiEEZNS1_11reduce_implILb1ES3_PiS7_i9plus_mod3IiEEE10hipError_tPvRmT1_T2_T3_mT4_P12ihipStream_tbEUlT_E1_NS1_11comp_targetILNS1_3genE2ELNS1_11target_archE906ELNS1_3gpuE6ELNS1_3repE0EEENS1_30default_config_static_selectorELNS0_4arch9wavefront6targetE1EEEvSD_.has_dyn_sized_stack, 0
	.set _ZN7rocprim17ROCPRIM_400000_NS6detail17trampoline_kernelINS0_14default_configENS1_22reduce_config_selectorIiEEZNS1_11reduce_implILb1ES3_PiS7_i9plus_mod3IiEEE10hipError_tPvRmT1_T2_T3_mT4_P12ihipStream_tbEUlT_E1_NS1_11comp_targetILNS1_3genE2ELNS1_11target_archE906ELNS1_3gpuE6ELNS1_3repE0EEENS1_30default_config_static_selectorELNS0_4arch9wavefront6targetE1EEEvSD_.has_recursion, 0
	.set _ZN7rocprim17ROCPRIM_400000_NS6detail17trampoline_kernelINS0_14default_configENS1_22reduce_config_selectorIiEEZNS1_11reduce_implILb1ES3_PiS7_i9plus_mod3IiEEE10hipError_tPvRmT1_T2_T3_mT4_P12ihipStream_tbEUlT_E1_NS1_11comp_targetILNS1_3genE2ELNS1_11target_archE906ELNS1_3gpuE6ELNS1_3repE0EEENS1_30default_config_static_selectorELNS0_4arch9wavefront6targetE1EEEvSD_.has_indirect_call, 0
	.section	.AMDGPU.csdata,"",@progbits
; Kernel info:
; codeLenInByte = 0
; TotalNumSgprs: 6
; NumVgprs: 0
; NumAgprs: 0
; TotalNumVgprs: 0
; ScratchSize: 0
; MemoryBound: 0
; FloatMode: 240
; IeeeMode: 1
; LDSByteSize: 0 bytes/workgroup (compile time only)
; SGPRBlocks: 0
; VGPRBlocks: 0
; NumSGPRsForWavesPerEU: 6
; NumVGPRsForWavesPerEU: 1
; AccumOffset: 4
; Occupancy: 8
; WaveLimiterHint : 0
; COMPUTE_PGM_RSRC2:SCRATCH_EN: 0
; COMPUTE_PGM_RSRC2:USER_SGPR: 2
; COMPUTE_PGM_RSRC2:TRAP_HANDLER: 0
; COMPUTE_PGM_RSRC2:TGID_X_EN: 1
; COMPUTE_PGM_RSRC2:TGID_Y_EN: 0
; COMPUTE_PGM_RSRC2:TGID_Z_EN: 0
; COMPUTE_PGM_RSRC2:TIDIG_COMP_CNT: 0
; COMPUTE_PGM_RSRC3_GFX90A:ACCUM_OFFSET: 0
; COMPUTE_PGM_RSRC3_GFX90A:TG_SPLIT: 0
	.section	.text._ZN7rocprim17ROCPRIM_400000_NS6detail17trampoline_kernelINS0_14default_configENS1_22reduce_config_selectorIiEEZNS1_11reduce_implILb1ES3_PiS7_i9plus_mod3IiEEE10hipError_tPvRmT1_T2_T3_mT4_P12ihipStream_tbEUlT_E1_NS1_11comp_targetILNS1_3genE10ELNS1_11target_archE1201ELNS1_3gpuE5ELNS1_3repE0EEENS1_30default_config_static_selectorELNS0_4arch9wavefront6targetE1EEEvSD_,"axG",@progbits,_ZN7rocprim17ROCPRIM_400000_NS6detail17trampoline_kernelINS0_14default_configENS1_22reduce_config_selectorIiEEZNS1_11reduce_implILb1ES3_PiS7_i9plus_mod3IiEEE10hipError_tPvRmT1_T2_T3_mT4_P12ihipStream_tbEUlT_E1_NS1_11comp_targetILNS1_3genE10ELNS1_11target_archE1201ELNS1_3gpuE5ELNS1_3repE0EEENS1_30default_config_static_selectorELNS0_4arch9wavefront6targetE1EEEvSD_,comdat
	.protected	_ZN7rocprim17ROCPRIM_400000_NS6detail17trampoline_kernelINS0_14default_configENS1_22reduce_config_selectorIiEEZNS1_11reduce_implILb1ES3_PiS7_i9plus_mod3IiEEE10hipError_tPvRmT1_T2_T3_mT4_P12ihipStream_tbEUlT_E1_NS1_11comp_targetILNS1_3genE10ELNS1_11target_archE1201ELNS1_3gpuE5ELNS1_3repE0EEENS1_30default_config_static_selectorELNS0_4arch9wavefront6targetE1EEEvSD_ ; -- Begin function _ZN7rocprim17ROCPRIM_400000_NS6detail17trampoline_kernelINS0_14default_configENS1_22reduce_config_selectorIiEEZNS1_11reduce_implILb1ES3_PiS7_i9plus_mod3IiEEE10hipError_tPvRmT1_T2_T3_mT4_P12ihipStream_tbEUlT_E1_NS1_11comp_targetILNS1_3genE10ELNS1_11target_archE1201ELNS1_3gpuE5ELNS1_3repE0EEENS1_30default_config_static_selectorELNS0_4arch9wavefront6targetE1EEEvSD_
	.globl	_ZN7rocprim17ROCPRIM_400000_NS6detail17trampoline_kernelINS0_14default_configENS1_22reduce_config_selectorIiEEZNS1_11reduce_implILb1ES3_PiS7_i9plus_mod3IiEEE10hipError_tPvRmT1_T2_T3_mT4_P12ihipStream_tbEUlT_E1_NS1_11comp_targetILNS1_3genE10ELNS1_11target_archE1201ELNS1_3gpuE5ELNS1_3repE0EEENS1_30default_config_static_selectorELNS0_4arch9wavefront6targetE1EEEvSD_
	.p2align	8
	.type	_ZN7rocprim17ROCPRIM_400000_NS6detail17trampoline_kernelINS0_14default_configENS1_22reduce_config_selectorIiEEZNS1_11reduce_implILb1ES3_PiS7_i9plus_mod3IiEEE10hipError_tPvRmT1_T2_T3_mT4_P12ihipStream_tbEUlT_E1_NS1_11comp_targetILNS1_3genE10ELNS1_11target_archE1201ELNS1_3gpuE5ELNS1_3repE0EEENS1_30default_config_static_selectorELNS0_4arch9wavefront6targetE1EEEvSD_,@function
_ZN7rocprim17ROCPRIM_400000_NS6detail17trampoline_kernelINS0_14default_configENS1_22reduce_config_selectorIiEEZNS1_11reduce_implILb1ES3_PiS7_i9plus_mod3IiEEE10hipError_tPvRmT1_T2_T3_mT4_P12ihipStream_tbEUlT_E1_NS1_11comp_targetILNS1_3genE10ELNS1_11target_archE1201ELNS1_3gpuE5ELNS1_3repE0EEENS1_30default_config_static_selectorELNS0_4arch9wavefront6targetE1EEEvSD_: ; @_ZN7rocprim17ROCPRIM_400000_NS6detail17trampoline_kernelINS0_14default_configENS1_22reduce_config_selectorIiEEZNS1_11reduce_implILb1ES3_PiS7_i9plus_mod3IiEEE10hipError_tPvRmT1_T2_T3_mT4_P12ihipStream_tbEUlT_E1_NS1_11comp_targetILNS1_3genE10ELNS1_11target_archE1201ELNS1_3gpuE5ELNS1_3repE0EEENS1_30default_config_static_selectorELNS0_4arch9wavefront6targetE1EEEvSD_
; %bb.0:
	.section	.rodata,"a",@progbits
	.p2align	6, 0x0
	.amdhsa_kernel _ZN7rocprim17ROCPRIM_400000_NS6detail17trampoline_kernelINS0_14default_configENS1_22reduce_config_selectorIiEEZNS1_11reduce_implILb1ES3_PiS7_i9plus_mod3IiEEE10hipError_tPvRmT1_T2_T3_mT4_P12ihipStream_tbEUlT_E1_NS1_11comp_targetILNS1_3genE10ELNS1_11target_archE1201ELNS1_3gpuE5ELNS1_3repE0EEENS1_30default_config_static_selectorELNS0_4arch9wavefront6targetE1EEEvSD_
		.amdhsa_group_segment_fixed_size 0
		.amdhsa_private_segment_fixed_size 0
		.amdhsa_kernarg_size 48
		.amdhsa_user_sgpr_count 2
		.amdhsa_user_sgpr_dispatch_ptr 0
		.amdhsa_user_sgpr_queue_ptr 0
		.amdhsa_user_sgpr_kernarg_segment_ptr 1
		.amdhsa_user_sgpr_dispatch_id 0
		.amdhsa_user_sgpr_kernarg_preload_length 0
		.amdhsa_user_sgpr_kernarg_preload_offset 0
		.amdhsa_user_sgpr_private_segment_size 0
		.amdhsa_uses_dynamic_stack 0
		.amdhsa_enable_private_segment 0
		.amdhsa_system_sgpr_workgroup_id_x 1
		.amdhsa_system_sgpr_workgroup_id_y 0
		.amdhsa_system_sgpr_workgroup_id_z 0
		.amdhsa_system_sgpr_workgroup_info 0
		.amdhsa_system_vgpr_workitem_id 0
		.amdhsa_next_free_vgpr 1
		.amdhsa_next_free_sgpr 0
		.amdhsa_accum_offset 4
		.amdhsa_reserve_vcc 0
		.amdhsa_float_round_mode_32 0
		.amdhsa_float_round_mode_16_64 0
		.amdhsa_float_denorm_mode_32 3
		.amdhsa_float_denorm_mode_16_64 3
		.amdhsa_dx10_clamp 1
		.amdhsa_ieee_mode 1
		.amdhsa_fp16_overflow 0
		.amdhsa_tg_split 0
		.amdhsa_exception_fp_ieee_invalid_op 0
		.amdhsa_exception_fp_denorm_src 0
		.amdhsa_exception_fp_ieee_div_zero 0
		.amdhsa_exception_fp_ieee_overflow 0
		.amdhsa_exception_fp_ieee_underflow 0
		.amdhsa_exception_fp_ieee_inexact 0
		.amdhsa_exception_int_div_zero 0
	.end_amdhsa_kernel
	.section	.text._ZN7rocprim17ROCPRIM_400000_NS6detail17trampoline_kernelINS0_14default_configENS1_22reduce_config_selectorIiEEZNS1_11reduce_implILb1ES3_PiS7_i9plus_mod3IiEEE10hipError_tPvRmT1_T2_T3_mT4_P12ihipStream_tbEUlT_E1_NS1_11comp_targetILNS1_3genE10ELNS1_11target_archE1201ELNS1_3gpuE5ELNS1_3repE0EEENS1_30default_config_static_selectorELNS0_4arch9wavefront6targetE1EEEvSD_,"axG",@progbits,_ZN7rocprim17ROCPRIM_400000_NS6detail17trampoline_kernelINS0_14default_configENS1_22reduce_config_selectorIiEEZNS1_11reduce_implILb1ES3_PiS7_i9plus_mod3IiEEE10hipError_tPvRmT1_T2_T3_mT4_P12ihipStream_tbEUlT_E1_NS1_11comp_targetILNS1_3genE10ELNS1_11target_archE1201ELNS1_3gpuE5ELNS1_3repE0EEENS1_30default_config_static_selectorELNS0_4arch9wavefront6targetE1EEEvSD_,comdat
.Lfunc_end925:
	.size	_ZN7rocprim17ROCPRIM_400000_NS6detail17trampoline_kernelINS0_14default_configENS1_22reduce_config_selectorIiEEZNS1_11reduce_implILb1ES3_PiS7_i9plus_mod3IiEEE10hipError_tPvRmT1_T2_T3_mT4_P12ihipStream_tbEUlT_E1_NS1_11comp_targetILNS1_3genE10ELNS1_11target_archE1201ELNS1_3gpuE5ELNS1_3repE0EEENS1_30default_config_static_selectorELNS0_4arch9wavefront6targetE1EEEvSD_, .Lfunc_end925-_ZN7rocprim17ROCPRIM_400000_NS6detail17trampoline_kernelINS0_14default_configENS1_22reduce_config_selectorIiEEZNS1_11reduce_implILb1ES3_PiS7_i9plus_mod3IiEEE10hipError_tPvRmT1_T2_T3_mT4_P12ihipStream_tbEUlT_E1_NS1_11comp_targetILNS1_3genE10ELNS1_11target_archE1201ELNS1_3gpuE5ELNS1_3repE0EEENS1_30default_config_static_selectorELNS0_4arch9wavefront6targetE1EEEvSD_
                                        ; -- End function
	.set _ZN7rocprim17ROCPRIM_400000_NS6detail17trampoline_kernelINS0_14default_configENS1_22reduce_config_selectorIiEEZNS1_11reduce_implILb1ES3_PiS7_i9plus_mod3IiEEE10hipError_tPvRmT1_T2_T3_mT4_P12ihipStream_tbEUlT_E1_NS1_11comp_targetILNS1_3genE10ELNS1_11target_archE1201ELNS1_3gpuE5ELNS1_3repE0EEENS1_30default_config_static_selectorELNS0_4arch9wavefront6targetE1EEEvSD_.num_vgpr, 0
	.set _ZN7rocprim17ROCPRIM_400000_NS6detail17trampoline_kernelINS0_14default_configENS1_22reduce_config_selectorIiEEZNS1_11reduce_implILb1ES3_PiS7_i9plus_mod3IiEEE10hipError_tPvRmT1_T2_T3_mT4_P12ihipStream_tbEUlT_E1_NS1_11comp_targetILNS1_3genE10ELNS1_11target_archE1201ELNS1_3gpuE5ELNS1_3repE0EEENS1_30default_config_static_selectorELNS0_4arch9wavefront6targetE1EEEvSD_.num_agpr, 0
	.set _ZN7rocprim17ROCPRIM_400000_NS6detail17trampoline_kernelINS0_14default_configENS1_22reduce_config_selectorIiEEZNS1_11reduce_implILb1ES3_PiS7_i9plus_mod3IiEEE10hipError_tPvRmT1_T2_T3_mT4_P12ihipStream_tbEUlT_E1_NS1_11comp_targetILNS1_3genE10ELNS1_11target_archE1201ELNS1_3gpuE5ELNS1_3repE0EEENS1_30default_config_static_selectorELNS0_4arch9wavefront6targetE1EEEvSD_.numbered_sgpr, 0
	.set _ZN7rocprim17ROCPRIM_400000_NS6detail17trampoline_kernelINS0_14default_configENS1_22reduce_config_selectorIiEEZNS1_11reduce_implILb1ES3_PiS7_i9plus_mod3IiEEE10hipError_tPvRmT1_T2_T3_mT4_P12ihipStream_tbEUlT_E1_NS1_11comp_targetILNS1_3genE10ELNS1_11target_archE1201ELNS1_3gpuE5ELNS1_3repE0EEENS1_30default_config_static_selectorELNS0_4arch9wavefront6targetE1EEEvSD_.num_named_barrier, 0
	.set _ZN7rocprim17ROCPRIM_400000_NS6detail17trampoline_kernelINS0_14default_configENS1_22reduce_config_selectorIiEEZNS1_11reduce_implILb1ES3_PiS7_i9plus_mod3IiEEE10hipError_tPvRmT1_T2_T3_mT4_P12ihipStream_tbEUlT_E1_NS1_11comp_targetILNS1_3genE10ELNS1_11target_archE1201ELNS1_3gpuE5ELNS1_3repE0EEENS1_30default_config_static_selectorELNS0_4arch9wavefront6targetE1EEEvSD_.private_seg_size, 0
	.set _ZN7rocprim17ROCPRIM_400000_NS6detail17trampoline_kernelINS0_14default_configENS1_22reduce_config_selectorIiEEZNS1_11reduce_implILb1ES3_PiS7_i9plus_mod3IiEEE10hipError_tPvRmT1_T2_T3_mT4_P12ihipStream_tbEUlT_E1_NS1_11comp_targetILNS1_3genE10ELNS1_11target_archE1201ELNS1_3gpuE5ELNS1_3repE0EEENS1_30default_config_static_selectorELNS0_4arch9wavefront6targetE1EEEvSD_.uses_vcc, 0
	.set _ZN7rocprim17ROCPRIM_400000_NS6detail17trampoline_kernelINS0_14default_configENS1_22reduce_config_selectorIiEEZNS1_11reduce_implILb1ES3_PiS7_i9plus_mod3IiEEE10hipError_tPvRmT1_T2_T3_mT4_P12ihipStream_tbEUlT_E1_NS1_11comp_targetILNS1_3genE10ELNS1_11target_archE1201ELNS1_3gpuE5ELNS1_3repE0EEENS1_30default_config_static_selectorELNS0_4arch9wavefront6targetE1EEEvSD_.uses_flat_scratch, 0
	.set _ZN7rocprim17ROCPRIM_400000_NS6detail17trampoline_kernelINS0_14default_configENS1_22reduce_config_selectorIiEEZNS1_11reduce_implILb1ES3_PiS7_i9plus_mod3IiEEE10hipError_tPvRmT1_T2_T3_mT4_P12ihipStream_tbEUlT_E1_NS1_11comp_targetILNS1_3genE10ELNS1_11target_archE1201ELNS1_3gpuE5ELNS1_3repE0EEENS1_30default_config_static_selectorELNS0_4arch9wavefront6targetE1EEEvSD_.has_dyn_sized_stack, 0
	.set _ZN7rocprim17ROCPRIM_400000_NS6detail17trampoline_kernelINS0_14default_configENS1_22reduce_config_selectorIiEEZNS1_11reduce_implILb1ES3_PiS7_i9plus_mod3IiEEE10hipError_tPvRmT1_T2_T3_mT4_P12ihipStream_tbEUlT_E1_NS1_11comp_targetILNS1_3genE10ELNS1_11target_archE1201ELNS1_3gpuE5ELNS1_3repE0EEENS1_30default_config_static_selectorELNS0_4arch9wavefront6targetE1EEEvSD_.has_recursion, 0
	.set _ZN7rocprim17ROCPRIM_400000_NS6detail17trampoline_kernelINS0_14default_configENS1_22reduce_config_selectorIiEEZNS1_11reduce_implILb1ES3_PiS7_i9plus_mod3IiEEE10hipError_tPvRmT1_T2_T3_mT4_P12ihipStream_tbEUlT_E1_NS1_11comp_targetILNS1_3genE10ELNS1_11target_archE1201ELNS1_3gpuE5ELNS1_3repE0EEENS1_30default_config_static_selectorELNS0_4arch9wavefront6targetE1EEEvSD_.has_indirect_call, 0
	.section	.AMDGPU.csdata,"",@progbits
; Kernel info:
; codeLenInByte = 0
; TotalNumSgprs: 6
; NumVgprs: 0
; NumAgprs: 0
; TotalNumVgprs: 0
; ScratchSize: 0
; MemoryBound: 0
; FloatMode: 240
; IeeeMode: 1
; LDSByteSize: 0 bytes/workgroup (compile time only)
; SGPRBlocks: 0
; VGPRBlocks: 0
; NumSGPRsForWavesPerEU: 6
; NumVGPRsForWavesPerEU: 1
; AccumOffset: 4
; Occupancy: 8
; WaveLimiterHint : 0
; COMPUTE_PGM_RSRC2:SCRATCH_EN: 0
; COMPUTE_PGM_RSRC2:USER_SGPR: 2
; COMPUTE_PGM_RSRC2:TRAP_HANDLER: 0
; COMPUTE_PGM_RSRC2:TGID_X_EN: 1
; COMPUTE_PGM_RSRC2:TGID_Y_EN: 0
; COMPUTE_PGM_RSRC2:TGID_Z_EN: 0
; COMPUTE_PGM_RSRC2:TIDIG_COMP_CNT: 0
; COMPUTE_PGM_RSRC3_GFX90A:ACCUM_OFFSET: 0
; COMPUTE_PGM_RSRC3_GFX90A:TG_SPLIT: 0
	.section	.text._ZN7rocprim17ROCPRIM_400000_NS6detail17trampoline_kernelINS0_14default_configENS1_22reduce_config_selectorIiEEZNS1_11reduce_implILb1ES3_PiS7_i9plus_mod3IiEEE10hipError_tPvRmT1_T2_T3_mT4_P12ihipStream_tbEUlT_E1_NS1_11comp_targetILNS1_3genE10ELNS1_11target_archE1200ELNS1_3gpuE4ELNS1_3repE0EEENS1_30default_config_static_selectorELNS0_4arch9wavefront6targetE1EEEvSD_,"axG",@progbits,_ZN7rocprim17ROCPRIM_400000_NS6detail17trampoline_kernelINS0_14default_configENS1_22reduce_config_selectorIiEEZNS1_11reduce_implILb1ES3_PiS7_i9plus_mod3IiEEE10hipError_tPvRmT1_T2_T3_mT4_P12ihipStream_tbEUlT_E1_NS1_11comp_targetILNS1_3genE10ELNS1_11target_archE1200ELNS1_3gpuE4ELNS1_3repE0EEENS1_30default_config_static_selectorELNS0_4arch9wavefront6targetE1EEEvSD_,comdat
	.protected	_ZN7rocprim17ROCPRIM_400000_NS6detail17trampoline_kernelINS0_14default_configENS1_22reduce_config_selectorIiEEZNS1_11reduce_implILb1ES3_PiS7_i9plus_mod3IiEEE10hipError_tPvRmT1_T2_T3_mT4_P12ihipStream_tbEUlT_E1_NS1_11comp_targetILNS1_3genE10ELNS1_11target_archE1200ELNS1_3gpuE4ELNS1_3repE0EEENS1_30default_config_static_selectorELNS0_4arch9wavefront6targetE1EEEvSD_ ; -- Begin function _ZN7rocprim17ROCPRIM_400000_NS6detail17trampoline_kernelINS0_14default_configENS1_22reduce_config_selectorIiEEZNS1_11reduce_implILb1ES3_PiS7_i9plus_mod3IiEEE10hipError_tPvRmT1_T2_T3_mT4_P12ihipStream_tbEUlT_E1_NS1_11comp_targetILNS1_3genE10ELNS1_11target_archE1200ELNS1_3gpuE4ELNS1_3repE0EEENS1_30default_config_static_selectorELNS0_4arch9wavefront6targetE1EEEvSD_
	.globl	_ZN7rocprim17ROCPRIM_400000_NS6detail17trampoline_kernelINS0_14default_configENS1_22reduce_config_selectorIiEEZNS1_11reduce_implILb1ES3_PiS7_i9plus_mod3IiEEE10hipError_tPvRmT1_T2_T3_mT4_P12ihipStream_tbEUlT_E1_NS1_11comp_targetILNS1_3genE10ELNS1_11target_archE1200ELNS1_3gpuE4ELNS1_3repE0EEENS1_30default_config_static_selectorELNS0_4arch9wavefront6targetE1EEEvSD_
	.p2align	8
	.type	_ZN7rocprim17ROCPRIM_400000_NS6detail17trampoline_kernelINS0_14default_configENS1_22reduce_config_selectorIiEEZNS1_11reduce_implILb1ES3_PiS7_i9plus_mod3IiEEE10hipError_tPvRmT1_T2_T3_mT4_P12ihipStream_tbEUlT_E1_NS1_11comp_targetILNS1_3genE10ELNS1_11target_archE1200ELNS1_3gpuE4ELNS1_3repE0EEENS1_30default_config_static_selectorELNS0_4arch9wavefront6targetE1EEEvSD_,@function
_ZN7rocprim17ROCPRIM_400000_NS6detail17trampoline_kernelINS0_14default_configENS1_22reduce_config_selectorIiEEZNS1_11reduce_implILb1ES3_PiS7_i9plus_mod3IiEEE10hipError_tPvRmT1_T2_T3_mT4_P12ihipStream_tbEUlT_E1_NS1_11comp_targetILNS1_3genE10ELNS1_11target_archE1200ELNS1_3gpuE4ELNS1_3repE0EEENS1_30default_config_static_selectorELNS0_4arch9wavefront6targetE1EEEvSD_: ; @_ZN7rocprim17ROCPRIM_400000_NS6detail17trampoline_kernelINS0_14default_configENS1_22reduce_config_selectorIiEEZNS1_11reduce_implILb1ES3_PiS7_i9plus_mod3IiEEE10hipError_tPvRmT1_T2_T3_mT4_P12ihipStream_tbEUlT_E1_NS1_11comp_targetILNS1_3genE10ELNS1_11target_archE1200ELNS1_3gpuE4ELNS1_3repE0EEENS1_30default_config_static_selectorELNS0_4arch9wavefront6targetE1EEEvSD_
; %bb.0:
	.section	.rodata,"a",@progbits
	.p2align	6, 0x0
	.amdhsa_kernel _ZN7rocprim17ROCPRIM_400000_NS6detail17trampoline_kernelINS0_14default_configENS1_22reduce_config_selectorIiEEZNS1_11reduce_implILb1ES3_PiS7_i9plus_mod3IiEEE10hipError_tPvRmT1_T2_T3_mT4_P12ihipStream_tbEUlT_E1_NS1_11comp_targetILNS1_3genE10ELNS1_11target_archE1200ELNS1_3gpuE4ELNS1_3repE0EEENS1_30default_config_static_selectorELNS0_4arch9wavefront6targetE1EEEvSD_
		.amdhsa_group_segment_fixed_size 0
		.amdhsa_private_segment_fixed_size 0
		.amdhsa_kernarg_size 48
		.amdhsa_user_sgpr_count 2
		.amdhsa_user_sgpr_dispatch_ptr 0
		.amdhsa_user_sgpr_queue_ptr 0
		.amdhsa_user_sgpr_kernarg_segment_ptr 1
		.amdhsa_user_sgpr_dispatch_id 0
		.amdhsa_user_sgpr_kernarg_preload_length 0
		.amdhsa_user_sgpr_kernarg_preload_offset 0
		.amdhsa_user_sgpr_private_segment_size 0
		.amdhsa_uses_dynamic_stack 0
		.amdhsa_enable_private_segment 0
		.amdhsa_system_sgpr_workgroup_id_x 1
		.amdhsa_system_sgpr_workgroup_id_y 0
		.amdhsa_system_sgpr_workgroup_id_z 0
		.amdhsa_system_sgpr_workgroup_info 0
		.amdhsa_system_vgpr_workitem_id 0
		.amdhsa_next_free_vgpr 1
		.amdhsa_next_free_sgpr 0
		.amdhsa_accum_offset 4
		.amdhsa_reserve_vcc 0
		.amdhsa_float_round_mode_32 0
		.amdhsa_float_round_mode_16_64 0
		.amdhsa_float_denorm_mode_32 3
		.amdhsa_float_denorm_mode_16_64 3
		.amdhsa_dx10_clamp 1
		.amdhsa_ieee_mode 1
		.amdhsa_fp16_overflow 0
		.amdhsa_tg_split 0
		.amdhsa_exception_fp_ieee_invalid_op 0
		.amdhsa_exception_fp_denorm_src 0
		.amdhsa_exception_fp_ieee_div_zero 0
		.amdhsa_exception_fp_ieee_overflow 0
		.amdhsa_exception_fp_ieee_underflow 0
		.amdhsa_exception_fp_ieee_inexact 0
		.amdhsa_exception_int_div_zero 0
	.end_amdhsa_kernel
	.section	.text._ZN7rocprim17ROCPRIM_400000_NS6detail17trampoline_kernelINS0_14default_configENS1_22reduce_config_selectorIiEEZNS1_11reduce_implILb1ES3_PiS7_i9plus_mod3IiEEE10hipError_tPvRmT1_T2_T3_mT4_P12ihipStream_tbEUlT_E1_NS1_11comp_targetILNS1_3genE10ELNS1_11target_archE1200ELNS1_3gpuE4ELNS1_3repE0EEENS1_30default_config_static_selectorELNS0_4arch9wavefront6targetE1EEEvSD_,"axG",@progbits,_ZN7rocprim17ROCPRIM_400000_NS6detail17trampoline_kernelINS0_14default_configENS1_22reduce_config_selectorIiEEZNS1_11reduce_implILb1ES3_PiS7_i9plus_mod3IiEEE10hipError_tPvRmT1_T2_T3_mT4_P12ihipStream_tbEUlT_E1_NS1_11comp_targetILNS1_3genE10ELNS1_11target_archE1200ELNS1_3gpuE4ELNS1_3repE0EEENS1_30default_config_static_selectorELNS0_4arch9wavefront6targetE1EEEvSD_,comdat
.Lfunc_end926:
	.size	_ZN7rocprim17ROCPRIM_400000_NS6detail17trampoline_kernelINS0_14default_configENS1_22reduce_config_selectorIiEEZNS1_11reduce_implILb1ES3_PiS7_i9plus_mod3IiEEE10hipError_tPvRmT1_T2_T3_mT4_P12ihipStream_tbEUlT_E1_NS1_11comp_targetILNS1_3genE10ELNS1_11target_archE1200ELNS1_3gpuE4ELNS1_3repE0EEENS1_30default_config_static_selectorELNS0_4arch9wavefront6targetE1EEEvSD_, .Lfunc_end926-_ZN7rocprim17ROCPRIM_400000_NS6detail17trampoline_kernelINS0_14default_configENS1_22reduce_config_selectorIiEEZNS1_11reduce_implILb1ES3_PiS7_i9plus_mod3IiEEE10hipError_tPvRmT1_T2_T3_mT4_P12ihipStream_tbEUlT_E1_NS1_11comp_targetILNS1_3genE10ELNS1_11target_archE1200ELNS1_3gpuE4ELNS1_3repE0EEENS1_30default_config_static_selectorELNS0_4arch9wavefront6targetE1EEEvSD_
                                        ; -- End function
	.set _ZN7rocprim17ROCPRIM_400000_NS6detail17trampoline_kernelINS0_14default_configENS1_22reduce_config_selectorIiEEZNS1_11reduce_implILb1ES3_PiS7_i9plus_mod3IiEEE10hipError_tPvRmT1_T2_T3_mT4_P12ihipStream_tbEUlT_E1_NS1_11comp_targetILNS1_3genE10ELNS1_11target_archE1200ELNS1_3gpuE4ELNS1_3repE0EEENS1_30default_config_static_selectorELNS0_4arch9wavefront6targetE1EEEvSD_.num_vgpr, 0
	.set _ZN7rocprim17ROCPRIM_400000_NS6detail17trampoline_kernelINS0_14default_configENS1_22reduce_config_selectorIiEEZNS1_11reduce_implILb1ES3_PiS7_i9plus_mod3IiEEE10hipError_tPvRmT1_T2_T3_mT4_P12ihipStream_tbEUlT_E1_NS1_11comp_targetILNS1_3genE10ELNS1_11target_archE1200ELNS1_3gpuE4ELNS1_3repE0EEENS1_30default_config_static_selectorELNS0_4arch9wavefront6targetE1EEEvSD_.num_agpr, 0
	.set _ZN7rocprim17ROCPRIM_400000_NS6detail17trampoline_kernelINS0_14default_configENS1_22reduce_config_selectorIiEEZNS1_11reduce_implILb1ES3_PiS7_i9plus_mod3IiEEE10hipError_tPvRmT1_T2_T3_mT4_P12ihipStream_tbEUlT_E1_NS1_11comp_targetILNS1_3genE10ELNS1_11target_archE1200ELNS1_3gpuE4ELNS1_3repE0EEENS1_30default_config_static_selectorELNS0_4arch9wavefront6targetE1EEEvSD_.numbered_sgpr, 0
	.set _ZN7rocprim17ROCPRIM_400000_NS6detail17trampoline_kernelINS0_14default_configENS1_22reduce_config_selectorIiEEZNS1_11reduce_implILb1ES3_PiS7_i9plus_mod3IiEEE10hipError_tPvRmT1_T2_T3_mT4_P12ihipStream_tbEUlT_E1_NS1_11comp_targetILNS1_3genE10ELNS1_11target_archE1200ELNS1_3gpuE4ELNS1_3repE0EEENS1_30default_config_static_selectorELNS0_4arch9wavefront6targetE1EEEvSD_.num_named_barrier, 0
	.set _ZN7rocprim17ROCPRIM_400000_NS6detail17trampoline_kernelINS0_14default_configENS1_22reduce_config_selectorIiEEZNS1_11reduce_implILb1ES3_PiS7_i9plus_mod3IiEEE10hipError_tPvRmT1_T2_T3_mT4_P12ihipStream_tbEUlT_E1_NS1_11comp_targetILNS1_3genE10ELNS1_11target_archE1200ELNS1_3gpuE4ELNS1_3repE0EEENS1_30default_config_static_selectorELNS0_4arch9wavefront6targetE1EEEvSD_.private_seg_size, 0
	.set _ZN7rocprim17ROCPRIM_400000_NS6detail17trampoline_kernelINS0_14default_configENS1_22reduce_config_selectorIiEEZNS1_11reduce_implILb1ES3_PiS7_i9plus_mod3IiEEE10hipError_tPvRmT1_T2_T3_mT4_P12ihipStream_tbEUlT_E1_NS1_11comp_targetILNS1_3genE10ELNS1_11target_archE1200ELNS1_3gpuE4ELNS1_3repE0EEENS1_30default_config_static_selectorELNS0_4arch9wavefront6targetE1EEEvSD_.uses_vcc, 0
	.set _ZN7rocprim17ROCPRIM_400000_NS6detail17trampoline_kernelINS0_14default_configENS1_22reduce_config_selectorIiEEZNS1_11reduce_implILb1ES3_PiS7_i9plus_mod3IiEEE10hipError_tPvRmT1_T2_T3_mT4_P12ihipStream_tbEUlT_E1_NS1_11comp_targetILNS1_3genE10ELNS1_11target_archE1200ELNS1_3gpuE4ELNS1_3repE0EEENS1_30default_config_static_selectorELNS0_4arch9wavefront6targetE1EEEvSD_.uses_flat_scratch, 0
	.set _ZN7rocprim17ROCPRIM_400000_NS6detail17trampoline_kernelINS0_14default_configENS1_22reduce_config_selectorIiEEZNS1_11reduce_implILb1ES3_PiS7_i9plus_mod3IiEEE10hipError_tPvRmT1_T2_T3_mT4_P12ihipStream_tbEUlT_E1_NS1_11comp_targetILNS1_3genE10ELNS1_11target_archE1200ELNS1_3gpuE4ELNS1_3repE0EEENS1_30default_config_static_selectorELNS0_4arch9wavefront6targetE1EEEvSD_.has_dyn_sized_stack, 0
	.set _ZN7rocprim17ROCPRIM_400000_NS6detail17trampoline_kernelINS0_14default_configENS1_22reduce_config_selectorIiEEZNS1_11reduce_implILb1ES3_PiS7_i9plus_mod3IiEEE10hipError_tPvRmT1_T2_T3_mT4_P12ihipStream_tbEUlT_E1_NS1_11comp_targetILNS1_3genE10ELNS1_11target_archE1200ELNS1_3gpuE4ELNS1_3repE0EEENS1_30default_config_static_selectorELNS0_4arch9wavefront6targetE1EEEvSD_.has_recursion, 0
	.set _ZN7rocprim17ROCPRIM_400000_NS6detail17trampoline_kernelINS0_14default_configENS1_22reduce_config_selectorIiEEZNS1_11reduce_implILb1ES3_PiS7_i9plus_mod3IiEEE10hipError_tPvRmT1_T2_T3_mT4_P12ihipStream_tbEUlT_E1_NS1_11comp_targetILNS1_3genE10ELNS1_11target_archE1200ELNS1_3gpuE4ELNS1_3repE0EEENS1_30default_config_static_selectorELNS0_4arch9wavefront6targetE1EEEvSD_.has_indirect_call, 0
	.section	.AMDGPU.csdata,"",@progbits
; Kernel info:
; codeLenInByte = 0
; TotalNumSgprs: 6
; NumVgprs: 0
; NumAgprs: 0
; TotalNumVgprs: 0
; ScratchSize: 0
; MemoryBound: 0
; FloatMode: 240
; IeeeMode: 1
; LDSByteSize: 0 bytes/workgroup (compile time only)
; SGPRBlocks: 0
; VGPRBlocks: 0
; NumSGPRsForWavesPerEU: 6
; NumVGPRsForWavesPerEU: 1
; AccumOffset: 4
; Occupancy: 8
; WaveLimiterHint : 0
; COMPUTE_PGM_RSRC2:SCRATCH_EN: 0
; COMPUTE_PGM_RSRC2:USER_SGPR: 2
; COMPUTE_PGM_RSRC2:TRAP_HANDLER: 0
; COMPUTE_PGM_RSRC2:TGID_X_EN: 1
; COMPUTE_PGM_RSRC2:TGID_Y_EN: 0
; COMPUTE_PGM_RSRC2:TGID_Z_EN: 0
; COMPUTE_PGM_RSRC2:TIDIG_COMP_CNT: 0
; COMPUTE_PGM_RSRC3_GFX90A:ACCUM_OFFSET: 0
; COMPUTE_PGM_RSRC3_GFX90A:TG_SPLIT: 0
	.section	.text._ZN7rocprim17ROCPRIM_400000_NS6detail17trampoline_kernelINS0_14default_configENS1_22reduce_config_selectorIiEEZNS1_11reduce_implILb1ES3_PiS7_i9plus_mod3IiEEE10hipError_tPvRmT1_T2_T3_mT4_P12ihipStream_tbEUlT_E1_NS1_11comp_targetILNS1_3genE9ELNS1_11target_archE1100ELNS1_3gpuE3ELNS1_3repE0EEENS1_30default_config_static_selectorELNS0_4arch9wavefront6targetE1EEEvSD_,"axG",@progbits,_ZN7rocprim17ROCPRIM_400000_NS6detail17trampoline_kernelINS0_14default_configENS1_22reduce_config_selectorIiEEZNS1_11reduce_implILb1ES3_PiS7_i9plus_mod3IiEEE10hipError_tPvRmT1_T2_T3_mT4_P12ihipStream_tbEUlT_E1_NS1_11comp_targetILNS1_3genE9ELNS1_11target_archE1100ELNS1_3gpuE3ELNS1_3repE0EEENS1_30default_config_static_selectorELNS0_4arch9wavefront6targetE1EEEvSD_,comdat
	.protected	_ZN7rocprim17ROCPRIM_400000_NS6detail17trampoline_kernelINS0_14default_configENS1_22reduce_config_selectorIiEEZNS1_11reduce_implILb1ES3_PiS7_i9plus_mod3IiEEE10hipError_tPvRmT1_T2_T3_mT4_P12ihipStream_tbEUlT_E1_NS1_11comp_targetILNS1_3genE9ELNS1_11target_archE1100ELNS1_3gpuE3ELNS1_3repE0EEENS1_30default_config_static_selectorELNS0_4arch9wavefront6targetE1EEEvSD_ ; -- Begin function _ZN7rocprim17ROCPRIM_400000_NS6detail17trampoline_kernelINS0_14default_configENS1_22reduce_config_selectorIiEEZNS1_11reduce_implILb1ES3_PiS7_i9plus_mod3IiEEE10hipError_tPvRmT1_T2_T3_mT4_P12ihipStream_tbEUlT_E1_NS1_11comp_targetILNS1_3genE9ELNS1_11target_archE1100ELNS1_3gpuE3ELNS1_3repE0EEENS1_30default_config_static_selectorELNS0_4arch9wavefront6targetE1EEEvSD_
	.globl	_ZN7rocprim17ROCPRIM_400000_NS6detail17trampoline_kernelINS0_14default_configENS1_22reduce_config_selectorIiEEZNS1_11reduce_implILb1ES3_PiS7_i9plus_mod3IiEEE10hipError_tPvRmT1_T2_T3_mT4_P12ihipStream_tbEUlT_E1_NS1_11comp_targetILNS1_3genE9ELNS1_11target_archE1100ELNS1_3gpuE3ELNS1_3repE0EEENS1_30default_config_static_selectorELNS0_4arch9wavefront6targetE1EEEvSD_
	.p2align	8
	.type	_ZN7rocprim17ROCPRIM_400000_NS6detail17trampoline_kernelINS0_14default_configENS1_22reduce_config_selectorIiEEZNS1_11reduce_implILb1ES3_PiS7_i9plus_mod3IiEEE10hipError_tPvRmT1_T2_T3_mT4_P12ihipStream_tbEUlT_E1_NS1_11comp_targetILNS1_3genE9ELNS1_11target_archE1100ELNS1_3gpuE3ELNS1_3repE0EEENS1_30default_config_static_selectorELNS0_4arch9wavefront6targetE1EEEvSD_,@function
_ZN7rocprim17ROCPRIM_400000_NS6detail17trampoline_kernelINS0_14default_configENS1_22reduce_config_selectorIiEEZNS1_11reduce_implILb1ES3_PiS7_i9plus_mod3IiEEE10hipError_tPvRmT1_T2_T3_mT4_P12ihipStream_tbEUlT_E1_NS1_11comp_targetILNS1_3genE9ELNS1_11target_archE1100ELNS1_3gpuE3ELNS1_3repE0EEENS1_30default_config_static_selectorELNS0_4arch9wavefront6targetE1EEEvSD_: ; @_ZN7rocprim17ROCPRIM_400000_NS6detail17trampoline_kernelINS0_14default_configENS1_22reduce_config_selectorIiEEZNS1_11reduce_implILb1ES3_PiS7_i9plus_mod3IiEEE10hipError_tPvRmT1_T2_T3_mT4_P12ihipStream_tbEUlT_E1_NS1_11comp_targetILNS1_3genE9ELNS1_11target_archE1100ELNS1_3gpuE3ELNS1_3repE0EEENS1_30default_config_static_selectorELNS0_4arch9wavefront6targetE1EEEvSD_
; %bb.0:
	.section	.rodata,"a",@progbits
	.p2align	6, 0x0
	.amdhsa_kernel _ZN7rocprim17ROCPRIM_400000_NS6detail17trampoline_kernelINS0_14default_configENS1_22reduce_config_selectorIiEEZNS1_11reduce_implILb1ES3_PiS7_i9plus_mod3IiEEE10hipError_tPvRmT1_T2_T3_mT4_P12ihipStream_tbEUlT_E1_NS1_11comp_targetILNS1_3genE9ELNS1_11target_archE1100ELNS1_3gpuE3ELNS1_3repE0EEENS1_30default_config_static_selectorELNS0_4arch9wavefront6targetE1EEEvSD_
		.amdhsa_group_segment_fixed_size 0
		.amdhsa_private_segment_fixed_size 0
		.amdhsa_kernarg_size 48
		.amdhsa_user_sgpr_count 2
		.amdhsa_user_sgpr_dispatch_ptr 0
		.amdhsa_user_sgpr_queue_ptr 0
		.amdhsa_user_sgpr_kernarg_segment_ptr 1
		.amdhsa_user_sgpr_dispatch_id 0
		.amdhsa_user_sgpr_kernarg_preload_length 0
		.amdhsa_user_sgpr_kernarg_preload_offset 0
		.amdhsa_user_sgpr_private_segment_size 0
		.amdhsa_uses_dynamic_stack 0
		.amdhsa_enable_private_segment 0
		.amdhsa_system_sgpr_workgroup_id_x 1
		.amdhsa_system_sgpr_workgroup_id_y 0
		.amdhsa_system_sgpr_workgroup_id_z 0
		.amdhsa_system_sgpr_workgroup_info 0
		.amdhsa_system_vgpr_workitem_id 0
		.amdhsa_next_free_vgpr 1
		.amdhsa_next_free_sgpr 0
		.amdhsa_accum_offset 4
		.amdhsa_reserve_vcc 0
		.amdhsa_float_round_mode_32 0
		.amdhsa_float_round_mode_16_64 0
		.amdhsa_float_denorm_mode_32 3
		.amdhsa_float_denorm_mode_16_64 3
		.amdhsa_dx10_clamp 1
		.amdhsa_ieee_mode 1
		.amdhsa_fp16_overflow 0
		.amdhsa_tg_split 0
		.amdhsa_exception_fp_ieee_invalid_op 0
		.amdhsa_exception_fp_denorm_src 0
		.amdhsa_exception_fp_ieee_div_zero 0
		.amdhsa_exception_fp_ieee_overflow 0
		.amdhsa_exception_fp_ieee_underflow 0
		.amdhsa_exception_fp_ieee_inexact 0
		.amdhsa_exception_int_div_zero 0
	.end_amdhsa_kernel
	.section	.text._ZN7rocprim17ROCPRIM_400000_NS6detail17trampoline_kernelINS0_14default_configENS1_22reduce_config_selectorIiEEZNS1_11reduce_implILb1ES3_PiS7_i9plus_mod3IiEEE10hipError_tPvRmT1_T2_T3_mT4_P12ihipStream_tbEUlT_E1_NS1_11comp_targetILNS1_3genE9ELNS1_11target_archE1100ELNS1_3gpuE3ELNS1_3repE0EEENS1_30default_config_static_selectorELNS0_4arch9wavefront6targetE1EEEvSD_,"axG",@progbits,_ZN7rocprim17ROCPRIM_400000_NS6detail17trampoline_kernelINS0_14default_configENS1_22reduce_config_selectorIiEEZNS1_11reduce_implILb1ES3_PiS7_i9plus_mod3IiEEE10hipError_tPvRmT1_T2_T3_mT4_P12ihipStream_tbEUlT_E1_NS1_11comp_targetILNS1_3genE9ELNS1_11target_archE1100ELNS1_3gpuE3ELNS1_3repE0EEENS1_30default_config_static_selectorELNS0_4arch9wavefront6targetE1EEEvSD_,comdat
.Lfunc_end927:
	.size	_ZN7rocprim17ROCPRIM_400000_NS6detail17trampoline_kernelINS0_14default_configENS1_22reduce_config_selectorIiEEZNS1_11reduce_implILb1ES3_PiS7_i9plus_mod3IiEEE10hipError_tPvRmT1_T2_T3_mT4_P12ihipStream_tbEUlT_E1_NS1_11comp_targetILNS1_3genE9ELNS1_11target_archE1100ELNS1_3gpuE3ELNS1_3repE0EEENS1_30default_config_static_selectorELNS0_4arch9wavefront6targetE1EEEvSD_, .Lfunc_end927-_ZN7rocprim17ROCPRIM_400000_NS6detail17trampoline_kernelINS0_14default_configENS1_22reduce_config_selectorIiEEZNS1_11reduce_implILb1ES3_PiS7_i9plus_mod3IiEEE10hipError_tPvRmT1_T2_T3_mT4_P12ihipStream_tbEUlT_E1_NS1_11comp_targetILNS1_3genE9ELNS1_11target_archE1100ELNS1_3gpuE3ELNS1_3repE0EEENS1_30default_config_static_selectorELNS0_4arch9wavefront6targetE1EEEvSD_
                                        ; -- End function
	.set _ZN7rocprim17ROCPRIM_400000_NS6detail17trampoline_kernelINS0_14default_configENS1_22reduce_config_selectorIiEEZNS1_11reduce_implILb1ES3_PiS7_i9plus_mod3IiEEE10hipError_tPvRmT1_T2_T3_mT4_P12ihipStream_tbEUlT_E1_NS1_11comp_targetILNS1_3genE9ELNS1_11target_archE1100ELNS1_3gpuE3ELNS1_3repE0EEENS1_30default_config_static_selectorELNS0_4arch9wavefront6targetE1EEEvSD_.num_vgpr, 0
	.set _ZN7rocprim17ROCPRIM_400000_NS6detail17trampoline_kernelINS0_14default_configENS1_22reduce_config_selectorIiEEZNS1_11reduce_implILb1ES3_PiS7_i9plus_mod3IiEEE10hipError_tPvRmT1_T2_T3_mT4_P12ihipStream_tbEUlT_E1_NS1_11comp_targetILNS1_3genE9ELNS1_11target_archE1100ELNS1_3gpuE3ELNS1_3repE0EEENS1_30default_config_static_selectorELNS0_4arch9wavefront6targetE1EEEvSD_.num_agpr, 0
	.set _ZN7rocprim17ROCPRIM_400000_NS6detail17trampoline_kernelINS0_14default_configENS1_22reduce_config_selectorIiEEZNS1_11reduce_implILb1ES3_PiS7_i9plus_mod3IiEEE10hipError_tPvRmT1_T2_T3_mT4_P12ihipStream_tbEUlT_E1_NS1_11comp_targetILNS1_3genE9ELNS1_11target_archE1100ELNS1_3gpuE3ELNS1_3repE0EEENS1_30default_config_static_selectorELNS0_4arch9wavefront6targetE1EEEvSD_.numbered_sgpr, 0
	.set _ZN7rocprim17ROCPRIM_400000_NS6detail17trampoline_kernelINS0_14default_configENS1_22reduce_config_selectorIiEEZNS1_11reduce_implILb1ES3_PiS7_i9plus_mod3IiEEE10hipError_tPvRmT1_T2_T3_mT4_P12ihipStream_tbEUlT_E1_NS1_11comp_targetILNS1_3genE9ELNS1_11target_archE1100ELNS1_3gpuE3ELNS1_3repE0EEENS1_30default_config_static_selectorELNS0_4arch9wavefront6targetE1EEEvSD_.num_named_barrier, 0
	.set _ZN7rocprim17ROCPRIM_400000_NS6detail17trampoline_kernelINS0_14default_configENS1_22reduce_config_selectorIiEEZNS1_11reduce_implILb1ES3_PiS7_i9plus_mod3IiEEE10hipError_tPvRmT1_T2_T3_mT4_P12ihipStream_tbEUlT_E1_NS1_11comp_targetILNS1_3genE9ELNS1_11target_archE1100ELNS1_3gpuE3ELNS1_3repE0EEENS1_30default_config_static_selectorELNS0_4arch9wavefront6targetE1EEEvSD_.private_seg_size, 0
	.set _ZN7rocprim17ROCPRIM_400000_NS6detail17trampoline_kernelINS0_14default_configENS1_22reduce_config_selectorIiEEZNS1_11reduce_implILb1ES3_PiS7_i9plus_mod3IiEEE10hipError_tPvRmT1_T2_T3_mT4_P12ihipStream_tbEUlT_E1_NS1_11comp_targetILNS1_3genE9ELNS1_11target_archE1100ELNS1_3gpuE3ELNS1_3repE0EEENS1_30default_config_static_selectorELNS0_4arch9wavefront6targetE1EEEvSD_.uses_vcc, 0
	.set _ZN7rocprim17ROCPRIM_400000_NS6detail17trampoline_kernelINS0_14default_configENS1_22reduce_config_selectorIiEEZNS1_11reduce_implILb1ES3_PiS7_i9plus_mod3IiEEE10hipError_tPvRmT1_T2_T3_mT4_P12ihipStream_tbEUlT_E1_NS1_11comp_targetILNS1_3genE9ELNS1_11target_archE1100ELNS1_3gpuE3ELNS1_3repE0EEENS1_30default_config_static_selectorELNS0_4arch9wavefront6targetE1EEEvSD_.uses_flat_scratch, 0
	.set _ZN7rocprim17ROCPRIM_400000_NS6detail17trampoline_kernelINS0_14default_configENS1_22reduce_config_selectorIiEEZNS1_11reduce_implILb1ES3_PiS7_i9plus_mod3IiEEE10hipError_tPvRmT1_T2_T3_mT4_P12ihipStream_tbEUlT_E1_NS1_11comp_targetILNS1_3genE9ELNS1_11target_archE1100ELNS1_3gpuE3ELNS1_3repE0EEENS1_30default_config_static_selectorELNS0_4arch9wavefront6targetE1EEEvSD_.has_dyn_sized_stack, 0
	.set _ZN7rocprim17ROCPRIM_400000_NS6detail17trampoline_kernelINS0_14default_configENS1_22reduce_config_selectorIiEEZNS1_11reduce_implILb1ES3_PiS7_i9plus_mod3IiEEE10hipError_tPvRmT1_T2_T3_mT4_P12ihipStream_tbEUlT_E1_NS1_11comp_targetILNS1_3genE9ELNS1_11target_archE1100ELNS1_3gpuE3ELNS1_3repE0EEENS1_30default_config_static_selectorELNS0_4arch9wavefront6targetE1EEEvSD_.has_recursion, 0
	.set _ZN7rocprim17ROCPRIM_400000_NS6detail17trampoline_kernelINS0_14default_configENS1_22reduce_config_selectorIiEEZNS1_11reduce_implILb1ES3_PiS7_i9plus_mod3IiEEE10hipError_tPvRmT1_T2_T3_mT4_P12ihipStream_tbEUlT_E1_NS1_11comp_targetILNS1_3genE9ELNS1_11target_archE1100ELNS1_3gpuE3ELNS1_3repE0EEENS1_30default_config_static_selectorELNS0_4arch9wavefront6targetE1EEEvSD_.has_indirect_call, 0
	.section	.AMDGPU.csdata,"",@progbits
; Kernel info:
; codeLenInByte = 0
; TotalNumSgprs: 6
; NumVgprs: 0
; NumAgprs: 0
; TotalNumVgprs: 0
; ScratchSize: 0
; MemoryBound: 0
; FloatMode: 240
; IeeeMode: 1
; LDSByteSize: 0 bytes/workgroup (compile time only)
; SGPRBlocks: 0
; VGPRBlocks: 0
; NumSGPRsForWavesPerEU: 6
; NumVGPRsForWavesPerEU: 1
; AccumOffset: 4
; Occupancy: 8
; WaveLimiterHint : 0
; COMPUTE_PGM_RSRC2:SCRATCH_EN: 0
; COMPUTE_PGM_RSRC2:USER_SGPR: 2
; COMPUTE_PGM_RSRC2:TRAP_HANDLER: 0
; COMPUTE_PGM_RSRC2:TGID_X_EN: 1
; COMPUTE_PGM_RSRC2:TGID_Y_EN: 0
; COMPUTE_PGM_RSRC2:TGID_Z_EN: 0
; COMPUTE_PGM_RSRC2:TIDIG_COMP_CNT: 0
; COMPUTE_PGM_RSRC3_GFX90A:ACCUM_OFFSET: 0
; COMPUTE_PGM_RSRC3_GFX90A:TG_SPLIT: 0
	.section	.text._ZN7rocprim17ROCPRIM_400000_NS6detail17trampoline_kernelINS0_14default_configENS1_22reduce_config_selectorIiEEZNS1_11reduce_implILb1ES3_PiS7_i9plus_mod3IiEEE10hipError_tPvRmT1_T2_T3_mT4_P12ihipStream_tbEUlT_E1_NS1_11comp_targetILNS1_3genE8ELNS1_11target_archE1030ELNS1_3gpuE2ELNS1_3repE0EEENS1_30default_config_static_selectorELNS0_4arch9wavefront6targetE1EEEvSD_,"axG",@progbits,_ZN7rocprim17ROCPRIM_400000_NS6detail17trampoline_kernelINS0_14default_configENS1_22reduce_config_selectorIiEEZNS1_11reduce_implILb1ES3_PiS7_i9plus_mod3IiEEE10hipError_tPvRmT1_T2_T3_mT4_P12ihipStream_tbEUlT_E1_NS1_11comp_targetILNS1_3genE8ELNS1_11target_archE1030ELNS1_3gpuE2ELNS1_3repE0EEENS1_30default_config_static_selectorELNS0_4arch9wavefront6targetE1EEEvSD_,comdat
	.protected	_ZN7rocprim17ROCPRIM_400000_NS6detail17trampoline_kernelINS0_14default_configENS1_22reduce_config_selectorIiEEZNS1_11reduce_implILb1ES3_PiS7_i9plus_mod3IiEEE10hipError_tPvRmT1_T2_T3_mT4_P12ihipStream_tbEUlT_E1_NS1_11comp_targetILNS1_3genE8ELNS1_11target_archE1030ELNS1_3gpuE2ELNS1_3repE0EEENS1_30default_config_static_selectorELNS0_4arch9wavefront6targetE1EEEvSD_ ; -- Begin function _ZN7rocprim17ROCPRIM_400000_NS6detail17trampoline_kernelINS0_14default_configENS1_22reduce_config_selectorIiEEZNS1_11reduce_implILb1ES3_PiS7_i9plus_mod3IiEEE10hipError_tPvRmT1_T2_T3_mT4_P12ihipStream_tbEUlT_E1_NS1_11comp_targetILNS1_3genE8ELNS1_11target_archE1030ELNS1_3gpuE2ELNS1_3repE0EEENS1_30default_config_static_selectorELNS0_4arch9wavefront6targetE1EEEvSD_
	.globl	_ZN7rocprim17ROCPRIM_400000_NS6detail17trampoline_kernelINS0_14default_configENS1_22reduce_config_selectorIiEEZNS1_11reduce_implILb1ES3_PiS7_i9plus_mod3IiEEE10hipError_tPvRmT1_T2_T3_mT4_P12ihipStream_tbEUlT_E1_NS1_11comp_targetILNS1_3genE8ELNS1_11target_archE1030ELNS1_3gpuE2ELNS1_3repE0EEENS1_30default_config_static_selectorELNS0_4arch9wavefront6targetE1EEEvSD_
	.p2align	8
	.type	_ZN7rocprim17ROCPRIM_400000_NS6detail17trampoline_kernelINS0_14default_configENS1_22reduce_config_selectorIiEEZNS1_11reduce_implILb1ES3_PiS7_i9plus_mod3IiEEE10hipError_tPvRmT1_T2_T3_mT4_P12ihipStream_tbEUlT_E1_NS1_11comp_targetILNS1_3genE8ELNS1_11target_archE1030ELNS1_3gpuE2ELNS1_3repE0EEENS1_30default_config_static_selectorELNS0_4arch9wavefront6targetE1EEEvSD_,@function
_ZN7rocprim17ROCPRIM_400000_NS6detail17trampoline_kernelINS0_14default_configENS1_22reduce_config_selectorIiEEZNS1_11reduce_implILb1ES3_PiS7_i9plus_mod3IiEEE10hipError_tPvRmT1_T2_T3_mT4_P12ihipStream_tbEUlT_E1_NS1_11comp_targetILNS1_3genE8ELNS1_11target_archE1030ELNS1_3gpuE2ELNS1_3repE0EEENS1_30default_config_static_selectorELNS0_4arch9wavefront6targetE1EEEvSD_: ; @_ZN7rocprim17ROCPRIM_400000_NS6detail17trampoline_kernelINS0_14default_configENS1_22reduce_config_selectorIiEEZNS1_11reduce_implILb1ES3_PiS7_i9plus_mod3IiEEE10hipError_tPvRmT1_T2_T3_mT4_P12ihipStream_tbEUlT_E1_NS1_11comp_targetILNS1_3genE8ELNS1_11target_archE1030ELNS1_3gpuE2ELNS1_3repE0EEENS1_30default_config_static_selectorELNS0_4arch9wavefront6targetE1EEEvSD_
; %bb.0:
	.section	.rodata,"a",@progbits
	.p2align	6, 0x0
	.amdhsa_kernel _ZN7rocprim17ROCPRIM_400000_NS6detail17trampoline_kernelINS0_14default_configENS1_22reduce_config_selectorIiEEZNS1_11reduce_implILb1ES3_PiS7_i9plus_mod3IiEEE10hipError_tPvRmT1_T2_T3_mT4_P12ihipStream_tbEUlT_E1_NS1_11comp_targetILNS1_3genE8ELNS1_11target_archE1030ELNS1_3gpuE2ELNS1_3repE0EEENS1_30default_config_static_selectorELNS0_4arch9wavefront6targetE1EEEvSD_
		.amdhsa_group_segment_fixed_size 0
		.amdhsa_private_segment_fixed_size 0
		.amdhsa_kernarg_size 48
		.amdhsa_user_sgpr_count 2
		.amdhsa_user_sgpr_dispatch_ptr 0
		.amdhsa_user_sgpr_queue_ptr 0
		.amdhsa_user_sgpr_kernarg_segment_ptr 1
		.amdhsa_user_sgpr_dispatch_id 0
		.amdhsa_user_sgpr_kernarg_preload_length 0
		.amdhsa_user_sgpr_kernarg_preload_offset 0
		.amdhsa_user_sgpr_private_segment_size 0
		.amdhsa_uses_dynamic_stack 0
		.amdhsa_enable_private_segment 0
		.amdhsa_system_sgpr_workgroup_id_x 1
		.amdhsa_system_sgpr_workgroup_id_y 0
		.amdhsa_system_sgpr_workgroup_id_z 0
		.amdhsa_system_sgpr_workgroup_info 0
		.amdhsa_system_vgpr_workitem_id 0
		.amdhsa_next_free_vgpr 1
		.amdhsa_next_free_sgpr 0
		.amdhsa_accum_offset 4
		.amdhsa_reserve_vcc 0
		.amdhsa_float_round_mode_32 0
		.amdhsa_float_round_mode_16_64 0
		.amdhsa_float_denorm_mode_32 3
		.amdhsa_float_denorm_mode_16_64 3
		.amdhsa_dx10_clamp 1
		.amdhsa_ieee_mode 1
		.amdhsa_fp16_overflow 0
		.amdhsa_tg_split 0
		.amdhsa_exception_fp_ieee_invalid_op 0
		.amdhsa_exception_fp_denorm_src 0
		.amdhsa_exception_fp_ieee_div_zero 0
		.amdhsa_exception_fp_ieee_overflow 0
		.amdhsa_exception_fp_ieee_underflow 0
		.amdhsa_exception_fp_ieee_inexact 0
		.amdhsa_exception_int_div_zero 0
	.end_amdhsa_kernel
	.section	.text._ZN7rocprim17ROCPRIM_400000_NS6detail17trampoline_kernelINS0_14default_configENS1_22reduce_config_selectorIiEEZNS1_11reduce_implILb1ES3_PiS7_i9plus_mod3IiEEE10hipError_tPvRmT1_T2_T3_mT4_P12ihipStream_tbEUlT_E1_NS1_11comp_targetILNS1_3genE8ELNS1_11target_archE1030ELNS1_3gpuE2ELNS1_3repE0EEENS1_30default_config_static_selectorELNS0_4arch9wavefront6targetE1EEEvSD_,"axG",@progbits,_ZN7rocprim17ROCPRIM_400000_NS6detail17trampoline_kernelINS0_14default_configENS1_22reduce_config_selectorIiEEZNS1_11reduce_implILb1ES3_PiS7_i9plus_mod3IiEEE10hipError_tPvRmT1_T2_T3_mT4_P12ihipStream_tbEUlT_E1_NS1_11comp_targetILNS1_3genE8ELNS1_11target_archE1030ELNS1_3gpuE2ELNS1_3repE0EEENS1_30default_config_static_selectorELNS0_4arch9wavefront6targetE1EEEvSD_,comdat
.Lfunc_end928:
	.size	_ZN7rocprim17ROCPRIM_400000_NS6detail17trampoline_kernelINS0_14default_configENS1_22reduce_config_selectorIiEEZNS1_11reduce_implILb1ES3_PiS7_i9plus_mod3IiEEE10hipError_tPvRmT1_T2_T3_mT4_P12ihipStream_tbEUlT_E1_NS1_11comp_targetILNS1_3genE8ELNS1_11target_archE1030ELNS1_3gpuE2ELNS1_3repE0EEENS1_30default_config_static_selectorELNS0_4arch9wavefront6targetE1EEEvSD_, .Lfunc_end928-_ZN7rocprim17ROCPRIM_400000_NS6detail17trampoline_kernelINS0_14default_configENS1_22reduce_config_selectorIiEEZNS1_11reduce_implILb1ES3_PiS7_i9plus_mod3IiEEE10hipError_tPvRmT1_T2_T3_mT4_P12ihipStream_tbEUlT_E1_NS1_11comp_targetILNS1_3genE8ELNS1_11target_archE1030ELNS1_3gpuE2ELNS1_3repE0EEENS1_30default_config_static_selectorELNS0_4arch9wavefront6targetE1EEEvSD_
                                        ; -- End function
	.set _ZN7rocprim17ROCPRIM_400000_NS6detail17trampoline_kernelINS0_14default_configENS1_22reduce_config_selectorIiEEZNS1_11reduce_implILb1ES3_PiS7_i9plus_mod3IiEEE10hipError_tPvRmT1_T2_T3_mT4_P12ihipStream_tbEUlT_E1_NS1_11comp_targetILNS1_3genE8ELNS1_11target_archE1030ELNS1_3gpuE2ELNS1_3repE0EEENS1_30default_config_static_selectorELNS0_4arch9wavefront6targetE1EEEvSD_.num_vgpr, 0
	.set _ZN7rocprim17ROCPRIM_400000_NS6detail17trampoline_kernelINS0_14default_configENS1_22reduce_config_selectorIiEEZNS1_11reduce_implILb1ES3_PiS7_i9plus_mod3IiEEE10hipError_tPvRmT1_T2_T3_mT4_P12ihipStream_tbEUlT_E1_NS1_11comp_targetILNS1_3genE8ELNS1_11target_archE1030ELNS1_3gpuE2ELNS1_3repE0EEENS1_30default_config_static_selectorELNS0_4arch9wavefront6targetE1EEEvSD_.num_agpr, 0
	.set _ZN7rocprim17ROCPRIM_400000_NS6detail17trampoline_kernelINS0_14default_configENS1_22reduce_config_selectorIiEEZNS1_11reduce_implILb1ES3_PiS7_i9plus_mod3IiEEE10hipError_tPvRmT1_T2_T3_mT4_P12ihipStream_tbEUlT_E1_NS1_11comp_targetILNS1_3genE8ELNS1_11target_archE1030ELNS1_3gpuE2ELNS1_3repE0EEENS1_30default_config_static_selectorELNS0_4arch9wavefront6targetE1EEEvSD_.numbered_sgpr, 0
	.set _ZN7rocprim17ROCPRIM_400000_NS6detail17trampoline_kernelINS0_14default_configENS1_22reduce_config_selectorIiEEZNS1_11reduce_implILb1ES3_PiS7_i9plus_mod3IiEEE10hipError_tPvRmT1_T2_T3_mT4_P12ihipStream_tbEUlT_E1_NS1_11comp_targetILNS1_3genE8ELNS1_11target_archE1030ELNS1_3gpuE2ELNS1_3repE0EEENS1_30default_config_static_selectorELNS0_4arch9wavefront6targetE1EEEvSD_.num_named_barrier, 0
	.set _ZN7rocprim17ROCPRIM_400000_NS6detail17trampoline_kernelINS0_14default_configENS1_22reduce_config_selectorIiEEZNS1_11reduce_implILb1ES3_PiS7_i9plus_mod3IiEEE10hipError_tPvRmT1_T2_T3_mT4_P12ihipStream_tbEUlT_E1_NS1_11comp_targetILNS1_3genE8ELNS1_11target_archE1030ELNS1_3gpuE2ELNS1_3repE0EEENS1_30default_config_static_selectorELNS0_4arch9wavefront6targetE1EEEvSD_.private_seg_size, 0
	.set _ZN7rocprim17ROCPRIM_400000_NS6detail17trampoline_kernelINS0_14default_configENS1_22reduce_config_selectorIiEEZNS1_11reduce_implILb1ES3_PiS7_i9plus_mod3IiEEE10hipError_tPvRmT1_T2_T3_mT4_P12ihipStream_tbEUlT_E1_NS1_11comp_targetILNS1_3genE8ELNS1_11target_archE1030ELNS1_3gpuE2ELNS1_3repE0EEENS1_30default_config_static_selectorELNS0_4arch9wavefront6targetE1EEEvSD_.uses_vcc, 0
	.set _ZN7rocprim17ROCPRIM_400000_NS6detail17trampoline_kernelINS0_14default_configENS1_22reduce_config_selectorIiEEZNS1_11reduce_implILb1ES3_PiS7_i9plus_mod3IiEEE10hipError_tPvRmT1_T2_T3_mT4_P12ihipStream_tbEUlT_E1_NS1_11comp_targetILNS1_3genE8ELNS1_11target_archE1030ELNS1_3gpuE2ELNS1_3repE0EEENS1_30default_config_static_selectorELNS0_4arch9wavefront6targetE1EEEvSD_.uses_flat_scratch, 0
	.set _ZN7rocprim17ROCPRIM_400000_NS6detail17trampoline_kernelINS0_14default_configENS1_22reduce_config_selectorIiEEZNS1_11reduce_implILb1ES3_PiS7_i9plus_mod3IiEEE10hipError_tPvRmT1_T2_T3_mT4_P12ihipStream_tbEUlT_E1_NS1_11comp_targetILNS1_3genE8ELNS1_11target_archE1030ELNS1_3gpuE2ELNS1_3repE0EEENS1_30default_config_static_selectorELNS0_4arch9wavefront6targetE1EEEvSD_.has_dyn_sized_stack, 0
	.set _ZN7rocprim17ROCPRIM_400000_NS6detail17trampoline_kernelINS0_14default_configENS1_22reduce_config_selectorIiEEZNS1_11reduce_implILb1ES3_PiS7_i9plus_mod3IiEEE10hipError_tPvRmT1_T2_T3_mT4_P12ihipStream_tbEUlT_E1_NS1_11comp_targetILNS1_3genE8ELNS1_11target_archE1030ELNS1_3gpuE2ELNS1_3repE0EEENS1_30default_config_static_selectorELNS0_4arch9wavefront6targetE1EEEvSD_.has_recursion, 0
	.set _ZN7rocprim17ROCPRIM_400000_NS6detail17trampoline_kernelINS0_14default_configENS1_22reduce_config_selectorIiEEZNS1_11reduce_implILb1ES3_PiS7_i9plus_mod3IiEEE10hipError_tPvRmT1_T2_T3_mT4_P12ihipStream_tbEUlT_E1_NS1_11comp_targetILNS1_3genE8ELNS1_11target_archE1030ELNS1_3gpuE2ELNS1_3repE0EEENS1_30default_config_static_selectorELNS0_4arch9wavefront6targetE1EEEvSD_.has_indirect_call, 0
	.section	.AMDGPU.csdata,"",@progbits
; Kernel info:
; codeLenInByte = 0
; TotalNumSgprs: 6
; NumVgprs: 0
; NumAgprs: 0
; TotalNumVgprs: 0
; ScratchSize: 0
; MemoryBound: 0
; FloatMode: 240
; IeeeMode: 1
; LDSByteSize: 0 bytes/workgroup (compile time only)
; SGPRBlocks: 0
; VGPRBlocks: 0
; NumSGPRsForWavesPerEU: 6
; NumVGPRsForWavesPerEU: 1
; AccumOffset: 4
; Occupancy: 8
; WaveLimiterHint : 0
; COMPUTE_PGM_RSRC2:SCRATCH_EN: 0
; COMPUTE_PGM_RSRC2:USER_SGPR: 2
; COMPUTE_PGM_RSRC2:TRAP_HANDLER: 0
; COMPUTE_PGM_RSRC2:TGID_X_EN: 1
; COMPUTE_PGM_RSRC2:TGID_Y_EN: 0
; COMPUTE_PGM_RSRC2:TGID_Z_EN: 0
; COMPUTE_PGM_RSRC2:TIDIG_COMP_CNT: 0
; COMPUTE_PGM_RSRC3_GFX90A:ACCUM_OFFSET: 0
; COMPUTE_PGM_RSRC3_GFX90A:TG_SPLIT: 0
	.section	.text._ZN7rocprim17ROCPRIM_400000_NS6detail17trampoline_kernelINS0_14default_configENS1_22reduce_config_selectorIiEEZNS1_11reduce_implILb1ES3_N6thrust23THRUST_200600_302600_NS6detail15normal_iteratorINS8_10device_ptrIiEEEEPii9plus_mod3IiEEE10hipError_tPvRmT1_T2_T3_mT4_P12ihipStream_tbEUlT_E0_NS1_11comp_targetILNS1_3genE0ELNS1_11target_archE4294967295ELNS1_3gpuE0ELNS1_3repE0EEENS1_30default_config_static_selectorELNS0_4arch9wavefront6targetE1EEEvSK_,"axG",@progbits,_ZN7rocprim17ROCPRIM_400000_NS6detail17trampoline_kernelINS0_14default_configENS1_22reduce_config_selectorIiEEZNS1_11reduce_implILb1ES3_N6thrust23THRUST_200600_302600_NS6detail15normal_iteratorINS8_10device_ptrIiEEEEPii9plus_mod3IiEEE10hipError_tPvRmT1_T2_T3_mT4_P12ihipStream_tbEUlT_E0_NS1_11comp_targetILNS1_3genE0ELNS1_11target_archE4294967295ELNS1_3gpuE0ELNS1_3repE0EEENS1_30default_config_static_selectorELNS0_4arch9wavefront6targetE1EEEvSK_,comdat
	.protected	_ZN7rocprim17ROCPRIM_400000_NS6detail17trampoline_kernelINS0_14default_configENS1_22reduce_config_selectorIiEEZNS1_11reduce_implILb1ES3_N6thrust23THRUST_200600_302600_NS6detail15normal_iteratorINS8_10device_ptrIiEEEEPii9plus_mod3IiEEE10hipError_tPvRmT1_T2_T3_mT4_P12ihipStream_tbEUlT_E0_NS1_11comp_targetILNS1_3genE0ELNS1_11target_archE4294967295ELNS1_3gpuE0ELNS1_3repE0EEENS1_30default_config_static_selectorELNS0_4arch9wavefront6targetE1EEEvSK_ ; -- Begin function _ZN7rocprim17ROCPRIM_400000_NS6detail17trampoline_kernelINS0_14default_configENS1_22reduce_config_selectorIiEEZNS1_11reduce_implILb1ES3_N6thrust23THRUST_200600_302600_NS6detail15normal_iteratorINS8_10device_ptrIiEEEEPii9plus_mod3IiEEE10hipError_tPvRmT1_T2_T3_mT4_P12ihipStream_tbEUlT_E0_NS1_11comp_targetILNS1_3genE0ELNS1_11target_archE4294967295ELNS1_3gpuE0ELNS1_3repE0EEENS1_30default_config_static_selectorELNS0_4arch9wavefront6targetE1EEEvSK_
	.globl	_ZN7rocprim17ROCPRIM_400000_NS6detail17trampoline_kernelINS0_14default_configENS1_22reduce_config_selectorIiEEZNS1_11reduce_implILb1ES3_N6thrust23THRUST_200600_302600_NS6detail15normal_iteratorINS8_10device_ptrIiEEEEPii9plus_mod3IiEEE10hipError_tPvRmT1_T2_T3_mT4_P12ihipStream_tbEUlT_E0_NS1_11comp_targetILNS1_3genE0ELNS1_11target_archE4294967295ELNS1_3gpuE0ELNS1_3repE0EEENS1_30default_config_static_selectorELNS0_4arch9wavefront6targetE1EEEvSK_
	.p2align	8
	.type	_ZN7rocprim17ROCPRIM_400000_NS6detail17trampoline_kernelINS0_14default_configENS1_22reduce_config_selectorIiEEZNS1_11reduce_implILb1ES3_N6thrust23THRUST_200600_302600_NS6detail15normal_iteratorINS8_10device_ptrIiEEEEPii9plus_mod3IiEEE10hipError_tPvRmT1_T2_T3_mT4_P12ihipStream_tbEUlT_E0_NS1_11comp_targetILNS1_3genE0ELNS1_11target_archE4294967295ELNS1_3gpuE0ELNS1_3repE0EEENS1_30default_config_static_selectorELNS0_4arch9wavefront6targetE1EEEvSK_,@function
_ZN7rocprim17ROCPRIM_400000_NS6detail17trampoline_kernelINS0_14default_configENS1_22reduce_config_selectorIiEEZNS1_11reduce_implILb1ES3_N6thrust23THRUST_200600_302600_NS6detail15normal_iteratorINS8_10device_ptrIiEEEEPii9plus_mod3IiEEE10hipError_tPvRmT1_T2_T3_mT4_P12ihipStream_tbEUlT_E0_NS1_11comp_targetILNS1_3genE0ELNS1_11target_archE4294967295ELNS1_3gpuE0ELNS1_3repE0EEENS1_30default_config_static_selectorELNS0_4arch9wavefront6targetE1EEEvSK_: ; @_ZN7rocprim17ROCPRIM_400000_NS6detail17trampoline_kernelINS0_14default_configENS1_22reduce_config_selectorIiEEZNS1_11reduce_implILb1ES3_N6thrust23THRUST_200600_302600_NS6detail15normal_iteratorINS8_10device_ptrIiEEEEPii9plus_mod3IiEEE10hipError_tPvRmT1_T2_T3_mT4_P12ihipStream_tbEUlT_E0_NS1_11comp_targetILNS1_3genE0ELNS1_11target_archE4294967295ELNS1_3gpuE0ELNS1_3repE0EEENS1_30default_config_static_selectorELNS0_4arch9wavefront6targetE1EEEvSK_
; %bb.0:
	s_load_dwordx8 s[4:11], s[0:1], 0x0
	s_load_dwordx2 s[12:13], s[0:1], 0x38
	v_lshlrev_b32_e32 v6, 2, v0
	v_mbcnt_lo_u32_b32 v1, -1, 0
	s_waitcnt lgkmcnt(0)
	s_lshl_b64 s[6:7], s[6:7], 2
	s_add_u32 s16, s4, s6
	s_addc_u32 s17, s5, s7
	s_lshl_b32 s4, s2, 10
	s_mov_b32 s5, 0
	s_lshr_b64 s[6:7], s[8:9], 10
	s_lshl_b64 s[14:15], s[4:5], 2
	s_add_u32 s16, s16, s14
	s_mov_b32 s3, s5
	s_addc_u32 s17, s17, s15
	s_cmp_lg_u64 s[6:7], s[2:3]
	s_cbranch_scc0 .LBB929_6
; %bb.1:
	v_mov_b32_e32 v7, 0
	v_lshl_add_u64 v[2:3], s[16:17], 0, v[6:7]
	flat_load_dword v4, v[2:3]
	flat_load_dword v5, v[2:3] offset:1024
	flat_load_dword v7, v[2:3] offset:2048
	;; [unrolled: 1-line block ×3, first 2 shown]
	s_waitcnt vmcnt(0) lgkmcnt(0)
	v_add_u32_e32 v2, v5, v4
	v_ashrrev_i32_e32 v3, 31, v2
	v_lshl_add_u64 v[2:3], v[2:3], 2, s[12:13]
	global_load_dword v2, v[2:3], off
	v_mbcnt_hi_u32_b32 v5, -1, v1
	v_cmp_eq_u32_e32 vcc, 0, v5
	s_waitcnt vmcnt(0)
	v_add_u32_e32 v2, v2, v7
	v_ashrrev_i32_e32 v3, 31, v2
	v_lshl_add_u64 v[2:3], v[2:3], 2, s[12:13]
	global_load_dword v2, v[2:3], off
	s_waitcnt vmcnt(0)
	v_add_u32_e32 v2, v2, v8
	v_ashrrev_i32_e32 v3, 31, v2
	v_lshl_add_u64 v[2:3], v[2:3], 2, s[12:13]
	global_load_dword v2, v[2:3], off
	s_waitcnt vmcnt(0)
	s_nop 0
	v_add_u32_dpp v2, v2, v2 quad_perm:[1,0,3,2] row_mask:0xf bank_mask:0xf bound_ctrl:1
	v_ashrrev_i32_e32 v3, 31, v2
	v_lshl_add_u64 v[2:3], v[2:3], 2, s[12:13]
	global_load_dword v2, v[2:3], off
	s_waitcnt vmcnt(0)
	s_nop 0
	v_add_u32_dpp v2, v2, v2 quad_perm:[2,3,0,1] row_mask:0xf bank_mask:0xf bound_ctrl:1
	v_ashrrev_i32_e32 v3, 31, v2
	v_lshl_add_u64 v[2:3], v[2:3], 2, s[12:13]
	global_load_dword v2, v[2:3], off
	s_waitcnt vmcnt(0)
	s_nop 0
	v_add_u32_dpp v2, v2, v2 row_ror:4 row_mask:0xf bank_mask:0xf bound_ctrl:1
	v_ashrrev_i32_e32 v3, 31, v2
	v_lshl_add_u64 v[2:3], v[2:3], 2, s[12:13]
	global_load_dword v2, v[2:3], off
	s_waitcnt vmcnt(0)
	s_nop 0
	v_add_u32_dpp v2, v2, v2 row_ror:8 row_mask:0xf bank_mask:0xf bound_ctrl:1
	v_ashrrev_i32_e32 v3, 31, v2
	v_lshl_add_u64 v[2:3], v[2:3], 2, s[12:13]
	global_load_dword v2, v[2:3], off
	s_waitcnt vmcnt(0)
	s_nop 0
	v_add_u32_dpp v2, v2, v2 row_bcast:15 row_mask:0xf bank_mask:0xf bound_ctrl:1
	v_ashrrev_i32_e32 v3, 31, v2
	v_lshl_add_u64 v[2:3], v[2:3], 2, s[12:13]
	global_load_dword v2, v[2:3], off
	s_waitcnt vmcnt(0)
	s_nop 0
	v_add_u32_dpp v2, v2, v2 row_bcast:31 row_mask:0xf bank_mask:0xf bound_ctrl:1
	v_ashrrev_i32_e32 v3, 31, v2
	v_lshl_add_u64 v[2:3], v[2:3], 2, s[12:13]
	global_load_dword v2, v[2:3], off
	v_lshlrev_b32_e32 v3, 2, v5
	v_or_b32_e32 v4, 0xfc, v3
	s_waitcnt vmcnt(0)
	ds_bpermute_b32 v2, v4, v2
	s_and_saveexec_b64 s[6:7], vcc
	s_cbranch_execz .LBB929_3
; %bb.2:
	v_lshrrev_b32_e32 v4, 4, v0
	v_and_b32_e32 v4, 12, v4
	s_waitcnt lgkmcnt(0)
	ds_write_b32 v4, v2 offset:16
.LBB929_3:
	s_or_b64 exec, exec, s[6:7]
	v_cmp_gt_u32_e32 vcc, 64, v0
	s_mov_b64 s[6:7], 0
	s_mov_b64 s[14:15], 0
	s_waitcnt lgkmcnt(0)
	s_barrier
                                        ; implicit-def: $vgpr4
	s_and_saveexec_b64 s[18:19], vcc
	s_xor_b64 s[18:19], exec, s[18:19]
	s_cbranch_execz .LBB929_5
; %bb.4:
	v_and_b32_e32 v4, 3, v5
	v_lshlrev_b32_e32 v7, 2, v4
	ds_read_b32 v7, v7 offset:16
	v_cmp_ne_u32_e32 vcc, 3, v4
	v_or_b32_e32 v3, 8, v3
	s_mov_b64 s[14:15], exec
	v_addc_co_u32_e32 v4, vcc, 0, v5, vcc
	v_lshlrev_b32_e32 v4, 2, v4
	s_waitcnt lgkmcnt(0)
	ds_bpermute_b32 v4, v4, v7
	s_waitcnt lgkmcnt(0)
	v_add_u32_e32 v4, v4, v7
	v_ashrrev_i32_e32 v5, 31, v4
	v_lshl_add_u64 v[4:5], v[4:5], 2, s[12:13]
	global_load_dword v4, v[4:5], off
	s_waitcnt vmcnt(0)
	ds_bpermute_b32 v3, v3, v4
	s_waitcnt lgkmcnt(0)
	v_add_u32_e32 v4, v3, v4
.LBB929_5:
	s_or_b64 exec, exec, s[18:19]
	s_and_b64 vcc, exec, s[6:7]
	s_cbranch_vccnz .LBB929_7
	s_branch .LBB929_39
.LBB929_6:
	s_mov_b64 s[14:15], 0
                                        ; implicit-def: $vgpr4
                                        ; implicit-def: $vgpr2
	s_cbranch_execz .LBB929_39
.LBB929_7:
	s_sub_i32 s20, s8, s4
	v_mov_b32_e32 v2, 0
	v_cmp_gt_u32_e32 vcc, s20, v0
	v_mov_b32_e32 v3, v2
	v_mov_b32_e32 v4, v2
	;; [unrolled: 1-line block ×3, first 2 shown]
	s_and_saveexec_b64 s[4:5], vcc
	s_cbranch_execz .LBB929_9
; %bb.8:
	v_mov_b32_e32 v7, v2
	v_lshl_add_u64 v[4:5], s[16:17], 0, v[6:7]
	flat_load_dword v8, v[4:5]
	v_mov_b32_e32 v9, v2
	v_mov_b32_e32 v10, v2
	;; [unrolled: 1-line block ×3, first 2 shown]
	s_waitcnt vmcnt(0) lgkmcnt(0)
	v_mov_b64_e32 v[2:3], v[8:9]
	v_mov_b64_e32 v[4:5], v[10:11]
.LBB929_9:
	s_or_b64 exec, exec, s[4:5]
	v_or_b32_e32 v7, 0x100, v0
	v_cmp_gt_u32_e32 vcc, s20, v7
	s_and_saveexec_b64 s[4:5], vcc
	s_cbranch_execz .LBB929_11
; %bb.10:
	v_mov_b32_e32 v7, 0
	v_lshl_add_u64 v[8:9], s[16:17], 0, v[6:7]
	flat_load_dword v3, v[8:9] offset:1024
.LBB929_11:
	s_or_b64 exec, exec, s[4:5]
	v_or_b32_e32 v7, 0x200, v0
	v_cmp_gt_u32_e64 s[4:5], s20, v7
	s_and_saveexec_b64 s[6:7], s[4:5]
	s_cbranch_execz .LBB929_13
; %bb.12:
	v_mov_b32_e32 v7, 0
	v_lshl_add_u64 v[8:9], s[16:17], 0, v[6:7]
	flat_load_dword v4, v[8:9] offset:2048
.LBB929_13:
	s_or_b64 exec, exec, s[6:7]
	v_or_b32_e32 v7, 0x300, v0
	v_cmp_gt_u32_e64 s[6:7], s20, v7
	s_and_saveexec_b64 s[18:19], s[6:7]
	s_cbranch_execnz .LBB929_44
; %bb.14:
	s_or_b64 exec, exec, s[18:19]
	s_and_saveexec_b64 s[16:17], vcc
	s_cbranch_execnz .LBB929_45
.LBB929_15:
	s_or_b64 exec, exec, s[16:17]
	s_and_saveexec_b64 s[16:17], s[4:5]
	s_cbranch_execnz .LBB929_46
.LBB929_16:
	s_or_b64 exec, exec, s[16:17]
	s_and_saveexec_b64 s[4:5], s[6:7]
	s_cbranch_execz .LBB929_18
.LBB929_17:
	s_waitcnt vmcnt(0) lgkmcnt(0)
	v_add_u32_e32 v2, v2, v5
	v_ashrrev_i32_e32 v3, 31, v2
	v_lshl_add_u64 v[2:3], v[2:3], 2, s[12:13]
	global_load_dword v2, v[2:3], off
.LBB929_18:
	s_or_b64 exec, exec, s[4:5]
	v_mbcnt_hi_u32_b32 v1, -1, v1
	s_waitcnt vmcnt(0) lgkmcnt(0)
	v_and_b32_e32 v3, 63, v1
	v_cmp_ne_u32_e32 vcc, 63, v3
	s_min_u32 s6, s20, 0x100
	v_add_u32_e32 v6, 1, v3
	v_addc_co_u32_e32 v4, vcc, 0, v1, vcc
	v_lshlrev_b32_e32 v4, 2, v4
	ds_bpermute_b32 v5, v4, v2
	v_and_b32_e32 v4, 0xc0, v0
	v_sub_u32_e64 v4, s6, v4 clamp
	v_cmp_lt_u32_e32 vcc, v6, v4
	s_and_saveexec_b64 s[4:5], vcc
	s_xor_b64 s[4:5], exec, s[4:5]
	s_cbranch_execz .LBB929_20
; %bb.19:
	s_waitcnt lgkmcnt(0)
	v_add_u32_e32 v6, v5, v2
	v_ashrrev_i32_e32 v7, 31, v6
	v_lshl_add_u64 v[6:7], v[6:7], 2, s[12:13]
	global_load_dword v2, v[6:7], off
.LBB929_20:
	s_or_b64 exec, exec, s[4:5]
	v_cmp_gt_u32_e32 vcc, 62, v3
	v_add_u32_e32 v6, 2, v3
	s_waitcnt lgkmcnt(0)
	v_cndmask_b32_e64 v5, 0, 2, vcc
	v_add_lshl_u32 v5, v5, v1, 2
	s_waitcnt vmcnt(0)
	ds_bpermute_b32 v5, v5, v2
	v_cmp_lt_u32_e32 vcc, v6, v4
	s_and_saveexec_b64 s[4:5], vcc
	s_cbranch_execz .LBB929_22
; %bb.21:
	s_waitcnt lgkmcnt(0)
	v_add_u32_e32 v6, v5, v2
	v_ashrrev_i32_e32 v7, 31, v6
	v_lshl_add_u64 v[6:7], v[6:7], 2, s[12:13]
	global_load_dword v2, v[6:7], off
.LBB929_22:
	s_or_b64 exec, exec, s[4:5]
	v_cmp_gt_u32_e32 vcc, 60, v3
	v_add_u32_e32 v6, 4, v3
	s_waitcnt lgkmcnt(0)
	v_cndmask_b32_e64 v5, 0, 4, vcc
	v_add_lshl_u32 v5, v5, v1, 2
	s_waitcnt vmcnt(0)
	ds_bpermute_b32 v5, v5, v2
	v_cmp_lt_u32_e32 vcc, v6, v4
	s_and_saveexec_b64 s[4:5], vcc
	;; [unrolled: 18-line block ×4, first 2 shown]
	s_cbranch_execz .LBB929_28
; %bb.27:
	s_waitcnt lgkmcnt(0)
	v_add_u32_e32 v6, v5, v2
	v_ashrrev_i32_e32 v7, 31, v6
	v_lshl_add_u64 v[6:7], v[6:7], 2, s[12:13]
	global_load_dword v2, v[6:7], off
.LBB929_28:
	s_or_b64 exec, exec, s[4:5]
	s_waitcnt lgkmcnt(0)
	v_lshlrev_b32_e32 v5, 2, v1
	v_or_b32_e32 v6, 0x80, v5
	s_waitcnt vmcnt(0)
	ds_bpermute_b32 v6, v6, v2
	v_add_u32_e32 v3, 32, v3
	v_cmp_lt_u32_e32 vcc, v3, v4
	s_and_saveexec_b64 s[4:5], vcc
	s_cbranch_execz .LBB929_30
; %bb.29:
	s_waitcnt lgkmcnt(0)
	v_add_u32_e32 v2, v6, v2
	v_ashrrev_i32_e32 v3, 31, v2
	v_lshl_add_u64 v[2:3], v[2:3], 2, s[12:13]
	global_load_dword v2, v[2:3], off
.LBB929_30:
	s_or_b64 exec, exec, s[4:5]
	v_cmp_eq_u32_e32 vcc, 0, v1
	s_and_saveexec_b64 s[4:5], vcc
	s_cbranch_execz .LBB929_32
; %bb.31:
	v_lshrrev_b32_e32 v3, 4, v0
	v_and_b32_e32 v3, 12, v3
	s_waitcnt vmcnt(0)
	ds_write_b32 v3, v2
.LBB929_32:
	s_or_b64 exec, exec, s[4:5]
	v_cmp_gt_u32_e32 vcc, 4, v0
	s_waitcnt lgkmcnt(0)
	s_barrier
                                        ; implicit-def: $vgpr4
	s_and_saveexec_b64 s[4:5], vcc
	s_cbranch_execz .LBB929_38
; %bb.33:
	s_waitcnt vmcnt(0)
	ds_read_b32 v2, v5
	v_and_b32_e32 v3, 3, v1
	v_cmp_ne_u32_e32 vcc, 3, v3
	s_add_i32 s6, s6, 63
	s_lshr_b32 s16, s6, 6
	v_addc_co_u32_e32 v1, vcc, 0, v1, vcc
	v_lshlrev_b32_e32 v1, 2, v1
	s_waitcnt lgkmcnt(0)
	ds_bpermute_b32 v1, v1, v2
	v_add_u32_e32 v4, 1, v3
	v_cmp_gt_u32_e32 vcc, s16, v4
	s_and_saveexec_b64 s[6:7], vcc
	s_cbranch_execz .LBB929_35
; %bb.34:
	s_waitcnt lgkmcnt(0)
	v_add_u32_e32 v6, v1, v2
	v_ashrrev_i32_e32 v7, 31, v6
	v_lshl_add_u64 v[6:7], v[6:7], 2, s[12:13]
	global_load_dword v2, v[6:7], off
.LBB929_35:
	s_or_b64 exec, exec, s[6:7]
	s_waitcnt lgkmcnt(0)
	v_or_b32_e32 v1, 8, v5
	s_waitcnt vmcnt(0)
	ds_bpermute_b32 v1, v1, v2
	v_add_u32_e32 v3, 2, v3
	v_cmp_gt_u32_e32 vcc, s16, v3
	s_mov_b64 s[6:7], s[14:15]
                                        ; implicit-def: $vgpr4
	s_and_saveexec_b64 s[16:17], vcc
	s_cbranch_execz .LBB929_37
; %bb.36:
	s_waitcnt lgkmcnt(0)
	v_add_u32_e32 v4, v1, v2
	s_or_b64 s[6:7], s[14:15], exec
.LBB929_37:
	s_or_b64 exec, exec, s[16:17]
	s_andn2_b64 s[14:15], s[14:15], exec
	s_and_b64 s[6:7], s[6:7], exec
	s_or_b64 s[14:15], s[14:15], s[6:7]
.LBB929_38:
	s_or_b64 exec, exec, s[4:5]
.LBB929_39:
	s_and_saveexec_b64 s[4:5], s[14:15]
	s_cbranch_execnz .LBB929_42
; %bb.40:
	s_or_b64 exec, exec, s[4:5]
	v_cmp_eq_u32_e32 vcc, 0, v0
	s_and_saveexec_b64 s[4:5], vcc
	s_cbranch_execnz .LBB929_43
.LBB929_41:
	s_endpgm
.LBB929_42:
	v_ashrrev_i32_e32 v5, 31, v4
	s_waitcnt vmcnt(0)
	v_lshl_add_u64 v[2:3], v[4:5], 2, s[12:13]
	global_load_dword v2, v[2:3], off
	s_or_b64 exec, exec, s[4:5]
	v_cmp_eq_u32_e32 vcc, 0, v0
	s_and_saveexec_b64 s[4:5], vcc
	s_cbranch_execz .LBB929_41
.LBB929_43:
	s_load_dwordx4 s[4:7], s[0:1], 0x20
	s_load_dword s12, s[0:1], 0x30
	s_waitcnt lgkmcnt(0)
	v_mov_b32_e32 v1, 0
	s_mul_i32 s1, s6, s5
	s_mul_hi_u32 s5, s6, s4
	s_mul_i32 s7, s7, s4
	s_add_i32 s1, s5, s1
	s_mul_i32 s0, s6, s4
	s_add_i32 s1, s1, s7
	s_lshl_b64 s[0:1], s[0:1], 2
	s_add_u32 s4, s10, s0
	s_addc_u32 s5, s11, s1
	s_cmp_eq_u64 s[8:9], 0
	s_cselect_b64 vcc, -1, 0
	s_lshl_b64 s[0:1], s[2:3], 2
	v_mov_b32_e32 v0, s12
	s_add_u32 s0, s4, s0
	s_waitcnt vmcnt(0)
	v_cndmask_b32_e32 v0, v2, v0, vcc
	s_addc_u32 s1, s5, s1
	global_store_dword v1, v0, s[0:1]
	s_endpgm
.LBB929_44:
	v_mov_b32_e32 v7, 0
	v_lshl_add_u64 v[6:7], s[16:17], 0, v[6:7]
	flat_load_dword v5, v[6:7] offset:3072
	s_or_b64 exec, exec, s[18:19]
	s_and_saveexec_b64 s[16:17], vcc
	s_cbranch_execz .LBB929_15
.LBB929_45:
	s_waitcnt vmcnt(0) lgkmcnt(0)
	v_add_u32_e32 v2, v3, v2
	v_ashrrev_i32_e32 v3, 31, v2
	v_lshl_add_u64 v[2:3], v[2:3], 2, s[12:13]
	global_load_dword v2, v[2:3], off
	s_or_b64 exec, exec, s[16:17]
	s_and_saveexec_b64 s[16:17], s[4:5]
	s_cbranch_execz .LBB929_16
.LBB929_46:
	s_waitcnt vmcnt(0) lgkmcnt(0)
	v_add_u32_e32 v2, v2, v4
	v_ashrrev_i32_e32 v3, 31, v2
	v_lshl_add_u64 v[2:3], v[2:3], 2, s[12:13]
	global_load_dword v2, v[2:3], off
	s_or_b64 exec, exec, s[16:17]
	s_and_saveexec_b64 s[4:5], s[6:7]
	s_cbranch_execnz .LBB929_17
	s_branch .LBB929_18
	.section	.rodata,"a",@progbits
	.p2align	6, 0x0
	.amdhsa_kernel _ZN7rocprim17ROCPRIM_400000_NS6detail17trampoline_kernelINS0_14default_configENS1_22reduce_config_selectorIiEEZNS1_11reduce_implILb1ES3_N6thrust23THRUST_200600_302600_NS6detail15normal_iteratorINS8_10device_ptrIiEEEEPii9plus_mod3IiEEE10hipError_tPvRmT1_T2_T3_mT4_P12ihipStream_tbEUlT_E0_NS1_11comp_targetILNS1_3genE0ELNS1_11target_archE4294967295ELNS1_3gpuE0ELNS1_3repE0EEENS1_30default_config_static_selectorELNS0_4arch9wavefront6targetE1EEEvSK_
		.amdhsa_group_segment_fixed_size 32
		.amdhsa_private_segment_fixed_size 0
		.amdhsa_kernarg_size 64
		.amdhsa_user_sgpr_count 2
		.amdhsa_user_sgpr_dispatch_ptr 0
		.amdhsa_user_sgpr_queue_ptr 0
		.amdhsa_user_sgpr_kernarg_segment_ptr 1
		.amdhsa_user_sgpr_dispatch_id 0
		.amdhsa_user_sgpr_kernarg_preload_length 0
		.amdhsa_user_sgpr_kernarg_preload_offset 0
		.amdhsa_user_sgpr_private_segment_size 0
		.amdhsa_uses_dynamic_stack 0
		.amdhsa_enable_private_segment 0
		.amdhsa_system_sgpr_workgroup_id_x 1
		.amdhsa_system_sgpr_workgroup_id_y 0
		.amdhsa_system_sgpr_workgroup_id_z 0
		.amdhsa_system_sgpr_workgroup_info 0
		.amdhsa_system_vgpr_workitem_id 0
		.amdhsa_next_free_vgpr 12
		.amdhsa_next_free_sgpr 21
		.amdhsa_accum_offset 12
		.amdhsa_reserve_vcc 1
		.amdhsa_float_round_mode_32 0
		.amdhsa_float_round_mode_16_64 0
		.amdhsa_float_denorm_mode_32 3
		.amdhsa_float_denorm_mode_16_64 3
		.amdhsa_dx10_clamp 1
		.amdhsa_ieee_mode 1
		.amdhsa_fp16_overflow 0
		.amdhsa_tg_split 0
		.amdhsa_exception_fp_ieee_invalid_op 0
		.amdhsa_exception_fp_denorm_src 0
		.amdhsa_exception_fp_ieee_div_zero 0
		.amdhsa_exception_fp_ieee_overflow 0
		.amdhsa_exception_fp_ieee_underflow 0
		.amdhsa_exception_fp_ieee_inexact 0
		.amdhsa_exception_int_div_zero 0
	.end_amdhsa_kernel
	.section	.text._ZN7rocprim17ROCPRIM_400000_NS6detail17trampoline_kernelINS0_14default_configENS1_22reduce_config_selectorIiEEZNS1_11reduce_implILb1ES3_N6thrust23THRUST_200600_302600_NS6detail15normal_iteratorINS8_10device_ptrIiEEEEPii9plus_mod3IiEEE10hipError_tPvRmT1_T2_T3_mT4_P12ihipStream_tbEUlT_E0_NS1_11comp_targetILNS1_3genE0ELNS1_11target_archE4294967295ELNS1_3gpuE0ELNS1_3repE0EEENS1_30default_config_static_selectorELNS0_4arch9wavefront6targetE1EEEvSK_,"axG",@progbits,_ZN7rocprim17ROCPRIM_400000_NS6detail17trampoline_kernelINS0_14default_configENS1_22reduce_config_selectorIiEEZNS1_11reduce_implILb1ES3_N6thrust23THRUST_200600_302600_NS6detail15normal_iteratorINS8_10device_ptrIiEEEEPii9plus_mod3IiEEE10hipError_tPvRmT1_T2_T3_mT4_P12ihipStream_tbEUlT_E0_NS1_11comp_targetILNS1_3genE0ELNS1_11target_archE4294967295ELNS1_3gpuE0ELNS1_3repE0EEENS1_30default_config_static_selectorELNS0_4arch9wavefront6targetE1EEEvSK_,comdat
.Lfunc_end929:
	.size	_ZN7rocprim17ROCPRIM_400000_NS6detail17trampoline_kernelINS0_14default_configENS1_22reduce_config_selectorIiEEZNS1_11reduce_implILb1ES3_N6thrust23THRUST_200600_302600_NS6detail15normal_iteratorINS8_10device_ptrIiEEEEPii9plus_mod3IiEEE10hipError_tPvRmT1_T2_T3_mT4_P12ihipStream_tbEUlT_E0_NS1_11comp_targetILNS1_3genE0ELNS1_11target_archE4294967295ELNS1_3gpuE0ELNS1_3repE0EEENS1_30default_config_static_selectorELNS0_4arch9wavefront6targetE1EEEvSK_, .Lfunc_end929-_ZN7rocprim17ROCPRIM_400000_NS6detail17trampoline_kernelINS0_14default_configENS1_22reduce_config_selectorIiEEZNS1_11reduce_implILb1ES3_N6thrust23THRUST_200600_302600_NS6detail15normal_iteratorINS8_10device_ptrIiEEEEPii9plus_mod3IiEEE10hipError_tPvRmT1_T2_T3_mT4_P12ihipStream_tbEUlT_E0_NS1_11comp_targetILNS1_3genE0ELNS1_11target_archE4294967295ELNS1_3gpuE0ELNS1_3repE0EEENS1_30default_config_static_selectorELNS0_4arch9wavefront6targetE1EEEvSK_
                                        ; -- End function
	.set _ZN7rocprim17ROCPRIM_400000_NS6detail17trampoline_kernelINS0_14default_configENS1_22reduce_config_selectorIiEEZNS1_11reduce_implILb1ES3_N6thrust23THRUST_200600_302600_NS6detail15normal_iteratorINS8_10device_ptrIiEEEEPii9plus_mod3IiEEE10hipError_tPvRmT1_T2_T3_mT4_P12ihipStream_tbEUlT_E0_NS1_11comp_targetILNS1_3genE0ELNS1_11target_archE4294967295ELNS1_3gpuE0ELNS1_3repE0EEENS1_30default_config_static_selectorELNS0_4arch9wavefront6targetE1EEEvSK_.num_vgpr, 12
	.set _ZN7rocprim17ROCPRIM_400000_NS6detail17trampoline_kernelINS0_14default_configENS1_22reduce_config_selectorIiEEZNS1_11reduce_implILb1ES3_N6thrust23THRUST_200600_302600_NS6detail15normal_iteratorINS8_10device_ptrIiEEEEPii9plus_mod3IiEEE10hipError_tPvRmT1_T2_T3_mT4_P12ihipStream_tbEUlT_E0_NS1_11comp_targetILNS1_3genE0ELNS1_11target_archE4294967295ELNS1_3gpuE0ELNS1_3repE0EEENS1_30default_config_static_selectorELNS0_4arch9wavefront6targetE1EEEvSK_.num_agpr, 0
	.set _ZN7rocprim17ROCPRIM_400000_NS6detail17trampoline_kernelINS0_14default_configENS1_22reduce_config_selectorIiEEZNS1_11reduce_implILb1ES3_N6thrust23THRUST_200600_302600_NS6detail15normal_iteratorINS8_10device_ptrIiEEEEPii9plus_mod3IiEEE10hipError_tPvRmT1_T2_T3_mT4_P12ihipStream_tbEUlT_E0_NS1_11comp_targetILNS1_3genE0ELNS1_11target_archE4294967295ELNS1_3gpuE0ELNS1_3repE0EEENS1_30default_config_static_selectorELNS0_4arch9wavefront6targetE1EEEvSK_.numbered_sgpr, 21
	.set _ZN7rocprim17ROCPRIM_400000_NS6detail17trampoline_kernelINS0_14default_configENS1_22reduce_config_selectorIiEEZNS1_11reduce_implILb1ES3_N6thrust23THRUST_200600_302600_NS6detail15normal_iteratorINS8_10device_ptrIiEEEEPii9plus_mod3IiEEE10hipError_tPvRmT1_T2_T3_mT4_P12ihipStream_tbEUlT_E0_NS1_11comp_targetILNS1_3genE0ELNS1_11target_archE4294967295ELNS1_3gpuE0ELNS1_3repE0EEENS1_30default_config_static_selectorELNS0_4arch9wavefront6targetE1EEEvSK_.num_named_barrier, 0
	.set _ZN7rocprim17ROCPRIM_400000_NS6detail17trampoline_kernelINS0_14default_configENS1_22reduce_config_selectorIiEEZNS1_11reduce_implILb1ES3_N6thrust23THRUST_200600_302600_NS6detail15normal_iteratorINS8_10device_ptrIiEEEEPii9plus_mod3IiEEE10hipError_tPvRmT1_T2_T3_mT4_P12ihipStream_tbEUlT_E0_NS1_11comp_targetILNS1_3genE0ELNS1_11target_archE4294967295ELNS1_3gpuE0ELNS1_3repE0EEENS1_30default_config_static_selectorELNS0_4arch9wavefront6targetE1EEEvSK_.private_seg_size, 0
	.set _ZN7rocprim17ROCPRIM_400000_NS6detail17trampoline_kernelINS0_14default_configENS1_22reduce_config_selectorIiEEZNS1_11reduce_implILb1ES3_N6thrust23THRUST_200600_302600_NS6detail15normal_iteratorINS8_10device_ptrIiEEEEPii9plus_mod3IiEEE10hipError_tPvRmT1_T2_T3_mT4_P12ihipStream_tbEUlT_E0_NS1_11comp_targetILNS1_3genE0ELNS1_11target_archE4294967295ELNS1_3gpuE0ELNS1_3repE0EEENS1_30default_config_static_selectorELNS0_4arch9wavefront6targetE1EEEvSK_.uses_vcc, 1
	.set _ZN7rocprim17ROCPRIM_400000_NS6detail17trampoline_kernelINS0_14default_configENS1_22reduce_config_selectorIiEEZNS1_11reduce_implILb1ES3_N6thrust23THRUST_200600_302600_NS6detail15normal_iteratorINS8_10device_ptrIiEEEEPii9plus_mod3IiEEE10hipError_tPvRmT1_T2_T3_mT4_P12ihipStream_tbEUlT_E0_NS1_11comp_targetILNS1_3genE0ELNS1_11target_archE4294967295ELNS1_3gpuE0ELNS1_3repE0EEENS1_30default_config_static_selectorELNS0_4arch9wavefront6targetE1EEEvSK_.uses_flat_scratch, 0
	.set _ZN7rocprim17ROCPRIM_400000_NS6detail17trampoline_kernelINS0_14default_configENS1_22reduce_config_selectorIiEEZNS1_11reduce_implILb1ES3_N6thrust23THRUST_200600_302600_NS6detail15normal_iteratorINS8_10device_ptrIiEEEEPii9plus_mod3IiEEE10hipError_tPvRmT1_T2_T3_mT4_P12ihipStream_tbEUlT_E0_NS1_11comp_targetILNS1_3genE0ELNS1_11target_archE4294967295ELNS1_3gpuE0ELNS1_3repE0EEENS1_30default_config_static_selectorELNS0_4arch9wavefront6targetE1EEEvSK_.has_dyn_sized_stack, 0
	.set _ZN7rocprim17ROCPRIM_400000_NS6detail17trampoline_kernelINS0_14default_configENS1_22reduce_config_selectorIiEEZNS1_11reduce_implILb1ES3_N6thrust23THRUST_200600_302600_NS6detail15normal_iteratorINS8_10device_ptrIiEEEEPii9plus_mod3IiEEE10hipError_tPvRmT1_T2_T3_mT4_P12ihipStream_tbEUlT_E0_NS1_11comp_targetILNS1_3genE0ELNS1_11target_archE4294967295ELNS1_3gpuE0ELNS1_3repE0EEENS1_30default_config_static_selectorELNS0_4arch9wavefront6targetE1EEEvSK_.has_recursion, 0
	.set _ZN7rocprim17ROCPRIM_400000_NS6detail17trampoline_kernelINS0_14default_configENS1_22reduce_config_selectorIiEEZNS1_11reduce_implILb1ES3_N6thrust23THRUST_200600_302600_NS6detail15normal_iteratorINS8_10device_ptrIiEEEEPii9plus_mod3IiEEE10hipError_tPvRmT1_T2_T3_mT4_P12ihipStream_tbEUlT_E0_NS1_11comp_targetILNS1_3genE0ELNS1_11target_archE4294967295ELNS1_3gpuE0ELNS1_3repE0EEENS1_30default_config_static_selectorELNS0_4arch9wavefront6targetE1EEEvSK_.has_indirect_call, 0
	.section	.AMDGPU.csdata,"",@progbits
; Kernel info:
; codeLenInByte = 1944
; TotalNumSgprs: 27
; NumVgprs: 12
; NumAgprs: 0
; TotalNumVgprs: 12
; ScratchSize: 0
; MemoryBound: 0
; FloatMode: 240
; IeeeMode: 1
; LDSByteSize: 32 bytes/workgroup (compile time only)
; SGPRBlocks: 3
; VGPRBlocks: 1
; NumSGPRsForWavesPerEU: 27
; NumVGPRsForWavesPerEU: 12
; AccumOffset: 12
; Occupancy: 8
; WaveLimiterHint : 1
; COMPUTE_PGM_RSRC2:SCRATCH_EN: 0
; COMPUTE_PGM_RSRC2:USER_SGPR: 2
; COMPUTE_PGM_RSRC2:TRAP_HANDLER: 0
; COMPUTE_PGM_RSRC2:TGID_X_EN: 1
; COMPUTE_PGM_RSRC2:TGID_Y_EN: 0
; COMPUTE_PGM_RSRC2:TGID_Z_EN: 0
; COMPUTE_PGM_RSRC2:TIDIG_COMP_CNT: 0
; COMPUTE_PGM_RSRC3_GFX90A:ACCUM_OFFSET: 2
; COMPUTE_PGM_RSRC3_GFX90A:TG_SPLIT: 0
	.section	.text._ZN7rocprim17ROCPRIM_400000_NS6detail17trampoline_kernelINS0_14default_configENS1_22reduce_config_selectorIiEEZNS1_11reduce_implILb1ES3_N6thrust23THRUST_200600_302600_NS6detail15normal_iteratorINS8_10device_ptrIiEEEEPii9plus_mod3IiEEE10hipError_tPvRmT1_T2_T3_mT4_P12ihipStream_tbEUlT_E0_NS1_11comp_targetILNS1_3genE5ELNS1_11target_archE942ELNS1_3gpuE9ELNS1_3repE0EEENS1_30default_config_static_selectorELNS0_4arch9wavefront6targetE1EEEvSK_,"axG",@progbits,_ZN7rocprim17ROCPRIM_400000_NS6detail17trampoline_kernelINS0_14default_configENS1_22reduce_config_selectorIiEEZNS1_11reduce_implILb1ES3_N6thrust23THRUST_200600_302600_NS6detail15normal_iteratorINS8_10device_ptrIiEEEEPii9plus_mod3IiEEE10hipError_tPvRmT1_T2_T3_mT4_P12ihipStream_tbEUlT_E0_NS1_11comp_targetILNS1_3genE5ELNS1_11target_archE942ELNS1_3gpuE9ELNS1_3repE0EEENS1_30default_config_static_selectorELNS0_4arch9wavefront6targetE1EEEvSK_,comdat
	.protected	_ZN7rocprim17ROCPRIM_400000_NS6detail17trampoline_kernelINS0_14default_configENS1_22reduce_config_selectorIiEEZNS1_11reduce_implILb1ES3_N6thrust23THRUST_200600_302600_NS6detail15normal_iteratorINS8_10device_ptrIiEEEEPii9plus_mod3IiEEE10hipError_tPvRmT1_T2_T3_mT4_P12ihipStream_tbEUlT_E0_NS1_11comp_targetILNS1_3genE5ELNS1_11target_archE942ELNS1_3gpuE9ELNS1_3repE0EEENS1_30default_config_static_selectorELNS0_4arch9wavefront6targetE1EEEvSK_ ; -- Begin function _ZN7rocprim17ROCPRIM_400000_NS6detail17trampoline_kernelINS0_14default_configENS1_22reduce_config_selectorIiEEZNS1_11reduce_implILb1ES3_N6thrust23THRUST_200600_302600_NS6detail15normal_iteratorINS8_10device_ptrIiEEEEPii9plus_mod3IiEEE10hipError_tPvRmT1_T2_T3_mT4_P12ihipStream_tbEUlT_E0_NS1_11comp_targetILNS1_3genE5ELNS1_11target_archE942ELNS1_3gpuE9ELNS1_3repE0EEENS1_30default_config_static_selectorELNS0_4arch9wavefront6targetE1EEEvSK_
	.globl	_ZN7rocprim17ROCPRIM_400000_NS6detail17trampoline_kernelINS0_14default_configENS1_22reduce_config_selectorIiEEZNS1_11reduce_implILb1ES3_N6thrust23THRUST_200600_302600_NS6detail15normal_iteratorINS8_10device_ptrIiEEEEPii9plus_mod3IiEEE10hipError_tPvRmT1_T2_T3_mT4_P12ihipStream_tbEUlT_E0_NS1_11comp_targetILNS1_3genE5ELNS1_11target_archE942ELNS1_3gpuE9ELNS1_3repE0EEENS1_30default_config_static_selectorELNS0_4arch9wavefront6targetE1EEEvSK_
	.p2align	8
	.type	_ZN7rocprim17ROCPRIM_400000_NS6detail17trampoline_kernelINS0_14default_configENS1_22reduce_config_selectorIiEEZNS1_11reduce_implILb1ES3_N6thrust23THRUST_200600_302600_NS6detail15normal_iteratorINS8_10device_ptrIiEEEEPii9plus_mod3IiEEE10hipError_tPvRmT1_T2_T3_mT4_P12ihipStream_tbEUlT_E0_NS1_11comp_targetILNS1_3genE5ELNS1_11target_archE942ELNS1_3gpuE9ELNS1_3repE0EEENS1_30default_config_static_selectorELNS0_4arch9wavefront6targetE1EEEvSK_,@function
_ZN7rocprim17ROCPRIM_400000_NS6detail17trampoline_kernelINS0_14default_configENS1_22reduce_config_selectorIiEEZNS1_11reduce_implILb1ES3_N6thrust23THRUST_200600_302600_NS6detail15normal_iteratorINS8_10device_ptrIiEEEEPii9plus_mod3IiEEE10hipError_tPvRmT1_T2_T3_mT4_P12ihipStream_tbEUlT_E0_NS1_11comp_targetILNS1_3genE5ELNS1_11target_archE942ELNS1_3gpuE9ELNS1_3repE0EEENS1_30default_config_static_selectorELNS0_4arch9wavefront6targetE1EEEvSK_: ; @_ZN7rocprim17ROCPRIM_400000_NS6detail17trampoline_kernelINS0_14default_configENS1_22reduce_config_selectorIiEEZNS1_11reduce_implILb1ES3_N6thrust23THRUST_200600_302600_NS6detail15normal_iteratorINS8_10device_ptrIiEEEEPii9plus_mod3IiEEE10hipError_tPvRmT1_T2_T3_mT4_P12ihipStream_tbEUlT_E0_NS1_11comp_targetILNS1_3genE5ELNS1_11target_archE942ELNS1_3gpuE9ELNS1_3repE0EEENS1_30default_config_static_selectorELNS0_4arch9wavefront6targetE1EEEvSK_
; %bb.0:
	.section	.rodata,"a",@progbits
	.p2align	6, 0x0
	.amdhsa_kernel _ZN7rocprim17ROCPRIM_400000_NS6detail17trampoline_kernelINS0_14default_configENS1_22reduce_config_selectorIiEEZNS1_11reduce_implILb1ES3_N6thrust23THRUST_200600_302600_NS6detail15normal_iteratorINS8_10device_ptrIiEEEEPii9plus_mod3IiEEE10hipError_tPvRmT1_T2_T3_mT4_P12ihipStream_tbEUlT_E0_NS1_11comp_targetILNS1_3genE5ELNS1_11target_archE942ELNS1_3gpuE9ELNS1_3repE0EEENS1_30default_config_static_selectorELNS0_4arch9wavefront6targetE1EEEvSK_
		.amdhsa_group_segment_fixed_size 0
		.amdhsa_private_segment_fixed_size 0
		.amdhsa_kernarg_size 64
		.amdhsa_user_sgpr_count 2
		.amdhsa_user_sgpr_dispatch_ptr 0
		.amdhsa_user_sgpr_queue_ptr 0
		.amdhsa_user_sgpr_kernarg_segment_ptr 1
		.amdhsa_user_sgpr_dispatch_id 0
		.amdhsa_user_sgpr_kernarg_preload_length 0
		.amdhsa_user_sgpr_kernarg_preload_offset 0
		.amdhsa_user_sgpr_private_segment_size 0
		.amdhsa_uses_dynamic_stack 0
		.amdhsa_enable_private_segment 0
		.amdhsa_system_sgpr_workgroup_id_x 1
		.amdhsa_system_sgpr_workgroup_id_y 0
		.amdhsa_system_sgpr_workgroup_id_z 0
		.amdhsa_system_sgpr_workgroup_info 0
		.amdhsa_system_vgpr_workitem_id 0
		.amdhsa_next_free_vgpr 1
		.amdhsa_next_free_sgpr 0
		.amdhsa_accum_offset 4
		.amdhsa_reserve_vcc 0
		.amdhsa_float_round_mode_32 0
		.amdhsa_float_round_mode_16_64 0
		.amdhsa_float_denorm_mode_32 3
		.amdhsa_float_denorm_mode_16_64 3
		.amdhsa_dx10_clamp 1
		.amdhsa_ieee_mode 1
		.amdhsa_fp16_overflow 0
		.amdhsa_tg_split 0
		.amdhsa_exception_fp_ieee_invalid_op 0
		.amdhsa_exception_fp_denorm_src 0
		.amdhsa_exception_fp_ieee_div_zero 0
		.amdhsa_exception_fp_ieee_overflow 0
		.amdhsa_exception_fp_ieee_underflow 0
		.amdhsa_exception_fp_ieee_inexact 0
		.amdhsa_exception_int_div_zero 0
	.end_amdhsa_kernel
	.section	.text._ZN7rocprim17ROCPRIM_400000_NS6detail17trampoline_kernelINS0_14default_configENS1_22reduce_config_selectorIiEEZNS1_11reduce_implILb1ES3_N6thrust23THRUST_200600_302600_NS6detail15normal_iteratorINS8_10device_ptrIiEEEEPii9plus_mod3IiEEE10hipError_tPvRmT1_T2_T3_mT4_P12ihipStream_tbEUlT_E0_NS1_11comp_targetILNS1_3genE5ELNS1_11target_archE942ELNS1_3gpuE9ELNS1_3repE0EEENS1_30default_config_static_selectorELNS0_4arch9wavefront6targetE1EEEvSK_,"axG",@progbits,_ZN7rocprim17ROCPRIM_400000_NS6detail17trampoline_kernelINS0_14default_configENS1_22reduce_config_selectorIiEEZNS1_11reduce_implILb1ES3_N6thrust23THRUST_200600_302600_NS6detail15normal_iteratorINS8_10device_ptrIiEEEEPii9plus_mod3IiEEE10hipError_tPvRmT1_T2_T3_mT4_P12ihipStream_tbEUlT_E0_NS1_11comp_targetILNS1_3genE5ELNS1_11target_archE942ELNS1_3gpuE9ELNS1_3repE0EEENS1_30default_config_static_selectorELNS0_4arch9wavefront6targetE1EEEvSK_,comdat
.Lfunc_end930:
	.size	_ZN7rocprim17ROCPRIM_400000_NS6detail17trampoline_kernelINS0_14default_configENS1_22reduce_config_selectorIiEEZNS1_11reduce_implILb1ES3_N6thrust23THRUST_200600_302600_NS6detail15normal_iteratorINS8_10device_ptrIiEEEEPii9plus_mod3IiEEE10hipError_tPvRmT1_T2_T3_mT4_P12ihipStream_tbEUlT_E0_NS1_11comp_targetILNS1_3genE5ELNS1_11target_archE942ELNS1_3gpuE9ELNS1_3repE0EEENS1_30default_config_static_selectorELNS0_4arch9wavefront6targetE1EEEvSK_, .Lfunc_end930-_ZN7rocprim17ROCPRIM_400000_NS6detail17trampoline_kernelINS0_14default_configENS1_22reduce_config_selectorIiEEZNS1_11reduce_implILb1ES3_N6thrust23THRUST_200600_302600_NS6detail15normal_iteratorINS8_10device_ptrIiEEEEPii9plus_mod3IiEEE10hipError_tPvRmT1_T2_T3_mT4_P12ihipStream_tbEUlT_E0_NS1_11comp_targetILNS1_3genE5ELNS1_11target_archE942ELNS1_3gpuE9ELNS1_3repE0EEENS1_30default_config_static_selectorELNS0_4arch9wavefront6targetE1EEEvSK_
                                        ; -- End function
	.set _ZN7rocprim17ROCPRIM_400000_NS6detail17trampoline_kernelINS0_14default_configENS1_22reduce_config_selectorIiEEZNS1_11reduce_implILb1ES3_N6thrust23THRUST_200600_302600_NS6detail15normal_iteratorINS8_10device_ptrIiEEEEPii9plus_mod3IiEEE10hipError_tPvRmT1_T2_T3_mT4_P12ihipStream_tbEUlT_E0_NS1_11comp_targetILNS1_3genE5ELNS1_11target_archE942ELNS1_3gpuE9ELNS1_3repE0EEENS1_30default_config_static_selectorELNS0_4arch9wavefront6targetE1EEEvSK_.num_vgpr, 0
	.set _ZN7rocprim17ROCPRIM_400000_NS6detail17trampoline_kernelINS0_14default_configENS1_22reduce_config_selectorIiEEZNS1_11reduce_implILb1ES3_N6thrust23THRUST_200600_302600_NS6detail15normal_iteratorINS8_10device_ptrIiEEEEPii9plus_mod3IiEEE10hipError_tPvRmT1_T2_T3_mT4_P12ihipStream_tbEUlT_E0_NS1_11comp_targetILNS1_3genE5ELNS1_11target_archE942ELNS1_3gpuE9ELNS1_3repE0EEENS1_30default_config_static_selectorELNS0_4arch9wavefront6targetE1EEEvSK_.num_agpr, 0
	.set _ZN7rocprim17ROCPRIM_400000_NS6detail17trampoline_kernelINS0_14default_configENS1_22reduce_config_selectorIiEEZNS1_11reduce_implILb1ES3_N6thrust23THRUST_200600_302600_NS6detail15normal_iteratorINS8_10device_ptrIiEEEEPii9plus_mod3IiEEE10hipError_tPvRmT1_T2_T3_mT4_P12ihipStream_tbEUlT_E0_NS1_11comp_targetILNS1_3genE5ELNS1_11target_archE942ELNS1_3gpuE9ELNS1_3repE0EEENS1_30default_config_static_selectorELNS0_4arch9wavefront6targetE1EEEvSK_.numbered_sgpr, 0
	.set _ZN7rocprim17ROCPRIM_400000_NS6detail17trampoline_kernelINS0_14default_configENS1_22reduce_config_selectorIiEEZNS1_11reduce_implILb1ES3_N6thrust23THRUST_200600_302600_NS6detail15normal_iteratorINS8_10device_ptrIiEEEEPii9plus_mod3IiEEE10hipError_tPvRmT1_T2_T3_mT4_P12ihipStream_tbEUlT_E0_NS1_11comp_targetILNS1_3genE5ELNS1_11target_archE942ELNS1_3gpuE9ELNS1_3repE0EEENS1_30default_config_static_selectorELNS0_4arch9wavefront6targetE1EEEvSK_.num_named_barrier, 0
	.set _ZN7rocprim17ROCPRIM_400000_NS6detail17trampoline_kernelINS0_14default_configENS1_22reduce_config_selectorIiEEZNS1_11reduce_implILb1ES3_N6thrust23THRUST_200600_302600_NS6detail15normal_iteratorINS8_10device_ptrIiEEEEPii9plus_mod3IiEEE10hipError_tPvRmT1_T2_T3_mT4_P12ihipStream_tbEUlT_E0_NS1_11comp_targetILNS1_3genE5ELNS1_11target_archE942ELNS1_3gpuE9ELNS1_3repE0EEENS1_30default_config_static_selectorELNS0_4arch9wavefront6targetE1EEEvSK_.private_seg_size, 0
	.set _ZN7rocprim17ROCPRIM_400000_NS6detail17trampoline_kernelINS0_14default_configENS1_22reduce_config_selectorIiEEZNS1_11reduce_implILb1ES3_N6thrust23THRUST_200600_302600_NS6detail15normal_iteratorINS8_10device_ptrIiEEEEPii9plus_mod3IiEEE10hipError_tPvRmT1_T2_T3_mT4_P12ihipStream_tbEUlT_E0_NS1_11comp_targetILNS1_3genE5ELNS1_11target_archE942ELNS1_3gpuE9ELNS1_3repE0EEENS1_30default_config_static_selectorELNS0_4arch9wavefront6targetE1EEEvSK_.uses_vcc, 0
	.set _ZN7rocprim17ROCPRIM_400000_NS6detail17trampoline_kernelINS0_14default_configENS1_22reduce_config_selectorIiEEZNS1_11reduce_implILb1ES3_N6thrust23THRUST_200600_302600_NS6detail15normal_iteratorINS8_10device_ptrIiEEEEPii9plus_mod3IiEEE10hipError_tPvRmT1_T2_T3_mT4_P12ihipStream_tbEUlT_E0_NS1_11comp_targetILNS1_3genE5ELNS1_11target_archE942ELNS1_3gpuE9ELNS1_3repE0EEENS1_30default_config_static_selectorELNS0_4arch9wavefront6targetE1EEEvSK_.uses_flat_scratch, 0
	.set _ZN7rocprim17ROCPRIM_400000_NS6detail17trampoline_kernelINS0_14default_configENS1_22reduce_config_selectorIiEEZNS1_11reduce_implILb1ES3_N6thrust23THRUST_200600_302600_NS6detail15normal_iteratorINS8_10device_ptrIiEEEEPii9plus_mod3IiEEE10hipError_tPvRmT1_T2_T3_mT4_P12ihipStream_tbEUlT_E0_NS1_11comp_targetILNS1_3genE5ELNS1_11target_archE942ELNS1_3gpuE9ELNS1_3repE0EEENS1_30default_config_static_selectorELNS0_4arch9wavefront6targetE1EEEvSK_.has_dyn_sized_stack, 0
	.set _ZN7rocprim17ROCPRIM_400000_NS6detail17trampoline_kernelINS0_14default_configENS1_22reduce_config_selectorIiEEZNS1_11reduce_implILb1ES3_N6thrust23THRUST_200600_302600_NS6detail15normal_iteratorINS8_10device_ptrIiEEEEPii9plus_mod3IiEEE10hipError_tPvRmT1_T2_T3_mT4_P12ihipStream_tbEUlT_E0_NS1_11comp_targetILNS1_3genE5ELNS1_11target_archE942ELNS1_3gpuE9ELNS1_3repE0EEENS1_30default_config_static_selectorELNS0_4arch9wavefront6targetE1EEEvSK_.has_recursion, 0
	.set _ZN7rocprim17ROCPRIM_400000_NS6detail17trampoline_kernelINS0_14default_configENS1_22reduce_config_selectorIiEEZNS1_11reduce_implILb1ES3_N6thrust23THRUST_200600_302600_NS6detail15normal_iteratorINS8_10device_ptrIiEEEEPii9plus_mod3IiEEE10hipError_tPvRmT1_T2_T3_mT4_P12ihipStream_tbEUlT_E0_NS1_11comp_targetILNS1_3genE5ELNS1_11target_archE942ELNS1_3gpuE9ELNS1_3repE0EEENS1_30default_config_static_selectorELNS0_4arch9wavefront6targetE1EEEvSK_.has_indirect_call, 0
	.section	.AMDGPU.csdata,"",@progbits
; Kernel info:
; codeLenInByte = 0
; TotalNumSgprs: 6
; NumVgprs: 0
; NumAgprs: 0
; TotalNumVgprs: 0
; ScratchSize: 0
; MemoryBound: 0
; FloatMode: 240
; IeeeMode: 1
; LDSByteSize: 0 bytes/workgroup (compile time only)
; SGPRBlocks: 0
; VGPRBlocks: 0
; NumSGPRsForWavesPerEU: 6
; NumVGPRsForWavesPerEU: 1
; AccumOffset: 4
; Occupancy: 8
; WaveLimiterHint : 0
; COMPUTE_PGM_RSRC2:SCRATCH_EN: 0
; COMPUTE_PGM_RSRC2:USER_SGPR: 2
; COMPUTE_PGM_RSRC2:TRAP_HANDLER: 0
; COMPUTE_PGM_RSRC2:TGID_X_EN: 1
; COMPUTE_PGM_RSRC2:TGID_Y_EN: 0
; COMPUTE_PGM_RSRC2:TGID_Z_EN: 0
; COMPUTE_PGM_RSRC2:TIDIG_COMP_CNT: 0
; COMPUTE_PGM_RSRC3_GFX90A:ACCUM_OFFSET: 0
; COMPUTE_PGM_RSRC3_GFX90A:TG_SPLIT: 0
	.section	.text._ZN7rocprim17ROCPRIM_400000_NS6detail17trampoline_kernelINS0_14default_configENS1_22reduce_config_selectorIiEEZNS1_11reduce_implILb1ES3_N6thrust23THRUST_200600_302600_NS6detail15normal_iteratorINS8_10device_ptrIiEEEEPii9plus_mod3IiEEE10hipError_tPvRmT1_T2_T3_mT4_P12ihipStream_tbEUlT_E0_NS1_11comp_targetILNS1_3genE4ELNS1_11target_archE910ELNS1_3gpuE8ELNS1_3repE0EEENS1_30default_config_static_selectorELNS0_4arch9wavefront6targetE1EEEvSK_,"axG",@progbits,_ZN7rocprim17ROCPRIM_400000_NS6detail17trampoline_kernelINS0_14default_configENS1_22reduce_config_selectorIiEEZNS1_11reduce_implILb1ES3_N6thrust23THRUST_200600_302600_NS6detail15normal_iteratorINS8_10device_ptrIiEEEEPii9plus_mod3IiEEE10hipError_tPvRmT1_T2_T3_mT4_P12ihipStream_tbEUlT_E0_NS1_11comp_targetILNS1_3genE4ELNS1_11target_archE910ELNS1_3gpuE8ELNS1_3repE0EEENS1_30default_config_static_selectorELNS0_4arch9wavefront6targetE1EEEvSK_,comdat
	.protected	_ZN7rocprim17ROCPRIM_400000_NS6detail17trampoline_kernelINS0_14default_configENS1_22reduce_config_selectorIiEEZNS1_11reduce_implILb1ES3_N6thrust23THRUST_200600_302600_NS6detail15normal_iteratorINS8_10device_ptrIiEEEEPii9plus_mod3IiEEE10hipError_tPvRmT1_T2_T3_mT4_P12ihipStream_tbEUlT_E0_NS1_11comp_targetILNS1_3genE4ELNS1_11target_archE910ELNS1_3gpuE8ELNS1_3repE0EEENS1_30default_config_static_selectorELNS0_4arch9wavefront6targetE1EEEvSK_ ; -- Begin function _ZN7rocprim17ROCPRIM_400000_NS6detail17trampoline_kernelINS0_14default_configENS1_22reduce_config_selectorIiEEZNS1_11reduce_implILb1ES3_N6thrust23THRUST_200600_302600_NS6detail15normal_iteratorINS8_10device_ptrIiEEEEPii9plus_mod3IiEEE10hipError_tPvRmT1_T2_T3_mT4_P12ihipStream_tbEUlT_E0_NS1_11comp_targetILNS1_3genE4ELNS1_11target_archE910ELNS1_3gpuE8ELNS1_3repE0EEENS1_30default_config_static_selectorELNS0_4arch9wavefront6targetE1EEEvSK_
	.globl	_ZN7rocprim17ROCPRIM_400000_NS6detail17trampoline_kernelINS0_14default_configENS1_22reduce_config_selectorIiEEZNS1_11reduce_implILb1ES3_N6thrust23THRUST_200600_302600_NS6detail15normal_iteratorINS8_10device_ptrIiEEEEPii9plus_mod3IiEEE10hipError_tPvRmT1_T2_T3_mT4_P12ihipStream_tbEUlT_E0_NS1_11comp_targetILNS1_3genE4ELNS1_11target_archE910ELNS1_3gpuE8ELNS1_3repE0EEENS1_30default_config_static_selectorELNS0_4arch9wavefront6targetE1EEEvSK_
	.p2align	8
	.type	_ZN7rocprim17ROCPRIM_400000_NS6detail17trampoline_kernelINS0_14default_configENS1_22reduce_config_selectorIiEEZNS1_11reduce_implILb1ES3_N6thrust23THRUST_200600_302600_NS6detail15normal_iteratorINS8_10device_ptrIiEEEEPii9plus_mod3IiEEE10hipError_tPvRmT1_T2_T3_mT4_P12ihipStream_tbEUlT_E0_NS1_11comp_targetILNS1_3genE4ELNS1_11target_archE910ELNS1_3gpuE8ELNS1_3repE0EEENS1_30default_config_static_selectorELNS0_4arch9wavefront6targetE1EEEvSK_,@function
_ZN7rocprim17ROCPRIM_400000_NS6detail17trampoline_kernelINS0_14default_configENS1_22reduce_config_selectorIiEEZNS1_11reduce_implILb1ES3_N6thrust23THRUST_200600_302600_NS6detail15normal_iteratorINS8_10device_ptrIiEEEEPii9plus_mod3IiEEE10hipError_tPvRmT1_T2_T3_mT4_P12ihipStream_tbEUlT_E0_NS1_11comp_targetILNS1_3genE4ELNS1_11target_archE910ELNS1_3gpuE8ELNS1_3repE0EEENS1_30default_config_static_selectorELNS0_4arch9wavefront6targetE1EEEvSK_: ; @_ZN7rocprim17ROCPRIM_400000_NS6detail17trampoline_kernelINS0_14default_configENS1_22reduce_config_selectorIiEEZNS1_11reduce_implILb1ES3_N6thrust23THRUST_200600_302600_NS6detail15normal_iteratorINS8_10device_ptrIiEEEEPii9plus_mod3IiEEE10hipError_tPvRmT1_T2_T3_mT4_P12ihipStream_tbEUlT_E0_NS1_11comp_targetILNS1_3genE4ELNS1_11target_archE910ELNS1_3gpuE8ELNS1_3repE0EEENS1_30default_config_static_selectorELNS0_4arch9wavefront6targetE1EEEvSK_
; %bb.0:
	.section	.rodata,"a",@progbits
	.p2align	6, 0x0
	.amdhsa_kernel _ZN7rocprim17ROCPRIM_400000_NS6detail17trampoline_kernelINS0_14default_configENS1_22reduce_config_selectorIiEEZNS1_11reduce_implILb1ES3_N6thrust23THRUST_200600_302600_NS6detail15normal_iteratorINS8_10device_ptrIiEEEEPii9plus_mod3IiEEE10hipError_tPvRmT1_T2_T3_mT4_P12ihipStream_tbEUlT_E0_NS1_11comp_targetILNS1_3genE4ELNS1_11target_archE910ELNS1_3gpuE8ELNS1_3repE0EEENS1_30default_config_static_selectorELNS0_4arch9wavefront6targetE1EEEvSK_
		.amdhsa_group_segment_fixed_size 0
		.amdhsa_private_segment_fixed_size 0
		.amdhsa_kernarg_size 64
		.amdhsa_user_sgpr_count 2
		.amdhsa_user_sgpr_dispatch_ptr 0
		.amdhsa_user_sgpr_queue_ptr 0
		.amdhsa_user_sgpr_kernarg_segment_ptr 1
		.amdhsa_user_sgpr_dispatch_id 0
		.amdhsa_user_sgpr_kernarg_preload_length 0
		.amdhsa_user_sgpr_kernarg_preload_offset 0
		.amdhsa_user_sgpr_private_segment_size 0
		.amdhsa_uses_dynamic_stack 0
		.amdhsa_enable_private_segment 0
		.amdhsa_system_sgpr_workgroup_id_x 1
		.amdhsa_system_sgpr_workgroup_id_y 0
		.amdhsa_system_sgpr_workgroup_id_z 0
		.amdhsa_system_sgpr_workgroup_info 0
		.amdhsa_system_vgpr_workitem_id 0
		.amdhsa_next_free_vgpr 1
		.amdhsa_next_free_sgpr 0
		.amdhsa_accum_offset 4
		.amdhsa_reserve_vcc 0
		.amdhsa_float_round_mode_32 0
		.amdhsa_float_round_mode_16_64 0
		.amdhsa_float_denorm_mode_32 3
		.amdhsa_float_denorm_mode_16_64 3
		.amdhsa_dx10_clamp 1
		.amdhsa_ieee_mode 1
		.amdhsa_fp16_overflow 0
		.amdhsa_tg_split 0
		.amdhsa_exception_fp_ieee_invalid_op 0
		.amdhsa_exception_fp_denorm_src 0
		.amdhsa_exception_fp_ieee_div_zero 0
		.amdhsa_exception_fp_ieee_overflow 0
		.amdhsa_exception_fp_ieee_underflow 0
		.amdhsa_exception_fp_ieee_inexact 0
		.amdhsa_exception_int_div_zero 0
	.end_amdhsa_kernel
	.section	.text._ZN7rocprim17ROCPRIM_400000_NS6detail17trampoline_kernelINS0_14default_configENS1_22reduce_config_selectorIiEEZNS1_11reduce_implILb1ES3_N6thrust23THRUST_200600_302600_NS6detail15normal_iteratorINS8_10device_ptrIiEEEEPii9plus_mod3IiEEE10hipError_tPvRmT1_T2_T3_mT4_P12ihipStream_tbEUlT_E0_NS1_11comp_targetILNS1_3genE4ELNS1_11target_archE910ELNS1_3gpuE8ELNS1_3repE0EEENS1_30default_config_static_selectorELNS0_4arch9wavefront6targetE1EEEvSK_,"axG",@progbits,_ZN7rocprim17ROCPRIM_400000_NS6detail17trampoline_kernelINS0_14default_configENS1_22reduce_config_selectorIiEEZNS1_11reduce_implILb1ES3_N6thrust23THRUST_200600_302600_NS6detail15normal_iteratorINS8_10device_ptrIiEEEEPii9plus_mod3IiEEE10hipError_tPvRmT1_T2_T3_mT4_P12ihipStream_tbEUlT_E0_NS1_11comp_targetILNS1_3genE4ELNS1_11target_archE910ELNS1_3gpuE8ELNS1_3repE0EEENS1_30default_config_static_selectorELNS0_4arch9wavefront6targetE1EEEvSK_,comdat
.Lfunc_end931:
	.size	_ZN7rocprim17ROCPRIM_400000_NS6detail17trampoline_kernelINS0_14default_configENS1_22reduce_config_selectorIiEEZNS1_11reduce_implILb1ES3_N6thrust23THRUST_200600_302600_NS6detail15normal_iteratorINS8_10device_ptrIiEEEEPii9plus_mod3IiEEE10hipError_tPvRmT1_T2_T3_mT4_P12ihipStream_tbEUlT_E0_NS1_11comp_targetILNS1_3genE4ELNS1_11target_archE910ELNS1_3gpuE8ELNS1_3repE0EEENS1_30default_config_static_selectorELNS0_4arch9wavefront6targetE1EEEvSK_, .Lfunc_end931-_ZN7rocprim17ROCPRIM_400000_NS6detail17trampoline_kernelINS0_14default_configENS1_22reduce_config_selectorIiEEZNS1_11reduce_implILb1ES3_N6thrust23THRUST_200600_302600_NS6detail15normal_iteratorINS8_10device_ptrIiEEEEPii9plus_mod3IiEEE10hipError_tPvRmT1_T2_T3_mT4_P12ihipStream_tbEUlT_E0_NS1_11comp_targetILNS1_3genE4ELNS1_11target_archE910ELNS1_3gpuE8ELNS1_3repE0EEENS1_30default_config_static_selectorELNS0_4arch9wavefront6targetE1EEEvSK_
                                        ; -- End function
	.set _ZN7rocprim17ROCPRIM_400000_NS6detail17trampoline_kernelINS0_14default_configENS1_22reduce_config_selectorIiEEZNS1_11reduce_implILb1ES3_N6thrust23THRUST_200600_302600_NS6detail15normal_iteratorINS8_10device_ptrIiEEEEPii9plus_mod3IiEEE10hipError_tPvRmT1_T2_T3_mT4_P12ihipStream_tbEUlT_E0_NS1_11comp_targetILNS1_3genE4ELNS1_11target_archE910ELNS1_3gpuE8ELNS1_3repE0EEENS1_30default_config_static_selectorELNS0_4arch9wavefront6targetE1EEEvSK_.num_vgpr, 0
	.set _ZN7rocprim17ROCPRIM_400000_NS6detail17trampoline_kernelINS0_14default_configENS1_22reduce_config_selectorIiEEZNS1_11reduce_implILb1ES3_N6thrust23THRUST_200600_302600_NS6detail15normal_iteratorINS8_10device_ptrIiEEEEPii9plus_mod3IiEEE10hipError_tPvRmT1_T2_T3_mT4_P12ihipStream_tbEUlT_E0_NS1_11comp_targetILNS1_3genE4ELNS1_11target_archE910ELNS1_3gpuE8ELNS1_3repE0EEENS1_30default_config_static_selectorELNS0_4arch9wavefront6targetE1EEEvSK_.num_agpr, 0
	.set _ZN7rocprim17ROCPRIM_400000_NS6detail17trampoline_kernelINS0_14default_configENS1_22reduce_config_selectorIiEEZNS1_11reduce_implILb1ES3_N6thrust23THRUST_200600_302600_NS6detail15normal_iteratorINS8_10device_ptrIiEEEEPii9plus_mod3IiEEE10hipError_tPvRmT1_T2_T3_mT4_P12ihipStream_tbEUlT_E0_NS1_11comp_targetILNS1_3genE4ELNS1_11target_archE910ELNS1_3gpuE8ELNS1_3repE0EEENS1_30default_config_static_selectorELNS0_4arch9wavefront6targetE1EEEvSK_.numbered_sgpr, 0
	.set _ZN7rocprim17ROCPRIM_400000_NS6detail17trampoline_kernelINS0_14default_configENS1_22reduce_config_selectorIiEEZNS1_11reduce_implILb1ES3_N6thrust23THRUST_200600_302600_NS6detail15normal_iteratorINS8_10device_ptrIiEEEEPii9plus_mod3IiEEE10hipError_tPvRmT1_T2_T3_mT4_P12ihipStream_tbEUlT_E0_NS1_11comp_targetILNS1_3genE4ELNS1_11target_archE910ELNS1_3gpuE8ELNS1_3repE0EEENS1_30default_config_static_selectorELNS0_4arch9wavefront6targetE1EEEvSK_.num_named_barrier, 0
	.set _ZN7rocprim17ROCPRIM_400000_NS6detail17trampoline_kernelINS0_14default_configENS1_22reduce_config_selectorIiEEZNS1_11reduce_implILb1ES3_N6thrust23THRUST_200600_302600_NS6detail15normal_iteratorINS8_10device_ptrIiEEEEPii9plus_mod3IiEEE10hipError_tPvRmT1_T2_T3_mT4_P12ihipStream_tbEUlT_E0_NS1_11comp_targetILNS1_3genE4ELNS1_11target_archE910ELNS1_3gpuE8ELNS1_3repE0EEENS1_30default_config_static_selectorELNS0_4arch9wavefront6targetE1EEEvSK_.private_seg_size, 0
	.set _ZN7rocprim17ROCPRIM_400000_NS6detail17trampoline_kernelINS0_14default_configENS1_22reduce_config_selectorIiEEZNS1_11reduce_implILb1ES3_N6thrust23THRUST_200600_302600_NS6detail15normal_iteratorINS8_10device_ptrIiEEEEPii9plus_mod3IiEEE10hipError_tPvRmT1_T2_T3_mT4_P12ihipStream_tbEUlT_E0_NS1_11comp_targetILNS1_3genE4ELNS1_11target_archE910ELNS1_3gpuE8ELNS1_3repE0EEENS1_30default_config_static_selectorELNS0_4arch9wavefront6targetE1EEEvSK_.uses_vcc, 0
	.set _ZN7rocprim17ROCPRIM_400000_NS6detail17trampoline_kernelINS0_14default_configENS1_22reduce_config_selectorIiEEZNS1_11reduce_implILb1ES3_N6thrust23THRUST_200600_302600_NS6detail15normal_iteratorINS8_10device_ptrIiEEEEPii9plus_mod3IiEEE10hipError_tPvRmT1_T2_T3_mT4_P12ihipStream_tbEUlT_E0_NS1_11comp_targetILNS1_3genE4ELNS1_11target_archE910ELNS1_3gpuE8ELNS1_3repE0EEENS1_30default_config_static_selectorELNS0_4arch9wavefront6targetE1EEEvSK_.uses_flat_scratch, 0
	.set _ZN7rocprim17ROCPRIM_400000_NS6detail17trampoline_kernelINS0_14default_configENS1_22reduce_config_selectorIiEEZNS1_11reduce_implILb1ES3_N6thrust23THRUST_200600_302600_NS6detail15normal_iteratorINS8_10device_ptrIiEEEEPii9plus_mod3IiEEE10hipError_tPvRmT1_T2_T3_mT4_P12ihipStream_tbEUlT_E0_NS1_11comp_targetILNS1_3genE4ELNS1_11target_archE910ELNS1_3gpuE8ELNS1_3repE0EEENS1_30default_config_static_selectorELNS0_4arch9wavefront6targetE1EEEvSK_.has_dyn_sized_stack, 0
	.set _ZN7rocprim17ROCPRIM_400000_NS6detail17trampoline_kernelINS0_14default_configENS1_22reduce_config_selectorIiEEZNS1_11reduce_implILb1ES3_N6thrust23THRUST_200600_302600_NS6detail15normal_iteratorINS8_10device_ptrIiEEEEPii9plus_mod3IiEEE10hipError_tPvRmT1_T2_T3_mT4_P12ihipStream_tbEUlT_E0_NS1_11comp_targetILNS1_3genE4ELNS1_11target_archE910ELNS1_3gpuE8ELNS1_3repE0EEENS1_30default_config_static_selectorELNS0_4arch9wavefront6targetE1EEEvSK_.has_recursion, 0
	.set _ZN7rocprim17ROCPRIM_400000_NS6detail17trampoline_kernelINS0_14default_configENS1_22reduce_config_selectorIiEEZNS1_11reduce_implILb1ES3_N6thrust23THRUST_200600_302600_NS6detail15normal_iteratorINS8_10device_ptrIiEEEEPii9plus_mod3IiEEE10hipError_tPvRmT1_T2_T3_mT4_P12ihipStream_tbEUlT_E0_NS1_11comp_targetILNS1_3genE4ELNS1_11target_archE910ELNS1_3gpuE8ELNS1_3repE0EEENS1_30default_config_static_selectorELNS0_4arch9wavefront6targetE1EEEvSK_.has_indirect_call, 0
	.section	.AMDGPU.csdata,"",@progbits
; Kernel info:
; codeLenInByte = 0
; TotalNumSgprs: 6
; NumVgprs: 0
; NumAgprs: 0
; TotalNumVgprs: 0
; ScratchSize: 0
; MemoryBound: 0
; FloatMode: 240
; IeeeMode: 1
; LDSByteSize: 0 bytes/workgroup (compile time only)
; SGPRBlocks: 0
; VGPRBlocks: 0
; NumSGPRsForWavesPerEU: 6
; NumVGPRsForWavesPerEU: 1
; AccumOffset: 4
; Occupancy: 8
; WaveLimiterHint : 0
; COMPUTE_PGM_RSRC2:SCRATCH_EN: 0
; COMPUTE_PGM_RSRC2:USER_SGPR: 2
; COMPUTE_PGM_RSRC2:TRAP_HANDLER: 0
; COMPUTE_PGM_RSRC2:TGID_X_EN: 1
; COMPUTE_PGM_RSRC2:TGID_Y_EN: 0
; COMPUTE_PGM_RSRC2:TGID_Z_EN: 0
; COMPUTE_PGM_RSRC2:TIDIG_COMP_CNT: 0
; COMPUTE_PGM_RSRC3_GFX90A:ACCUM_OFFSET: 0
; COMPUTE_PGM_RSRC3_GFX90A:TG_SPLIT: 0
	.section	.text._ZN7rocprim17ROCPRIM_400000_NS6detail17trampoline_kernelINS0_14default_configENS1_22reduce_config_selectorIiEEZNS1_11reduce_implILb1ES3_N6thrust23THRUST_200600_302600_NS6detail15normal_iteratorINS8_10device_ptrIiEEEEPii9plus_mod3IiEEE10hipError_tPvRmT1_T2_T3_mT4_P12ihipStream_tbEUlT_E0_NS1_11comp_targetILNS1_3genE3ELNS1_11target_archE908ELNS1_3gpuE7ELNS1_3repE0EEENS1_30default_config_static_selectorELNS0_4arch9wavefront6targetE1EEEvSK_,"axG",@progbits,_ZN7rocprim17ROCPRIM_400000_NS6detail17trampoline_kernelINS0_14default_configENS1_22reduce_config_selectorIiEEZNS1_11reduce_implILb1ES3_N6thrust23THRUST_200600_302600_NS6detail15normal_iteratorINS8_10device_ptrIiEEEEPii9plus_mod3IiEEE10hipError_tPvRmT1_T2_T3_mT4_P12ihipStream_tbEUlT_E0_NS1_11comp_targetILNS1_3genE3ELNS1_11target_archE908ELNS1_3gpuE7ELNS1_3repE0EEENS1_30default_config_static_selectorELNS0_4arch9wavefront6targetE1EEEvSK_,comdat
	.protected	_ZN7rocprim17ROCPRIM_400000_NS6detail17trampoline_kernelINS0_14default_configENS1_22reduce_config_selectorIiEEZNS1_11reduce_implILb1ES3_N6thrust23THRUST_200600_302600_NS6detail15normal_iteratorINS8_10device_ptrIiEEEEPii9plus_mod3IiEEE10hipError_tPvRmT1_T2_T3_mT4_P12ihipStream_tbEUlT_E0_NS1_11comp_targetILNS1_3genE3ELNS1_11target_archE908ELNS1_3gpuE7ELNS1_3repE0EEENS1_30default_config_static_selectorELNS0_4arch9wavefront6targetE1EEEvSK_ ; -- Begin function _ZN7rocprim17ROCPRIM_400000_NS6detail17trampoline_kernelINS0_14default_configENS1_22reduce_config_selectorIiEEZNS1_11reduce_implILb1ES3_N6thrust23THRUST_200600_302600_NS6detail15normal_iteratorINS8_10device_ptrIiEEEEPii9plus_mod3IiEEE10hipError_tPvRmT1_T2_T3_mT4_P12ihipStream_tbEUlT_E0_NS1_11comp_targetILNS1_3genE3ELNS1_11target_archE908ELNS1_3gpuE7ELNS1_3repE0EEENS1_30default_config_static_selectorELNS0_4arch9wavefront6targetE1EEEvSK_
	.globl	_ZN7rocprim17ROCPRIM_400000_NS6detail17trampoline_kernelINS0_14default_configENS1_22reduce_config_selectorIiEEZNS1_11reduce_implILb1ES3_N6thrust23THRUST_200600_302600_NS6detail15normal_iteratorINS8_10device_ptrIiEEEEPii9plus_mod3IiEEE10hipError_tPvRmT1_T2_T3_mT4_P12ihipStream_tbEUlT_E0_NS1_11comp_targetILNS1_3genE3ELNS1_11target_archE908ELNS1_3gpuE7ELNS1_3repE0EEENS1_30default_config_static_selectorELNS0_4arch9wavefront6targetE1EEEvSK_
	.p2align	8
	.type	_ZN7rocprim17ROCPRIM_400000_NS6detail17trampoline_kernelINS0_14default_configENS1_22reduce_config_selectorIiEEZNS1_11reduce_implILb1ES3_N6thrust23THRUST_200600_302600_NS6detail15normal_iteratorINS8_10device_ptrIiEEEEPii9plus_mod3IiEEE10hipError_tPvRmT1_T2_T3_mT4_P12ihipStream_tbEUlT_E0_NS1_11comp_targetILNS1_3genE3ELNS1_11target_archE908ELNS1_3gpuE7ELNS1_3repE0EEENS1_30default_config_static_selectorELNS0_4arch9wavefront6targetE1EEEvSK_,@function
_ZN7rocprim17ROCPRIM_400000_NS6detail17trampoline_kernelINS0_14default_configENS1_22reduce_config_selectorIiEEZNS1_11reduce_implILb1ES3_N6thrust23THRUST_200600_302600_NS6detail15normal_iteratorINS8_10device_ptrIiEEEEPii9plus_mod3IiEEE10hipError_tPvRmT1_T2_T3_mT4_P12ihipStream_tbEUlT_E0_NS1_11comp_targetILNS1_3genE3ELNS1_11target_archE908ELNS1_3gpuE7ELNS1_3repE0EEENS1_30default_config_static_selectorELNS0_4arch9wavefront6targetE1EEEvSK_: ; @_ZN7rocprim17ROCPRIM_400000_NS6detail17trampoline_kernelINS0_14default_configENS1_22reduce_config_selectorIiEEZNS1_11reduce_implILb1ES3_N6thrust23THRUST_200600_302600_NS6detail15normal_iteratorINS8_10device_ptrIiEEEEPii9plus_mod3IiEEE10hipError_tPvRmT1_T2_T3_mT4_P12ihipStream_tbEUlT_E0_NS1_11comp_targetILNS1_3genE3ELNS1_11target_archE908ELNS1_3gpuE7ELNS1_3repE0EEENS1_30default_config_static_selectorELNS0_4arch9wavefront6targetE1EEEvSK_
; %bb.0:
	.section	.rodata,"a",@progbits
	.p2align	6, 0x0
	.amdhsa_kernel _ZN7rocprim17ROCPRIM_400000_NS6detail17trampoline_kernelINS0_14default_configENS1_22reduce_config_selectorIiEEZNS1_11reduce_implILb1ES3_N6thrust23THRUST_200600_302600_NS6detail15normal_iteratorINS8_10device_ptrIiEEEEPii9plus_mod3IiEEE10hipError_tPvRmT1_T2_T3_mT4_P12ihipStream_tbEUlT_E0_NS1_11comp_targetILNS1_3genE3ELNS1_11target_archE908ELNS1_3gpuE7ELNS1_3repE0EEENS1_30default_config_static_selectorELNS0_4arch9wavefront6targetE1EEEvSK_
		.amdhsa_group_segment_fixed_size 0
		.amdhsa_private_segment_fixed_size 0
		.amdhsa_kernarg_size 64
		.amdhsa_user_sgpr_count 2
		.amdhsa_user_sgpr_dispatch_ptr 0
		.amdhsa_user_sgpr_queue_ptr 0
		.amdhsa_user_sgpr_kernarg_segment_ptr 1
		.amdhsa_user_sgpr_dispatch_id 0
		.amdhsa_user_sgpr_kernarg_preload_length 0
		.amdhsa_user_sgpr_kernarg_preload_offset 0
		.amdhsa_user_sgpr_private_segment_size 0
		.amdhsa_uses_dynamic_stack 0
		.amdhsa_enable_private_segment 0
		.amdhsa_system_sgpr_workgroup_id_x 1
		.amdhsa_system_sgpr_workgroup_id_y 0
		.amdhsa_system_sgpr_workgroup_id_z 0
		.amdhsa_system_sgpr_workgroup_info 0
		.amdhsa_system_vgpr_workitem_id 0
		.amdhsa_next_free_vgpr 1
		.amdhsa_next_free_sgpr 0
		.amdhsa_accum_offset 4
		.amdhsa_reserve_vcc 0
		.amdhsa_float_round_mode_32 0
		.amdhsa_float_round_mode_16_64 0
		.amdhsa_float_denorm_mode_32 3
		.amdhsa_float_denorm_mode_16_64 3
		.amdhsa_dx10_clamp 1
		.amdhsa_ieee_mode 1
		.amdhsa_fp16_overflow 0
		.amdhsa_tg_split 0
		.amdhsa_exception_fp_ieee_invalid_op 0
		.amdhsa_exception_fp_denorm_src 0
		.amdhsa_exception_fp_ieee_div_zero 0
		.amdhsa_exception_fp_ieee_overflow 0
		.amdhsa_exception_fp_ieee_underflow 0
		.amdhsa_exception_fp_ieee_inexact 0
		.amdhsa_exception_int_div_zero 0
	.end_amdhsa_kernel
	.section	.text._ZN7rocprim17ROCPRIM_400000_NS6detail17trampoline_kernelINS0_14default_configENS1_22reduce_config_selectorIiEEZNS1_11reduce_implILb1ES3_N6thrust23THRUST_200600_302600_NS6detail15normal_iteratorINS8_10device_ptrIiEEEEPii9plus_mod3IiEEE10hipError_tPvRmT1_T2_T3_mT4_P12ihipStream_tbEUlT_E0_NS1_11comp_targetILNS1_3genE3ELNS1_11target_archE908ELNS1_3gpuE7ELNS1_3repE0EEENS1_30default_config_static_selectorELNS0_4arch9wavefront6targetE1EEEvSK_,"axG",@progbits,_ZN7rocprim17ROCPRIM_400000_NS6detail17trampoline_kernelINS0_14default_configENS1_22reduce_config_selectorIiEEZNS1_11reduce_implILb1ES3_N6thrust23THRUST_200600_302600_NS6detail15normal_iteratorINS8_10device_ptrIiEEEEPii9plus_mod3IiEEE10hipError_tPvRmT1_T2_T3_mT4_P12ihipStream_tbEUlT_E0_NS1_11comp_targetILNS1_3genE3ELNS1_11target_archE908ELNS1_3gpuE7ELNS1_3repE0EEENS1_30default_config_static_selectorELNS0_4arch9wavefront6targetE1EEEvSK_,comdat
.Lfunc_end932:
	.size	_ZN7rocprim17ROCPRIM_400000_NS6detail17trampoline_kernelINS0_14default_configENS1_22reduce_config_selectorIiEEZNS1_11reduce_implILb1ES3_N6thrust23THRUST_200600_302600_NS6detail15normal_iteratorINS8_10device_ptrIiEEEEPii9plus_mod3IiEEE10hipError_tPvRmT1_T2_T3_mT4_P12ihipStream_tbEUlT_E0_NS1_11comp_targetILNS1_3genE3ELNS1_11target_archE908ELNS1_3gpuE7ELNS1_3repE0EEENS1_30default_config_static_selectorELNS0_4arch9wavefront6targetE1EEEvSK_, .Lfunc_end932-_ZN7rocprim17ROCPRIM_400000_NS6detail17trampoline_kernelINS0_14default_configENS1_22reduce_config_selectorIiEEZNS1_11reduce_implILb1ES3_N6thrust23THRUST_200600_302600_NS6detail15normal_iteratorINS8_10device_ptrIiEEEEPii9plus_mod3IiEEE10hipError_tPvRmT1_T2_T3_mT4_P12ihipStream_tbEUlT_E0_NS1_11comp_targetILNS1_3genE3ELNS1_11target_archE908ELNS1_3gpuE7ELNS1_3repE0EEENS1_30default_config_static_selectorELNS0_4arch9wavefront6targetE1EEEvSK_
                                        ; -- End function
	.set _ZN7rocprim17ROCPRIM_400000_NS6detail17trampoline_kernelINS0_14default_configENS1_22reduce_config_selectorIiEEZNS1_11reduce_implILb1ES3_N6thrust23THRUST_200600_302600_NS6detail15normal_iteratorINS8_10device_ptrIiEEEEPii9plus_mod3IiEEE10hipError_tPvRmT1_T2_T3_mT4_P12ihipStream_tbEUlT_E0_NS1_11comp_targetILNS1_3genE3ELNS1_11target_archE908ELNS1_3gpuE7ELNS1_3repE0EEENS1_30default_config_static_selectorELNS0_4arch9wavefront6targetE1EEEvSK_.num_vgpr, 0
	.set _ZN7rocprim17ROCPRIM_400000_NS6detail17trampoline_kernelINS0_14default_configENS1_22reduce_config_selectorIiEEZNS1_11reduce_implILb1ES3_N6thrust23THRUST_200600_302600_NS6detail15normal_iteratorINS8_10device_ptrIiEEEEPii9plus_mod3IiEEE10hipError_tPvRmT1_T2_T3_mT4_P12ihipStream_tbEUlT_E0_NS1_11comp_targetILNS1_3genE3ELNS1_11target_archE908ELNS1_3gpuE7ELNS1_3repE0EEENS1_30default_config_static_selectorELNS0_4arch9wavefront6targetE1EEEvSK_.num_agpr, 0
	.set _ZN7rocprim17ROCPRIM_400000_NS6detail17trampoline_kernelINS0_14default_configENS1_22reduce_config_selectorIiEEZNS1_11reduce_implILb1ES3_N6thrust23THRUST_200600_302600_NS6detail15normal_iteratorINS8_10device_ptrIiEEEEPii9plus_mod3IiEEE10hipError_tPvRmT1_T2_T3_mT4_P12ihipStream_tbEUlT_E0_NS1_11comp_targetILNS1_3genE3ELNS1_11target_archE908ELNS1_3gpuE7ELNS1_3repE0EEENS1_30default_config_static_selectorELNS0_4arch9wavefront6targetE1EEEvSK_.numbered_sgpr, 0
	.set _ZN7rocprim17ROCPRIM_400000_NS6detail17trampoline_kernelINS0_14default_configENS1_22reduce_config_selectorIiEEZNS1_11reduce_implILb1ES3_N6thrust23THRUST_200600_302600_NS6detail15normal_iteratorINS8_10device_ptrIiEEEEPii9plus_mod3IiEEE10hipError_tPvRmT1_T2_T3_mT4_P12ihipStream_tbEUlT_E0_NS1_11comp_targetILNS1_3genE3ELNS1_11target_archE908ELNS1_3gpuE7ELNS1_3repE0EEENS1_30default_config_static_selectorELNS0_4arch9wavefront6targetE1EEEvSK_.num_named_barrier, 0
	.set _ZN7rocprim17ROCPRIM_400000_NS6detail17trampoline_kernelINS0_14default_configENS1_22reduce_config_selectorIiEEZNS1_11reduce_implILb1ES3_N6thrust23THRUST_200600_302600_NS6detail15normal_iteratorINS8_10device_ptrIiEEEEPii9plus_mod3IiEEE10hipError_tPvRmT1_T2_T3_mT4_P12ihipStream_tbEUlT_E0_NS1_11comp_targetILNS1_3genE3ELNS1_11target_archE908ELNS1_3gpuE7ELNS1_3repE0EEENS1_30default_config_static_selectorELNS0_4arch9wavefront6targetE1EEEvSK_.private_seg_size, 0
	.set _ZN7rocprim17ROCPRIM_400000_NS6detail17trampoline_kernelINS0_14default_configENS1_22reduce_config_selectorIiEEZNS1_11reduce_implILb1ES3_N6thrust23THRUST_200600_302600_NS6detail15normal_iteratorINS8_10device_ptrIiEEEEPii9plus_mod3IiEEE10hipError_tPvRmT1_T2_T3_mT4_P12ihipStream_tbEUlT_E0_NS1_11comp_targetILNS1_3genE3ELNS1_11target_archE908ELNS1_3gpuE7ELNS1_3repE0EEENS1_30default_config_static_selectorELNS0_4arch9wavefront6targetE1EEEvSK_.uses_vcc, 0
	.set _ZN7rocprim17ROCPRIM_400000_NS6detail17trampoline_kernelINS0_14default_configENS1_22reduce_config_selectorIiEEZNS1_11reduce_implILb1ES3_N6thrust23THRUST_200600_302600_NS6detail15normal_iteratorINS8_10device_ptrIiEEEEPii9plus_mod3IiEEE10hipError_tPvRmT1_T2_T3_mT4_P12ihipStream_tbEUlT_E0_NS1_11comp_targetILNS1_3genE3ELNS1_11target_archE908ELNS1_3gpuE7ELNS1_3repE0EEENS1_30default_config_static_selectorELNS0_4arch9wavefront6targetE1EEEvSK_.uses_flat_scratch, 0
	.set _ZN7rocprim17ROCPRIM_400000_NS6detail17trampoline_kernelINS0_14default_configENS1_22reduce_config_selectorIiEEZNS1_11reduce_implILb1ES3_N6thrust23THRUST_200600_302600_NS6detail15normal_iteratorINS8_10device_ptrIiEEEEPii9plus_mod3IiEEE10hipError_tPvRmT1_T2_T3_mT4_P12ihipStream_tbEUlT_E0_NS1_11comp_targetILNS1_3genE3ELNS1_11target_archE908ELNS1_3gpuE7ELNS1_3repE0EEENS1_30default_config_static_selectorELNS0_4arch9wavefront6targetE1EEEvSK_.has_dyn_sized_stack, 0
	.set _ZN7rocprim17ROCPRIM_400000_NS6detail17trampoline_kernelINS0_14default_configENS1_22reduce_config_selectorIiEEZNS1_11reduce_implILb1ES3_N6thrust23THRUST_200600_302600_NS6detail15normal_iteratorINS8_10device_ptrIiEEEEPii9plus_mod3IiEEE10hipError_tPvRmT1_T2_T3_mT4_P12ihipStream_tbEUlT_E0_NS1_11comp_targetILNS1_3genE3ELNS1_11target_archE908ELNS1_3gpuE7ELNS1_3repE0EEENS1_30default_config_static_selectorELNS0_4arch9wavefront6targetE1EEEvSK_.has_recursion, 0
	.set _ZN7rocprim17ROCPRIM_400000_NS6detail17trampoline_kernelINS0_14default_configENS1_22reduce_config_selectorIiEEZNS1_11reduce_implILb1ES3_N6thrust23THRUST_200600_302600_NS6detail15normal_iteratorINS8_10device_ptrIiEEEEPii9plus_mod3IiEEE10hipError_tPvRmT1_T2_T3_mT4_P12ihipStream_tbEUlT_E0_NS1_11comp_targetILNS1_3genE3ELNS1_11target_archE908ELNS1_3gpuE7ELNS1_3repE0EEENS1_30default_config_static_selectorELNS0_4arch9wavefront6targetE1EEEvSK_.has_indirect_call, 0
	.section	.AMDGPU.csdata,"",@progbits
; Kernel info:
; codeLenInByte = 0
; TotalNumSgprs: 6
; NumVgprs: 0
; NumAgprs: 0
; TotalNumVgprs: 0
; ScratchSize: 0
; MemoryBound: 0
; FloatMode: 240
; IeeeMode: 1
; LDSByteSize: 0 bytes/workgroup (compile time only)
; SGPRBlocks: 0
; VGPRBlocks: 0
; NumSGPRsForWavesPerEU: 6
; NumVGPRsForWavesPerEU: 1
; AccumOffset: 4
; Occupancy: 8
; WaveLimiterHint : 0
; COMPUTE_PGM_RSRC2:SCRATCH_EN: 0
; COMPUTE_PGM_RSRC2:USER_SGPR: 2
; COMPUTE_PGM_RSRC2:TRAP_HANDLER: 0
; COMPUTE_PGM_RSRC2:TGID_X_EN: 1
; COMPUTE_PGM_RSRC2:TGID_Y_EN: 0
; COMPUTE_PGM_RSRC2:TGID_Z_EN: 0
; COMPUTE_PGM_RSRC2:TIDIG_COMP_CNT: 0
; COMPUTE_PGM_RSRC3_GFX90A:ACCUM_OFFSET: 0
; COMPUTE_PGM_RSRC3_GFX90A:TG_SPLIT: 0
	.section	.text._ZN7rocprim17ROCPRIM_400000_NS6detail17trampoline_kernelINS0_14default_configENS1_22reduce_config_selectorIiEEZNS1_11reduce_implILb1ES3_N6thrust23THRUST_200600_302600_NS6detail15normal_iteratorINS8_10device_ptrIiEEEEPii9plus_mod3IiEEE10hipError_tPvRmT1_T2_T3_mT4_P12ihipStream_tbEUlT_E0_NS1_11comp_targetILNS1_3genE2ELNS1_11target_archE906ELNS1_3gpuE6ELNS1_3repE0EEENS1_30default_config_static_selectorELNS0_4arch9wavefront6targetE1EEEvSK_,"axG",@progbits,_ZN7rocprim17ROCPRIM_400000_NS6detail17trampoline_kernelINS0_14default_configENS1_22reduce_config_selectorIiEEZNS1_11reduce_implILb1ES3_N6thrust23THRUST_200600_302600_NS6detail15normal_iteratorINS8_10device_ptrIiEEEEPii9plus_mod3IiEEE10hipError_tPvRmT1_T2_T3_mT4_P12ihipStream_tbEUlT_E0_NS1_11comp_targetILNS1_3genE2ELNS1_11target_archE906ELNS1_3gpuE6ELNS1_3repE0EEENS1_30default_config_static_selectorELNS0_4arch9wavefront6targetE1EEEvSK_,comdat
	.protected	_ZN7rocprim17ROCPRIM_400000_NS6detail17trampoline_kernelINS0_14default_configENS1_22reduce_config_selectorIiEEZNS1_11reduce_implILb1ES3_N6thrust23THRUST_200600_302600_NS6detail15normal_iteratorINS8_10device_ptrIiEEEEPii9plus_mod3IiEEE10hipError_tPvRmT1_T2_T3_mT4_P12ihipStream_tbEUlT_E0_NS1_11comp_targetILNS1_3genE2ELNS1_11target_archE906ELNS1_3gpuE6ELNS1_3repE0EEENS1_30default_config_static_selectorELNS0_4arch9wavefront6targetE1EEEvSK_ ; -- Begin function _ZN7rocprim17ROCPRIM_400000_NS6detail17trampoline_kernelINS0_14default_configENS1_22reduce_config_selectorIiEEZNS1_11reduce_implILb1ES3_N6thrust23THRUST_200600_302600_NS6detail15normal_iteratorINS8_10device_ptrIiEEEEPii9plus_mod3IiEEE10hipError_tPvRmT1_T2_T3_mT4_P12ihipStream_tbEUlT_E0_NS1_11comp_targetILNS1_3genE2ELNS1_11target_archE906ELNS1_3gpuE6ELNS1_3repE0EEENS1_30default_config_static_selectorELNS0_4arch9wavefront6targetE1EEEvSK_
	.globl	_ZN7rocprim17ROCPRIM_400000_NS6detail17trampoline_kernelINS0_14default_configENS1_22reduce_config_selectorIiEEZNS1_11reduce_implILb1ES3_N6thrust23THRUST_200600_302600_NS6detail15normal_iteratorINS8_10device_ptrIiEEEEPii9plus_mod3IiEEE10hipError_tPvRmT1_T2_T3_mT4_P12ihipStream_tbEUlT_E0_NS1_11comp_targetILNS1_3genE2ELNS1_11target_archE906ELNS1_3gpuE6ELNS1_3repE0EEENS1_30default_config_static_selectorELNS0_4arch9wavefront6targetE1EEEvSK_
	.p2align	8
	.type	_ZN7rocprim17ROCPRIM_400000_NS6detail17trampoline_kernelINS0_14default_configENS1_22reduce_config_selectorIiEEZNS1_11reduce_implILb1ES3_N6thrust23THRUST_200600_302600_NS6detail15normal_iteratorINS8_10device_ptrIiEEEEPii9plus_mod3IiEEE10hipError_tPvRmT1_T2_T3_mT4_P12ihipStream_tbEUlT_E0_NS1_11comp_targetILNS1_3genE2ELNS1_11target_archE906ELNS1_3gpuE6ELNS1_3repE0EEENS1_30default_config_static_selectorELNS0_4arch9wavefront6targetE1EEEvSK_,@function
_ZN7rocprim17ROCPRIM_400000_NS6detail17trampoline_kernelINS0_14default_configENS1_22reduce_config_selectorIiEEZNS1_11reduce_implILb1ES3_N6thrust23THRUST_200600_302600_NS6detail15normal_iteratorINS8_10device_ptrIiEEEEPii9plus_mod3IiEEE10hipError_tPvRmT1_T2_T3_mT4_P12ihipStream_tbEUlT_E0_NS1_11comp_targetILNS1_3genE2ELNS1_11target_archE906ELNS1_3gpuE6ELNS1_3repE0EEENS1_30default_config_static_selectorELNS0_4arch9wavefront6targetE1EEEvSK_: ; @_ZN7rocprim17ROCPRIM_400000_NS6detail17trampoline_kernelINS0_14default_configENS1_22reduce_config_selectorIiEEZNS1_11reduce_implILb1ES3_N6thrust23THRUST_200600_302600_NS6detail15normal_iteratorINS8_10device_ptrIiEEEEPii9plus_mod3IiEEE10hipError_tPvRmT1_T2_T3_mT4_P12ihipStream_tbEUlT_E0_NS1_11comp_targetILNS1_3genE2ELNS1_11target_archE906ELNS1_3gpuE6ELNS1_3repE0EEENS1_30default_config_static_selectorELNS0_4arch9wavefront6targetE1EEEvSK_
; %bb.0:
	.section	.rodata,"a",@progbits
	.p2align	6, 0x0
	.amdhsa_kernel _ZN7rocprim17ROCPRIM_400000_NS6detail17trampoline_kernelINS0_14default_configENS1_22reduce_config_selectorIiEEZNS1_11reduce_implILb1ES3_N6thrust23THRUST_200600_302600_NS6detail15normal_iteratorINS8_10device_ptrIiEEEEPii9plus_mod3IiEEE10hipError_tPvRmT1_T2_T3_mT4_P12ihipStream_tbEUlT_E0_NS1_11comp_targetILNS1_3genE2ELNS1_11target_archE906ELNS1_3gpuE6ELNS1_3repE0EEENS1_30default_config_static_selectorELNS0_4arch9wavefront6targetE1EEEvSK_
		.amdhsa_group_segment_fixed_size 0
		.amdhsa_private_segment_fixed_size 0
		.amdhsa_kernarg_size 64
		.amdhsa_user_sgpr_count 2
		.amdhsa_user_sgpr_dispatch_ptr 0
		.amdhsa_user_sgpr_queue_ptr 0
		.amdhsa_user_sgpr_kernarg_segment_ptr 1
		.amdhsa_user_sgpr_dispatch_id 0
		.amdhsa_user_sgpr_kernarg_preload_length 0
		.amdhsa_user_sgpr_kernarg_preload_offset 0
		.amdhsa_user_sgpr_private_segment_size 0
		.amdhsa_uses_dynamic_stack 0
		.amdhsa_enable_private_segment 0
		.amdhsa_system_sgpr_workgroup_id_x 1
		.amdhsa_system_sgpr_workgroup_id_y 0
		.amdhsa_system_sgpr_workgroup_id_z 0
		.amdhsa_system_sgpr_workgroup_info 0
		.amdhsa_system_vgpr_workitem_id 0
		.amdhsa_next_free_vgpr 1
		.amdhsa_next_free_sgpr 0
		.amdhsa_accum_offset 4
		.amdhsa_reserve_vcc 0
		.amdhsa_float_round_mode_32 0
		.amdhsa_float_round_mode_16_64 0
		.amdhsa_float_denorm_mode_32 3
		.amdhsa_float_denorm_mode_16_64 3
		.amdhsa_dx10_clamp 1
		.amdhsa_ieee_mode 1
		.amdhsa_fp16_overflow 0
		.amdhsa_tg_split 0
		.amdhsa_exception_fp_ieee_invalid_op 0
		.amdhsa_exception_fp_denorm_src 0
		.amdhsa_exception_fp_ieee_div_zero 0
		.amdhsa_exception_fp_ieee_overflow 0
		.amdhsa_exception_fp_ieee_underflow 0
		.amdhsa_exception_fp_ieee_inexact 0
		.amdhsa_exception_int_div_zero 0
	.end_amdhsa_kernel
	.section	.text._ZN7rocprim17ROCPRIM_400000_NS6detail17trampoline_kernelINS0_14default_configENS1_22reduce_config_selectorIiEEZNS1_11reduce_implILb1ES3_N6thrust23THRUST_200600_302600_NS6detail15normal_iteratorINS8_10device_ptrIiEEEEPii9plus_mod3IiEEE10hipError_tPvRmT1_T2_T3_mT4_P12ihipStream_tbEUlT_E0_NS1_11comp_targetILNS1_3genE2ELNS1_11target_archE906ELNS1_3gpuE6ELNS1_3repE0EEENS1_30default_config_static_selectorELNS0_4arch9wavefront6targetE1EEEvSK_,"axG",@progbits,_ZN7rocprim17ROCPRIM_400000_NS6detail17trampoline_kernelINS0_14default_configENS1_22reduce_config_selectorIiEEZNS1_11reduce_implILb1ES3_N6thrust23THRUST_200600_302600_NS6detail15normal_iteratorINS8_10device_ptrIiEEEEPii9plus_mod3IiEEE10hipError_tPvRmT1_T2_T3_mT4_P12ihipStream_tbEUlT_E0_NS1_11comp_targetILNS1_3genE2ELNS1_11target_archE906ELNS1_3gpuE6ELNS1_3repE0EEENS1_30default_config_static_selectorELNS0_4arch9wavefront6targetE1EEEvSK_,comdat
.Lfunc_end933:
	.size	_ZN7rocprim17ROCPRIM_400000_NS6detail17trampoline_kernelINS0_14default_configENS1_22reduce_config_selectorIiEEZNS1_11reduce_implILb1ES3_N6thrust23THRUST_200600_302600_NS6detail15normal_iteratorINS8_10device_ptrIiEEEEPii9plus_mod3IiEEE10hipError_tPvRmT1_T2_T3_mT4_P12ihipStream_tbEUlT_E0_NS1_11comp_targetILNS1_3genE2ELNS1_11target_archE906ELNS1_3gpuE6ELNS1_3repE0EEENS1_30default_config_static_selectorELNS0_4arch9wavefront6targetE1EEEvSK_, .Lfunc_end933-_ZN7rocprim17ROCPRIM_400000_NS6detail17trampoline_kernelINS0_14default_configENS1_22reduce_config_selectorIiEEZNS1_11reduce_implILb1ES3_N6thrust23THRUST_200600_302600_NS6detail15normal_iteratorINS8_10device_ptrIiEEEEPii9plus_mod3IiEEE10hipError_tPvRmT1_T2_T3_mT4_P12ihipStream_tbEUlT_E0_NS1_11comp_targetILNS1_3genE2ELNS1_11target_archE906ELNS1_3gpuE6ELNS1_3repE0EEENS1_30default_config_static_selectorELNS0_4arch9wavefront6targetE1EEEvSK_
                                        ; -- End function
	.set _ZN7rocprim17ROCPRIM_400000_NS6detail17trampoline_kernelINS0_14default_configENS1_22reduce_config_selectorIiEEZNS1_11reduce_implILb1ES3_N6thrust23THRUST_200600_302600_NS6detail15normal_iteratorINS8_10device_ptrIiEEEEPii9plus_mod3IiEEE10hipError_tPvRmT1_T2_T3_mT4_P12ihipStream_tbEUlT_E0_NS1_11comp_targetILNS1_3genE2ELNS1_11target_archE906ELNS1_3gpuE6ELNS1_3repE0EEENS1_30default_config_static_selectorELNS0_4arch9wavefront6targetE1EEEvSK_.num_vgpr, 0
	.set _ZN7rocprim17ROCPRIM_400000_NS6detail17trampoline_kernelINS0_14default_configENS1_22reduce_config_selectorIiEEZNS1_11reduce_implILb1ES3_N6thrust23THRUST_200600_302600_NS6detail15normal_iteratorINS8_10device_ptrIiEEEEPii9plus_mod3IiEEE10hipError_tPvRmT1_T2_T3_mT4_P12ihipStream_tbEUlT_E0_NS1_11comp_targetILNS1_3genE2ELNS1_11target_archE906ELNS1_3gpuE6ELNS1_3repE0EEENS1_30default_config_static_selectorELNS0_4arch9wavefront6targetE1EEEvSK_.num_agpr, 0
	.set _ZN7rocprim17ROCPRIM_400000_NS6detail17trampoline_kernelINS0_14default_configENS1_22reduce_config_selectorIiEEZNS1_11reduce_implILb1ES3_N6thrust23THRUST_200600_302600_NS6detail15normal_iteratorINS8_10device_ptrIiEEEEPii9plus_mod3IiEEE10hipError_tPvRmT1_T2_T3_mT4_P12ihipStream_tbEUlT_E0_NS1_11comp_targetILNS1_3genE2ELNS1_11target_archE906ELNS1_3gpuE6ELNS1_3repE0EEENS1_30default_config_static_selectorELNS0_4arch9wavefront6targetE1EEEvSK_.numbered_sgpr, 0
	.set _ZN7rocprim17ROCPRIM_400000_NS6detail17trampoline_kernelINS0_14default_configENS1_22reduce_config_selectorIiEEZNS1_11reduce_implILb1ES3_N6thrust23THRUST_200600_302600_NS6detail15normal_iteratorINS8_10device_ptrIiEEEEPii9plus_mod3IiEEE10hipError_tPvRmT1_T2_T3_mT4_P12ihipStream_tbEUlT_E0_NS1_11comp_targetILNS1_3genE2ELNS1_11target_archE906ELNS1_3gpuE6ELNS1_3repE0EEENS1_30default_config_static_selectorELNS0_4arch9wavefront6targetE1EEEvSK_.num_named_barrier, 0
	.set _ZN7rocprim17ROCPRIM_400000_NS6detail17trampoline_kernelINS0_14default_configENS1_22reduce_config_selectorIiEEZNS1_11reduce_implILb1ES3_N6thrust23THRUST_200600_302600_NS6detail15normal_iteratorINS8_10device_ptrIiEEEEPii9plus_mod3IiEEE10hipError_tPvRmT1_T2_T3_mT4_P12ihipStream_tbEUlT_E0_NS1_11comp_targetILNS1_3genE2ELNS1_11target_archE906ELNS1_3gpuE6ELNS1_3repE0EEENS1_30default_config_static_selectorELNS0_4arch9wavefront6targetE1EEEvSK_.private_seg_size, 0
	.set _ZN7rocprim17ROCPRIM_400000_NS6detail17trampoline_kernelINS0_14default_configENS1_22reduce_config_selectorIiEEZNS1_11reduce_implILb1ES3_N6thrust23THRUST_200600_302600_NS6detail15normal_iteratorINS8_10device_ptrIiEEEEPii9plus_mod3IiEEE10hipError_tPvRmT1_T2_T3_mT4_P12ihipStream_tbEUlT_E0_NS1_11comp_targetILNS1_3genE2ELNS1_11target_archE906ELNS1_3gpuE6ELNS1_3repE0EEENS1_30default_config_static_selectorELNS0_4arch9wavefront6targetE1EEEvSK_.uses_vcc, 0
	.set _ZN7rocprim17ROCPRIM_400000_NS6detail17trampoline_kernelINS0_14default_configENS1_22reduce_config_selectorIiEEZNS1_11reduce_implILb1ES3_N6thrust23THRUST_200600_302600_NS6detail15normal_iteratorINS8_10device_ptrIiEEEEPii9plus_mod3IiEEE10hipError_tPvRmT1_T2_T3_mT4_P12ihipStream_tbEUlT_E0_NS1_11comp_targetILNS1_3genE2ELNS1_11target_archE906ELNS1_3gpuE6ELNS1_3repE0EEENS1_30default_config_static_selectorELNS0_4arch9wavefront6targetE1EEEvSK_.uses_flat_scratch, 0
	.set _ZN7rocprim17ROCPRIM_400000_NS6detail17trampoline_kernelINS0_14default_configENS1_22reduce_config_selectorIiEEZNS1_11reduce_implILb1ES3_N6thrust23THRUST_200600_302600_NS6detail15normal_iteratorINS8_10device_ptrIiEEEEPii9plus_mod3IiEEE10hipError_tPvRmT1_T2_T3_mT4_P12ihipStream_tbEUlT_E0_NS1_11comp_targetILNS1_3genE2ELNS1_11target_archE906ELNS1_3gpuE6ELNS1_3repE0EEENS1_30default_config_static_selectorELNS0_4arch9wavefront6targetE1EEEvSK_.has_dyn_sized_stack, 0
	.set _ZN7rocprim17ROCPRIM_400000_NS6detail17trampoline_kernelINS0_14default_configENS1_22reduce_config_selectorIiEEZNS1_11reduce_implILb1ES3_N6thrust23THRUST_200600_302600_NS6detail15normal_iteratorINS8_10device_ptrIiEEEEPii9plus_mod3IiEEE10hipError_tPvRmT1_T2_T3_mT4_P12ihipStream_tbEUlT_E0_NS1_11comp_targetILNS1_3genE2ELNS1_11target_archE906ELNS1_3gpuE6ELNS1_3repE0EEENS1_30default_config_static_selectorELNS0_4arch9wavefront6targetE1EEEvSK_.has_recursion, 0
	.set _ZN7rocprim17ROCPRIM_400000_NS6detail17trampoline_kernelINS0_14default_configENS1_22reduce_config_selectorIiEEZNS1_11reduce_implILb1ES3_N6thrust23THRUST_200600_302600_NS6detail15normal_iteratorINS8_10device_ptrIiEEEEPii9plus_mod3IiEEE10hipError_tPvRmT1_T2_T3_mT4_P12ihipStream_tbEUlT_E0_NS1_11comp_targetILNS1_3genE2ELNS1_11target_archE906ELNS1_3gpuE6ELNS1_3repE0EEENS1_30default_config_static_selectorELNS0_4arch9wavefront6targetE1EEEvSK_.has_indirect_call, 0
	.section	.AMDGPU.csdata,"",@progbits
; Kernel info:
; codeLenInByte = 0
; TotalNumSgprs: 6
; NumVgprs: 0
; NumAgprs: 0
; TotalNumVgprs: 0
; ScratchSize: 0
; MemoryBound: 0
; FloatMode: 240
; IeeeMode: 1
; LDSByteSize: 0 bytes/workgroup (compile time only)
; SGPRBlocks: 0
; VGPRBlocks: 0
; NumSGPRsForWavesPerEU: 6
; NumVGPRsForWavesPerEU: 1
; AccumOffset: 4
; Occupancy: 8
; WaveLimiterHint : 0
; COMPUTE_PGM_RSRC2:SCRATCH_EN: 0
; COMPUTE_PGM_RSRC2:USER_SGPR: 2
; COMPUTE_PGM_RSRC2:TRAP_HANDLER: 0
; COMPUTE_PGM_RSRC2:TGID_X_EN: 1
; COMPUTE_PGM_RSRC2:TGID_Y_EN: 0
; COMPUTE_PGM_RSRC2:TGID_Z_EN: 0
; COMPUTE_PGM_RSRC2:TIDIG_COMP_CNT: 0
; COMPUTE_PGM_RSRC3_GFX90A:ACCUM_OFFSET: 0
; COMPUTE_PGM_RSRC3_GFX90A:TG_SPLIT: 0
	.section	.text._ZN7rocprim17ROCPRIM_400000_NS6detail17trampoline_kernelINS0_14default_configENS1_22reduce_config_selectorIiEEZNS1_11reduce_implILb1ES3_N6thrust23THRUST_200600_302600_NS6detail15normal_iteratorINS8_10device_ptrIiEEEEPii9plus_mod3IiEEE10hipError_tPvRmT1_T2_T3_mT4_P12ihipStream_tbEUlT_E0_NS1_11comp_targetILNS1_3genE10ELNS1_11target_archE1201ELNS1_3gpuE5ELNS1_3repE0EEENS1_30default_config_static_selectorELNS0_4arch9wavefront6targetE1EEEvSK_,"axG",@progbits,_ZN7rocprim17ROCPRIM_400000_NS6detail17trampoline_kernelINS0_14default_configENS1_22reduce_config_selectorIiEEZNS1_11reduce_implILb1ES3_N6thrust23THRUST_200600_302600_NS6detail15normal_iteratorINS8_10device_ptrIiEEEEPii9plus_mod3IiEEE10hipError_tPvRmT1_T2_T3_mT4_P12ihipStream_tbEUlT_E0_NS1_11comp_targetILNS1_3genE10ELNS1_11target_archE1201ELNS1_3gpuE5ELNS1_3repE0EEENS1_30default_config_static_selectorELNS0_4arch9wavefront6targetE1EEEvSK_,comdat
	.protected	_ZN7rocprim17ROCPRIM_400000_NS6detail17trampoline_kernelINS0_14default_configENS1_22reduce_config_selectorIiEEZNS1_11reduce_implILb1ES3_N6thrust23THRUST_200600_302600_NS6detail15normal_iteratorINS8_10device_ptrIiEEEEPii9plus_mod3IiEEE10hipError_tPvRmT1_T2_T3_mT4_P12ihipStream_tbEUlT_E0_NS1_11comp_targetILNS1_3genE10ELNS1_11target_archE1201ELNS1_3gpuE5ELNS1_3repE0EEENS1_30default_config_static_selectorELNS0_4arch9wavefront6targetE1EEEvSK_ ; -- Begin function _ZN7rocprim17ROCPRIM_400000_NS6detail17trampoline_kernelINS0_14default_configENS1_22reduce_config_selectorIiEEZNS1_11reduce_implILb1ES3_N6thrust23THRUST_200600_302600_NS6detail15normal_iteratorINS8_10device_ptrIiEEEEPii9plus_mod3IiEEE10hipError_tPvRmT1_T2_T3_mT4_P12ihipStream_tbEUlT_E0_NS1_11comp_targetILNS1_3genE10ELNS1_11target_archE1201ELNS1_3gpuE5ELNS1_3repE0EEENS1_30default_config_static_selectorELNS0_4arch9wavefront6targetE1EEEvSK_
	.globl	_ZN7rocprim17ROCPRIM_400000_NS6detail17trampoline_kernelINS0_14default_configENS1_22reduce_config_selectorIiEEZNS1_11reduce_implILb1ES3_N6thrust23THRUST_200600_302600_NS6detail15normal_iteratorINS8_10device_ptrIiEEEEPii9plus_mod3IiEEE10hipError_tPvRmT1_T2_T3_mT4_P12ihipStream_tbEUlT_E0_NS1_11comp_targetILNS1_3genE10ELNS1_11target_archE1201ELNS1_3gpuE5ELNS1_3repE0EEENS1_30default_config_static_selectorELNS0_4arch9wavefront6targetE1EEEvSK_
	.p2align	8
	.type	_ZN7rocprim17ROCPRIM_400000_NS6detail17trampoline_kernelINS0_14default_configENS1_22reduce_config_selectorIiEEZNS1_11reduce_implILb1ES3_N6thrust23THRUST_200600_302600_NS6detail15normal_iteratorINS8_10device_ptrIiEEEEPii9plus_mod3IiEEE10hipError_tPvRmT1_T2_T3_mT4_P12ihipStream_tbEUlT_E0_NS1_11comp_targetILNS1_3genE10ELNS1_11target_archE1201ELNS1_3gpuE5ELNS1_3repE0EEENS1_30default_config_static_selectorELNS0_4arch9wavefront6targetE1EEEvSK_,@function
_ZN7rocprim17ROCPRIM_400000_NS6detail17trampoline_kernelINS0_14default_configENS1_22reduce_config_selectorIiEEZNS1_11reduce_implILb1ES3_N6thrust23THRUST_200600_302600_NS6detail15normal_iteratorINS8_10device_ptrIiEEEEPii9plus_mod3IiEEE10hipError_tPvRmT1_T2_T3_mT4_P12ihipStream_tbEUlT_E0_NS1_11comp_targetILNS1_3genE10ELNS1_11target_archE1201ELNS1_3gpuE5ELNS1_3repE0EEENS1_30default_config_static_selectorELNS0_4arch9wavefront6targetE1EEEvSK_: ; @_ZN7rocprim17ROCPRIM_400000_NS6detail17trampoline_kernelINS0_14default_configENS1_22reduce_config_selectorIiEEZNS1_11reduce_implILb1ES3_N6thrust23THRUST_200600_302600_NS6detail15normal_iteratorINS8_10device_ptrIiEEEEPii9plus_mod3IiEEE10hipError_tPvRmT1_T2_T3_mT4_P12ihipStream_tbEUlT_E0_NS1_11comp_targetILNS1_3genE10ELNS1_11target_archE1201ELNS1_3gpuE5ELNS1_3repE0EEENS1_30default_config_static_selectorELNS0_4arch9wavefront6targetE1EEEvSK_
; %bb.0:
	.section	.rodata,"a",@progbits
	.p2align	6, 0x0
	.amdhsa_kernel _ZN7rocprim17ROCPRIM_400000_NS6detail17trampoline_kernelINS0_14default_configENS1_22reduce_config_selectorIiEEZNS1_11reduce_implILb1ES3_N6thrust23THRUST_200600_302600_NS6detail15normal_iteratorINS8_10device_ptrIiEEEEPii9plus_mod3IiEEE10hipError_tPvRmT1_T2_T3_mT4_P12ihipStream_tbEUlT_E0_NS1_11comp_targetILNS1_3genE10ELNS1_11target_archE1201ELNS1_3gpuE5ELNS1_3repE0EEENS1_30default_config_static_selectorELNS0_4arch9wavefront6targetE1EEEvSK_
		.amdhsa_group_segment_fixed_size 0
		.amdhsa_private_segment_fixed_size 0
		.amdhsa_kernarg_size 64
		.amdhsa_user_sgpr_count 2
		.amdhsa_user_sgpr_dispatch_ptr 0
		.amdhsa_user_sgpr_queue_ptr 0
		.amdhsa_user_sgpr_kernarg_segment_ptr 1
		.amdhsa_user_sgpr_dispatch_id 0
		.amdhsa_user_sgpr_kernarg_preload_length 0
		.amdhsa_user_sgpr_kernarg_preload_offset 0
		.amdhsa_user_sgpr_private_segment_size 0
		.amdhsa_uses_dynamic_stack 0
		.amdhsa_enable_private_segment 0
		.amdhsa_system_sgpr_workgroup_id_x 1
		.amdhsa_system_sgpr_workgroup_id_y 0
		.amdhsa_system_sgpr_workgroup_id_z 0
		.amdhsa_system_sgpr_workgroup_info 0
		.amdhsa_system_vgpr_workitem_id 0
		.amdhsa_next_free_vgpr 1
		.amdhsa_next_free_sgpr 0
		.amdhsa_accum_offset 4
		.amdhsa_reserve_vcc 0
		.amdhsa_float_round_mode_32 0
		.amdhsa_float_round_mode_16_64 0
		.amdhsa_float_denorm_mode_32 3
		.amdhsa_float_denorm_mode_16_64 3
		.amdhsa_dx10_clamp 1
		.amdhsa_ieee_mode 1
		.amdhsa_fp16_overflow 0
		.amdhsa_tg_split 0
		.amdhsa_exception_fp_ieee_invalid_op 0
		.amdhsa_exception_fp_denorm_src 0
		.amdhsa_exception_fp_ieee_div_zero 0
		.amdhsa_exception_fp_ieee_overflow 0
		.amdhsa_exception_fp_ieee_underflow 0
		.amdhsa_exception_fp_ieee_inexact 0
		.amdhsa_exception_int_div_zero 0
	.end_amdhsa_kernel
	.section	.text._ZN7rocprim17ROCPRIM_400000_NS6detail17trampoline_kernelINS0_14default_configENS1_22reduce_config_selectorIiEEZNS1_11reduce_implILb1ES3_N6thrust23THRUST_200600_302600_NS6detail15normal_iteratorINS8_10device_ptrIiEEEEPii9plus_mod3IiEEE10hipError_tPvRmT1_T2_T3_mT4_P12ihipStream_tbEUlT_E0_NS1_11comp_targetILNS1_3genE10ELNS1_11target_archE1201ELNS1_3gpuE5ELNS1_3repE0EEENS1_30default_config_static_selectorELNS0_4arch9wavefront6targetE1EEEvSK_,"axG",@progbits,_ZN7rocprim17ROCPRIM_400000_NS6detail17trampoline_kernelINS0_14default_configENS1_22reduce_config_selectorIiEEZNS1_11reduce_implILb1ES3_N6thrust23THRUST_200600_302600_NS6detail15normal_iteratorINS8_10device_ptrIiEEEEPii9plus_mod3IiEEE10hipError_tPvRmT1_T2_T3_mT4_P12ihipStream_tbEUlT_E0_NS1_11comp_targetILNS1_3genE10ELNS1_11target_archE1201ELNS1_3gpuE5ELNS1_3repE0EEENS1_30default_config_static_selectorELNS0_4arch9wavefront6targetE1EEEvSK_,comdat
.Lfunc_end934:
	.size	_ZN7rocprim17ROCPRIM_400000_NS6detail17trampoline_kernelINS0_14default_configENS1_22reduce_config_selectorIiEEZNS1_11reduce_implILb1ES3_N6thrust23THRUST_200600_302600_NS6detail15normal_iteratorINS8_10device_ptrIiEEEEPii9plus_mod3IiEEE10hipError_tPvRmT1_T2_T3_mT4_P12ihipStream_tbEUlT_E0_NS1_11comp_targetILNS1_3genE10ELNS1_11target_archE1201ELNS1_3gpuE5ELNS1_3repE0EEENS1_30default_config_static_selectorELNS0_4arch9wavefront6targetE1EEEvSK_, .Lfunc_end934-_ZN7rocprim17ROCPRIM_400000_NS6detail17trampoline_kernelINS0_14default_configENS1_22reduce_config_selectorIiEEZNS1_11reduce_implILb1ES3_N6thrust23THRUST_200600_302600_NS6detail15normal_iteratorINS8_10device_ptrIiEEEEPii9plus_mod3IiEEE10hipError_tPvRmT1_T2_T3_mT4_P12ihipStream_tbEUlT_E0_NS1_11comp_targetILNS1_3genE10ELNS1_11target_archE1201ELNS1_3gpuE5ELNS1_3repE0EEENS1_30default_config_static_selectorELNS0_4arch9wavefront6targetE1EEEvSK_
                                        ; -- End function
	.set _ZN7rocprim17ROCPRIM_400000_NS6detail17trampoline_kernelINS0_14default_configENS1_22reduce_config_selectorIiEEZNS1_11reduce_implILb1ES3_N6thrust23THRUST_200600_302600_NS6detail15normal_iteratorINS8_10device_ptrIiEEEEPii9plus_mod3IiEEE10hipError_tPvRmT1_T2_T3_mT4_P12ihipStream_tbEUlT_E0_NS1_11comp_targetILNS1_3genE10ELNS1_11target_archE1201ELNS1_3gpuE5ELNS1_3repE0EEENS1_30default_config_static_selectorELNS0_4arch9wavefront6targetE1EEEvSK_.num_vgpr, 0
	.set _ZN7rocprim17ROCPRIM_400000_NS6detail17trampoline_kernelINS0_14default_configENS1_22reduce_config_selectorIiEEZNS1_11reduce_implILb1ES3_N6thrust23THRUST_200600_302600_NS6detail15normal_iteratorINS8_10device_ptrIiEEEEPii9plus_mod3IiEEE10hipError_tPvRmT1_T2_T3_mT4_P12ihipStream_tbEUlT_E0_NS1_11comp_targetILNS1_3genE10ELNS1_11target_archE1201ELNS1_3gpuE5ELNS1_3repE0EEENS1_30default_config_static_selectorELNS0_4arch9wavefront6targetE1EEEvSK_.num_agpr, 0
	.set _ZN7rocprim17ROCPRIM_400000_NS6detail17trampoline_kernelINS0_14default_configENS1_22reduce_config_selectorIiEEZNS1_11reduce_implILb1ES3_N6thrust23THRUST_200600_302600_NS6detail15normal_iteratorINS8_10device_ptrIiEEEEPii9plus_mod3IiEEE10hipError_tPvRmT1_T2_T3_mT4_P12ihipStream_tbEUlT_E0_NS1_11comp_targetILNS1_3genE10ELNS1_11target_archE1201ELNS1_3gpuE5ELNS1_3repE0EEENS1_30default_config_static_selectorELNS0_4arch9wavefront6targetE1EEEvSK_.numbered_sgpr, 0
	.set _ZN7rocprim17ROCPRIM_400000_NS6detail17trampoline_kernelINS0_14default_configENS1_22reduce_config_selectorIiEEZNS1_11reduce_implILb1ES3_N6thrust23THRUST_200600_302600_NS6detail15normal_iteratorINS8_10device_ptrIiEEEEPii9plus_mod3IiEEE10hipError_tPvRmT1_T2_T3_mT4_P12ihipStream_tbEUlT_E0_NS1_11comp_targetILNS1_3genE10ELNS1_11target_archE1201ELNS1_3gpuE5ELNS1_3repE0EEENS1_30default_config_static_selectorELNS0_4arch9wavefront6targetE1EEEvSK_.num_named_barrier, 0
	.set _ZN7rocprim17ROCPRIM_400000_NS6detail17trampoline_kernelINS0_14default_configENS1_22reduce_config_selectorIiEEZNS1_11reduce_implILb1ES3_N6thrust23THRUST_200600_302600_NS6detail15normal_iteratorINS8_10device_ptrIiEEEEPii9plus_mod3IiEEE10hipError_tPvRmT1_T2_T3_mT4_P12ihipStream_tbEUlT_E0_NS1_11comp_targetILNS1_3genE10ELNS1_11target_archE1201ELNS1_3gpuE5ELNS1_3repE0EEENS1_30default_config_static_selectorELNS0_4arch9wavefront6targetE1EEEvSK_.private_seg_size, 0
	.set _ZN7rocprim17ROCPRIM_400000_NS6detail17trampoline_kernelINS0_14default_configENS1_22reduce_config_selectorIiEEZNS1_11reduce_implILb1ES3_N6thrust23THRUST_200600_302600_NS6detail15normal_iteratorINS8_10device_ptrIiEEEEPii9plus_mod3IiEEE10hipError_tPvRmT1_T2_T3_mT4_P12ihipStream_tbEUlT_E0_NS1_11comp_targetILNS1_3genE10ELNS1_11target_archE1201ELNS1_3gpuE5ELNS1_3repE0EEENS1_30default_config_static_selectorELNS0_4arch9wavefront6targetE1EEEvSK_.uses_vcc, 0
	.set _ZN7rocprim17ROCPRIM_400000_NS6detail17trampoline_kernelINS0_14default_configENS1_22reduce_config_selectorIiEEZNS1_11reduce_implILb1ES3_N6thrust23THRUST_200600_302600_NS6detail15normal_iteratorINS8_10device_ptrIiEEEEPii9plus_mod3IiEEE10hipError_tPvRmT1_T2_T3_mT4_P12ihipStream_tbEUlT_E0_NS1_11comp_targetILNS1_3genE10ELNS1_11target_archE1201ELNS1_3gpuE5ELNS1_3repE0EEENS1_30default_config_static_selectorELNS0_4arch9wavefront6targetE1EEEvSK_.uses_flat_scratch, 0
	.set _ZN7rocprim17ROCPRIM_400000_NS6detail17trampoline_kernelINS0_14default_configENS1_22reduce_config_selectorIiEEZNS1_11reduce_implILb1ES3_N6thrust23THRUST_200600_302600_NS6detail15normal_iteratorINS8_10device_ptrIiEEEEPii9plus_mod3IiEEE10hipError_tPvRmT1_T2_T3_mT4_P12ihipStream_tbEUlT_E0_NS1_11comp_targetILNS1_3genE10ELNS1_11target_archE1201ELNS1_3gpuE5ELNS1_3repE0EEENS1_30default_config_static_selectorELNS0_4arch9wavefront6targetE1EEEvSK_.has_dyn_sized_stack, 0
	.set _ZN7rocprim17ROCPRIM_400000_NS6detail17trampoline_kernelINS0_14default_configENS1_22reduce_config_selectorIiEEZNS1_11reduce_implILb1ES3_N6thrust23THRUST_200600_302600_NS6detail15normal_iteratorINS8_10device_ptrIiEEEEPii9plus_mod3IiEEE10hipError_tPvRmT1_T2_T3_mT4_P12ihipStream_tbEUlT_E0_NS1_11comp_targetILNS1_3genE10ELNS1_11target_archE1201ELNS1_3gpuE5ELNS1_3repE0EEENS1_30default_config_static_selectorELNS0_4arch9wavefront6targetE1EEEvSK_.has_recursion, 0
	.set _ZN7rocprim17ROCPRIM_400000_NS6detail17trampoline_kernelINS0_14default_configENS1_22reduce_config_selectorIiEEZNS1_11reduce_implILb1ES3_N6thrust23THRUST_200600_302600_NS6detail15normal_iteratorINS8_10device_ptrIiEEEEPii9plus_mod3IiEEE10hipError_tPvRmT1_T2_T3_mT4_P12ihipStream_tbEUlT_E0_NS1_11comp_targetILNS1_3genE10ELNS1_11target_archE1201ELNS1_3gpuE5ELNS1_3repE0EEENS1_30default_config_static_selectorELNS0_4arch9wavefront6targetE1EEEvSK_.has_indirect_call, 0
	.section	.AMDGPU.csdata,"",@progbits
; Kernel info:
; codeLenInByte = 0
; TotalNumSgprs: 6
; NumVgprs: 0
; NumAgprs: 0
; TotalNumVgprs: 0
; ScratchSize: 0
; MemoryBound: 0
; FloatMode: 240
; IeeeMode: 1
; LDSByteSize: 0 bytes/workgroup (compile time only)
; SGPRBlocks: 0
; VGPRBlocks: 0
; NumSGPRsForWavesPerEU: 6
; NumVGPRsForWavesPerEU: 1
; AccumOffset: 4
; Occupancy: 8
; WaveLimiterHint : 0
; COMPUTE_PGM_RSRC2:SCRATCH_EN: 0
; COMPUTE_PGM_RSRC2:USER_SGPR: 2
; COMPUTE_PGM_RSRC2:TRAP_HANDLER: 0
; COMPUTE_PGM_RSRC2:TGID_X_EN: 1
; COMPUTE_PGM_RSRC2:TGID_Y_EN: 0
; COMPUTE_PGM_RSRC2:TGID_Z_EN: 0
; COMPUTE_PGM_RSRC2:TIDIG_COMP_CNT: 0
; COMPUTE_PGM_RSRC3_GFX90A:ACCUM_OFFSET: 0
; COMPUTE_PGM_RSRC3_GFX90A:TG_SPLIT: 0
	.section	.text._ZN7rocprim17ROCPRIM_400000_NS6detail17trampoline_kernelINS0_14default_configENS1_22reduce_config_selectorIiEEZNS1_11reduce_implILb1ES3_N6thrust23THRUST_200600_302600_NS6detail15normal_iteratorINS8_10device_ptrIiEEEEPii9plus_mod3IiEEE10hipError_tPvRmT1_T2_T3_mT4_P12ihipStream_tbEUlT_E0_NS1_11comp_targetILNS1_3genE10ELNS1_11target_archE1200ELNS1_3gpuE4ELNS1_3repE0EEENS1_30default_config_static_selectorELNS0_4arch9wavefront6targetE1EEEvSK_,"axG",@progbits,_ZN7rocprim17ROCPRIM_400000_NS6detail17trampoline_kernelINS0_14default_configENS1_22reduce_config_selectorIiEEZNS1_11reduce_implILb1ES3_N6thrust23THRUST_200600_302600_NS6detail15normal_iteratorINS8_10device_ptrIiEEEEPii9plus_mod3IiEEE10hipError_tPvRmT1_T2_T3_mT4_P12ihipStream_tbEUlT_E0_NS1_11comp_targetILNS1_3genE10ELNS1_11target_archE1200ELNS1_3gpuE4ELNS1_3repE0EEENS1_30default_config_static_selectorELNS0_4arch9wavefront6targetE1EEEvSK_,comdat
	.protected	_ZN7rocprim17ROCPRIM_400000_NS6detail17trampoline_kernelINS0_14default_configENS1_22reduce_config_selectorIiEEZNS1_11reduce_implILb1ES3_N6thrust23THRUST_200600_302600_NS6detail15normal_iteratorINS8_10device_ptrIiEEEEPii9plus_mod3IiEEE10hipError_tPvRmT1_T2_T3_mT4_P12ihipStream_tbEUlT_E0_NS1_11comp_targetILNS1_3genE10ELNS1_11target_archE1200ELNS1_3gpuE4ELNS1_3repE0EEENS1_30default_config_static_selectorELNS0_4arch9wavefront6targetE1EEEvSK_ ; -- Begin function _ZN7rocprim17ROCPRIM_400000_NS6detail17trampoline_kernelINS0_14default_configENS1_22reduce_config_selectorIiEEZNS1_11reduce_implILb1ES3_N6thrust23THRUST_200600_302600_NS6detail15normal_iteratorINS8_10device_ptrIiEEEEPii9plus_mod3IiEEE10hipError_tPvRmT1_T2_T3_mT4_P12ihipStream_tbEUlT_E0_NS1_11comp_targetILNS1_3genE10ELNS1_11target_archE1200ELNS1_3gpuE4ELNS1_3repE0EEENS1_30default_config_static_selectorELNS0_4arch9wavefront6targetE1EEEvSK_
	.globl	_ZN7rocprim17ROCPRIM_400000_NS6detail17trampoline_kernelINS0_14default_configENS1_22reduce_config_selectorIiEEZNS1_11reduce_implILb1ES3_N6thrust23THRUST_200600_302600_NS6detail15normal_iteratorINS8_10device_ptrIiEEEEPii9plus_mod3IiEEE10hipError_tPvRmT1_T2_T3_mT4_P12ihipStream_tbEUlT_E0_NS1_11comp_targetILNS1_3genE10ELNS1_11target_archE1200ELNS1_3gpuE4ELNS1_3repE0EEENS1_30default_config_static_selectorELNS0_4arch9wavefront6targetE1EEEvSK_
	.p2align	8
	.type	_ZN7rocprim17ROCPRIM_400000_NS6detail17trampoline_kernelINS0_14default_configENS1_22reduce_config_selectorIiEEZNS1_11reduce_implILb1ES3_N6thrust23THRUST_200600_302600_NS6detail15normal_iteratorINS8_10device_ptrIiEEEEPii9plus_mod3IiEEE10hipError_tPvRmT1_T2_T3_mT4_P12ihipStream_tbEUlT_E0_NS1_11comp_targetILNS1_3genE10ELNS1_11target_archE1200ELNS1_3gpuE4ELNS1_3repE0EEENS1_30default_config_static_selectorELNS0_4arch9wavefront6targetE1EEEvSK_,@function
_ZN7rocprim17ROCPRIM_400000_NS6detail17trampoline_kernelINS0_14default_configENS1_22reduce_config_selectorIiEEZNS1_11reduce_implILb1ES3_N6thrust23THRUST_200600_302600_NS6detail15normal_iteratorINS8_10device_ptrIiEEEEPii9plus_mod3IiEEE10hipError_tPvRmT1_T2_T3_mT4_P12ihipStream_tbEUlT_E0_NS1_11comp_targetILNS1_3genE10ELNS1_11target_archE1200ELNS1_3gpuE4ELNS1_3repE0EEENS1_30default_config_static_selectorELNS0_4arch9wavefront6targetE1EEEvSK_: ; @_ZN7rocprim17ROCPRIM_400000_NS6detail17trampoline_kernelINS0_14default_configENS1_22reduce_config_selectorIiEEZNS1_11reduce_implILb1ES3_N6thrust23THRUST_200600_302600_NS6detail15normal_iteratorINS8_10device_ptrIiEEEEPii9plus_mod3IiEEE10hipError_tPvRmT1_T2_T3_mT4_P12ihipStream_tbEUlT_E0_NS1_11comp_targetILNS1_3genE10ELNS1_11target_archE1200ELNS1_3gpuE4ELNS1_3repE0EEENS1_30default_config_static_selectorELNS0_4arch9wavefront6targetE1EEEvSK_
; %bb.0:
	.section	.rodata,"a",@progbits
	.p2align	6, 0x0
	.amdhsa_kernel _ZN7rocprim17ROCPRIM_400000_NS6detail17trampoline_kernelINS0_14default_configENS1_22reduce_config_selectorIiEEZNS1_11reduce_implILb1ES3_N6thrust23THRUST_200600_302600_NS6detail15normal_iteratorINS8_10device_ptrIiEEEEPii9plus_mod3IiEEE10hipError_tPvRmT1_T2_T3_mT4_P12ihipStream_tbEUlT_E0_NS1_11comp_targetILNS1_3genE10ELNS1_11target_archE1200ELNS1_3gpuE4ELNS1_3repE0EEENS1_30default_config_static_selectorELNS0_4arch9wavefront6targetE1EEEvSK_
		.amdhsa_group_segment_fixed_size 0
		.amdhsa_private_segment_fixed_size 0
		.amdhsa_kernarg_size 64
		.amdhsa_user_sgpr_count 2
		.amdhsa_user_sgpr_dispatch_ptr 0
		.amdhsa_user_sgpr_queue_ptr 0
		.amdhsa_user_sgpr_kernarg_segment_ptr 1
		.amdhsa_user_sgpr_dispatch_id 0
		.amdhsa_user_sgpr_kernarg_preload_length 0
		.amdhsa_user_sgpr_kernarg_preload_offset 0
		.amdhsa_user_sgpr_private_segment_size 0
		.amdhsa_uses_dynamic_stack 0
		.amdhsa_enable_private_segment 0
		.amdhsa_system_sgpr_workgroup_id_x 1
		.amdhsa_system_sgpr_workgroup_id_y 0
		.amdhsa_system_sgpr_workgroup_id_z 0
		.amdhsa_system_sgpr_workgroup_info 0
		.amdhsa_system_vgpr_workitem_id 0
		.amdhsa_next_free_vgpr 1
		.amdhsa_next_free_sgpr 0
		.amdhsa_accum_offset 4
		.amdhsa_reserve_vcc 0
		.amdhsa_float_round_mode_32 0
		.amdhsa_float_round_mode_16_64 0
		.amdhsa_float_denorm_mode_32 3
		.amdhsa_float_denorm_mode_16_64 3
		.amdhsa_dx10_clamp 1
		.amdhsa_ieee_mode 1
		.amdhsa_fp16_overflow 0
		.amdhsa_tg_split 0
		.amdhsa_exception_fp_ieee_invalid_op 0
		.amdhsa_exception_fp_denorm_src 0
		.amdhsa_exception_fp_ieee_div_zero 0
		.amdhsa_exception_fp_ieee_overflow 0
		.amdhsa_exception_fp_ieee_underflow 0
		.amdhsa_exception_fp_ieee_inexact 0
		.amdhsa_exception_int_div_zero 0
	.end_amdhsa_kernel
	.section	.text._ZN7rocprim17ROCPRIM_400000_NS6detail17trampoline_kernelINS0_14default_configENS1_22reduce_config_selectorIiEEZNS1_11reduce_implILb1ES3_N6thrust23THRUST_200600_302600_NS6detail15normal_iteratorINS8_10device_ptrIiEEEEPii9plus_mod3IiEEE10hipError_tPvRmT1_T2_T3_mT4_P12ihipStream_tbEUlT_E0_NS1_11comp_targetILNS1_3genE10ELNS1_11target_archE1200ELNS1_3gpuE4ELNS1_3repE0EEENS1_30default_config_static_selectorELNS0_4arch9wavefront6targetE1EEEvSK_,"axG",@progbits,_ZN7rocprim17ROCPRIM_400000_NS6detail17trampoline_kernelINS0_14default_configENS1_22reduce_config_selectorIiEEZNS1_11reduce_implILb1ES3_N6thrust23THRUST_200600_302600_NS6detail15normal_iteratorINS8_10device_ptrIiEEEEPii9plus_mod3IiEEE10hipError_tPvRmT1_T2_T3_mT4_P12ihipStream_tbEUlT_E0_NS1_11comp_targetILNS1_3genE10ELNS1_11target_archE1200ELNS1_3gpuE4ELNS1_3repE0EEENS1_30default_config_static_selectorELNS0_4arch9wavefront6targetE1EEEvSK_,comdat
.Lfunc_end935:
	.size	_ZN7rocprim17ROCPRIM_400000_NS6detail17trampoline_kernelINS0_14default_configENS1_22reduce_config_selectorIiEEZNS1_11reduce_implILb1ES3_N6thrust23THRUST_200600_302600_NS6detail15normal_iteratorINS8_10device_ptrIiEEEEPii9plus_mod3IiEEE10hipError_tPvRmT1_T2_T3_mT4_P12ihipStream_tbEUlT_E0_NS1_11comp_targetILNS1_3genE10ELNS1_11target_archE1200ELNS1_3gpuE4ELNS1_3repE0EEENS1_30default_config_static_selectorELNS0_4arch9wavefront6targetE1EEEvSK_, .Lfunc_end935-_ZN7rocprim17ROCPRIM_400000_NS6detail17trampoline_kernelINS0_14default_configENS1_22reduce_config_selectorIiEEZNS1_11reduce_implILb1ES3_N6thrust23THRUST_200600_302600_NS6detail15normal_iteratorINS8_10device_ptrIiEEEEPii9plus_mod3IiEEE10hipError_tPvRmT1_T2_T3_mT4_P12ihipStream_tbEUlT_E0_NS1_11comp_targetILNS1_3genE10ELNS1_11target_archE1200ELNS1_3gpuE4ELNS1_3repE0EEENS1_30default_config_static_selectorELNS0_4arch9wavefront6targetE1EEEvSK_
                                        ; -- End function
	.set _ZN7rocprim17ROCPRIM_400000_NS6detail17trampoline_kernelINS0_14default_configENS1_22reduce_config_selectorIiEEZNS1_11reduce_implILb1ES3_N6thrust23THRUST_200600_302600_NS6detail15normal_iteratorINS8_10device_ptrIiEEEEPii9plus_mod3IiEEE10hipError_tPvRmT1_T2_T3_mT4_P12ihipStream_tbEUlT_E0_NS1_11comp_targetILNS1_3genE10ELNS1_11target_archE1200ELNS1_3gpuE4ELNS1_3repE0EEENS1_30default_config_static_selectorELNS0_4arch9wavefront6targetE1EEEvSK_.num_vgpr, 0
	.set _ZN7rocprim17ROCPRIM_400000_NS6detail17trampoline_kernelINS0_14default_configENS1_22reduce_config_selectorIiEEZNS1_11reduce_implILb1ES3_N6thrust23THRUST_200600_302600_NS6detail15normal_iteratorINS8_10device_ptrIiEEEEPii9plus_mod3IiEEE10hipError_tPvRmT1_T2_T3_mT4_P12ihipStream_tbEUlT_E0_NS1_11comp_targetILNS1_3genE10ELNS1_11target_archE1200ELNS1_3gpuE4ELNS1_3repE0EEENS1_30default_config_static_selectorELNS0_4arch9wavefront6targetE1EEEvSK_.num_agpr, 0
	.set _ZN7rocprim17ROCPRIM_400000_NS6detail17trampoline_kernelINS0_14default_configENS1_22reduce_config_selectorIiEEZNS1_11reduce_implILb1ES3_N6thrust23THRUST_200600_302600_NS6detail15normal_iteratorINS8_10device_ptrIiEEEEPii9plus_mod3IiEEE10hipError_tPvRmT1_T2_T3_mT4_P12ihipStream_tbEUlT_E0_NS1_11comp_targetILNS1_3genE10ELNS1_11target_archE1200ELNS1_3gpuE4ELNS1_3repE0EEENS1_30default_config_static_selectorELNS0_4arch9wavefront6targetE1EEEvSK_.numbered_sgpr, 0
	.set _ZN7rocprim17ROCPRIM_400000_NS6detail17trampoline_kernelINS0_14default_configENS1_22reduce_config_selectorIiEEZNS1_11reduce_implILb1ES3_N6thrust23THRUST_200600_302600_NS6detail15normal_iteratorINS8_10device_ptrIiEEEEPii9plus_mod3IiEEE10hipError_tPvRmT1_T2_T3_mT4_P12ihipStream_tbEUlT_E0_NS1_11comp_targetILNS1_3genE10ELNS1_11target_archE1200ELNS1_3gpuE4ELNS1_3repE0EEENS1_30default_config_static_selectorELNS0_4arch9wavefront6targetE1EEEvSK_.num_named_barrier, 0
	.set _ZN7rocprim17ROCPRIM_400000_NS6detail17trampoline_kernelINS0_14default_configENS1_22reduce_config_selectorIiEEZNS1_11reduce_implILb1ES3_N6thrust23THRUST_200600_302600_NS6detail15normal_iteratorINS8_10device_ptrIiEEEEPii9plus_mod3IiEEE10hipError_tPvRmT1_T2_T3_mT4_P12ihipStream_tbEUlT_E0_NS1_11comp_targetILNS1_3genE10ELNS1_11target_archE1200ELNS1_3gpuE4ELNS1_3repE0EEENS1_30default_config_static_selectorELNS0_4arch9wavefront6targetE1EEEvSK_.private_seg_size, 0
	.set _ZN7rocprim17ROCPRIM_400000_NS6detail17trampoline_kernelINS0_14default_configENS1_22reduce_config_selectorIiEEZNS1_11reduce_implILb1ES3_N6thrust23THRUST_200600_302600_NS6detail15normal_iteratorINS8_10device_ptrIiEEEEPii9plus_mod3IiEEE10hipError_tPvRmT1_T2_T3_mT4_P12ihipStream_tbEUlT_E0_NS1_11comp_targetILNS1_3genE10ELNS1_11target_archE1200ELNS1_3gpuE4ELNS1_3repE0EEENS1_30default_config_static_selectorELNS0_4arch9wavefront6targetE1EEEvSK_.uses_vcc, 0
	.set _ZN7rocprim17ROCPRIM_400000_NS6detail17trampoline_kernelINS0_14default_configENS1_22reduce_config_selectorIiEEZNS1_11reduce_implILb1ES3_N6thrust23THRUST_200600_302600_NS6detail15normal_iteratorINS8_10device_ptrIiEEEEPii9plus_mod3IiEEE10hipError_tPvRmT1_T2_T3_mT4_P12ihipStream_tbEUlT_E0_NS1_11comp_targetILNS1_3genE10ELNS1_11target_archE1200ELNS1_3gpuE4ELNS1_3repE0EEENS1_30default_config_static_selectorELNS0_4arch9wavefront6targetE1EEEvSK_.uses_flat_scratch, 0
	.set _ZN7rocprim17ROCPRIM_400000_NS6detail17trampoline_kernelINS0_14default_configENS1_22reduce_config_selectorIiEEZNS1_11reduce_implILb1ES3_N6thrust23THRUST_200600_302600_NS6detail15normal_iteratorINS8_10device_ptrIiEEEEPii9plus_mod3IiEEE10hipError_tPvRmT1_T2_T3_mT4_P12ihipStream_tbEUlT_E0_NS1_11comp_targetILNS1_3genE10ELNS1_11target_archE1200ELNS1_3gpuE4ELNS1_3repE0EEENS1_30default_config_static_selectorELNS0_4arch9wavefront6targetE1EEEvSK_.has_dyn_sized_stack, 0
	.set _ZN7rocprim17ROCPRIM_400000_NS6detail17trampoline_kernelINS0_14default_configENS1_22reduce_config_selectorIiEEZNS1_11reduce_implILb1ES3_N6thrust23THRUST_200600_302600_NS6detail15normal_iteratorINS8_10device_ptrIiEEEEPii9plus_mod3IiEEE10hipError_tPvRmT1_T2_T3_mT4_P12ihipStream_tbEUlT_E0_NS1_11comp_targetILNS1_3genE10ELNS1_11target_archE1200ELNS1_3gpuE4ELNS1_3repE0EEENS1_30default_config_static_selectorELNS0_4arch9wavefront6targetE1EEEvSK_.has_recursion, 0
	.set _ZN7rocprim17ROCPRIM_400000_NS6detail17trampoline_kernelINS0_14default_configENS1_22reduce_config_selectorIiEEZNS1_11reduce_implILb1ES3_N6thrust23THRUST_200600_302600_NS6detail15normal_iteratorINS8_10device_ptrIiEEEEPii9plus_mod3IiEEE10hipError_tPvRmT1_T2_T3_mT4_P12ihipStream_tbEUlT_E0_NS1_11comp_targetILNS1_3genE10ELNS1_11target_archE1200ELNS1_3gpuE4ELNS1_3repE0EEENS1_30default_config_static_selectorELNS0_4arch9wavefront6targetE1EEEvSK_.has_indirect_call, 0
	.section	.AMDGPU.csdata,"",@progbits
; Kernel info:
; codeLenInByte = 0
; TotalNumSgprs: 6
; NumVgprs: 0
; NumAgprs: 0
; TotalNumVgprs: 0
; ScratchSize: 0
; MemoryBound: 0
; FloatMode: 240
; IeeeMode: 1
; LDSByteSize: 0 bytes/workgroup (compile time only)
; SGPRBlocks: 0
; VGPRBlocks: 0
; NumSGPRsForWavesPerEU: 6
; NumVGPRsForWavesPerEU: 1
; AccumOffset: 4
; Occupancy: 8
; WaveLimiterHint : 0
; COMPUTE_PGM_RSRC2:SCRATCH_EN: 0
; COMPUTE_PGM_RSRC2:USER_SGPR: 2
; COMPUTE_PGM_RSRC2:TRAP_HANDLER: 0
; COMPUTE_PGM_RSRC2:TGID_X_EN: 1
; COMPUTE_PGM_RSRC2:TGID_Y_EN: 0
; COMPUTE_PGM_RSRC2:TGID_Z_EN: 0
; COMPUTE_PGM_RSRC2:TIDIG_COMP_CNT: 0
; COMPUTE_PGM_RSRC3_GFX90A:ACCUM_OFFSET: 0
; COMPUTE_PGM_RSRC3_GFX90A:TG_SPLIT: 0
	.section	.text._ZN7rocprim17ROCPRIM_400000_NS6detail17trampoline_kernelINS0_14default_configENS1_22reduce_config_selectorIiEEZNS1_11reduce_implILb1ES3_N6thrust23THRUST_200600_302600_NS6detail15normal_iteratorINS8_10device_ptrIiEEEEPii9plus_mod3IiEEE10hipError_tPvRmT1_T2_T3_mT4_P12ihipStream_tbEUlT_E0_NS1_11comp_targetILNS1_3genE9ELNS1_11target_archE1100ELNS1_3gpuE3ELNS1_3repE0EEENS1_30default_config_static_selectorELNS0_4arch9wavefront6targetE1EEEvSK_,"axG",@progbits,_ZN7rocprim17ROCPRIM_400000_NS6detail17trampoline_kernelINS0_14default_configENS1_22reduce_config_selectorIiEEZNS1_11reduce_implILb1ES3_N6thrust23THRUST_200600_302600_NS6detail15normal_iteratorINS8_10device_ptrIiEEEEPii9plus_mod3IiEEE10hipError_tPvRmT1_T2_T3_mT4_P12ihipStream_tbEUlT_E0_NS1_11comp_targetILNS1_3genE9ELNS1_11target_archE1100ELNS1_3gpuE3ELNS1_3repE0EEENS1_30default_config_static_selectorELNS0_4arch9wavefront6targetE1EEEvSK_,comdat
	.protected	_ZN7rocprim17ROCPRIM_400000_NS6detail17trampoline_kernelINS0_14default_configENS1_22reduce_config_selectorIiEEZNS1_11reduce_implILb1ES3_N6thrust23THRUST_200600_302600_NS6detail15normal_iteratorINS8_10device_ptrIiEEEEPii9plus_mod3IiEEE10hipError_tPvRmT1_T2_T3_mT4_P12ihipStream_tbEUlT_E0_NS1_11comp_targetILNS1_3genE9ELNS1_11target_archE1100ELNS1_3gpuE3ELNS1_3repE0EEENS1_30default_config_static_selectorELNS0_4arch9wavefront6targetE1EEEvSK_ ; -- Begin function _ZN7rocprim17ROCPRIM_400000_NS6detail17trampoline_kernelINS0_14default_configENS1_22reduce_config_selectorIiEEZNS1_11reduce_implILb1ES3_N6thrust23THRUST_200600_302600_NS6detail15normal_iteratorINS8_10device_ptrIiEEEEPii9plus_mod3IiEEE10hipError_tPvRmT1_T2_T3_mT4_P12ihipStream_tbEUlT_E0_NS1_11comp_targetILNS1_3genE9ELNS1_11target_archE1100ELNS1_3gpuE3ELNS1_3repE0EEENS1_30default_config_static_selectorELNS0_4arch9wavefront6targetE1EEEvSK_
	.globl	_ZN7rocprim17ROCPRIM_400000_NS6detail17trampoline_kernelINS0_14default_configENS1_22reduce_config_selectorIiEEZNS1_11reduce_implILb1ES3_N6thrust23THRUST_200600_302600_NS6detail15normal_iteratorINS8_10device_ptrIiEEEEPii9plus_mod3IiEEE10hipError_tPvRmT1_T2_T3_mT4_P12ihipStream_tbEUlT_E0_NS1_11comp_targetILNS1_3genE9ELNS1_11target_archE1100ELNS1_3gpuE3ELNS1_3repE0EEENS1_30default_config_static_selectorELNS0_4arch9wavefront6targetE1EEEvSK_
	.p2align	8
	.type	_ZN7rocprim17ROCPRIM_400000_NS6detail17trampoline_kernelINS0_14default_configENS1_22reduce_config_selectorIiEEZNS1_11reduce_implILb1ES3_N6thrust23THRUST_200600_302600_NS6detail15normal_iteratorINS8_10device_ptrIiEEEEPii9plus_mod3IiEEE10hipError_tPvRmT1_T2_T3_mT4_P12ihipStream_tbEUlT_E0_NS1_11comp_targetILNS1_3genE9ELNS1_11target_archE1100ELNS1_3gpuE3ELNS1_3repE0EEENS1_30default_config_static_selectorELNS0_4arch9wavefront6targetE1EEEvSK_,@function
_ZN7rocprim17ROCPRIM_400000_NS6detail17trampoline_kernelINS0_14default_configENS1_22reduce_config_selectorIiEEZNS1_11reduce_implILb1ES3_N6thrust23THRUST_200600_302600_NS6detail15normal_iteratorINS8_10device_ptrIiEEEEPii9plus_mod3IiEEE10hipError_tPvRmT1_T2_T3_mT4_P12ihipStream_tbEUlT_E0_NS1_11comp_targetILNS1_3genE9ELNS1_11target_archE1100ELNS1_3gpuE3ELNS1_3repE0EEENS1_30default_config_static_selectorELNS0_4arch9wavefront6targetE1EEEvSK_: ; @_ZN7rocprim17ROCPRIM_400000_NS6detail17trampoline_kernelINS0_14default_configENS1_22reduce_config_selectorIiEEZNS1_11reduce_implILb1ES3_N6thrust23THRUST_200600_302600_NS6detail15normal_iteratorINS8_10device_ptrIiEEEEPii9plus_mod3IiEEE10hipError_tPvRmT1_T2_T3_mT4_P12ihipStream_tbEUlT_E0_NS1_11comp_targetILNS1_3genE9ELNS1_11target_archE1100ELNS1_3gpuE3ELNS1_3repE0EEENS1_30default_config_static_selectorELNS0_4arch9wavefront6targetE1EEEvSK_
; %bb.0:
	.section	.rodata,"a",@progbits
	.p2align	6, 0x0
	.amdhsa_kernel _ZN7rocprim17ROCPRIM_400000_NS6detail17trampoline_kernelINS0_14default_configENS1_22reduce_config_selectorIiEEZNS1_11reduce_implILb1ES3_N6thrust23THRUST_200600_302600_NS6detail15normal_iteratorINS8_10device_ptrIiEEEEPii9plus_mod3IiEEE10hipError_tPvRmT1_T2_T3_mT4_P12ihipStream_tbEUlT_E0_NS1_11comp_targetILNS1_3genE9ELNS1_11target_archE1100ELNS1_3gpuE3ELNS1_3repE0EEENS1_30default_config_static_selectorELNS0_4arch9wavefront6targetE1EEEvSK_
		.amdhsa_group_segment_fixed_size 0
		.amdhsa_private_segment_fixed_size 0
		.amdhsa_kernarg_size 64
		.amdhsa_user_sgpr_count 2
		.amdhsa_user_sgpr_dispatch_ptr 0
		.amdhsa_user_sgpr_queue_ptr 0
		.amdhsa_user_sgpr_kernarg_segment_ptr 1
		.amdhsa_user_sgpr_dispatch_id 0
		.amdhsa_user_sgpr_kernarg_preload_length 0
		.amdhsa_user_sgpr_kernarg_preload_offset 0
		.amdhsa_user_sgpr_private_segment_size 0
		.amdhsa_uses_dynamic_stack 0
		.amdhsa_enable_private_segment 0
		.amdhsa_system_sgpr_workgroup_id_x 1
		.amdhsa_system_sgpr_workgroup_id_y 0
		.amdhsa_system_sgpr_workgroup_id_z 0
		.amdhsa_system_sgpr_workgroup_info 0
		.amdhsa_system_vgpr_workitem_id 0
		.amdhsa_next_free_vgpr 1
		.amdhsa_next_free_sgpr 0
		.amdhsa_accum_offset 4
		.amdhsa_reserve_vcc 0
		.amdhsa_float_round_mode_32 0
		.amdhsa_float_round_mode_16_64 0
		.amdhsa_float_denorm_mode_32 3
		.amdhsa_float_denorm_mode_16_64 3
		.amdhsa_dx10_clamp 1
		.amdhsa_ieee_mode 1
		.amdhsa_fp16_overflow 0
		.amdhsa_tg_split 0
		.amdhsa_exception_fp_ieee_invalid_op 0
		.amdhsa_exception_fp_denorm_src 0
		.amdhsa_exception_fp_ieee_div_zero 0
		.amdhsa_exception_fp_ieee_overflow 0
		.amdhsa_exception_fp_ieee_underflow 0
		.amdhsa_exception_fp_ieee_inexact 0
		.amdhsa_exception_int_div_zero 0
	.end_amdhsa_kernel
	.section	.text._ZN7rocprim17ROCPRIM_400000_NS6detail17trampoline_kernelINS0_14default_configENS1_22reduce_config_selectorIiEEZNS1_11reduce_implILb1ES3_N6thrust23THRUST_200600_302600_NS6detail15normal_iteratorINS8_10device_ptrIiEEEEPii9plus_mod3IiEEE10hipError_tPvRmT1_T2_T3_mT4_P12ihipStream_tbEUlT_E0_NS1_11comp_targetILNS1_3genE9ELNS1_11target_archE1100ELNS1_3gpuE3ELNS1_3repE0EEENS1_30default_config_static_selectorELNS0_4arch9wavefront6targetE1EEEvSK_,"axG",@progbits,_ZN7rocprim17ROCPRIM_400000_NS6detail17trampoline_kernelINS0_14default_configENS1_22reduce_config_selectorIiEEZNS1_11reduce_implILb1ES3_N6thrust23THRUST_200600_302600_NS6detail15normal_iteratorINS8_10device_ptrIiEEEEPii9plus_mod3IiEEE10hipError_tPvRmT1_T2_T3_mT4_P12ihipStream_tbEUlT_E0_NS1_11comp_targetILNS1_3genE9ELNS1_11target_archE1100ELNS1_3gpuE3ELNS1_3repE0EEENS1_30default_config_static_selectorELNS0_4arch9wavefront6targetE1EEEvSK_,comdat
.Lfunc_end936:
	.size	_ZN7rocprim17ROCPRIM_400000_NS6detail17trampoline_kernelINS0_14default_configENS1_22reduce_config_selectorIiEEZNS1_11reduce_implILb1ES3_N6thrust23THRUST_200600_302600_NS6detail15normal_iteratorINS8_10device_ptrIiEEEEPii9plus_mod3IiEEE10hipError_tPvRmT1_T2_T3_mT4_P12ihipStream_tbEUlT_E0_NS1_11comp_targetILNS1_3genE9ELNS1_11target_archE1100ELNS1_3gpuE3ELNS1_3repE0EEENS1_30default_config_static_selectorELNS0_4arch9wavefront6targetE1EEEvSK_, .Lfunc_end936-_ZN7rocprim17ROCPRIM_400000_NS6detail17trampoline_kernelINS0_14default_configENS1_22reduce_config_selectorIiEEZNS1_11reduce_implILb1ES3_N6thrust23THRUST_200600_302600_NS6detail15normal_iteratorINS8_10device_ptrIiEEEEPii9plus_mod3IiEEE10hipError_tPvRmT1_T2_T3_mT4_P12ihipStream_tbEUlT_E0_NS1_11comp_targetILNS1_3genE9ELNS1_11target_archE1100ELNS1_3gpuE3ELNS1_3repE0EEENS1_30default_config_static_selectorELNS0_4arch9wavefront6targetE1EEEvSK_
                                        ; -- End function
	.set _ZN7rocprim17ROCPRIM_400000_NS6detail17trampoline_kernelINS0_14default_configENS1_22reduce_config_selectorIiEEZNS1_11reduce_implILb1ES3_N6thrust23THRUST_200600_302600_NS6detail15normal_iteratorINS8_10device_ptrIiEEEEPii9plus_mod3IiEEE10hipError_tPvRmT1_T2_T3_mT4_P12ihipStream_tbEUlT_E0_NS1_11comp_targetILNS1_3genE9ELNS1_11target_archE1100ELNS1_3gpuE3ELNS1_3repE0EEENS1_30default_config_static_selectorELNS0_4arch9wavefront6targetE1EEEvSK_.num_vgpr, 0
	.set _ZN7rocprim17ROCPRIM_400000_NS6detail17trampoline_kernelINS0_14default_configENS1_22reduce_config_selectorIiEEZNS1_11reduce_implILb1ES3_N6thrust23THRUST_200600_302600_NS6detail15normal_iteratorINS8_10device_ptrIiEEEEPii9plus_mod3IiEEE10hipError_tPvRmT1_T2_T3_mT4_P12ihipStream_tbEUlT_E0_NS1_11comp_targetILNS1_3genE9ELNS1_11target_archE1100ELNS1_3gpuE3ELNS1_3repE0EEENS1_30default_config_static_selectorELNS0_4arch9wavefront6targetE1EEEvSK_.num_agpr, 0
	.set _ZN7rocprim17ROCPRIM_400000_NS6detail17trampoline_kernelINS0_14default_configENS1_22reduce_config_selectorIiEEZNS1_11reduce_implILb1ES3_N6thrust23THRUST_200600_302600_NS6detail15normal_iteratorINS8_10device_ptrIiEEEEPii9plus_mod3IiEEE10hipError_tPvRmT1_T2_T3_mT4_P12ihipStream_tbEUlT_E0_NS1_11comp_targetILNS1_3genE9ELNS1_11target_archE1100ELNS1_3gpuE3ELNS1_3repE0EEENS1_30default_config_static_selectorELNS0_4arch9wavefront6targetE1EEEvSK_.numbered_sgpr, 0
	.set _ZN7rocprim17ROCPRIM_400000_NS6detail17trampoline_kernelINS0_14default_configENS1_22reduce_config_selectorIiEEZNS1_11reduce_implILb1ES3_N6thrust23THRUST_200600_302600_NS6detail15normal_iteratorINS8_10device_ptrIiEEEEPii9plus_mod3IiEEE10hipError_tPvRmT1_T2_T3_mT4_P12ihipStream_tbEUlT_E0_NS1_11comp_targetILNS1_3genE9ELNS1_11target_archE1100ELNS1_3gpuE3ELNS1_3repE0EEENS1_30default_config_static_selectorELNS0_4arch9wavefront6targetE1EEEvSK_.num_named_barrier, 0
	.set _ZN7rocprim17ROCPRIM_400000_NS6detail17trampoline_kernelINS0_14default_configENS1_22reduce_config_selectorIiEEZNS1_11reduce_implILb1ES3_N6thrust23THRUST_200600_302600_NS6detail15normal_iteratorINS8_10device_ptrIiEEEEPii9plus_mod3IiEEE10hipError_tPvRmT1_T2_T3_mT4_P12ihipStream_tbEUlT_E0_NS1_11comp_targetILNS1_3genE9ELNS1_11target_archE1100ELNS1_3gpuE3ELNS1_3repE0EEENS1_30default_config_static_selectorELNS0_4arch9wavefront6targetE1EEEvSK_.private_seg_size, 0
	.set _ZN7rocprim17ROCPRIM_400000_NS6detail17trampoline_kernelINS0_14default_configENS1_22reduce_config_selectorIiEEZNS1_11reduce_implILb1ES3_N6thrust23THRUST_200600_302600_NS6detail15normal_iteratorINS8_10device_ptrIiEEEEPii9plus_mod3IiEEE10hipError_tPvRmT1_T2_T3_mT4_P12ihipStream_tbEUlT_E0_NS1_11comp_targetILNS1_3genE9ELNS1_11target_archE1100ELNS1_3gpuE3ELNS1_3repE0EEENS1_30default_config_static_selectorELNS0_4arch9wavefront6targetE1EEEvSK_.uses_vcc, 0
	.set _ZN7rocprim17ROCPRIM_400000_NS6detail17trampoline_kernelINS0_14default_configENS1_22reduce_config_selectorIiEEZNS1_11reduce_implILb1ES3_N6thrust23THRUST_200600_302600_NS6detail15normal_iteratorINS8_10device_ptrIiEEEEPii9plus_mod3IiEEE10hipError_tPvRmT1_T2_T3_mT4_P12ihipStream_tbEUlT_E0_NS1_11comp_targetILNS1_3genE9ELNS1_11target_archE1100ELNS1_3gpuE3ELNS1_3repE0EEENS1_30default_config_static_selectorELNS0_4arch9wavefront6targetE1EEEvSK_.uses_flat_scratch, 0
	.set _ZN7rocprim17ROCPRIM_400000_NS6detail17trampoline_kernelINS0_14default_configENS1_22reduce_config_selectorIiEEZNS1_11reduce_implILb1ES3_N6thrust23THRUST_200600_302600_NS6detail15normal_iteratorINS8_10device_ptrIiEEEEPii9plus_mod3IiEEE10hipError_tPvRmT1_T2_T3_mT4_P12ihipStream_tbEUlT_E0_NS1_11comp_targetILNS1_3genE9ELNS1_11target_archE1100ELNS1_3gpuE3ELNS1_3repE0EEENS1_30default_config_static_selectorELNS0_4arch9wavefront6targetE1EEEvSK_.has_dyn_sized_stack, 0
	.set _ZN7rocprim17ROCPRIM_400000_NS6detail17trampoline_kernelINS0_14default_configENS1_22reduce_config_selectorIiEEZNS1_11reduce_implILb1ES3_N6thrust23THRUST_200600_302600_NS6detail15normal_iteratorINS8_10device_ptrIiEEEEPii9plus_mod3IiEEE10hipError_tPvRmT1_T2_T3_mT4_P12ihipStream_tbEUlT_E0_NS1_11comp_targetILNS1_3genE9ELNS1_11target_archE1100ELNS1_3gpuE3ELNS1_3repE0EEENS1_30default_config_static_selectorELNS0_4arch9wavefront6targetE1EEEvSK_.has_recursion, 0
	.set _ZN7rocprim17ROCPRIM_400000_NS6detail17trampoline_kernelINS0_14default_configENS1_22reduce_config_selectorIiEEZNS1_11reduce_implILb1ES3_N6thrust23THRUST_200600_302600_NS6detail15normal_iteratorINS8_10device_ptrIiEEEEPii9plus_mod3IiEEE10hipError_tPvRmT1_T2_T3_mT4_P12ihipStream_tbEUlT_E0_NS1_11comp_targetILNS1_3genE9ELNS1_11target_archE1100ELNS1_3gpuE3ELNS1_3repE0EEENS1_30default_config_static_selectorELNS0_4arch9wavefront6targetE1EEEvSK_.has_indirect_call, 0
	.section	.AMDGPU.csdata,"",@progbits
; Kernel info:
; codeLenInByte = 0
; TotalNumSgprs: 6
; NumVgprs: 0
; NumAgprs: 0
; TotalNumVgprs: 0
; ScratchSize: 0
; MemoryBound: 0
; FloatMode: 240
; IeeeMode: 1
; LDSByteSize: 0 bytes/workgroup (compile time only)
; SGPRBlocks: 0
; VGPRBlocks: 0
; NumSGPRsForWavesPerEU: 6
; NumVGPRsForWavesPerEU: 1
; AccumOffset: 4
; Occupancy: 8
; WaveLimiterHint : 0
; COMPUTE_PGM_RSRC2:SCRATCH_EN: 0
; COMPUTE_PGM_RSRC2:USER_SGPR: 2
; COMPUTE_PGM_RSRC2:TRAP_HANDLER: 0
; COMPUTE_PGM_RSRC2:TGID_X_EN: 1
; COMPUTE_PGM_RSRC2:TGID_Y_EN: 0
; COMPUTE_PGM_RSRC2:TGID_Z_EN: 0
; COMPUTE_PGM_RSRC2:TIDIG_COMP_CNT: 0
; COMPUTE_PGM_RSRC3_GFX90A:ACCUM_OFFSET: 0
; COMPUTE_PGM_RSRC3_GFX90A:TG_SPLIT: 0
	.section	.text._ZN7rocprim17ROCPRIM_400000_NS6detail17trampoline_kernelINS0_14default_configENS1_22reduce_config_selectorIiEEZNS1_11reduce_implILb1ES3_N6thrust23THRUST_200600_302600_NS6detail15normal_iteratorINS8_10device_ptrIiEEEEPii9plus_mod3IiEEE10hipError_tPvRmT1_T2_T3_mT4_P12ihipStream_tbEUlT_E0_NS1_11comp_targetILNS1_3genE8ELNS1_11target_archE1030ELNS1_3gpuE2ELNS1_3repE0EEENS1_30default_config_static_selectorELNS0_4arch9wavefront6targetE1EEEvSK_,"axG",@progbits,_ZN7rocprim17ROCPRIM_400000_NS6detail17trampoline_kernelINS0_14default_configENS1_22reduce_config_selectorIiEEZNS1_11reduce_implILb1ES3_N6thrust23THRUST_200600_302600_NS6detail15normal_iteratorINS8_10device_ptrIiEEEEPii9plus_mod3IiEEE10hipError_tPvRmT1_T2_T3_mT4_P12ihipStream_tbEUlT_E0_NS1_11comp_targetILNS1_3genE8ELNS1_11target_archE1030ELNS1_3gpuE2ELNS1_3repE0EEENS1_30default_config_static_selectorELNS0_4arch9wavefront6targetE1EEEvSK_,comdat
	.protected	_ZN7rocprim17ROCPRIM_400000_NS6detail17trampoline_kernelINS0_14default_configENS1_22reduce_config_selectorIiEEZNS1_11reduce_implILb1ES3_N6thrust23THRUST_200600_302600_NS6detail15normal_iteratorINS8_10device_ptrIiEEEEPii9plus_mod3IiEEE10hipError_tPvRmT1_T2_T3_mT4_P12ihipStream_tbEUlT_E0_NS1_11comp_targetILNS1_3genE8ELNS1_11target_archE1030ELNS1_3gpuE2ELNS1_3repE0EEENS1_30default_config_static_selectorELNS0_4arch9wavefront6targetE1EEEvSK_ ; -- Begin function _ZN7rocprim17ROCPRIM_400000_NS6detail17trampoline_kernelINS0_14default_configENS1_22reduce_config_selectorIiEEZNS1_11reduce_implILb1ES3_N6thrust23THRUST_200600_302600_NS6detail15normal_iteratorINS8_10device_ptrIiEEEEPii9plus_mod3IiEEE10hipError_tPvRmT1_T2_T3_mT4_P12ihipStream_tbEUlT_E0_NS1_11comp_targetILNS1_3genE8ELNS1_11target_archE1030ELNS1_3gpuE2ELNS1_3repE0EEENS1_30default_config_static_selectorELNS0_4arch9wavefront6targetE1EEEvSK_
	.globl	_ZN7rocprim17ROCPRIM_400000_NS6detail17trampoline_kernelINS0_14default_configENS1_22reduce_config_selectorIiEEZNS1_11reduce_implILb1ES3_N6thrust23THRUST_200600_302600_NS6detail15normal_iteratorINS8_10device_ptrIiEEEEPii9plus_mod3IiEEE10hipError_tPvRmT1_T2_T3_mT4_P12ihipStream_tbEUlT_E0_NS1_11comp_targetILNS1_3genE8ELNS1_11target_archE1030ELNS1_3gpuE2ELNS1_3repE0EEENS1_30default_config_static_selectorELNS0_4arch9wavefront6targetE1EEEvSK_
	.p2align	8
	.type	_ZN7rocprim17ROCPRIM_400000_NS6detail17trampoline_kernelINS0_14default_configENS1_22reduce_config_selectorIiEEZNS1_11reduce_implILb1ES3_N6thrust23THRUST_200600_302600_NS6detail15normal_iteratorINS8_10device_ptrIiEEEEPii9plus_mod3IiEEE10hipError_tPvRmT1_T2_T3_mT4_P12ihipStream_tbEUlT_E0_NS1_11comp_targetILNS1_3genE8ELNS1_11target_archE1030ELNS1_3gpuE2ELNS1_3repE0EEENS1_30default_config_static_selectorELNS0_4arch9wavefront6targetE1EEEvSK_,@function
_ZN7rocprim17ROCPRIM_400000_NS6detail17trampoline_kernelINS0_14default_configENS1_22reduce_config_selectorIiEEZNS1_11reduce_implILb1ES3_N6thrust23THRUST_200600_302600_NS6detail15normal_iteratorINS8_10device_ptrIiEEEEPii9plus_mod3IiEEE10hipError_tPvRmT1_T2_T3_mT4_P12ihipStream_tbEUlT_E0_NS1_11comp_targetILNS1_3genE8ELNS1_11target_archE1030ELNS1_3gpuE2ELNS1_3repE0EEENS1_30default_config_static_selectorELNS0_4arch9wavefront6targetE1EEEvSK_: ; @_ZN7rocprim17ROCPRIM_400000_NS6detail17trampoline_kernelINS0_14default_configENS1_22reduce_config_selectorIiEEZNS1_11reduce_implILb1ES3_N6thrust23THRUST_200600_302600_NS6detail15normal_iteratorINS8_10device_ptrIiEEEEPii9plus_mod3IiEEE10hipError_tPvRmT1_T2_T3_mT4_P12ihipStream_tbEUlT_E0_NS1_11comp_targetILNS1_3genE8ELNS1_11target_archE1030ELNS1_3gpuE2ELNS1_3repE0EEENS1_30default_config_static_selectorELNS0_4arch9wavefront6targetE1EEEvSK_
; %bb.0:
	.section	.rodata,"a",@progbits
	.p2align	6, 0x0
	.amdhsa_kernel _ZN7rocprim17ROCPRIM_400000_NS6detail17trampoline_kernelINS0_14default_configENS1_22reduce_config_selectorIiEEZNS1_11reduce_implILb1ES3_N6thrust23THRUST_200600_302600_NS6detail15normal_iteratorINS8_10device_ptrIiEEEEPii9plus_mod3IiEEE10hipError_tPvRmT1_T2_T3_mT4_P12ihipStream_tbEUlT_E0_NS1_11comp_targetILNS1_3genE8ELNS1_11target_archE1030ELNS1_3gpuE2ELNS1_3repE0EEENS1_30default_config_static_selectorELNS0_4arch9wavefront6targetE1EEEvSK_
		.amdhsa_group_segment_fixed_size 0
		.amdhsa_private_segment_fixed_size 0
		.amdhsa_kernarg_size 64
		.amdhsa_user_sgpr_count 2
		.amdhsa_user_sgpr_dispatch_ptr 0
		.amdhsa_user_sgpr_queue_ptr 0
		.amdhsa_user_sgpr_kernarg_segment_ptr 1
		.amdhsa_user_sgpr_dispatch_id 0
		.amdhsa_user_sgpr_kernarg_preload_length 0
		.amdhsa_user_sgpr_kernarg_preload_offset 0
		.amdhsa_user_sgpr_private_segment_size 0
		.amdhsa_uses_dynamic_stack 0
		.amdhsa_enable_private_segment 0
		.amdhsa_system_sgpr_workgroup_id_x 1
		.amdhsa_system_sgpr_workgroup_id_y 0
		.amdhsa_system_sgpr_workgroup_id_z 0
		.amdhsa_system_sgpr_workgroup_info 0
		.amdhsa_system_vgpr_workitem_id 0
		.amdhsa_next_free_vgpr 1
		.amdhsa_next_free_sgpr 0
		.amdhsa_accum_offset 4
		.amdhsa_reserve_vcc 0
		.amdhsa_float_round_mode_32 0
		.amdhsa_float_round_mode_16_64 0
		.amdhsa_float_denorm_mode_32 3
		.amdhsa_float_denorm_mode_16_64 3
		.amdhsa_dx10_clamp 1
		.amdhsa_ieee_mode 1
		.amdhsa_fp16_overflow 0
		.amdhsa_tg_split 0
		.amdhsa_exception_fp_ieee_invalid_op 0
		.amdhsa_exception_fp_denorm_src 0
		.amdhsa_exception_fp_ieee_div_zero 0
		.amdhsa_exception_fp_ieee_overflow 0
		.amdhsa_exception_fp_ieee_underflow 0
		.amdhsa_exception_fp_ieee_inexact 0
		.amdhsa_exception_int_div_zero 0
	.end_amdhsa_kernel
	.section	.text._ZN7rocprim17ROCPRIM_400000_NS6detail17trampoline_kernelINS0_14default_configENS1_22reduce_config_selectorIiEEZNS1_11reduce_implILb1ES3_N6thrust23THRUST_200600_302600_NS6detail15normal_iteratorINS8_10device_ptrIiEEEEPii9plus_mod3IiEEE10hipError_tPvRmT1_T2_T3_mT4_P12ihipStream_tbEUlT_E0_NS1_11comp_targetILNS1_3genE8ELNS1_11target_archE1030ELNS1_3gpuE2ELNS1_3repE0EEENS1_30default_config_static_selectorELNS0_4arch9wavefront6targetE1EEEvSK_,"axG",@progbits,_ZN7rocprim17ROCPRIM_400000_NS6detail17trampoline_kernelINS0_14default_configENS1_22reduce_config_selectorIiEEZNS1_11reduce_implILb1ES3_N6thrust23THRUST_200600_302600_NS6detail15normal_iteratorINS8_10device_ptrIiEEEEPii9plus_mod3IiEEE10hipError_tPvRmT1_T2_T3_mT4_P12ihipStream_tbEUlT_E0_NS1_11comp_targetILNS1_3genE8ELNS1_11target_archE1030ELNS1_3gpuE2ELNS1_3repE0EEENS1_30default_config_static_selectorELNS0_4arch9wavefront6targetE1EEEvSK_,comdat
.Lfunc_end937:
	.size	_ZN7rocprim17ROCPRIM_400000_NS6detail17trampoline_kernelINS0_14default_configENS1_22reduce_config_selectorIiEEZNS1_11reduce_implILb1ES3_N6thrust23THRUST_200600_302600_NS6detail15normal_iteratorINS8_10device_ptrIiEEEEPii9plus_mod3IiEEE10hipError_tPvRmT1_T2_T3_mT4_P12ihipStream_tbEUlT_E0_NS1_11comp_targetILNS1_3genE8ELNS1_11target_archE1030ELNS1_3gpuE2ELNS1_3repE0EEENS1_30default_config_static_selectorELNS0_4arch9wavefront6targetE1EEEvSK_, .Lfunc_end937-_ZN7rocprim17ROCPRIM_400000_NS6detail17trampoline_kernelINS0_14default_configENS1_22reduce_config_selectorIiEEZNS1_11reduce_implILb1ES3_N6thrust23THRUST_200600_302600_NS6detail15normal_iteratorINS8_10device_ptrIiEEEEPii9plus_mod3IiEEE10hipError_tPvRmT1_T2_T3_mT4_P12ihipStream_tbEUlT_E0_NS1_11comp_targetILNS1_3genE8ELNS1_11target_archE1030ELNS1_3gpuE2ELNS1_3repE0EEENS1_30default_config_static_selectorELNS0_4arch9wavefront6targetE1EEEvSK_
                                        ; -- End function
	.set _ZN7rocprim17ROCPRIM_400000_NS6detail17trampoline_kernelINS0_14default_configENS1_22reduce_config_selectorIiEEZNS1_11reduce_implILb1ES3_N6thrust23THRUST_200600_302600_NS6detail15normal_iteratorINS8_10device_ptrIiEEEEPii9plus_mod3IiEEE10hipError_tPvRmT1_T2_T3_mT4_P12ihipStream_tbEUlT_E0_NS1_11comp_targetILNS1_3genE8ELNS1_11target_archE1030ELNS1_3gpuE2ELNS1_3repE0EEENS1_30default_config_static_selectorELNS0_4arch9wavefront6targetE1EEEvSK_.num_vgpr, 0
	.set _ZN7rocprim17ROCPRIM_400000_NS6detail17trampoline_kernelINS0_14default_configENS1_22reduce_config_selectorIiEEZNS1_11reduce_implILb1ES3_N6thrust23THRUST_200600_302600_NS6detail15normal_iteratorINS8_10device_ptrIiEEEEPii9plus_mod3IiEEE10hipError_tPvRmT1_T2_T3_mT4_P12ihipStream_tbEUlT_E0_NS1_11comp_targetILNS1_3genE8ELNS1_11target_archE1030ELNS1_3gpuE2ELNS1_3repE0EEENS1_30default_config_static_selectorELNS0_4arch9wavefront6targetE1EEEvSK_.num_agpr, 0
	.set _ZN7rocprim17ROCPRIM_400000_NS6detail17trampoline_kernelINS0_14default_configENS1_22reduce_config_selectorIiEEZNS1_11reduce_implILb1ES3_N6thrust23THRUST_200600_302600_NS6detail15normal_iteratorINS8_10device_ptrIiEEEEPii9plus_mod3IiEEE10hipError_tPvRmT1_T2_T3_mT4_P12ihipStream_tbEUlT_E0_NS1_11comp_targetILNS1_3genE8ELNS1_11target_archE1030ELNS1_3gpuE2ELNS1_3repE0EEENS1_30default_config_static_selectorELNS0_4arch9wavefront6targetE1EEEvSK_.numbered_sgpr, 0
	.set _ZN7rocprim17ROCPRIM_400000_NS6detail17trampoline_kernelINS0_14default_configENS1_22reduce_config_selectorIiEEZNS1_11reduce_implILb1ES3_N6thrust23THRUST_200600_302600_NS6detail15normal_iteratorINS8_10device_ptrIiEEEEPii9plus_mod3IiEEE10hipError_tPvRmT1_T2_T3_mT4_P12ihipStream_tbEUlT_E0_NS1_11comp_targetILNS1_3genE8ELNS1_11target_archE1030ELNS1_3gpuE2ELNS1_3repE0EEENS1_30default_config_static_selectorELNS0_4arch9wavefront6targetE1EEEvSK_.num_named_barrier, 0
	.set _ZN7rocprim17ROCPRIM_400000_NS6detail17trampoline_kernelINS0_14default_configENS1_22reduce_config_selectorIiEEZNS1_11reduce_implILb1ES3_N6thrust23THRUST_200600_302600_NS6detail15normal_iteratorINS8_10device_ptrIiEEEEPii9plus_mod3IiEEE10hipError_tPvRmT1_T2_T3_mT4_P12ihipStream_tbEUlT_E0_NS1_11comp_targetILNS1_3genE8ELNS1_11target_archE1030ELNS1_3gpuE2ELNS1_3repE0EEENS1_30default_config_static_selectorELNS0_4arch9wavefront6targetE1EEEvSK_.private_seg_size, 0
	.set _ZN7rocprim17ROCPRIM_400000_NS6detail17trampoline_kernelINS0_14default_configENS1_22reduce_config_selectorIiEEZNS1_11reduce_implILb1ES3_N6thrust23THRUST_200600_302600_NS6detail15normal_iteratorINS8_10device_ptrIiEEEEPii9plus_mod3IiEEE10hipError_tPvRmT1_T2_T3_mT4_P12ihipStream_tbEUlT_E0_NS1_11comp_targetILNS1_3genE8ELNS1_11target_archE1030ELNS1_3gpuE2ELNS1_3repE0EEENS1_30default_config_static_selectorELNS0_4arch9wavefront6targetE1EEEvSK_.uses_vcc, 0
	.set _ZN7rocprim17ROCPRIM_400000_NS6detail17trampoline_kernelINS0_14default_configENS1_22reduce_config_selectorIiEEZNS1_11reduce_implILb1ES3_N6thrust23THRUST_200600_302600_NS6detail15normal_iteratorINS8_10device_ptrIiEEEEPii9plus_mod3IiEEE10hipError_tPvRmT1_T2_T3_mT4_P12ihipStream_tbEUlT_E0_NS1_11comp_targetILNS1_3genE8ELNS1_11target_archE1030ELNS1_3gpuE2ELNS1_3repE0EEENS1_30default_config_static_selectorELNS0_4arch9wavefront6targetE1EEEvSK_.uses_flat_scratch, 0
	.set _ZN7rocprim17ROCPRIM_400000_NS6detail17trampoline_kernelINS0_14default_configENS1_22reduce_config_selectorIiEEZNS1_11reduce_implILb1ES3_N6thrust23THRUST_200600_302600_NS6detail15normal_iteratorINS8_10device_ptrIiEEEEPii9plus_mod3IiEEE10hipError_tPvRmT1_T2_T3_mT4_P12ihipStream_tbEUlT_E0_NS1_11comp_targetILNS1_3genE8ELNS1_11target_archE1030ELNS1_3gpuE2ELNS1_3repE0EEENS1_30default_config_static_selectorELNS0_4arch9wavefront6targetE1EEEvSK_.has_dyn_sized_stack, 0
	.set _ZN7rocprim17ROCPRIM_400000_NS6detail17trampoline_kernelINS0_14default_configENS1_22reduce_config_selectorIiEEZNS1_11reduce_implILb1ES3_N6thrust23THRUST_200600_302600_NS6detail15normal_iteratorINS8_10device_ptrIiEEEEPii9plus_mod3IiEEE10hipError_tPvRmT1_T2_T3_mT4_P12ihipStream_tbEUlT_E0_NS1_11comp_targetILNS1_3genE8ELNS1_11target_archE1030ELNS1_3gpuE2ELNS1_3repE0EEENS1_30default_config_static_selectorELNS0_4arch9wavefront6targetE1EEEvSK_.has_recursion, 0
	.set _ZN7rocprim17ROCPRIM_400000_NS6detail17trampoline_kernelINS0_14default_configENS1_22reduce_config_selectorIiEEZNS1_11reduce_implILb1ES3_N6thrust23THRUST_200600_302600_NS6detail15normal_iteratorINS8_10device_ptrIiEEEEPii9plus_mod3IiEEE10hipError_tPvRmT1_T2_T3_mT4_P12ihipStream_tbEUlT_E0_NS1_11comp_targetILNS1_3genE8ELNS1_11target_archE1030ELNS1_3gpuE2ELNS1_3repE0EEENS1_30default_config_static_selectorELNS0_4arch9wavefront6targetE1EEEvSK_.has_indirect_call, 0
	.section	.AMDGPU.csdata,"",@progbits
; Kernel info:
; codeLenInByte = 0
; TotalNumSgprs: 6
; NumVgprs: 0
; NumAgprs: 0
; TotalNumVgprs: 0
; ScratchSize: 0
; MemoryBound: 0
; FloatMode: 240
; IeeeMode: 1
; LDSByteSize: 0 bytes/workgroup (compile time only)
; SGPRBlocks: 0
; VGPRBlocks: 0
; NumSGPRsForWavesPerEU: 6
; NumVGPRsForWavesPerEU: 1
; AccumOffset: 4
; Occupancy: 8
; WaveLimiterHint : 0
; COMPUTE_PGM_RSRC2:SCRATCH_EN: 0
; COMPUTE_PGM_RSRC2:USER_SGPR: 2
; COMPUTE_PGM_RSRC2:TRAP_HANDLER: 0
; COMPUTE_PGM_RSRC2:TGID_X_EN: 1
; COMPUTE_PGM_RSRC2:TGID_Y_EN: 0
; COMPUTE_PGM_RSRC2:TGID_Z_EN: 0
; COMPUTE_PGM_RSRC2:TIDIG_COMP_CNT: 0
; COMPUTE_PGM_RSRC3_GFX90A:ACCUM_OFFSET: 0
; COMPUTE_PGM_RSRC3_GFX90A:TG_SPLIT: 0
	.section	.text._ZN7rocprim17ROCPRIM_400000_NS6detail17trampoline_kernelINS0_14default_configENS1_22reduce_config_selectorIiEEZNS1_11reduce_implILb1ES3_N6thrust23THRUST_200600_302600_NS6detail15normal_iteratorINS8_10device_ptrIiEEEEPii9plus_mod3IiEEE10hipError_tPvRmT1_T2_T3_mT4_P12ihipStream_tbEUlT_E1_NS1_11comp_targetILNS1_3genE0ELNS1_11target_archE4294967295ELNS1_3gpuE0ELNS1_3repE0EEENS1_30default_config_static_selectorELNS0_4arch9wavefront6targetE1EEEvSK_,"axG",@progbits,_ZN7rocprim17ROCPRIM_400000_NS6detail17trampoline_kernelINS0_14default_configENS1_22reduce_config_selectorIiEEZNS1_11reduce_implILb1ES3_N6thrust23THRUST_200600_302600_NS6detail15normal_iteratorINS8_10device_ptrIiEEEEPii9plus_mod3IiEEE10hipError_tPvRmT1_T2_T3_mT4_P12ihipStream_tbEUlT_E1_NS1_11comp_targetILNS1_3genE0ELNS1_11target_archE4294967295ELNS1_3gpuE0ELNS1_3repE0EEENS1_30default_config_static_selectorELNS0_4arch9wavefront6targetE1EEEvSK_,comdat
	.protected	_ZN7rocprim17ROCPRIM_400000_NS6detail17trampoline_kernelINS0_14default_configENS1_22reduce_config_selectorIiEEZNS1_11reduce_implILb1ES3_N6thrust23THRUST_200600_302600_NS6detail15normal_iteratorINS8_10device_ptrIiEEEEPii9plus_mod3IiEEE10hipError_tPvRmT1_T2_T3_mT4_P12ihipStream_tbEUlT_E1_NS1_11comp_targetILNS1_3genE0ELNS1_11target_archE4294967295ELNS1_3gpuE0ELNS1_3repE0EEENS1_30default_config_static_selectorELNS0_4arch9wavefront6targetE1EEEvSK_ ; -- Begin function _ZN7rocprim17ROCPRIM_400000_NS6detail17trampoline_kernelINS0_14default_configENS1_22reduce_config_selectorIiEEZNS1_11reduce_implILb1ES3_N6thrust23THRUST_200600_302600_NS6detail15normal_iteratorINS8_10device_ptrIiEEEEPii9plus_mod3IiEEE10hipError_tPvRmT1_T2_T3_mT4_P12ihipStream_tbEUlT_E1_NS1_11comp_targetILNS1_3genE0ELNS1_11target_archE4294967295ELNS1_3gpuE0ELNS1_3repE0EEENS1_30default_config_static_selectorELNS0_4arch9wavefront6targetE1EEEvSK_
	.globl	_ZN7rocprim17ROCPRIM_400000_NS6detail17trampoline_kernelINS0_14default_configENS1_22reduce_config_selectorIiEEZNS1_11reduce_implILb1ES3_N6thrust23THRUST_200600_302600_NS6detail15normal_iteratorINS8_10device_ptrIiEEEEPii9plus_mod3IiEEE10hipError_tPvRmT1_T2_T3_mT4_P12ihipStream_tbEUlT_E1_NS1_11comp_targetILNS1_3genE0ELNS1_11target_archE4294967295ELNS1_3gpuE0ELNS1_3repE0EEENS1_30default_config_static_selectorELNS0_4arch9wavefront6targetE1EEEvSK_
	.p2align	8
	.type	_ZN7rocprim17ROCPRIM_400000_NS6detail17trampoline_kernelINS0_14default_configENS1_22reduce_config_selectorIiEEZNS1_11reduce_implILb1ES3_N6thrust23THRUST_200600_302600_NS6detail15normal_iteratorINS8_10device_ptrIiEEEEPii9plus_mod3IiEEE10hipError_tPvRmT1_T2_T3_mT4_P12ihipStream_tbEUlT_E1_NS1_11comp_targetILNS1_3genE0ELNS1_11target_archE4294967295ELNS1_3gpuE0ELNS1_3repE0EEENS1_30default_config_static_selectorELNS0_4arch9wavefront6targetE1EEEvSK_,@function
_ZN7rocprim17ROCPRIM_400000_NS6detail17trampoline_kernelINS0_14default_configENS1_22reduce_config_selectorIiEEZNS1_11reduce_implILb1ES3_N6thrust23THRUST_200600_302600_NS6detail15normal_iteratorINS8_10device_ptrIiEEEEPii9plus_mod3IiEEE10hipError_tPvRmT1_T2_T3_mT4_P12ihipStream_tbEUlT_E1_NS1_11comp_targetILNS1_3genE0ELNS1_11target_archE4294967295ELNS1_3gpuE0ELNS1_3repE0EEENS1_30default_config_static_selectorELNS0_4arch9wavefront6targetE1EEEvSK_: ; @_ZN7rocprim17ROCPRIM_400000_NS6detail17trampoline_kernelINS0_14default_configENS1_22reduce_config_selectorIiEEZNS1_11reduce_implILb1ES3_N6thrust23THRUST_200600_302600_NS6detail15normal_iteratorINS8_10device_ptrIiEEEEPii9plus_mod3IiEEE10hipError_tPvRmT1_T2_T3_mT4_P12ihipStream_tbEUlT_E1_NS1_11comp_targetILNS1_3genE0ELNS1_11target_archE4294967295ELNS1_3gpuE0ELNS1_3repE0EEENS1_30default_config_static_selectorELNS0_4arch9wavefront6targetE1EEEvSK_
; %bb.0:
	s_load_dword s80, s[0:1], 0x4
	s_load_dwordx4 s[68:71], s[0:1], 0x8
	s_load_dword s33, s[0:1], 0x20
	s_load_dwordx2 s[66:67], s[0:1], 0x28
	s_waitcnt lgkmcnt(0)
	s_cmp_lt_i32 s80, 8
	s_cbranch_scc1 .LBB938_10
; %bb.1:
	s_cmp_gt_i32 s80, 15
	s_cbranch_scc0 .LBB938_11
; %bb.2:
	s_cmp_gt_i32 s80, 31
	s_cbranch_scc0 .LBB938_12
; %bb.3:
	s_cmp_eq_u32 s80, 32
	s_mov_b64 s[72:73], 0
	s_cbranch_scc0 .LBB938_13
; %bb.4:
	s_mov_b32 s3, 0
	s_lshl_b32 s4, s2, 13
	s_mov_b32 s5, s3
	s_lshr_b64 s[6:7], s[70:71], 13
	s_lshl_b64 s[8:9], s[4:5], 2
	s_add_u32 s76, s68, s8
	s_addc_u32 s77, s69, s9
	s_cmp_lg_u64 s[6:7], s[2:3]
	s_cbranch_scc0 .LBB938_22
; %bb.5:
	v_lshlrev_b32_e32 v2, 2, v0
	global_load_dword v1, v2, s[76:77]
	global_load_dword v3, v2, s[76:77] offset:1024
	global_load_dword v6, v2, s[76:77] offset:2048
	;; [unrolled: 1-line block ×3, first 2 shown]
	s_waitcnt vmcnt(2)
	v_add_u32_e32 v4, v3, v1
	v_ashrrev_i32_e32 v5, 31, v4
	v_lshl_add_u64 v[4:5], v[4:5], 2, s[66:67]
	global_load_dword v1, v[4:5], off
	v_mov_b32_e32 v3, 0
	v_lshl_add_u64 v[2:3], s[76:77], 0, v[2:3]
	s_waitcnt vmcnt(0)
	v_add_u32_e32 v4, v1, v6
	v_ashrrev_i32_e32 v5, 31, v4
	v_lshl_add_u64 v[4:5], v[4:5], 2, s[66:67]
	global_load_dword v1, v[4:5], off
	v_add_co_u32_e32 v4, vcc, 0x1000, v2
	s_waitcnt vmcnt(0)
	v_add_u32_e32 v6, v1, v7
	v_ashrrev_i32_e32 v7, 31, v6
	v_addc_co_u32_e32 v5, vcc, 0, v3, vcc
	v_lshl_add_u64 v[6:7], v[6:7], 2, s[66:67]
	global_load_dword v8, v[4:5], off
	global_load_dword v1, v[6:7], off
	v_add_co_u32_e32 v6, vcc, 0x2000, v2
	s_nop 1
	v_addc_co_u32_e32 v7, vcc, 0, v3, vcc
	global_load_dword v9, v[4:5], off offset:1024
	global_load_dword v10, v[4:5], off offset:2048
	;; [unrolled: 1-line block ×3, first 2 shown]
	global_load_dword v12, v[6:7], off
	global_load_dword v13, v[6:7], off offset:1024
	global_load_dword v14, v[6:7], off offset:2048
	;; [unrolled: 1-line block ×3, first 2 shown]
	s_waitcnt vmcnt(7)
	v_add_u32_e32 v4, v1, v8
	v_ashrrev_i32_e32 v5, 31, v4
	v_lshl_add_u64 v[4:5], v[4:5], 2, s[66:67]
	global_load_dword v1, v[4:5], off
	s_waitcnt vmcnt(0)
	v_add_u32_e32 v4, v1, v9
	v_ashrrev_i32_e32 v5, 31, v4
	v_lshl_add_u64 v[4:5], v[4:5], 2, s[66:67]
	global_load_dword v1, v[4:5], off
	;; [unrolled: 5-line block ×7, first 2 shown]
	v_add_co_u32_e32 v4, vcc, 0x3000, v2
	s_waitcnt vmcnt(0)
	v_add_u32_e32 v6, v1, v15
	v_ashrrev_i32_e32 v7, 31, v6
	v_addc_co_u32_e32 v5, vcc, 0, v3, vcc
	v_lshl_add_u64 v[6:7], v[6:7], 2, s[66:67]
	global_load_dword v8, v[4:5], off
	global_load_dword v1, v[6:7], off
	v_add_co_u32_e32 v6, vcc, 0x4000, v2
	s_nop 1
	v_addc_co_u32_e32 v7, vcc, 0, v3, vcc
	global_load_dword v9, v[4:5], off offset:1024
	global_load_dword v10, v[4:5], off offset:2048
	;; [unrolled: 1-line block ×3, first 2 shown]
	global_load_dword v12, v[6:7], off
	global_load_dword v13, v[6:7], off offset:1024
	global_load_dword v14, v[6:7], off offset:2048
	;; [unrolled: 1-line block ×3, first 2 shown]
	s_waitcnt vmcnt(7)
	v_add_u32_e32 v4, v1, v8
	v_ashrrev_i32_e32 v5, 31, v4
	v_lshl_add_u64 v[4:5], v[4:5], 2, s[66:67]
	global_load_dword v1, v[4:5], off
	s_waitcnt vmcnt(0)
	v_add_u32_e32 v4, v1, v9
	v_ashrrev_i32_e32 v5, 31, v4
	v_lshl_add_u64 v[4:5], v[4:5], 2, s[66:67]
	global_load_dword v1, v[4:5], off
	;; [unrolled: 5-line block ×7, first 2 shown]
	v_add_co_u32_e32 v4, vcc, 0x5000, v2
	s_waitcnt vmcnt(0)
	v_add_u32_e32 v6, v1, v15
	v_ashrrev_i32_e32 v7, 31, v6
	v_addc_co_u32_e32 v5, vcc, 0, v3, vcc
	v_lshl_add_u64 v[6:7], v[6:7], 2, s[66:67]
	global_load_dword v8, v[4:5], off
	global_load_dword v1, v[6:7], off
	v_add_co_u32_e32 v6, vcc, 0x6000, v2
	s_nop 1
	v_addc_co_u32_e32 v7, vcc, 0, v3, vcc
	global_load_dword v9, v[4:5], off offset:1024
	global_load_dword v10, v[4:5], off offset:2048
	;; [unrolled: 1-line block ×3, first 2 shown]
	global_load_dword v12, v[6:7], off
	global_load_dword v13, v[6:7], off offset:1024
	global_load_dword v14, v[6:7], off offset:2048
	;; [unrolled: 1-line block ×3, first 2 shown]
	v_add_co_u32_e32 v2, vcc, 0x7000, v2
	s_waitcnt vmcnt(7)
	v_add_u32_e32 v4, v1, v8
	v_ashrrev_i32_e32 v5, 31, v4
	v_lshl_add_u64 v[4:5], v[4:5], 2, s[66:67]
	global_load_dword v1, v[4:5], off
	v_addc_co_u32_e32 v3, vcc, 0, v3, vcc
	s_waitcnt vmcnt(0)
	v_add_u32_e32 v4, v1, v9
	v_ashrrev_i32_e32 v5, 31, v4
	v_lshl_add_u64 v[4:5], v[4:5], 2, s[66:67]
	global_load_dword v1, v[4:5], off
	s_waitcnt vmcnt(0)
	v_add_u32_e32 v4, v1, v10
	v_ashrrev_i32_e32 v5, 31, v4
	v_lshl_add_u64 v[4:5], v[4:5], 2, s[66:67]
	global_load_dword v1, v[4:5], off
	;; [unrolled: 5-line block ×7, first 2 shown]
	global_load_dword v6, v[2:3], off
	global_load_dword v7, v[2:3], off offset:1024
	global_load_dword v8, v[2:3], off offset:2048
	;; [unrolled: 1-line block ×3, first 2 shown]
	s_waitcnt vmcnt(3)
	v_add_u32_e32 v2, v1, v6
	v_ashrrev_i32_e32 v3, 31, v2
	v_lshl_add_u64 v[2:3], v[2:3], 2, s[66:67]
	global_load_dword v1, v[2:3], off
	s_waitcnt vmcnt(0)
	v_add_u32_e32 v2, v1, v7
	v_ashrrev_i32_e32 v3, 31, v2
	v_lshl_add_u64 v[2:3], v[2:3], 2, s[66:67]
	global_load_dword v1, v[2:3], off
	;; [unrolled: 5-line block ×4, first 2 shown]
	s_waitcnt vmcnt(0)
	s_nop 0
	v_add_u32_dpp v2, v1, v1 quad_perm:[1,0,3,2] row_mask:0xf bank_mask:0xf bound_ctrl:1
	v_ashrrev_i32_e32 v3, 31, v2
	v_lshl_add_u64 v[2:3], v[2:3], 2, s[66:67]
	global_load_dword v1, v[2:3], off
	s_waitcnt vmcnt(0)
	s_nop 0
	v_add_u32_dpp v2, v1, v1 quad_perm:[2,3,0,1] row_mask:0xf bank_mask:0xf bound_ctrl:1
	v_ashrrev_i32_e32 v3, 31, v2
	v_lshl_add_u64 v[2:3], v[2:3], 2, s[66:67]
	global_load_dword v1, v[2:3], off
	s_waitcnt vmcnt(0)
	s_nop 0
	v_add_u32_dpp v2, v1, v1 row_ror:4 row_mask:0xf bank_mask:0xf bound_ctrl:1
	v_ashrrev_i32_e32 v3, 31, v2
	v_lshl_add_u64 v[2:3], v[2:3], 2, s[66:67]
	global_load_dword v1, v[2:3], off
	s_waitcnt vmcnt(0)
	s_nop 0
	v_add_u32_dpp v2, v1, v1 row_ror:8 row_mask:0xf bank_mask:0xf bound_ctrl:1
	v_ashrrev_i32_e32 v3, 31, v2
	v_lshl_add_u64 v[2:3], v[2:3], 2, s[66:67]
	global_load_dword v1, v[2:3], off
	s_waitcnt vmcnt(0)
	s_nop 0
	v_add_u32_dpp v2, v1, v1 row_bcast:15 row_mask:0xf bank_mask:0xf bound_ctrl:1
	v_ashrrev_i32_e32 v3, 31, v2
	v_lshl_add_u64 v[2:3], v[2:3], 2, s[66:67]
	global_load_dword v1, v[2:3], off
	s_waitcnt vmcnt(0)
	s_nop 0
	v_add_u32_dpp v2, v1, v1 row_bcast:31 row_mask:0xf bank_mask:0xf bound_ctrl:1
	v_ashrrev_i32_e32 v3, 31, v2
	v_lshl_add_u64 v[2:3], v[2:3], 2, s[66:67]
	global_load_dword v2, v[2:3], off
	v_mbcnt_lo_u32_b32 v1, -1, 0
	v_mbcnt_hi_u32_b32 v3, -1, v1
	v_lshlrev_b32_e32 v1, 2, v3
	v_or_b32_e32 v4, 0xfc, v1
	v_cmp_eq_u32_e32 vcc, 0, v3
	s_waitcnt vmcnt(0)
	ds_bpermute_b32 v2, v4, v2
	s_and_saveexec_b64 s[6:7], vcc
	s_cbranch_execz .LBB938_7
; %bb.6:
	v_lshrrev_b32_e32 v4, 4, v0
	v_and_b32_e32 v4, 12, v4
	s_waitcnt lgkmcnt(0)
	ds_write_b32 v4, v2 offset:64
.LBB938_7:
	s_or_b64 exec, exec, s[6:7]
	v_cmp_gt_u32_e32 vcc, 64, v0
	s_mov_b64 s[6:7], 0
	s_mov_b64 s[74:75], 0
	s_waitcnt lgkmcnt(0)
	s_barrier
                                        ; implicit-def: $vgpr4
	s_and_saveexec_b64 s[8:9], vcc
	s_xor_b64 s[8:9], exec, s[8:9]
	s_cbranch_execz .LBB938_9
; %bb.8:
	v_and_b32_e32 v4, 3, v3
	v_lshlrev_b32_e32 v5, 2, v4
	ds_read_b32 v5, v5 offset:64
	v_cmp_ne_u32_e32 vcc, 3, v4
	v_or_b32_e32 v1, 8, v1
	s_mov_b64 s[74:75], exec
	v_addc_co_u32_e32 v3, vcc, 0, v3, vcc
	v_lshlrev_b32_e32 v3, 2, v3
	s_waitcnt lgkmcnt(0)
	ds_bpermute_b32 v3, v3, v5
	s_waitcnt lgkmcnt(0)
	v_add_u32_e32 v4, v3, v5
	v_ashrrev_i32_e32 v5, 31, v4
	v_lshl_add_u64 v[4:5], v[4:5], 2, s[66:67]
	global_load_dword v3, v[4:5], off
	s_waitcnt vmcnt(0)
	ds_bpermute_b32 v1, v1, v3
	s_waitcnt lgkmcnt(0)
	v_add_u32_e32 v4, v1, v3
.LBB938_9:
	s_or_b64 exec, exec, s[8:9]
	s_branch .LBB938_23
.LBB938_10:
	s_mov_b64 s[36:37], 0
	s_mov_b64 s[34:35], 0
                                        ; implicit-def: $vgpr2
	s_cbranch_execnz .LBB938_280
	s_branch .LBB938_389
.LBB938_11:
	s_mov_b64 s[36:37], 0
	s_mov_b64 s[34:35], 0
                                        ; implicit-def: $vgpr2
	s_cbranch_execnz .LBB938_221
	s_branch .LBB938_229
.LBB938_12:
	s_mov_b64 s[72:73], -1
.LBB938_13:
	s_mov_b64 s[36:37], 0
	s_mov_b64 s[34:35], 0
                                        ; implicit-def: $vgpr2
	s_and_b64 vcc, exec, s[72:73]
	s_cbranch_vccz .LBB938_145
.LBB938_14:
	s_cmp_eq_u32 s80, 16
	s_cbranch_scc0 .LBB938_21
; %bb.15:
	s_mov_b32 s3, 0
	s_lshl_b32 s4, s2, 12
	s_mov_b32 s5, s3
	s_lshr_b64 s[6:7], s[70:71], 12
	s_lshl_b64 s[8:9], s[4:5], 2
	s_add_u32 s40, s68, s8
	s_addc_u32 s41, s69, s9
	s_cmp_lg_u64 s[6:7], s[2:3]
	s_cbranch_scc0 .LBB938_146
; %bb.16:
	s_waitcnt vmcnt(0)
	v_lshlrev_b32_e32 v2, 2, v0
	s_waitcnt lgkmcnt(0)
	global_load_dword v1, v2, s[40:41]
	global_load_dword v3, v2, s[40:41] offset:1024
	global_load_dword v6, v2, s[40:41] offset:2048
	;; [unrolled: 1-line block ×3, first 2 shown]
	s_waitcnt vmcnt(2)
	v_add_u32_e32 v4, v3, v1
	v_ashrrev_i32_e32 v5, 31, v4
	v_lshl_add_u64 v[4:5], v[4:5], 2, s[66:67]
	global_load_dword v1, v[4:5], off
	v_mov_b32_e32 v3, 0
	v_lshl_add_u64 v[2:3], s[40:41], 0, v[2:3]
	s_waitcnt vmcnt(0)
	v_add_u32_e32 v4, v1, v6
	v_ashrrev_i32_e32 v5, 31, v4
	v_lshl_add_u64 v[4:5], v[4:5], 2, s[66:67]
	global_load_dword v1, v[4:5], off
	v_add_co_u32_e32 v4, vcc, 0x1000, v2
	s_waitcnt vmcnt(0)
	v_add_u32_e32 v6, v1, v7
	v_ashrrev_i32_e32 v7, 31, v6
	v_addc_co_u32_e32 v5, vcc, 0, v3, vcc
	v_lshl_add_u64 v[6:7], v[6:7], 2, s[66:67]
	global_load_dword v8, v[4:5], off
	global_load_dword v1, v[6:7], off
	v_add_co_u32_e32 v6, vcc, 0x2000, v2
	s_nop 1
	v_addc_co_u32_e32 v7, vcc, 0, v3, vcc
	global_load_dword v9, v[4:5], off offset:1024
	global_load_dword v10, v[4:5], off offset:2048
	;; [unrolled: 1-line block ×3, first 2 shown]
	global_load_dword v12, v[6:7], off
	global_load_dword v13, v[6:7], off offset:1024
	global_load_dword v14, v[6:7], off offset:2048
	;; [unrolled: 1-line block ×3, first 2 shown]
	v_add_co_u32_e32 v2, vcc, 0x3000, v2
	s_waitcnt vmcnt(7)
	v_add_u32_e32 v4, v1, v8
	v_ashrrev_i32_e32 v5, 31, v4
	v_lshl_add_u64 v[4:5], v[4:5], 2, s[66:67]
	global_load_dword v1, v[4:5], off
	v_addc_co_u32_e32 v3, vcc, 0, v3, vcc
	s_waitcnt vmcnt(0)
	v_add_u32_e32 v4, v1, v9
	v_ashrrev_i32_e32 v5, 31, v4
	v_lshl_add_u64 v[4:5], v[4:5], 2, s[66:67]
	global_load_dword v1, v[4:5], off
	s_waitcnt vmcnt(0)
	v_add_u32_e32 v4, v1, v10
	v_ashrrev_i32_e32 v5, 31, v4
	v_lshl_add_u64 v[4:5], v[4:5], 2, s[66:67]
	global_load_dword v1, v[4:5], off
	;; [unrolled: 5-line block ×7, first 2 shown]
	global_load_dword v6, v[2:3], off
	global_load_dword v7, v[2:3], off offset:1024
	global_load_dword v8, v[2:3], off offset:2048
	;; [unrolled: 1-line block ×3, first 2 shown]
	s_waitcnt vmcnt(3)
	v_add_u32_e32 v2, v1, v6
	v_ashrrev_i32_e32 v3, 31, v2
	v_lshl_add_u64 v[2:3], v[2:3], 2, s[66:67]
	global_load_dword v1, v[2:3], off
	s_waitcnt vmcnt(0)
	v_add_u32_e32 v2, v1, v7
	v_ashrrev_i32_e32 v3, 31, v2
	v_lshl_add_u64 v[2:3], v[2:3], 2, s[66:67]
	global_load_dword v1, v[2:3], off
	;; [unrolled: 5-line block ×4, first 2 shown]
	s_waitcnt vmcnt(0)
	s_nop 0
	v_add_u32_dpp v2, v1, v1 quad_perm:[1,0,3,2] row_mask:0xf bank_mask:0xf bound_ctrl:1
	v_ashrrev_i32_e32 v3, 31, v2
	v_lshl_add_u64 v[2:3], v[2:3], 2, s[66:67]
	global_load_dword v1, v[2:3], off
	s_waitcnt vmcnt(0)
	s_nop 0
	v_add_u32_dpp v2, v1, v1 quad_perm:[2,3,0,1] row_mask:0xf bank_mask:0xf bound_ctrl:1
	v_ashrrev_i32_e32 v3, 31, v2
	v_lshl_add_u64 v[2:3], v[2:3], 2, s[66:67]
	global_load_dword v1, v[2:3], off
	s_waitcnt vmcnt(0)
	s_nop 0
	v_add_u32_dpp v2, v1, v1 row_ror:4 row_mask:0xf bank_mask:0xf bound_ctrl:1
	v_ashrrev_i32_e32 v3, 31, v2
	v_lshl_add_u64 v[2:3], v[2:3], 2, s[66:67]
	global_load_dword v1, v[2:3], off
	s_waitcnt vmcnt(0)
	s_nop 0
	v_add_u32_dpp v2, v1, v1 row_ror:8 row_mask:0xf bank_mask:0xf bound_ctrl:1
	v_ashrrev_i32_e32 v3, 31, v2
	v_lshl_add_u64 v[2:3], v[2:3], 2, s[66:67]
	global_load_dword v1, v[2:3], off
	s_waitcnt vmcnt(0)
	s_nop 0
	v_add_u32_dpp v2, v1, v1 row_bcast:15 row_mask:0xf bank_mask:0xf bound_ctrl:1
	v_ashrrev_i32_e32 v3, 31, v2
	v_lshl_add_u64 v[2:3], v[2:3], 2, s[66:67]
	global_load_dword v1, v[2:3], off
	s_waitcnt vmcnt(0)
	s_nop 0
	v_add_u32_dpp v2, v1, v1 row_bcast:31 row_mask:0xf bank_mask:0xf bound_ctrl:1
	v_ashrrev_i32_e32 v3, 31, v2
	v_lshl_add_u64 v[2:3], v[2:3], 2, s[66:67]
	global_load_dword v2, v[2:3], off
	v_mbcnt_lo_u32_b32 v1, -1, 0
	v_mbcnt_hi_u32_b32 v3, -1, v1
	v_lshlrev_b32_e32 v1, 2, v3
	v_or_b32_e32 v4, 0xfc, v1
	v_cmp_eq_u32_e32 vcc, 0, v3
	s_waitcnt vmcnt(0)
	ds_bpermute_b32 v2, v4, v2
	s_and_saveexec_b64 s[6:7], vcc
	s_cbranch_execz .LBB938_18
; %bb.17:
	v_lshrrev_b32_e32 v4, 4, v0
	v_and_b32_e32 v4, 12, v4
	s_waitcnt lgkmcnt(0)
	ds_write_b32 v4, v2 offset:16
.LBB938_18:
	s_or_b64 exec, exec, s[6:7]
	v_cmp_gt_u32_e32 vcc, 64, v0
	s_mov_b64 s[6:7], 0
	s_mov_b64 s[38:39], 0
	s_waitcnt lgkmcnt(0)
	s_barrier
                                        ; implicit-def: $vgpr4
	s_and_saveexec_b64 s[8:9], vcc
	s_xor_b64 s[8:9], exec, s[8:9]
	s_cbranch_execz .LBB938_20
; %bb.19:
	v_and_b32_e32 v4, 3, v3
	v_lshlrev_b32_e32 v5, 2, v4
	ds_read_b32 v5, v5 offset:16
	v_cmp_ne_u32_e32 vcc, 3, v4
	v_or_b32_e32 v1, 8, v1
	s_mov_b64 s[38:39], exec
	v_addc_co_u32_e32 v3, vcc, 0, v3, vcc
	v_lshlrev_b32_e32 v3, 2, v3
	s_waitcnt lgkmcnt(0)
	ds_bpermute_b32 v3, v3, v5
	s_waitcnt lgkmcnt(0)
	v_add_u32_e32 v4, v3, v5
	v_ashrrev_i32_e32 v5, 31, v4
	v_lshl_add_u64 v[4:5], v[4:5], 2, s[66:67]
	global_load_dword v3, v[4:5], off
	s_waitcnt vmcnt(0)
	ds_bpermute_b32 v1, v1, v3
	s_waitcnt lgkmcnt(0)
	v_add_u32_e32 v4, v1, v3
.LBB938_20:
	s_or_b64 exec, exec, s[8:9]
	s_branch .LBB938_147
.LBB938_21:
                                        ; implicit-def: $vgpr2
	s_branch .LBB938_229
.LBB938_22:
	s_mov_b64 s[6:7], -1
	s_mov_b64 s[74:75], 0
                                        ; implicit-def: $vgpr4
                                        ; implicit-def: $vgpr2
.LBB938_23:
	s_and_b64 vcc, exec, s[6:7]
	s_cbranch_vccz .LBB938_140
; %bb.24:
	s_sub_i32 s81, s70, s4
	v_mov_b32_e32 v2, 0
	v_cmp_gt_u32_e32 vcc, s81, v0
	v_mov_b32_e32 v3, v2
	v_mov_b32_e32 v4, v2
	;; [unrolled: 1-line block ×31, first 2 shown]
	s_and_saveexec_b64 s[4:5], vcc
	s_cbranch_execz .LBB938_26
; %bb.25:
	v_lshlrev_b32_e32 v1, 2, v0
	global_load_dword v4, v1, s[76:77]
	v_mov_b32_e32 v5, v2
	v_mov_b32_e32 v6, v2
	;; [unrolled: 1-line block ×31, first 2 shown]
	s_waitcnt vmcnt(0)
	v_mov_b64_e32 v[2:3], v[4:5]
	v_mov_b64_e32 v[4:5], v[6:7]
	;; [unrolled: 1-line block ×16, first 2 shown]
.LBB938_26:
	s_or_b64 exec, exec, s[4:5]
	v_or_b32_e32 v1, 0x100, v0
	v_cmp_gt_u32_e32 vcc, s81, v1
	s_and_saveexec_b64 s[4:5], vcc
	s_cbranch_execz .LBB938_28
; %bb.27:
	v_lshlrev_b32_e32 v1, 2, v0
	global_load_dword v3, v1, s[76:77] offset:1024
.LBB938_28:
	s_or_b64 exec, exec, s[4:5]
	v_or_b32_e32 v1, 0x200, v0
	v_cmp_gt_u32_e64 s[4:5], s81, v1
	s_and_saveexec_b64 s[6:7], s[4:5]
	s_cbranch_execz .LBB938_30
; %bb.29:
	v_lshlrev_b32_e32 v1, 2, v0
	global_load_dword v4, v1, s[76:77] offset:2048
.LBB938_30:
	s_or_b64 exec, exec, s[6:7]
	v_or_b32_e32 v1, 0x300, v0
	v_cmp_gt_u32_e64 s[6:7], s81, v1
	s_and_saveexec_b64 s[8:9], s[6:7]
	;; [unrolled: 9-line block ×3, first 2 shown]
	s_cbranch_execz .LBB938_34
; %bb.33:
	v_lshlrev_b32_e32 v1, 2, v1
	global_load_dword v6, v1, s[76:77]
.LBB938_34:
	s_or_b64 exec, exec, s[10:11]
	v_or_b32_e32 v1, 0x500, v0
	v_cmp_gt_u32_e64 s[10:11], s81, v1
	s_and_saveexec_b64 s[12:13], s[10:11]
	s_cbranch_execz .LBB938_36
; %bb.35:
	v_lshlrev_b32_e32 v1, 2, v1
	global_load_dword v7, v1, s[76:77]
.LBB938_36:
	s_or_b64 exec, exec, s[12:13]
	v_or_b32_e32 v1, 0x600, v0
	v_cmp_gt_u32_e64 s[12:13], s81, v1
	s_and_saveexec_b64 s[14:15], s[12:13]
	;; [unrolled: 9-line block ×27, first 2 shown]
	s_cbranch_execnz .LBB938_423
; %bb.87:
	s_or_b64 exec, exec, s[78:79]
	s_and_saveexec_b64 s[76:77], vcc
	s_cbranch_execnz .LBB938_424
.LBB938_88:
	s_or_b64 exec, exec, s[76:77]
	s_and_saveexec_b64 s[76:77], s[4:5]
	s_cbranch_execnz .LBB938_425
.LBB938_89:
	s_or_b64 exec, exec, s[76:77]
	s_and_saveexec_b64 s[4:5], s[6:7]
	s_cbranch_execnz .LBB938_426
.LBB938_90:
	s_or_b64 exec, exec, s[4:5]
	s_and_saveexec_b64 s[4:5], s[8:9]
	s_cbranch_execnz .LBB938_427
.LBB938_91:
	s_or_b64 exec, exec, s[4:5]
	s_and_saveexec_b64 s[4:5], s[10:11]
	s_cbranch_execnz .LBB938_428
.LBB938_92:
	s_or_b64 exec, exec, s[4:5]
	s_and_saveexec_b64 s[4:5], s[12:13]
	s_cbranch_execnz .LBB938_429
.LBB938_93:
	s_or_b64 exec, exec, s[4:5]
	s_and_saveexec_b64 s[4:5], s[14:15]
	s_cbranch_execnz .LBB938_430
.LBB938_94:
	s_or_b64 exec, exec, s[4:5]
	s_and_saveexec_b64 s[4:5], s[16:17]
	s_cbranch_execnz .LBB938_431
.LBB938_95:
	s_or_b64 exec, exec, s[4:5]
	s_and_saveexec_b64 s[4:5], s[18:19]
	s_cbranch_execnz .LBB938_432
.LBB938_96:
	s_or_b64 exec, exec, s[4:5]
	s_and_saveexec_b64 s[4:5], s[20:21]
	s_cbranch_execnz .LBB938_433
.LBB938_97:
	s_or_b64 exec, exec, s[4:5]
	s_and_saveexec_b64 s[4:5], s[22:23]
	s_cbranch_execnz .LBB938_434
.LBB938_98:
	s_or_b64 exec, exec, s[4:5]
	s_and_saveexec_b64 s[4:5], s[24:25]
	s_cbranch_execnz .LBB938_435
.LBB938_99:
	s_or_b64 exec, exec, s[4:5]
	s_and_saveexec_b64 s[4:5], s[26:27]
	s_cbranch_execnz .LBB938_436
.LBB938_100:
	s_or_b64 exec, exec, s[4:5]
	s_and_saveexec_b64 s[4:5], s[28:29]
	s_cbranch_execnz .LBB938_437
.LBB938_101:
	s_or_b64 exec, exec, s[4:5]
	s_and_saveexec_b64 s[4:5], s[30:31]
	s_cbranch_execnz .LBB938_438
.LBB938_102:
	s_or_b64 exec, exec, s[4:5]
	s_and_saveexec_b64 s[4:5], s[34:35]
	s_cbranch_execnz .LBB938_439
.LBB938_103:
	s_or_b64 exec, exec, s[4:5]
	s_and_saveexec_b64 s[4:5], s[36:37]
	s_cbranch_execnz .LBB938_440
.LBB938_104:
	s_or_b64 exec, exec, s[4:5]
	s_and_saveexec_b64 s[4:5], s[38:39]
	s_cbranch_execnz .LBB938_441
.LBB938_105:
	s_or_b64 exec, exec, s[4:5]
	s_and_saveexec_b64 s[4:5], s[40:41]
	s_cbranch_execnz .LBB938_442
.LBB938_106:
	s_or_b64 exec, exec, s[4:5]
	s_and_saveexec_b64 s[4:5], s[42:43]
	s_cbranch_execnz .LBB938_443
.LBB938_107:
	s_or_b64 exec, exec, s[4:5]
	s_and_saveexec_b64 s[4:5], s[44:45]
	s_cbranch_execnz .LBB938_444
.LBB938_108:
	s_or_b64 exec, exec, s[4:5]
	s_and_saveexec_b64 s[4:5], s[46:47]
	s_cbranch_execnz .LBB938_445
.LBB938_109:
	s_or_b64 exec, exec, s[4:5]
	s_and_saveexec_b64 s[4:5], s[48:49]
	s_cbranch_execnz .LBB938_446
.LBB938_110:
	s_or_b64 exec, exec, s[4:5]
	s_and_saveexec_b64 s[4:5], s[50:51]
	s_cbranch_execnz .LBB938_447
.LBB938_111:
	s_or_b64 exec, exec, s[4:5]
	s_and_saveexec_b64 s[4:5], s[52:53]
	s_cbranch_execnz .LBB938_448
.LBB938_112:
	s_or_b64 exec, exec, s[4:5]
	s_and_saveexec_b64 s[4:5], s[54:55]
	s_cbranch_execnz .LBB938_449
.LBB938_113:
	s_or_b64 exec, exec, s[4:5]
	s_and_saveexec_b64 s[4:5], s[56:57]
	s_cbranch_execnz .LBB938_450
.LBB938_114:
	s_or_b64 exec, exec, s[4:5]
	s_and_saveexec_b64 s[4:5], s[58:59]
	s_cbranch_execnz .LBB938_451
.LBB938_115:
	s_or_b64 exec, exec, s[4:5]
	s_and_saveexec_b64 s[4:5], s[60:61]
	s_cbranch_execnz .LBB938_452
.LBB938_116:
	s_or_b64 exec, exec, s[4:5]
	s_and_saveexec_b64 s[4:5], s[62:63]
	s_cbranch_execnz .LBB938_453
.LBB938_117:
	s_or_b64 exec, exec, s[4:5]
	s_and_saveexec_b64 s[4:5], s[64:65]
	s_cbranch_execz .LBB938_119
.LBB938_118:
	s_waitcnt vmcnt(0)
	v_add_u32_e32 v2, v2, v33
	v_ashrrev_i32_e32 v3, 31, v2
	v_lshl_add_u64 v[2:3], v[2:3], 2, s[66:67]
	global_load_dword v2, v[2:3], off
.LBB938_119:
	s_or_b64 exec, exec, s[4:5]
	v_mbcnt_lo_u32_b32 v1, -1, 0
	v_mbcnt_hi_u32_b32 v1, -1, v1
	s_waitcnt vmcnt(0)
	v_and_b32_e32 v3, 63, v1
	v_cmp_ne_u32_e32 vcc, 63, v3
	s_min_u32 s6, s81, 0x100
	v_add_u32_e32 v6, 1, v3
	v_addc_co_u32_e32 v4, vcc, 0, v1, vcc
	v_lshlrev_b32_e32 v4, 2, v4
	ds_bpermute_b32 v5, v4, v2
	v_and_b32_e32 v4, 0xc0, v0
	v_sub_u32_e64 v4, s6, v4 clamp
	v_cmp_lt_u32_e32 vcc, v6, v4
	s_and_saveexec_b64 s[4:5], vcc
	s_xor_b64 s[4:5], exec, s[4:5]
	s_cbranch_execz .LBB938_121
; %bb.120:
	s_waitcnt lgkmcnt(0)
	v_add_u32_e32 v6, v5, v2
	v_ashrrev_i32_e32 v7, 31, v6
	v_lshl_add_u64 v[6:7], v[6:7], 2, s[66:67]
	global_load_dword v2, v[6:7], off
.LBB938_121:
	s_or_b64 exec, exec, s[4:5]
	v_cmp_gt_u32_e32 vcc, 62, v3
	v_add_u32_e32 v6, 2, v3
	s_waitcnt lgkmcnt(0)
	v_cndmask_b32_e64 v5, 0, 2, vcc
	v_add_lshl_u32 v5, v5, v1, 2
	s_waitcnt vmcnt(0)
	ds_bpermute_b32 v5, v5, v2
	v_cmp_lt_u32_e32 vcc, v6, v4
	s_and_saveexec_b64 s[4:5], vcc
	s_cbranch_execz .LBB938_123
; %bb.122:
	s_waitcnt lgkmcnt(0)
	v_add_u32_e32 v6, v5, v2
	v_ashrrev_i32_e32 v7, 31, v6
	v_lshl_add_u64 v[6:7], v[6:7], 2, s[66:67]
	global_load_dword v2, v[6:7], off
.LBB938_123:
	s_or_b64 exec, exec, s[4:5]
	v_cmp_gt_u32_e32 vcc, 60, v3
	v_add_u32_e32 v6, 4, v3
	s_waitcnt lgkmcnt(0)
	v_cndmask_b32_e64 v5, 0, 4, vcc
	v_add_lshl_u32 v5, v5, v1, 2
	s_waitcnt vmcnt(0)
	ds_bpermute_b32 v5, v5, v2
	v_cmp_lt_u32_e32 vcc, v6, v4
	s_and_saveexec_b64 s[4:5], vcc
	;; [unrolled: 18-line block ×4, first 2 shown]
	s_cbranch_execz .LBB938_129
; %bb.128:
	s_waitcnt lgkmcnt(0)
	v_add_u32_e32 v6, v5, v2
	v_ashrrev_i32_e32 v7, 31, v6
	v_lshl_add_u64 v[6:7], v[6:7], 2, s[66:67]
	global_load_dword v2, v[6:7], off
.LBB938_129:
	s_or_b64 exec, exec, s[4:5]
	s_waitcnt lgkmcnt(0)
	v_lshlrev_b32_e32 v5, 2, v1
	v_or_b32_e32 v6, 0x80, v5
	s_waitcnt vmcnt(0)
	ds_bpermute_b32 v6, v6, v2
	v_add_u32_e32 v3, 32, v3
	v_cmp_lt_u32_e32 vcc, v3, v4
	s_and_saveexec_b64 s[4:5], vcc
	s_cbranch_execz .LBB938_131
; %bb.130:
	s_waitcnt lgkmcnt(0)
	v_add_u32_e32 v2, v6, v2
	v_ashrrev_i32_e32 v3, 31, v2
	v_lshl_add_u64 v[2:3], v[2:3], 2, s[66:67]
	global_load_dword v2, v[2:3], off
.LBB938_131:
	s_or_b64 exec, exec, s[4:5]
	v_cmp_eq_u32_e32 vcc, 0, v1
	s_and_saveexec_b64 s[4:5], vcc
	s_cbranch_execz .LBB938_133
; %bb.132:
	v_lshrrev_b32_e32 v3, 4, v0
	v_and_b32_e32 v3, 12, v3
	s_waitcnt vmcnt(0)
	ds_write_b32 v3, v2
.LBB938_133:
	s_or_b64 exec, exec, s[4:5]
	v_cmp_gt_u32_e32 vcc, 4, v0
	s_waitcnt lgkmcnt(0)
	s_barrier
                                        ; implicit-def: $vgpr4
	s_and_saveexec_b64 s[4:5], vcc
	s_cbranch_execz .LBB938_139
; %bb.134:
	s_waitcnt vmcnt(0)
	ds_read_b32 v2, v5
	v_and_b32_e32 v3, 3, v1
	v_cmp_ne_u32_e32 vcc, 3, v3
	s_add_i32 s6, s6, 63
	s_lshr_b32 s8, s6, 6
	v_addc_co_u32_e32 v1, vcc, 0, v1, vcc
	v_lshlrev_b32_e32 v1, 2, v1
	s_waitcnt lgkmcnt(0)
	ds_bpermute_b32 v1, v1, v2
	v_add_u32_e32 v4, 1, v3
	v_cmp_gt_u32_e32 vcc, s8, v4
	s_and_saveexec_b64 s[6:7], vcc
	s_cbranch_execz .LBB938_136
; %bb.135:
	s_waitcnt lgkmcnt(0)
	v_add_u32_e32 v6, v1, v2
	v_ashrrev_i32_e32 v7, 31, v6
	v_lshl_add_u64 v[6:7], v[6:7], 2, s[66:67]
	global_load_dword v2, v[6:7], off
.LBB938_136:
	s_or_b64 exec, exec, s[6:7]
	s_waitcnt lgkmcnt(0)
	v_or_b32_e32 v1, 8, v5
	s_waitcnt vmcnt(0)
	ds_bpermute_b32 v1, v1, v2
	v_add_u32_e32 v3, 2, v3
	v_cmp_gt_u32_e32 vcc, s8, v3
	s_mov_b64 s[6:7], s[74:75]
                                        ; implicit-def: $vgpr4
	s_and_saveexec_b64 s[8:9], vcc
	s_cbranch_execz .LBB938_138
; %bb.137:
	s_waitcnt lgkmcnt(0)
	v_add_u32_e32 v4, v1, v2
	s_or_b64 s[6:7], s[74:75], exec
.LBB938_138:
	s_or_b64 exec, exec, s[8:9]
	s_andn2_b64 s[8:9], s[74:75], exec
	s_and_b64 s[6:7], s[6:7], exec
	s_or_b64 s[74:75], s[8:9], s[6:7]
.LBB938_139:
	s_or_b64 exec, exec, s[4:5]
.LBB938_140:
	s_and_saveexec_b64 s[4:5], s[74:75]
	s_cbranch_execz .LBB938_142
; %bb.141:
	v_ashrrev_i32_e32 v5, 31, v4
	s_waitcnt vmcnt(0)
	v_lshl_add_u64 v[2:3], v[4:5], 2, s[66:67]
	global_load_dword v2, v[2:3], off
.LBB938_142:
	s_or_b64 exec, exec, s[4:5]
	v_cmp_eq_u32_e32 vcc, 0, v0
	s_mov_b64 s[36:37], 0
	s_mov_b64 s[34:35], 0
	s_and_saveexec_b64 s[4:5], vcc
	s_xor_b64 s[4:5], exec, s[4:5]
; %bb.143:
	s_cmp_eq_u64 s[70:71], 0
	s_cselect_b64 s[6:7], -1, 0
	s_cmp_lg_u64 s[70:71], 0
	s_cselect_b64 s[8:9], -1, 0
	s_and_b64 s[34:35], s[6:7], exec
	s_and_b64 s[36:37], s[8:9], exec
; %bb.144:
	s_or_b64 exec, exec, s[4:5]
	s_and_b64 vcc, exec, s[72:73]
	s_cbranch_vccnz .LBB938_14
.LBB938_145:
	s_branch .LBB938_229
.LBB938_146:
	s_mov_b64 s[6:7], -1
	s_mov_b64 s[38:39], 0
                                        ; implicit-def: $vgpr4
                                        ; implicit-def: $vgpr2
.LBB938_147:
	s_and_b64 vcc, exec, s[6:7]
	s_cbranch_vccz .LBB938_216
; %bb.148:
	s_sub_i32 s44, s70, s4
	s_waitcnt vmcnt(0)
	v_mov_b32_e32 v2, 0
	v_cmp_gt_u32_e32 vcc, s44, v0
	v_mov_b32_e32 v3, v2
	v_mov_b32_e32 v4, v2
	v_mov_b32_e32 v5, v2
	v_mov_b32_e32 v6, v2
	v_mov_b32_e32 v7, v2
	v_mov_b32_e32 v8, v2
	v_mov_b32_e32 v9, v2
	v_mov_b32_e32 v10, v2
	v_mov_b32_e32 v11, v2
	v_mov_b32_e32 v12, v2
	v_mov_b32_e32 v13, v2
	v_mov_b32_e32 v14, v2
	v_mov_b32_e32 v15, v2
	v_mov_b32_e32 v16, v2
	v_mov_b32_e32 v17, v2
	s_and_saveexec_b64 s[4:5], vcc
	s_cbranch_execz .LBB938_150
; %bb.149:
	s_waitcnt lgkmcnt(0)
	v_lshlrev_b32_e32 v1, 2, v0
	global_load_dword v4, v1, s[40:41]
	v_mov_b32_e32 v5, v2
	v_mov_b32_e32 v6, v2
	;; [unrolled: 1-line block ×15, first 2 shown]
	s_waitcnt vmcnt(0)
	v_mov_b64_e32 v[2:3], v[4:5]
	v_mov_b64_e32 v[4:5], v[6:7]
	;; [unrolled: 1-line block ×8, first 2 shown]
.LBB938_150:
	s_or_b64 exec, exec, s[4:5]
	s_waitcnt lgkmcnt(0)
	v_or_b32_e32 v1, 0x100, v0
	v_cmp_gt_u32_e32 vcc, s44, v1
	s_and_saveexec_b64 s[4:5], vcc
	s_cbranch_execz .LBB938_152
; %bb.151:
	v_lshlrev_b32_e32 v1, 2, v0
	global_load_dword v3, v1, s[40:41] offset:1024
.LBB938_152:
	s_or_b64 exec, exec, s[4:5]
	v_or_b32_e32 v1, 0x200, v0
	v_cmp_gt_u32_e64 s[4:5], s44, v1
	s_and_saveexec_b64 s[6:7], s[4:5]
	s_cbranch_execz .LBB938_154
; %bb.153:
	v_lshlrev_b32_e32 v1, 2, v0
	global_load_dword v4, v1, s[40:41] offset:2048
.LBB938_154:
	s_or_b64 exec, exec, s[6:7]
	v_or_b32_e32 v1, 0x300, v0
	v_cmp_gt_u32_e64 s[6:7], s44, v1
	s_and_saveexec_b64 s[8:9], s[6:7]
	;; [unrolled: 9-line block ×3, first 2 shown]
	s_cbranch_execz .LBB938_158
; %bb.157:
	v_lshlrev_b32_e32 v1, 2, v1
	global_load_dword v6, v1, s[40:41]
.LBB938_158:
	s_or_b64 exec, exec, s[10:11]
	v_or_b32_e32 v1, 0x500, v0
	v_cmp_gt_u32_e64 s[10:11], s44, v1
	s_and_saveexec_b64 s[12:13], s[10:11]
	s_cbranch_execz .LBB938_160
; %bb.159:
	v_lshlrev_b32_e32 v1, 2, v1
	global_load_dword v7, v1, s[40:41]
.LBB938_160:
	s_or_b64 exec, exec, s[12:13]
	v_or_b32_e32 v1, 0x600, v0
	v_cmp_gt_u32_e64 s[12:13], s44, v1
	s_and_saveexec_b64 s[14:15], s[12:13]
	;; [unrolled: 9-line block ×11, first 2 shown]
	s_cbranch_execnz .LBB938_454
; %bb.179:
	s_or_b64 exec, exec, s[42:43]
	s_and_saveexec_b64 s[40:41], vcc
	s_cbranch_execnz .LBB938_455
.LBB938_180:
	s_or_b64 exec, exec, s[40:41]
	s_and_saveexec_b64 s[40:41], s[4:5]
	s_cbranch_execnz .LBB938_456
.LBB938_181:
	s_or_b64 exec, exec, s[40:41]
	s_and_saveexec_b64 s[4:5], s[6:7]
	s_cbranch_execnz .LBB938_457
.LBB938_182:
	s_or_b64 exec, exec, s[4:5]
	s_and_saveexec_b64 s[4:5], s[8:9]
	s_cbranch_execnz .LBB938_458
.LBB938_183:
	s_or_b64 exec, exec, s[4:5]
	s_and_saveexec_b64 s[4:5], s[10:11]
	s_cbranch_execnz .LBB938_459
.LBB938_184:
	s_or_b64 exec, exec, s[4:5]
	s_and_saveexec_b64 s[4:5], s[12:13]
	s_cbranch_execnz .LBB938_460
.LBB938_185:
	s_or_b64 exec, exec, s[4:5]
	s_and_saveexec_b64 s[4:5], s[14:15]
	s_cbranch_execnz .LBB938_461
.LBB938_186:
	s_or_b64 exec, exec, s[4:5]
	s_and_saveexec_b64 s[4:5], s[16:17]
	s_cbranch_execnz .LBB938_462
.LBB938_187:
	s_or_b64 exec, exec, s[4:5]
	s_and_saveexec_b64 s[4:5], s[18:19]
	s_cbranch_execnz .LBB938_463
.LBB938_188:
	s_or_b64 exec, exec, s[4:5]
	s_and_saveexec_b64 s[4:5], s[20:21]
	s_cbranch_execnz .LBB938_464
.LBB938_189:
	s_or_b64 exec, exec, s[4:5]
	s_and_saveexec_b64 s[4:5], s[22:23]
	s_cbranch_execnz .LBB938_465
.LBB938_190:
	s_or_b64 exec, exec, s[4:5]
	s_and_saveexec_b64 s[4:5], s[24:25]
	s_cbranch_execnz .LBB938_466
.LBB938_191:
	s_or_b64 exec, exec, s[4:5]
	s_and_saveexec_b64 s[4:5], s[26:27]
	s_cbranch_execnz .LBB938_467
.LBB938_192:
	s_or_b64 exec, exec, s[4:5]
	s_and_saveexec_b64 s[4:5], s[28:29]
	s_cbranch_execnz .LBB938_468
.LBB938_193:
	s_or_b64 exec, exec, s[4:5]
	s_and_saveexec_b64 s[4:5], s[30:31]
	s_cbranch_execz .LBB938_195
.LBB938_194:
	s_waitcnt vmcnt(0)
	v_add_u32_e32 v2, v2, v17
	v_ashrrev_i32_e32 v3, 31, v2
	v_lshl_add_u64 v[2:3], v[2:3], 2, s[66:67]
	global_load_dword v2, v[2:3], off
.LBB938_195:
	s_or_b64 exec, exec, s[4:5]
	v_mbcnt_lo_u32_b32 v1, -1, 0
	v_mbcnt_hi_u32_b32 v1, -1, v1
	s_waitcnt vmcnt(0)
	v_and_b32_e32 v3, 63, v1
	v_cmp_ne_u32_e32 vcc, 63, v3
	s_min_u32 s6, s44, 0x100
	v_add_u32_e32 v6, 1, v3
	v_addc_co_u32_e32 v4, vcc, 0, v1, vcc
	v_lshlrev_b32_e32 v4, 2, v4
	ds_bpermute_b32 v5, v4, v2
	v_and_b32_e32 v4, 0xc0, v0
	v_sub_u32_e64 v4, s6, v4 clamp
	v_cmp_lt_u32_e32 vcc, v6, v4
	s_and_saveexec_b64 s[4:5], vcc
	s_xor_b64 s[4:5], exec, s[4:5]
	s_cbranch_execz .LBB938_197
; %bb.196:
	s_waitcnt lgkmcnt(0)
	v_add_u32_e32 v6, v5, v2
	v_ashrrev_i32_e32 v7, 31, v6
	v_lshl_add_u64 v[6:7], v[6:7], 2, s[66:67]
	global_load_dword v2, v[6:7], off
.LBB938_197:
	s_or_b64 exec, exec, s[4:5]
	v_cmp_gt_u32_e32 vcc, 62, v3
	v_add_u32_e32 v6, 2, v3
	s_waitcnt lgkmcnt(0)
	v_cndmask_b32_e64 v5, 0, 2, vcc
	v_add_lshl_u32 v5, v5, v1, 2
	s_waitcnt vmcnt(0)
	ds_bpermute_b32 v5, v5, v2
	v_cmp_lt_u32_e32 vcc, v6, v4
	s_and_saveexec_b64 s[4:5], vcc
	s_cbranch_execz .LBB938_199
; %bb.198:
	s_waitcnt lgkmcnt(0)
	v_add_u32_e32 v6, v5, v2
	v_ashrrev_i32_e32 v7, 31, v6
	v_lshl_add_u64 v[6:7], v[6:7], 2, s[66:67]
	global_load_dword v2, v[6:7], off
.LBB938_199:
	s_or_b64 exec, exec, s[4:5]
	v_cmp_gt_u32_e32 vcc, 60, v3
	v_add_u32_e32 v6, 4, v3
	s_waitcnt lgkmcnt(0)
	v_cndmask_b32_e64 v5, 0, 4, vcc
	v_add_lshl_u32 v5, v5, v1, 2
	s_waitcnt vmcnt(0)
	ds_bpermute_b32 v5, v5, v2
	v_cmp_lt_u32_e32 vcc, v6, v4
	s_and_saveexec_b64 s[4:5], vcc
	;; [unrolled: 18-line block ×4, first 2 shown]
	s_cbranch_execz .LBB938_205
; %bb.204:
	s_waitcnt lgkmcnt(0)
	v_add_u32_e32 v6, v5, v2
	v_ashrrev_i32_e32 v7, 31, v6
	v_lshl_add_u64 v[6:7], v[6:7], 2, s[66:67]
	global_load_dword v2, v[6:7], off
.LBB938_205:
	s_or_b64 exec, exec, s[4:5]
	s_waitcnt lgkmcnt(0)
	v_lshlrev_b32_e32 v5, 2, v1
	v_or_b32_e32 v6, 0x80, v5
	s_waitcnt vmcnt(0)
	ds_bpermute_b32 v6, v6, v2
	v_add_u32_e32 v3, 32, v3
	v_cmp_lt_u32_e32 vcc, v3, v4
	s_and_saveexec_b64 s[4:5], vcc
	s_cbranch_execz .LBB938_207
; %bb.206:
	s_waitcnt lgkmcnt(0)
	v_add_u32_e32 v2, v6, v2
	v_ashrrev_i32_e32 v3, 31, v2
	v_lshl_add_u64 v[2:3], v[2:3], 2, s[66:67]
	global_load_dword v2, v[2:3], off
.LBB938_207:
	s_or_b64 exec, exec, s[4:5]
	v_cmp_eq_u32_e32 vcc, 0, v1
	s_and_saveexec_b64 s[4:5], vcc
	s_cbranch_execz .LBB938_209
; %bb.208:
	v_lshrrev_b32_e32 v3, 4, v0
	v_and_b32_e32 v3, 12, v3
	s_waitcnt vmcnt(0)
	ds_write_b32 v3, v2
.LBB938_209:
	s_or_b64 exec, exec, s[4:5]
	v_cmp_gt_u32_e32 vcc, 4, v0
	s_waitcnt lgkmcnt(0)
	s_barrier
                                        ; implicit-def: $vgpr4
	s_and_saveexec_b64 s[4:5], vcc
	s_cbranch_execz .LBB938_215
; %bb.210:
	s_waitcnt vmcnt(0)
	ds_read_b32 v2, v5
	v_and_b32_e32 v3, 3, v1
	v_cmp_ne_u32_e32 vcc, 3, v3
	s_add_i32 s6, s6, 63
	s_lshr_b32 s8, s6, 6
	v_addc_co_u32_e32 v1, vcc, 0, v1, vcc
	v_lshlrev_b32_e32 v1, 2, v1
	s_waitcnt lgkmcnt(0)
	ds_bpermute_b32 v1, v1, v2
	v_add_u32_e32 v4, 1, v3
	v_cmp_gt_u32_e32 vcc, s8, v4
	s_and_saveexec_b64 s[6:7], vcc
	s_cbranch_execz .LBB938_212
; %bb.211:
	s_waitcnt lgkmcnt(0)
	v_add_u32_e32 v6, v1, v2
	v_ashrrev_i32_e32 v7, 31, v6
	v_lshl_add_u64 v[6:7], v[6:7], 2, s[66:67]
	global_load_dword v2, v[6:7], off
.LBB938_212:
	s_or_b64 exec, exec, s[6:7]
	s_waitcnt lgkmcnt(0)
	v_or_b32_e32 v1, 8, v5
	s_waitcnt vmcnt(0)
	ds_bpermute_b32 v1, v1, v2
	v_add_u32_e32 v3, 2, v3
	v_cmp_gt_u32_e32 vcc, s8, v3
	s_mov_b64 s[6:7], s[38:39]
                                        ; implicit-def: $vgpr4
	s_and_saveexec_b64 s[8:9], vcc
	s_cbranch_execz .LBB938_214
; %bb.213:
	s_waitcnt lgkmcnt(0)
	v_add_u32_e32 v4, v1, v2
	s_or_b64 s[6:7], s[38:39], exec
.LBB938_214:
	s_or_b64 exec, exec, s[8:9]
	s_andn2_b64 s[8:9], s[38:39], exec
	s_and_b64 s[6:7], s[6:7], exec
	s_or_b64 s[38:39], s[8:9], s[6:7]
.LBB938_215:
	s_or_b64 exec, exec, s[4:5]
.LBB938_216:
	s_and_saveexec_b64 s[4:5], s[38:39]
	s_cbranch_execz .LBB938_218
; %bb.217:
	v_ashrrev_i32_e32 v5, 31, v4
	s_waitcnt vmcnt(0)
	v_lshl_add_u64 v[2:3], v[4:5], 2, s[66:67]
	global_load_dword v2, v[2:3], off
.LBB938_218:
	s_or_b64 exec, exec, s[4:5]
	v_cmp_eq_u32_e32 vcc, 0, v0
	s_and_saveexec_b64 s[4:5], vcc
	s_xor_b64 s[4:5], exec, s[4:5]
	s_cbranch_execz .LBB938_220
; %bb.219:
	s_cmp_eq_u64 s[70:71], 0
	s_cselect_b64 s[6:7], -1, 0
	s_cmp_lg_u64 s[70:71], 0
	s_cselect_b64 s[8:9], -1, 0
	s_andn2_b64 s[10:11], s[34:35], exec
	s_and_b64 s[6:7], s[6:7], exec
	s_or_b64 s[34:35], s[10:11], s[6:7]
	s_andn2_b64 s[6:7], s[36:37], exec
	s_and_b64 s[8:9], s[8:9], exec
	s_or_b64 s[36:37], s[6:7], s[8:9]
.LBB938_220:
	s_or_b64 exec, exec, s[4:5]
	s_branch .LBB938_229
.LBB938_221:
	s_cmp_eq_u32 s80, 8
	s_cbranch_scc0 .LBB938_228
; %bb.222:
	s_mov_b32 s3, 0
	s_lshl_b32 s4, s2, 11
	s_mov_b32 s5, s3
	s_lshr_b64 s[6:7], s[70:71], 11
	s_lshl_b64 s[8:9], s[4:5], 2
	s_add_u32 s18, s68, s8
	s_addc_u32 s19, s69, s9
	s_cmp_lg_u64 s[6:7], s[2:3]
	s_cbranch_scc0 .LBB938_230
; %bb.223:
	s_waitcnt vmcnt(0)
	v_lshlrev_b32_e32 v2, 2, v0
	s_waitcnt lgkmcnt(0)
	global_load_dword v1, v2, s[18:19]
	global_load_dword v3, v2, s[18:19] offset:1024
	global_load_dword v6, v2, s[18:19] offset:2048
	;; [unrolled: 1-line block ×3, first 2 shown]
	s_waitcnt vmcnt(2)
	v_add_u32_e32 v4, v3, v1
	v_ashrrev_i32_e32 v5, 31, v4
	v_lshl_add_u64 v[4:5], v[4:5], 2, s[66:67]
	global_load_dword v1, v[4:5], off
	v_mov_b32_e32 v3, 0
	v_lshl_add_u64 v[2:3], s[18:19], 0, v[2:3]
	v_add_co_u32_e32 v2, vcc, 0x1000, v2
	s_waitcnt vmcnt(0)
	v_add_u32_e32 v4, v1, v6
	v_ashrrev_i32_e32 v5, 31, v4
	v_lshl_add_u64 v[4:5], v[4:5], 2, s[66:67]
	global_load_dword v1, v[4:5], off
	v_addc_co_u32_e32 v3, vcc, 0, v3, vcc
	s_waitcnt vmcnt(0)
	v_add_u32_e32 v4, v1, v7
	v_ashrrev_i32_e32 v5, 31, v4
	v_lshl_add_u64 v[4:5], v[4:5], 2, s[66:67]
	global_load_dword v1, v[4:5], off
	global_load_dword v6, v[2:3], off
	global_load_dword v7, v[2:3], off offset:1024
	global_load_dword v8, v[2:3], off offset:2048
	;; [unrolled: 1-line block ×3, first 2 shown]
	s_waitcnt vmcnt(3)
	v_add_u32_e32 v2, v1, v6
	v_ashrrev_i32_e32 v3, 31, v2
	v_lshl_add_u64 v[2:3], v[2:3], 2, s[66:67]
	global_load_dword v1, v[2:3], off
	s_waitcnt vmcnt(0)
	v_add_u32_e32 v2, v1, v7
	v_ashrrev_i32_e32 v3, 31, v2
	v_lshl_add_u64 v[2:3], v[2:3], 2, s[66:67]
	global_load_dword v1, v[2:3], off
	;; [unrolled: 5-line block ×4, first 2 shown]
	s_waitcnt vmcnt(0)
	s_nop 0
	v_add_u32_dpp v2, v1, v1 quad_perm:[1,0,3,2] row_mask:0xf bank_mask:0xf bound_ctrl:1
	v_ashrrev_i32_e32 v3, 31, v2
	v_lshl_add_u64 v[2:3], v[2:3], 2, s[66:67]
	global_load_dword v1, v[2:3], off
	s_waitcnt vmcnt(0)
	s_nop 0
	v_add_u32_dpp v2, v1, v1 quad_perm:[2,3,0,1] row_mask:0xf bank_mask:0xf bound_ctrl:1
	v_ashrrev_i32_e32 v3, 31, v2
	v_lshl_add_u64 v[2:3], v[2:3], 2, s[66:67]
	global_load_dword v1, v[2:3], off
	s_waitcnt vmcnt(0)
	s_nop 0
	v_add_u32_dpp v2, v1, v1 row_ror:4 row_mask:0xf bank_mask:0xf bound_ctrl:1
	v_ashrrev_i32_e32 v3, 31, v2
	v_lshl_add_u64 v[2:3], v[2:3], 2, s[66:67]
	global_load_dword v1, v[2:3], off
	s_waitcnt vmcnt(0)
	s_nop 0
	v_add_u32_dpp v2, v1, v1 row_ror:8 row_mask:0xf bank_mask:0xf bound_ctrl:1
	v_ashrrev_i32_e32 v3, 31, v2
	v_lshl_add_u64 v[2:3], v[2:3], 2, s[66:67]
	global_load_dword v1, v[2:3], off
	s_waitcnt vmcnt(0)
	s_nop 0
	v_add_u32_dpp v2, v1, v1 row_bcast:15 row_mask:0xf bank_mask:0xf bound_ctrl:1
	v_ashrrev_i32_e32 v3, 31, v2
	v_lshl_add_u64 v[2:3], v[2:3], 2, s[66:67]
	global_load_dword v1, v[2:3], off
	s_waitcnt vmcnt(0)
	s_nop 0
	v_add_u32_dpp v2, v1, v1 row_bcast:31 row_mask:0xf bank_mask:0xf bound_ctrl:1
	v_ashrrev_i32_e32 v3, 31, v2
	v_lshl_add_u64 v[2:3], v[2:3], 2, s[66:67]
	global_load_dword v2, v[2:3], off
	v_mbcnt_lo_u32_b32 v1, -1, 0
	v_mbcnt_hi_u32_b32 v3, -1, v1
	v_lshlrev_b32_e32 v1, 2, v3
	v_or_b32_e32 v4, 0xfc, v1
	v_cmp_eq_u32_e32 vcc, 0, v3
	s_waitcnt vmcnt(0)
	ds_bpermute_b32 v2, v4, v2
	s_and_saveexec_b64 s[6:7], vcc
	s_cbranch_execz .LBB938_225
; %bb.224:
	v_lshrrev_b32_e32 v4, 4, v0
	v_and_b32_e32 v4, 12, v4
	s_waitcnt lgkmcnt(0)
	ds_write_b32 v4, v2 offset:96
.LBB938_225:
	s_or_b64 exec, exec, s[6:7]
	v_cmp_gt_u32_e32 vcc, 64, v0
	s_mov_b64 s[6:7], 0
	s_mov_b64 s[16:17], 0
	s_waitcnt lgkmcnt(0)
	s_barrier
                                        ; implicit-def: $vgpr4
	s_and_saveexec_b64 s[8:9], vcc
	s_xor_b64 s[8:9], exec, s[8:9]
	s_cbranch_execz .LBB938_227
; %bb.226:
	v_and_b32_e32 v4, 3, v3
	v_lshlrev_b32_e32 v5, 2, v4
	ds_read_b32 v5, v5 offset:96
	v_cmp_ne_u32_e32 vcc, 3, v4
	v_or_b32_e32 v1, 8, v1
	s_mov_b64 s[16:17], exec
	v_addc_co_u32_e32 v3, vcc, 0, v3, vcc
	v_lshlrev_b32_e32 v3, 2, v3
	s_waitcnt lgkmcnt(0)
	ds_bpermute_b32 v3, v3, v5
	s_waitcnt lgkmcnt(0)
	v_add_u32_e32 v4, v3, v5
	v_ashrrev_i32_e32 v5, 31, v4
	v_lshl_add_u64 v[4:5], v[4:5], 2, s[66:67]
	global_load_dword v3, v[4:5], off
	s_waitcnt vmcnt(0)
	ds_bpermute_b32 v1, v1, v3
	s_waitcnt lgkmcnt(0)
	v_add_u32_e32 v4, v1, v3
.LBB938_227:
	s_or_b64 exec, exec, s[8:9]
	s_and_b64 vcc, exec, s[6:7]
	s_cbranch_vccnz .LBB938_231
	s_branch .LBB938_275
.LBB938_228:
                                        ; implicit-def: $vgpr2
.LBB938_229:
	s_branch .LBB938_389
.LBB938_230:
	s_mov_b64 s[16:17], 0
                                        ; implicit-def: $vgpr4
                                        ; implicit-def: $vgpr2
	s_cbranch_execz .LBB938_275
.LBB938_231:
	s_sub_i32 s22, s70, s4
	s_waitcnt vmcnt(0)
	v_mov_b32_e32 v2, 0
	v_cmp_gt_u32_e32 vcc, s22, v0
	v_mov_b32_e32 v3, v2
	v_mov_b32_e32 v4, v2
	;; [unrolled: 1-line block ×7, first 2 shown]
	s_and_saveexec_b64 s[4:5], vcc
	s_cbranch_execz .LBB938_233
; %bb.232:
	s_waitcnt lgkmcnt(0)
	v_lshlrev_b32_e32 v1, 2, v0
	global_load_dword v4, v1, s[18:19]
	v_mov_b32_e32 v5, v2
	v_mov_b32_e32 v6, v2
	;; [unrolled: 1-line block ×7, first 2 shown]
	s_waitcnt vmcnt(0)
	v_mov_b64_e32 v[2:3], v[4:5]
	v_mov_b64_e32 v[4:5], v[6:7]
	;; [unrolled: 1-line block ×4, first 2 shown]
.LBB938_233:
	s_or_b64 exec, exec, s[4:5]
	s_waitcnt lgkmcnt(0)
	v_or_b32_e32 v1, 0x100, v0
	v_cmp_gt_u32_e32 vcc, s22, v1
	s_and_saveexec_b64 s[4:5], vcc
	s_cbranch_execz .LBB938_235
; %bb.234:
	v_lshlrev_b32_e32 v1, 2, v0
	global_load_dword v3, v1, s[18:19] offset:1024
.LBB938_235:
	s_or_b64 exec, exec, s[4:5]
	v_or_b32_e32 v1, 0x200, v0
	v_cmp_gt_u32_e64 s[4:5], s22, v1
	s_and_saveexec_b64 s[6:7], s[4:5]
	s_cbranch_execz .LBB938_237
; %bb.236:
	v_lshlrev_b32_e32 v1, 2, v0
	global_load_dword v4, v1, s[18:19] offset:2048
.LBB938_237:
	s_or_b64 exec, exec, s[6:7]
	v_or_b32_e32 v1, 0x300, v0
	v_cmp_gt_u32_e64 s[6:7], s22, v1
	s_and_saveexec_b64 s[8:9], s[6:7]
	;; [unrolled: 9-line block ×3, first 2 shown]
	s_cbranch_execz .LBB938_241
; %bb.240:
	v_lshlrev_b32_e32 v1, 2, v1
	global_load_dword v6, v1, s[18:19]
.LBB938_241:
	s_or_b64 exec, exec, s[10:11]
	v_or_b32_e32 v1, 0x500, v0
	v_cmp_gt_u32_e64 s[10:11], s22, v1
	s_and_saveexec_b64 s[12:13], s[10:11]
	s_cbranch_execz .LBB938_243
; %bb.242:
	v_lshlrev_b32_e32 v1, 2, v1
	global_load_dword v7, v1, s[18:19]
.LBB938_243:
	s_or_b64 exec, exec, s[12:13]
	v_or_b32_e32 v1, 0x600, v0
	v_cmp_gt_u32_e64 s[12:13], s22, v1
	s_and_saveexec_b64 s[14:15], s[12:13]
	;; [unrolled: 9-line block ×3, first 2 shown]
	s_cbranch_execnz .LBB938_293
; %bb.246:
	s_or_b64 exec, exec, s[20:21]
	s_and_saveexec_b64 s[18:19], vcc
	s_cbranch_execnz .LBB938_294
.LBB938_247:
	s_or_b64 exec, exec, s[18:19]
	s_and_saveexec_b64 s[18:19], s[4:5]
	s_cbranch_execnz .LBB938_295
.LBB938_248:
	s_or_b64 exec, exec, s[18:19]
	s_and_saveexec_b64 s[4:5], s[6:7]
	s_cbranch_execnz .LBB938_296
.LBB938_249:
	s_or_b64 exec, exec, s[4:5]
	s_and_saveexec_b64 s[4:5], s[8:9]
	s_cbranch_execnz .LBB938_297
.LBB938_250:
	s_or_b64 exec, exec, s[4:5]
	s_and_saveexec_b64 s[4:5], s[10:11]
	s_cbranch_execnz .LBB938_298
.LBB938_251:
	s_or_b64 exec, exec, s[4:5]
	s_and_saveexec_b64 s[4:5], s[12:13]
	s_cbranch_execnz .LBB938_299
.LBB938_252:
	s_or_b64 exec, exec, s[4:5]
	s_and_saveexec_b64 s[4:5], s[14:15]
	s_cbranch_execz .LBB938_254
.LBB938_253:
	s_waitcnt vmcnt(0)
	v_add_u32_e32 v2, v2, v9
	v_ashrrev_i32_e32 v3, 31, v2
	v_lshl_add_u64 v[2:3], v[2:3], 2, s[66:67]
	global_load_dword v2, v[2:3], off
.LBB938_254:
	s_or_b64 exec, exec, s[4:5]
	v_mbcnt_lo_u32_b32 v1, -1, 0
	v_mbcnt_hi_u32_b32 v1, -1, v1
	s_waitcnt vmcnt(0)
	v_and_b32_e32 v3, 63, v1
	v_cmp_ne_u32_e32 vcc, 63, v3
	s_min_u32 s6, s22, 0x100
	v_add_u32_e32 v6, 1, v3
	v_addc_co_u32_e32 v4, vcc, 0, v1, vcc
	v_lshlrev_b32_e32 v4, 2, v4
	ds_bpermute_b32 v5, v4, v2
	v_and_b32_e32 v4, 0xc0, v0
	v_sub_u32_e64 v4, s6, v4 clamp
	v_cmp_lt_u32_e32 vcc, v6, v4
	s_and_saveexec_b64 s[4:5], vcc
	s_xor_b64 s[4:5], exec, s[4:5]
	s_cbranch_execz .LBB938_256
; %bb.255:
	s_waitcnt lgkmcnt(0)
	v_add_u32_e32 v6, v5, v2
	v_ashrrev_i32_e32 v7, 31, v6
	v_lshl_add_u64 v[6:7], v[6:7], 2, s[66:67]
	global_load_dword v2, v[6:7], off
.LBB938_256:
	s_or_b64 exec, exec, s[4:5]
	v_cmp_gt_u32_e32 vcc, 62, v3
	v_add_u32_e32 v6, 2, v3
	s_waitcnt lgkmcnt(0)
	v_cndmask_b32_e64 v5, 0, 2, vcc
	v_add_lshl_u32 v5, v5, v1, 2
	s_waitcnt vmcnt(0)
	ds_bpermute_b32 v5, v5, v2
	v_cmp_lt_u32_e32 vcc, v6, v4
	s_and_saveexec_b64 s[4:5], vcc
	s_cbranch_execz .LBB938_258
; %bb.257:
	s_waitcnt lgkmcnt(0)
	v_add_u32_e32 v6, v5, v2
	v_ashrrev_i32_e32 v7, 31, v6
	v_lshl_add_u64 v[6:7], v[6:7], 2, s[66:67]
	global_load_dword v2, v[6:7], off
.LBB938_258:
	s_or_b64 exec, exec, s[4:5]
	v_cmp_gt_u32_e32 vcc, 60, v3
	v_add_u32_e32 v6, 4, v3
	s_waitcnt lgkmcnt(0)
	v_cndmask_b32_e64 v5, 0, 4, vcc
	v_add_lshl_u32 v5, v5, v1, 2
	s_waitcnt vmcnt(0)
	ds_bpermute_b32 v5, v5, v2
	v_cmp_lt_u32_e32 vcc, v6, v4
	s_and_saveexec_b64 s[4:5], vcc
	;; [unrolled: 18-line block ×4, first 2 shown]
	s_cbranch_execz .LBB938_264
; %bb.263:
	s_waitcnt lgkmcnt(0)
	v_add_u32_e32 v6, v5, v2
	v_ashrrev_i32_e32 v7, 31, v6
	v_lshl_add_u64 v[6:7], v[6:7], 2, s[66:67]
	global_load_dword v2, v[6:7], off
.LBB938_264:
	s_or_b64 exec, exec, s[4:5]
	s_waitcnt lgkmcnt(0)
	v_lshlrev_b32_e32 v5, 2, v1
	v_or_b32_e32 v6, 0x80, v5
	s_waitcnt vmcnt(0)
	ds_bpermute_b32 v6, v6, v2
	v_add_u32_e32 v3, 32, v3
	v_cmp_lt_u32_e32 vcc, v3, v4
	s_and_saveexec_b64 s[4:5], vcc
	s_cbranch_execz .LBB938_266
; %bb.265:
	s_waitcnt lgkmcnt(0)
	v_add_u32_e32 v2, v6, v2
	v_ashrrev_i32_e32 v3, 31, v2
	v_lshl_add_u64 v[2:3], v[2:3], 2, s[66:67]
	global_load_dword v2, v[2:3], off
.LBB938_266:
	s_or_b64 exec, exec, s[4:5]
	v_cmp_eq_u32_e32 vcc, 0, v1
	s_and_saveexec_b64 s[4:5], vcc
	s_cbranch_execz .LBB938_268
; %bb.267:
	v_lshrrev_b32_e32 v3, 4, v0
	v_and_b32_e32 v3, 12, v3
	s_waitcnt vmcnt(0)
	ds_write_b32 v3, v2
.LBB938_268:
	s_or_b64 exec, exec, s[4:5]
	v_cmp_gt_u32_e32 vcc, 4, v0
	s_waitcnt lgkmcnt(0)
	s_barrier
                                        ; implicit-def: $vgpr4
	s_and_saveexec_b64 s[4:5], vcc
	s_cbranch_execz .LBB938_274
; %bb.269:
	s_waitcnt vmcnt(0)
	ds_read_b32 v2, v5
	v_and_b32_e32 v3, 3, v1
	v_cmp_ne_u32_e32 vcc, 3, v3
	s_add_i32 s6, s6, 63
	s_lshr_b32 s8, s6, 6
	v_addc_co_u32_e32 v1, vcc, 0, v1, vcc
	v_lshlrev_b32_e32 v1, 2, v1
	s_waitcnt lgkmcnt(0)
	ds_bpermute_b32 v1, v1, v2
	v_add_u32_e32 v4, 1, v3
	v_cmp_gt_u32_e32 vcc, s8, v4
	s_and_saveexec_b64 s[6:7], vcc
	s_cbranch_execz .LBB938_271
; %bb.270:
	s_waitcnt lgkmcnt(0)
	v_add_u32_e32 v6, v1, v2
	v_ashrrev_i32_e32 v7, 31, v6
	v_lshl_add_u64 v[6:7], v[6:7], 2, s[66:67]
	global_load_dword v2, v[6:7], off
.LBB938_271:
	s_or_b64 exec, exec, s[6:7]
	s_waitcnt lgkmcnt(0)
	v_or_b32_e32 v1, 8, v5
	s_waitcnt vmcnt(0)
	ds_bpermute_b32 v1, v1, v2
	v_add_u32_e32 v3, 2, v3
	v_cmp_gt_u32_e32 vcc, s8, v3
	s_mov_b64 s[6:7], s[16:17]
                                        ; implicit-def: $vgpr4
	s_and_saveexec_b64 s[8:9], vcc
	s_cbranch_execz .LBB938_273
; %bb.272:
	s_waitcnt lgkmcnt(0)
	v_add_u32_e32 v4, v1, v2
	s_or_b64 s[6:7], s[16:17], exec
.LBB938_273:
	s_or_b64 exec, exec, s[8:9]
	s_andn2_b64 s[8:9], s[16:17], exec
	s_and_b64 s[6:7], s[6:7], exec
	s_or_b64 s[16:17], s[8:9], s[6:7]
.LBB938_274:
	s_or_b64 exec, exec, s[4:5]
.LBB938_275:
	s_and_saveexec_b64 s[4:5], s[16:17]
	s_cbranch_execz .LBB938_277
; %bb.276:
	v_ashrrev_i32_e32 v5, 31, v4
	s_waitcnt vmcnt(0)
	v_lshl_add_u64 v[2:3], v[4:5], 2, s[66:67]
	global_load_dword v2, v[2:3], off
.LBB938_277:
	s_or_b64 exec, exec, s[4:5]
	v_cmp_eq_u32_e32 vcc, 0, v0
	s_and_saveexec_b64 s[4:5], vcc
	s_xor_b64 s[4:5], exec, s[4:5]
	s_cbranch_execz .LBB938_279
; %bb.278:
	s_cmp_eq_u64 s[70:71], 0
	s_cselect_b64 s[6:7], -1, 0
	s_cmp_lg_u64 s[70:71], 0
	s_cselect_b64 s[8:9], -1, 0
	s_andn2_b64 s[10:11], s[34:35], exec
	s_and_b64 s[6:7], s[6:7], exec
	s_or_b64 s[34:35], s[10:11], s[6:7]
	s_andn2_b64 s[6:7], s[36:37], exec
	s_and_b64 s[8:9], s[8:9], exec
	s_or_b64 s[36:37], s[6:7], s[8:9]
.LBB938_279:
	s_or_b64 exec, exec, s[4:5]
	s_branch .LBB938_389
.LBB938_280:
	s_cmp_gt_i32 s80, 1
	s_cbranch_scc0 .LBB938_289
; %bb.281:
	s_cmp_gt_i32 s80, 3
	s_cbranch_scc0 .LBB938_290
; %bb.282:
	s_cmp_eq_u32 s80, 4
	s_cbranch_scc0 .LBB938_291
; %bb.283:
	s_mov_b32 s3, 0
	s_lshl_b32 s4, s2, 10
	s_mov_b32 s5, s3
	s_lshr_b64 s[6:7], s[70:71], 10
	s_lshl_b64 s[8:9], s[4:5], 2
	s_add_u32 s10, s68, s8
	s_addc_u32 s11, s69, s9
	s_cmp_lg_u64 s[6:7], s[2:3]
	s_cbranch_scc0 .LBB938_300
; %bb.284:
	s_waitcnt lgkmcnt(0)
	v_lshlrev_b32_e32 v1, 2, v0
	global_load_dword v2, v1, s[10:11]
	global_load_dword v3, v1, s[10:11] offset:1024
	global_load_dword v4, v1, s[10:11] offset:2048
	;; [unrolled: 1-line block ×3, first 2 shown]
	s_waitcnt vmcnt(2)
	v_add_u32_e32 v2, v3, v2
	v_ashrrev_i32_e32 v3, 31, v2
	v_lshl_add_u64 v[2:3], v[2:3], 2, s[66:67]
	global_load_dword v1, v[2:3], off
	s_waitcnt vmcnt(0)
	v_add_u32_e32 v2, v1, v4
	v_ashrrev_i32_e32 v3, 31, v2
	v_lshl_add_u64 v[2:3], v[2:3], 2, s[66:67]
	global_load_dword v1, v[2:3], off
	;; [unrolled: 5-line block ×3, first 2 shown]
	s_waitcnt vmcnt(0)
	s_nop 0
	v_add_u32_dpp v2, v1, v1 quad_perm:[1,0,3,2] row_mask:0xf bank_mask:0xf bound_ctrl:1
	v_ashrrev_i32_e32 v3, 31, v2
	v_lshl_add_u64 v[2:3], v[2:3], 2, s[66:67]
	global_load_dword v1, v[2:3], off
	s_waitcnt vmcnt(0)
	s_nop 0
	v_add_u32_dpp v2, v1, v1 quad_perm:[2,3,0,1] row_mask:0xf bank_mask:0xf bound_ctrl:1
	v_ashrrev_i32_e32 v3, 31, v2
	v_lshl_add_u64 v[2:3], v[2:3], 2, s[66:67]
	global_load_dword v1, v[2:3], off
	s_waitcnt vmcnt(0)
	s_nop 0
	v_add_u32_dpp v2, v1, v1 row_ror:4 row_mask:0xf bank_mask:0xf bound_ctrl:1
	v_ashrrev_i32_e32 v3, 31, v2
	v_lshl_add_u64 v[2:3], v[2:3], 2, s[66:67]
	global_load_dword v1, v[2:3], off
	s_waitcnt vmcnt(0)
	s_nop 0
	v_add_u32_dpp v2, v1, v1 row_ror:8 row_mask:0xf bank_mask:0xf bound_ctrl:1
	v_ashrrev_i32_e32 v3, 31, v2
	v_lshl_add_u64 v[2:3], v[2:3], 2, s[66:67]
	global_load_dword v1, v[2:3], off
	s_waitcnt vmcnt(0)
	s_nop 0
	v_add_u32_dpp v2, v1, v1 row_bcast:15 row_mask:0xf bank_mask:0xf bound_ctrl:1
	v_ashrrev_i32_e32 v3, 31, v2
	v_lshl_add_u64 v[2:3], v[2:3], 2, s[66:67]
	global_load_dword v1, v[2:3], off
	s_waitcnt vmcnt(0)
	s_nop 0
	v_add_u32_dpp v2, v1, v1 row_bcast:31 row_mask:0xf bank_mask:0xf bound_ctrl:1
	v_ashrrev_i32_e32 v3, 31, v2
	v_lshl_add_u64 v[2:3], v[2:3], 2, s[66:67]
	global_load_dword v2, v[2:3], off
	v_mbcnt_lo_u32_b32 v1, -1, 0
	v_mbcnt_hi_u32_b32 v3, -1, v1
	v_lshlrev_b32_e32 v1, 2, v3
	v_or_b32_e32 v4, 0xfc, v1
	v_cmp_eq_u32_e32 vcc, 0, v3
	s_waitcnt vmcnt(0)
	ds_bpermute_b32 v2, v4, v2
	s_and_saveexec_b64 s[6:7], vcc
	s_cbranch_execz .LBB938_286
; %bb.285:
	v_lshrrev_b32_e32 v4, 4, v0
	v_and_b32_e32 v4, 12, v4
	s_waitcnt lgkmcnt(0)
	ds_write_b32 v4, v2 offset:80
.LBB938_286:
	s_or_b64 exec, exec, s[6:7]
	v_cmp_gt_u32_e32 vcc, 64, v0
	s_mov_b64 s[6:7], 0
	s_mov_b64 s[8:9], 0
	s_waitcnt lgkmcnt(0)
	s_barrier
                                        ; implicit-def: $vgpr4
	s_and_saveexec_b64 s[12:13], vcc
	s_xor_b64 s[12:13], exec, s[12:13]
	s_cbranch_execz .LBB938_288
; %bb.287:
	v_and_b32_e32 v4, 3, v3
	v_lshlrev_b32_e32 v5, 2, v4
	ds_read_b32 v5, v5 offset:80
	v_cmp_ne_u32_e32 vcc, 3, v4
	v_or_b32_e32 v1, 8, v1
	s_mov_b64 s[8:9], exec
	v_addc_co_u32_e32 v3, vcc, 0, v3, vcc
	v_lshlrev_b32_e32 v3, 2, v3
	s_waitcnt lgkmcnt(0)
	ds_bpermute_b32 v3, v3, v5
	s_waitcnt lgkmcnt(0)
	v_add_u32_e32 v4, v3, v5
	v_ashrrev_i32_e32 v5, 31, v4
	v_lshl_add_u64 v[4:5], v[4:5], 2, s[66:67]
	global_load_dword v3, v[4:5], off
	s_waitcnt vmcnt(0)
	ds_bpermute_b32 v1, v1, v3
	s_waitcnt lgkmcnt(0)
	v_add_u32_e32 v4, v1, v3
.LBB938_288:
	s_or_b64 exec, exec, s[12:13]
	s_branch .LBB938_301
.LBB938_289:
                                        ; implicit-def: $vgpr2
	s_cbranch_execnz .LBB938_381
	s_branch .LBB938_389
.LBB938_290:
                                        ; implicit-def: $vgpr2
	s_cbranch_execz .LBB938_292
	s_branch .LBB938_339
.LBB938_291:
                                        ; implicit-def: $vgpr2
.LBB938_292:
	s_branch .LBB938_389
.LBB938_293:
	v_lshlrev_b32_e32 v1, 2, v1
	global_load_dword v9, v1, s[18:19]
	s_or_b64 exec, exec, s[20:21]
	s_and_saveexec_b64 s[18:19], vcc
	s_cbranch_execz .LBB938_247
.LBB938_294:
	s_waitcnt vmcnt(0)
	v_add_u32_e32 v2, v3, v2
	v_ashrrev_i32_e32 v3, 31, v2
	v_lshl_add_u64 v[2:3], v[2:3], 2, s[66:67]
	global_load_dword v2, v[2:3], off
	s_or_b64 exec, exec, s[18:19]
	s_and_saveexec_b64 s[18:19], s[4:5]
	s_cbranch_execz .LBB938_248
.LBB938_295:
	s_waitcnt vmcnt(0)
	v_add_u32_e32 v2, v2, v4
	v_ashrrev_i32_e32 v3, 31, v2
	v_lshl_add_u64 v[2:3], v[2:3], 2, s[66:67]
	global_load_dword v2, v[2:3], off
	s_or_b64 exec, exec, s[18:19]
	s_and_saveexec_b64 s[4:5], s[6:7]
	s_cbranch_execz .LBB938_249
.LBB938_296:
	s_waitcnt vmcnt(0)
	v_add_u32_e32 v2, v2, v5
	v_ashrrev_i32_e32 v3, 31, v2
	v_lshl_add_u64 v[2:3], v[2:3], 2, s[66:67]
	global_load_dword v2, v[2:3], off
	s_or_b64 exec, exec, s[4:5]
	s_and_saveexec_b64 s[4:5], s[8:9]
	s_cbranch_execz .LBB938_250
.LBB938_297:
	s_waitcnt vmcnt(0)
	v_add_u32_e32 v2, v2, v6
	v_ashrrev_i32_e32 v3, 31, v2
	v_lshl_add_u64 v[2:3], v[2:3], 2, s[66:67]
	global_load_dword v2, v[2:3], off
	s_or_b64 exec, exec, s[4:5]
	s_and_saveexec_b64 s[4:5], s[10:11]
	s_cbranch_execz .LBB938_251
.LBB938_298:
	s_waitcnt vmcnt(0)
	v_add_u32_e32 v2, v2, v7
	v_ashrrev_i32_e32 v3, 31, v2
	v_lshl_add_u64 v[2:3], v[2:3], 2, s[66:67]
	global_load_dword v2, v[2:3], off
	s_or_b64 exec, exec, s[4:5]
	s_and_saveexec_b64 s[4:5], s[12:13]
	s_cbranch_execz .LBB938_252
.LBB938_299:
	s_waitcnt vmcnt(0)
	v_add_u32_e32 v2, v2, v8
	v_ashrrev_i32_e32 v3, 31, v2
	v_lshl_add_u64 v[2:3], v[2:3], 2, s[66:67]
	global_load_dword v2, v[2:3], off
	s_or_b64 exec, exec, s[4:5]
	s_and_saveexec_b64 s[4:5], s[14:15]
	s_cbranch_execnz .LBB938_253
	s_branch .LBB938_254
.LBB938_300:
	s_mov_b64 s[6:7], -1
	s_mov_b64 s[8:9], 0
                                        ; implicit-def: $vgpr4
                                        ; implicit-def: $vgpr2
.LBB938_301:
	s_and_b64 vcc, exec, s[6:7]
	s_cbranch_vccz .LBB938_334
; %bb.302:
	s_sub_i32 s14, s70, s4
	s_waitcnt vmcnt(0)
	v_mov_b32_e32 v2, 0
	v_cmp_gt_u32_e32 vcc, s14, v0
	v_mov_b32_e32 v3, v2
	v_mov_b32_e32 v4, v2
	;; [unrolled: 1-line block ×3, first 2 shown]
	s_and_saveexec_b64 s[4:5], vcc
	s_cbranch_execz .LBB938_304
; %bb.303:
	s_waitcnt lgkmcnt(0)
	v_lshlrev_b32_e32 v1, 2, v0
	global_load_dword v4, v1, s[10:11]
	v_mov_b32_e32 v5, v2
	v_mov_b32_e32 v6, v2
	;; [unrolled: 1-line block ×3, first 2 shown]
	s_waitcnt vmcnt(0)
	v_mov_b64_e32 v[2:3], v[4:5]
	v_mov_b64_e32 v[4:5], v[6:7]
.LBB938_304:
	s_or_b64 exec, exec, s[4:5]
	s_waitcnt lgkmcnt(0)
	v_or_b32_e32 v1, 0x100, v0
	v_cmp_gt_u32_e32 vcc, s14, v1
	s_and_saveexec_b64 s[4:5], vcc
	s_cbranch_execz .LBB938_306
; %bb.305:
	v_lshlrev_b32_e32 v1, 2, v0
	global_load_dword v3, v1, s[10:11] offset:1024
.LBB938_306:
	s_or_b64 exec, exec, s[4:5]
	v_or_b32_e32 v1, 0x200, v0
	v_cmp_gt_u32_e64 s[4:5], s14, v1
	s_and_saveexec_b64 s[6:7], s[4:5]
	s_cbranch_execz .LBB938_308
; %bb.307:
	v_lshlrev_b32_e32 v1, 2, v0
	global_load_dword v4, v1, s[10:11] offset:2048
.LBB938_308:
	s_or_b64 exec, exec, s[6:7]
	v_or_b32_e32 v1, 0x300, v0
	v_cmp_gt_u32_e64 s[6:7], s14, v1
	s_and_saveexec_b64 s[12:13], s[6:7]
	s_cbranch_execnz .LBB938_469
; %bb.309:
	s_or_b64 exec, exec, s[12:13]
	s_and_saveexec_b64 s[10:11], vcc
	s_cbranch_execnz .LBB938_470
.LBB938_310:
	s_or_b64 exec, exec, s[10:11]
	s_and_saveexec_b64 s[10:11], s[4:5]
	s_cbranch_execnz .LBB938_471
.LBB938_311:
	s_or_b64 exec, exec, s[10:11]
	s_and_saveexec_b64 s[4:5], s[6:7]
	s_cbranch_execz .LBB938_313
.LBB938_312:
	s_waitcnt vmcnt(0)
	v_add_u32_e32 v2, v2, v5
	v_ashrrev_i32_e32 v3, 31, v2
	v_lshl_add_u64 v[2:3], v[2:3], 2, s[66:67]
	global_load_dword v2, v[2:3], off
.LBB938_313:
	s_or_b64 exec, exec, s[4:5]
	v_mbcnt_lo_u32_b32 v1, -1, 0
	v_mbcnt_hi_u32_b32 v1, -1, v1
	s_waitcnt vmcnt(0)
	v_and_b32_e32 v3, 63, v1
	v_cmp_ne_u32_e32 vcc, 63, v3
	s_min_u32 s6, s14, 0x100
	v_add_u32_e32 v6, 1, v3
	v_addc_co_u32_e32 v4, vcc, 0, v1, vcc
	v_lshlrev_b32_e32 v4, 2, v4
	ds_bpermute_b32 v5, v4, v2
	v_and_b32_e32 v4, 0xc0, v0
	v_sub_u32_e64 v4, s6, v4 clamp
	v_cmp_lt_u32_e32 vcc, v6, v4
	s_and_saveexec_b64 s[4:5], vcc
	s_xor_b64 s[4:5], exec, s[4:5]
	s_cbranch_execz .LBB938_315
; %bb.314:
	s_waitcnt lgkmcnt(0)
	v_add_u32_e32 v6, v5, v2
	v_ashrrev_i32_e32 v7, 31, v6
	v_lshl_add_u64 v[6:7], v[6:7], 2, s[66:67]
	global_load_dword v2, v[6:7], off
.LBB938_315:
	s_or_b64 exec, exec, s[4:5]
	v_cmp_gt_u32_e32 vcc, 62, v3
	v_add_u32_e32 v6, 2, v3
	s_waitcnt lgkmcnt(0)
	v_cndmask_b32_e64 v5, 0, 2, vcc
	v_add_lshl_u32 v5, v5, v1, 2
	s_waitcnt vmcnt(0)
	ds_bpermute_b32 v5, v5, v2
	v_cmp_lt_u32_e32 vcc, v6, v4
	s_and_saveexec_b64 s[4:5], vcc
	s_cbranch_execz .LBB938_317
; %bb.316:
	s_waitcnt lgkmcnt(0)
	v_add_u32_e32 v6, v5, v2
	v_ashrrev_i32_e32 v7, 31, v6
	v_lshl_add_u64 v[6:7], v[6:7], 2, s[66:67]
	global_load_dword v2, v[6:7], off
.LBB938_317:
	s_or_b64 exec, exec, s[4:5]
	v_cmp_gt_u32_e32 vcc, 60, v3
	v_add_u32_e32 v6, 4, v3
	s_waitcnt lgkmcnt(0)
	v_cndmask_b32_e64 v5, 0, 4, vcc
	v_add_lshl_u32 v5, v5, v1, 2
	s_waitcnt vmcnt(0)
	ds_bpermute_b32 v5, v5, v2
	v_cmp_lt_u32_e32 vcc, v6, v4
	s_and_saveexec_b64 s[4:5], vcc
	;; [unrolled: 18-line block ×4, first 2 shown]
	s_cbranch_execz .LBB938_323
; %bb.322:
	s_waitcnt lgkmcnt(0)
	v_add_u32_e32 v6, v5, v2
	v_ashrrev_i32_e32 v7, 31, v6
	v_lshl_add_u64 v[6:7], v[6:7], 2, s[66:67]
	global_load_dword v2, v[6:7], off
.LBB938_323:
	s_or_b64 exec, exec, s[4:5]
	s_waitcnt lgkmcnt(0)
	v_lshlrev_b32_e32 v5, 2, v1
	v_or_b32_e32 v6, 0x80, v5
	s_waitcnt vmcnt(0)
	ds_bpermute_b32 v6, v6, v2
	v_add_u32_e32 v3, 32, v3
	v_cmp_lt_u32_e32 vcc, v3, v4
	s_and_saveexec_b64 s[4:5], vcc
	s_cbranch_execz .LBB938_325
; %bb.324:
	s_waitcnt lgkmcnt(0)
	v_add_u32_e32 v2, v6, v2
	v_ashrrev_i32_e32 v3, 31, v2
	v_lshl_add_u64 v[2:3], v[2:3], 2, s[66:67]
	global_load_dword v2, v[2:3], off
.LBB938_325:
	s_or_b64 exec, exec, s[4:5]
	v_cmp_eq_u32_e32 vcc, 0, v1
	s_and_saveexec_b64 s[4:5], vcc
	s_cbranch_execz .LBB938_327
; %bb.326:
	v_lshrrev_b32_e32 v3, 4, v0
	v_and_b32_e32 v3, 12, v3
	s_waitcnt vmcnt(0)
	ds_write_b32 v3, v2
.LBB938_327:
	s_or_b64 exec, exec, s[4:5]
	v_cmp_gt_u32_e32 vcc, 4, v0
	s_waitcnt lgkmcnt(0)
	s_barrier
                                        ; implicit-def: $vgpr4
	s_and_saveexec_b64 s[4:5], vcc
	s_cbranch_execz .LBB938_333
; %bb.328:
	s_waitcnt vmcnt(0)
	ds_read_b32 v2, v5
	v_and_b32_e32 v3, 3, v1
	v_cmp_ne_u32_e32 vcc, 3, v3
	s_add_i32 s6, s6, 63
	s_lshr_b32 s10, s6, 6
	v_addc_co_u32_e32 v1, vcc, 0, v1, vcc
	v_lshlrev_b32_e32 v1, 2, v1
	s_waitcnt lgkmcnt(0)
	ds_bpermute_b32 v1, v1, v2
	v_add_u32_e32 v4, 1, v3
	v_cmp_gt_u32_e32 vcc, s10, v4
	s_and_saveexec_b64 s[6:7], vcc
	s_cbranch_execz .LBB938_330
; %bb.329:
	s_waitcnt lgkmcnt(0)
	v_add_u32_e32 v6, v1, v2
	v_ashrrev_i32_e32 v7, 31, v6
	v_lshl_add_u64 v[6:7], v[6:7], 2, s[66:67]
	global_load_dword v2, v[6:7], off
.LBB938_330:
	s_or_b64 exec, exec, s[6:7]
	s_waitcnt lgkmcnt(0)
	v_or_b32_e32 v1, 8, v5
	s_waitcnt vmcnt(0)
	ds_bpermute_b32 v1, v1, v2
	v_add_u32_e32 v3, 2, v3
	v_cmp_gt_u32_e32 vcc, s10, v3
	s_mov_b64 s[6:7], s[8:9]
                                        ; implicit-def: $vgpr4
	s_and_saveexec_b64 s[10:11], vcc
	s_cbranch_execz .LBB938_332
; %bb.331:
	s_waitcnt lgkmcnt(0)
	v_add_u32_e32 v4, v1, v2
	s_or_b64 s[6:7], s[8:9], exec
.LBB938_332:
	s_or_b64 exec, exec, s[10:11]
	s_andn2_b64 s[8:9], s[8:9], exec
	s_and_b64 s[6:7], s[6:7], exec
	s_or_b64 s[8:9], s[8:9], s[6:7]
.LBB938_333:
	s_or_b64 exec, exec, s[4:5]
.LBB938_334:
	s_and_saveexec_b64 s[4:5], s[8:9]
	s_cbranch_execz .LBB938_336
; %bb.335:
	v_ashrrev_i32_e32 v5, 31, v4
	s_waitcnt vmcnt(0)
	v_lshl_add_u64 v[2:3], v[4:5], 2, s[66:67]
	global_load_dword v2, v[2:3], off
.LBB938_336:
	s_or_b64 exec, exec, s[4:5]
	v_cmp_eq_u32_e32 vcc, 0, v0
	s_and_saveexec_b64 s[4:5], vcc
	s_xor_b64 s[4:5], exec, s[4:5]
	s_cbranch_execz .LBB938_338
; %bb.337:
	s_cmp_eq_u64 s[70:71], 0
	s_cselect_b64 s[6:7], -1, 0
	s_cmp_lg_u64 s[70:71], 0
	s_cselect_b64 s[8:9], -1, 0
	s_andn2_b64 s[10:11], s[34:35], exec
	s_and_b64 s[6:7], s[6:7], exec
	s_or_b64 s[34:35], s[10:11], s[6:7]
	s_andn2_b64 s[6:7], s[36:37], exec
	s_and_b64 s[8:9], s[8:9], exec
	s_or_b64 s[36:37], s[6:7], s[8:9]
.LBB938_338:
	s_or_b64 exec, exec, s[4:5]
	s_branch .LBB938_292
.LBB938_339:
	s_cmp_eq_u32 s80, 2
	s_cbranch_scc0 .LBB938_346
; %bb.340:
	s_mov_b32 s3, 0
	s_lshl_b32 s8, s2, 9
	s_mov_b32 s9, s3
	s_lshr_b64 s[4:5], s[70:71], 9
	s_lshl_b64 s[6:7], s[8:9], 2
	s_add_u32 s6, s68, s6
	s_addc_u32 s7, s69, s7
	s_cmp_lg_u64 s[4:5], s[2:3]
	s_cbranch_scc0 .LBB938_347
; %bb.341:
	s_waitcnt lgkmcnt(0)
	v_lshlrev_b32_e32 v1, 2, v0
	global_load_dword v2, v1, s[6:7]
	global_load_dword v3, v1, s[6:7] offset:1024
	s_waitcnt vmcnt(0)
	v_add_u32_e32 v2, v3, v2
	v_ashrrev_i32_e32 v3, 31, v2
	v_lshl_add_u64 v[2:3], v[2:3], 2, s[66:67]
	global_load_dword v1, v[2:3], off
	s_waitcnt vmcnt(0)
	s_nop 0
	v_add_u32_dpp v2, v1, v1 quad_perm:[1,0,3,2] row_mask:0xf bank_mask:0xf bound_ctrl:1
	v_ashrrev_i32_e32 v3, 31, v2
	v_lshl_add_u64 v[2:3], v[2:3], 2, s[66:67]
	global_load_dword v1, v[2:3], off
	s_waitcnt vmcnt(0)
	s_nop 0
	v_add_u32_dpp v2, v1, v1 quad_perm:[2,3,0,1] row_mask:0xf bank_mask:0xf bound_ctrl:1
	v_ashrrev_i32_e32 v3, 31, v2
	v_lshl_add_u64 v[2:3], v[2:3], 2, s[66:67]
	global_load_dword v1, v[2:3], off
	s_waitcnt vmcnt(0)
	s_nop 0
	v_add_u32_dpp v2, v1, v1 row_ror:4 row_mask:0xf bank_mask:0xf bound_ctrl:1
	v_ashrrev_i32_e32 v3, 31, v2
	v_lshl_add_u64 v[2:3], v[2:3], 2, s[66:67]
	global_load_dword v1, v[2:3], off
	s_waitcnt vmcnt(0)
	s_nop 0
	v_add_u32_dpp v2, v1, v1 row_ror:8 row_mask:0xf bank_mask:0xf bound_ctrl:1
	v_ashrrev_i32_e32 v3, 31, v2
	v_lshl_add_u64 v[2:3], v[2:3], 2, s[66:67]
	global_load_dword v1, v[2:3], off
	s_waitcnt vmcnt(0)
	s_nop 0
	v_add_u32_dpp v2, v1, v1 row_bcast:15 row_mask:0xf bank_mask:0xf bound_ctrl:1
	v_ashrrev_i32_e32 v3, 31, v2
	v_lshl_add_u64 v[2:3], v[2:3], 2, s[66:67]
	global_load_dword v1, v[2:3], off
	s_waitcnt vmcnt(0)
	s_nop 0
	v_add_u32_dpp v2, v1, v1 row_bcast:31 row_mask:0xf bank_mask:0xf bound_ctrl:1
	v_ashrrev_i32_e32 v3, 31, v2
	v_lshl_add_u64 v[2:3], v[2:3], 2, s[66:67]
	global_load_dword v2, v[2:3], off
	v_mbcnt_lo_u32_b32 v1, -1, 0
	v_mbcnt_hi_u32_b32 v3, -1, v1
	v_lshlrev_b32_e32 v1, 2, v3
	v_or_b32_e32 v4, 0xfc, v1
	v_cmp_eq_u32_e32 vcc, 0, v3
	s_waitcnt vmcnt(0)
	ds_bpermute_b32 v2, v4, v2
	s_and_saveexec_b64 s[4:5], vcc
	s_cbranch_execz .LBB938_343
; %bb.342:
	v_lshrrev_b32_e32 v4, 4, v0
	v_and_b32_e32 v4, 12, v4
	s_waitcnt lgkmcnt(0)
	ds_write_b32 v4, v2 offset:48
.LBB938_343:
	s_or_b64 exec, exec, s[4:5]
	v_cmp_gt_u32_e32 vcc, 64, v0
	s_mov_b64 s[10:11], 0
	s_mov_b64 s[4:5], 0
	s_waitcnt lgkmcnt(0)
	s_barrier
                                        ; implicit-def: $vgpr4
	s_and_saveexec_b64 s[12:13], vcc
	s_xor_b64 s[12:13], exec, s[12:13]
	s_cbranch_execz .LBB938_345
; %bb.344:
	v_and_b32_e32 v4, 3, v3
	v_lshlrev_b32_e32 v5, 2, v4
	ds_read_b32 v5, v5 offset:48
	v_cmp_ne_u32_e32 vcc, 3, v4
	v_or_b32_e32 v1, 8, v1
	s_mov_b64 s[4:5], exec
	v_addc_co_u32_e32 v3, vcc, 0, v3, vcc
	v_lshlrev_b32_e32 v3, 2, v3
	s_waitcnt lgkmcnt(0)
	ds_bpermute_b32 v3, v3, v5
	s_waitcnt lgkmcnt(0)
	v_add_u32_e32 v4, v3, v5
	v_ashrrev_i32_e32 v5, 31, v4
	v_lshl_add_u64 v[4:5], v[4:5], 2, s[66:67]
	global_load_dword v3, v[4:5], off
	s_waitcnt vmcnt(0)
	ds_bpermute_b32 v1, v1, v3
	s_waitcnt lgkmcnt(0)
	v_add_u32_e32 v4, v1, v3
.LBB938_345:
	s_or_b64 exec, exec, s[12:13]
	s_branch .LBB938_348
.LBB938_346:
                                        ; implicit-def: $vgpr2
	s_branch .LBB938_389
.LBB938_347:
	s_mov_b64 s[10:11], -1
	s_mov_b64 s[4:5], 0
                                        ; implicit-def: $vgpr4
                                        ; implicit-def: $vgpr2
.LBB938_348:
	s_and_b64 vcc, exec, s[10:11]
	s_cbranch_vccz .LBB938_376
; %bb.349:
	s_sub_i32 s10, s70, s8
	s_waitcnt vmcnt(0)
	v_mov_b32_e32 v2, 0
	v_cmp_gt_u32_e32 vcc, s10, v0
	v_mov_b32_e32 v3, v2
	s_and_saveexec_b64 s[8:9], vcc
	s_cbranch_execz .LBB938_351
; %bb.350:
	s_waitcnt lgkmcnt(0)
	v_lshlrev_b32_e32 v1, 2, v0
	global_load_dword v4, v1, s[6:7]
	v_mov_b32_e32 v5, v2
	s_waitcnt vmcnt(0)
	v_mov_b64_e32 v[2:3], v[4:5]
.LBB938_351:
	s_or_b64 exec, exec, s[8:9]
	s_waitcnt lgkmcnt(0)
	v_or_b32_e32 v1, 0x100, v0
	v_cmp_gt_u32_e32 vcc, s10, v1
	s_and_saveexec_b64 s[8:9], vcc
	s_cbranch_execz .LBB938_353
; %bb.352:
	v_lshlrev_b32_e32 v1, 2, v0
	global_load_dword v3, v1, s[6:7] offset:1024
.LBB938_353:
	s_or_b64 exec, exec, s[8:9]
	s_and_saveexec_b64 s[6:7], vcc
	s_cbranch_execz .LBB938_355
; %bb.354:
	s_waitcnt vmcnt(0)
	v_add_u32_e32 v2, v2, v3
	v_ashrrev_i32_e32 v3, 31, v2
	v_lshl_add_u64 v[2:3], v[2:3], 2, s[66:67]
	global_load_dword v2, v[2:3], off
.LBB938_355:
	s_or_b64 exec, exec, s[6:7]
	v_mbcnt_lo_u32_b32 v1, -1, 0
	v_mbcnt_hi_u32_b32 v1, -1, v1
	s_waitcnt vmcnt(0)
	v_and_b32_e32 v3, 63, v1
	v_cmp_ne_u32_e32 vcc, 63, v3
	s_min_u32 s8, s10, 0x100
	v_add_u32_e32 v6, 1, v3
	v_addc_co_u32_e32 v4, vcc, 0, v1, vcc
	v_lshlrev_b32_e32 v4, 2, v4
	ds_bpermute_b32 v5, v4, v2
	v_and_b32_e32 v4, 0xc0, v0
	v_sub_u32_e64 v4, s8, v4 clamp
	v_cmp_lt_u32_e32 vcc, v6, v4
	s_and_saveexec_b64 s[6:7], vcc
	s_xor_b64 s[6:7], exec, s[6:7]
	s_cbranch_execz .LBB938_357
; %bb.356:
	s_waitcnt lgkmcnt(0)
	v_add_u32_e32 v6, v5, v2
	v_ashrrev_i32_e32 v7, 31, v6
	v_lshl_add_u64 v[6:7], v[6:7], 2, s[66:67]
	global_load_dword v2, v[6:7], off
.LBB938_357:
	s_or_b64 exec, exec, s[6:7]
	v_cmp_gt_u32_e32 vcc, 62, v3
	v_add_u32_e32 v6, 2, v3
	s_waitcnt lgkmcnt(0)
	v_cndmask_b32_e64 v5, 0, 2, vcc
	v_add_lshl_u32 v5, v5, v1, 2
	s_waitcnt vmcnt(0)
	ds_bpermute_b32 v5, v5, v2
	v_cmp_lt_u32_e32 vcc, v6, v4
	s_and_saveexec_b64 s[6:7], vcc
	s_cbranch_execz .LBB938_359
; %bb.358:
	s_waitcnt lgkmcnt(0)
	v_add_u32_e32 v6, v5, v2
	v_ashrrev_i32_e32 v7, 31, v6
	v_lshl_add_u64 v[6:7], v[6:7], 2, s[66:67]
	global_load_dword v2, v[6:7], off
.LBB938_359:
	s_or_b64 exec, exec, s[6:7]
	v_cmp_gt_u32_e32 vcc, 60, v3
	v_add_u32_e32 v6, 4, v3
	s_waitcnt lgkmcnt(0)
	v_cndmask_b32_e64 v5, 0, 4, vcc
	v_add_lshl_u32 v5, v5, v1, 2
	s_waitcnt vmcnt(0)
	ds_bpermute_b32 v5, v5, v2
	v_cmp_lt_u32_e32 vcc, v6, v4
	s_and_saveexec_b64 s[6:7], vcc
	;; [unrolled: 18-line block ×4, first 2 shown]
	s_cbranch_execz .LBB938_365
; %bb.364:
	s_waitcnt lgkmcnt(0)
	v_add_u32_e32 v6, v5, v2
	v_ashrrev_i32_e32 v7, 31, v6
	v_lshl_add_u64 v[6:7], v[6:7], 2, s[66:67]
	global_load_dword v2, v[6:7], off
.LBB938_365:
	s_or_b64 exec, exec, s[6:7]
	s_waitcnt lgkmcnt(0)
	v_lshlrev_b32_e32 v5, 2, v1
	v_or_b32_e32 v6, 0x80, v5
	s_waitcnt vmcnt(0)
	ds_bpermute_b32 v6, v6, v2
	v_add_u32_e32 v3, 32, v3
	v_cmp_lt_u32_e32 vcc, v3, v4
	s_and_saveexec_b64 s[6:7], vcc
	s_cbranch_execz .LBB938_367
; %bb.366:
	s_waitcnt lgkmcnt(0)
	v_add_u32_e32 v2, v6, v2
	v_ashrrev_i32_e32 v3, 31, v2
	v_lshl_add_u64 v[2:3], v[2:3], 2, s[66:67]
	global_load_dword v2, v[2:3], off
.LBB938_367:
	s_or_b64 exec, exec, s[6:7]
	v_cmp_eq_u32_e32 vcc, 0, v1
	s_and_saveexec_b64 s[6:7], vcc
	s_cbranch_execz .LBB938_369
; %bb.368:
	v_lshrrev_b32_e32 v3, 4, v0
	v_and_b32_e32 v3, 12, v3
	s_waitcnt vmcnt(0)
	ds_write_b32 v3, v2
.LBB938_369:
	s_or_b64 exec, exec, s[6:7]
	v_cmp_gt_u32_e32 vcc, 4, v0
	s_waitcnt lgkmcnt(0)
	s_barrier
                                        ; implicit-def: $vgpr4
	s_and_saveexec_b64 s[6:7], vcc
	s_cbranch_execz .LBB938_375
; %bb.370:
	s_waitcnt vmcnt(0)
	ds_read_b32 v2, v5
	v_and_b32_e32 v3, 3, v1
	v_cmp_ne_u32_e32 vcc, 3, v3
	s_add_i32 s8, s8, 63
	s_lshr_b32 s10, s8, 6
	v_addc_co_u32_e32 v1, vcc, 0, v1, vcc
	v_lshlrev_b32_e32 v1, 2, v1
	s_waitcnt lgkmcnt(0)
	ds_bpermute_b32 v1, v1, v2
	v_add_u32_e32 v4, 1, v3
	v_cmp_gt_u32_e32 vcc, s10, v4
	s_and_saveexec_b64 s[8:9], vcc
	s_cbranch_execz .LBB938_372
; %bb.371:
	s_waitcnt lgkmcnt(0)
	v_add_u32_e32 v6, v1, v2
	v_ashrrev_i32_e32 v7, 31, v6
	v_lshl_add_u64 v[6:7], v[6:7], 2, s[66:67]
	global_load_dword v2, v[6:7], off
.LBB938_372:
	s_or_b64 exec, exec, s[8:9]
	s_waitcnt lgkmcnt(0)
	v_or_b32_e32 v1, 8, v5
	s_waitcnt vmcnt(0)
	ds_bpermute_b32 v1, v1, v2
	v_add_u32_e32 v3, 2, v3
	v_cmp_gt_u32_e32 vcc, s10, v3
	s_mov_b64 s[8:9], s[4:5]
                                        ; implicit-def: $vgpr4
	s_and_saveexec_b64 s[10:11], vcc
	s_cbranch_execz .LBB938_374
; %bb.373:
	s_waitcnt lgkmcnt(0)
	v_add_u32_e32 v4, v1, v2
	s_or_b64 s[8:9], s[4:5], exec
.LBB938_374:
	s_or_b64 exec, exec, s[10:11]
	s_andn2_b64 s[4:5], s[4:5], exec
	s_and_b64 s[8:9], s[8:9], exec
	s_or_b64 s[4:5], s[4:5], s[8:9]
.LBB938_375:
	s_or_b64 exec, exec, s[6:7]
.LBB938_376:
	s_and_saveexec_b64 s[6:7], s[4:5]
	s_cbranch_execz .LBB938_378
; %bb.377:
	v_ashrrev_i32_e32 v5, 31, v4
	s_waitcnt vmcnt(0)
	v_lshl_add_u64 v[2:3], v[4:5], 2, s[66:67]
	global_load_dword v2, v[2:3], off
.LBB938_378:
	s_or_b64 exec, exec, s[6:7]
	v_cmp_eq_u32_e32 vcc, 0, v0
	s_and_saveexec_b64 s[4:5], vcc
	s_xor_b64 s[4:5], exec, s[4:5]
	s_cbranch_execz .LBB938_380
; %bb.379:
	s_cmp_eq_u64 s[70:71], 0
	s_cselect_b64 s[6:7], -1, 0
	s_cmp_lg_u64 s[70:71], 0
	s_cselect_b64 s[8:9], -1, 0
	s_andn2_b64 s[10:11], s[34:35], exec
	s_and_b64 s[6:7], s[6:7], exec
	s_or_b64 s[34:35], s[10:11], s[6:7]
	s_andn2_b64 s[6:7], s[36:37], exec
	s_and_b64 s[8:9], s[8:9], exec
	s_or_b64 s[36:37], s[6:7], s[8:9]
.LBB938_380:
	s_or_b64 exec, exec, s[4:5]
	s_branch .LBB938_389
.LBB938_381:
	s_cmp_eq_u32 s80, 1
	s_cbranch_scc0 .LBB938_388
; %bb.382:
	s_mov_b32 s7, 0
	s_lshl_b32 s6, s2, 8
	s_mov_b32 s3, s7
	s_lshr_b64 s[4:5], s[70:71], 8
	s_cmp_lg_u64 s[4:5], s[2:3]
	s_waitcnt lgkmcnt(0)
	v_mbcnt_lo_u32_b32 v1, -1, 0
	s_cbranch_scc0 .LBB938_392
; %bb.383:
	s_lshl_b64 s[4:5], s[6:7], 2
	s_add_u32 s4, s68, s4
	s_addc_u32 s5, s69, s5
	s_waitcnt vmcnt(0)
	v_lshlrev_b32_e32 v2, 2, v0
	global_load_dword v2, v2, s[4:5]
	v_mbcnt_hi_u32_b32 v5, -1, v1
	v_cmp_eq_u32_e32 vcc, 0, v5
	s_waitcnt vmcnt(0)
	v_add_u32_dpp v2, v2, v2 quad_perm:[1,0,3,2] row_mask:0xf bank_mask:0xf bound_ctrl:1
	v_ashrrev_i32_e32 v3, 31, v2
	v_lshl_add_u64 v[2:3], v[2:3], 2, s[66:67]
	global_load_dword v2, v[2:3], off
	s_waitcnt vmcnt(0)
	s_nop 0
	v_add_u32_dpp v2, v2, v2 quad_perm:[2,3,0,1] row_mask:0xf bank_mask:0xf bound_ctrl:1
	v_ashrrev_i32_e32 v3, 31, v2
	v_lshl_add_u64 v[2:3], v[2:3], 2, s[66:67]
	global_load_dword v2, v[2:3], off
	s_waitcnt vmcnt(0)
	s_nop 0
	v_add_u32_dpp v2, v2, v2 row_ror:4 row_mask:0xf bank_mask:0xf bound_ctrl:1
	v_ashrrev_i32_e32 v3, 31, v2
	v_lshl_add_u64 v[2:3], v[2:3], 2, s[66:67]
	global_load_dword v2, v[2:3], off
	s_waitcnt vmcnt(0)
	s_nop 0
	v_add_u32_dpp v2, v2, v2 row_ror:8 row_mask:0xf bank_mask:0xf bound_ctrl:1
	v_ashrrev_i32_e32 v3, 31, v2
	v_lshl_add_u64 v[2:3], v[2:3], 2, s[66:67]
	global_load_dword v2, v[2:3], off
	s_waitcnt vmcnt(0)
	s_nop 0
	v_add_u32_dpp v2, v2, v2 row_bcast:15 row_mask:0xf bank_mask:0xf bound_ctrl:1
	v_ashrrev_i32_e32 v3, 31, v2
	v_lshl_add_u64 v[2:3], v[2:3], 2, s[66:67]
	global_load_dword v2, v[2:3], off
	s_waitcnt vmcnt(0)
	s_nop 0
	v_add_u32_dpp v2, v2, v2 row_bcast:31 row_mask:0xf bank_mask:0xf bound_ctrl:1
	v_ashrrev_i32_e32 v3, 31, v2
	v_lshl_add_u64 v[2:3], v[2:3], 2, s[66:67]
	global_load_dword v2, v[2:3], off
	v_lshlrev_b32_e32 v3, 2, v5
	v_or_b32_e32 v4, 0xfc, v3
	s_waitcnt vmcnt(0)
	ds_bpermute_b32 v2, v4, v2
	s_and_saveexec_b64 s[4:5], vcc
	s_cbranch_execz .LBB938_385
; %bb.384:
	v_lshrrev_b32_e32 v4, 4, v0
	v_and_b32_e32 v4, 12, v4
	s_waitcnt lgkmcnt(0)
	ds_write_b32 v4, v2 offset:32
.LBB938_385:
	s_or_b64 exec, exec, s[4:5]
	v_cmp_gt_u32_e32 vcc, 64, v0
	s_mov_b64 s[8:9], 0
	s_mov_b64 s[4:5], 0
	s_waitcnt lgkmcnt(0)
	s_barrier
                                        ; implicit-def: $vgpr4
	s_and_saveexec_b64 s[10:11], vcc
	s_xor_b64 s[10:11], exec, s[10:11]
	s_cbranch_execz .LBB938_387
; %bb.386:
	v_and_b32_e32 v4, 3, v5
	v_lshlrev_b32_e32 v6, 2, v4
	ds_read_b32 v6, v6 offset:32
	v_cmp_ne_u32_e32 vcc, 3, v4
	v_or_b32_e32 v3, 8, v3
	s_mov_b64 s[4:5], exec
	v_addc_co_u32_e32 v4, vcc, 0, v5, vcc
	v_lshlrev_b32_e32 v4, 2, v4
	s_waitcnt lgkmcnt(0)
	ds_bpermute_b32 v4, v4, v6
	s_waitcnt lgkmcnt(0)
	v_add_u32_e32 v4, v4, v6
	v_ashrrev_i32_e32 v5, 31, v4
	v_lshl_add_u64 v[4:5], v[4:5], 2, s[66:67]
	global_load_dword v4, v[4:5], off
	s_waitcnt vmcnt(0)
	ds_bpermute_b32 v3, v3, v4
	s_waitcnt lgkmcnt(0)
	v_add_u32_e32 v4, v3, v4
.LBB938_387:
	s_or_b64 exec, exec, s[10:11]
	s_and_b64 vcc, exec, s[8:9]
	s_cbranch_vccnz .LBB938_393
	s_branch .LBB938_416
.LBB938_388:
                                        ; implicit-def: $sgpr2_sgpr3
                                        ; implicit-def: $vgpr2
.LBB938_389:
	v_mov_b32_e32 v0, s33
	s_and_saveexec_b64 s[4:5], s[36:37]
	s_cbranch_execnz .LBB938_421
.LBB938_390:
	s_or_b64 exec, exec, s[4:5]
	s_and_saveexec_b64 s[4:5], s[34:35]
	s_cbranch_execnz .LBB938_422
.LBB938_391:
	s_endpgm
.LBB938_392:
	s_mov_b64 s[4:5], 0
                                        ; implicit-def: $vgpr4
                                        ; implicit-def: $vgpr2
	s_cbranch_execz .LBB938_416
.LBB938_393:
	s_sub_i32 s10, s70, s6
	v_cmp_gt_u32_e32 vcc, s10, v0
                                        ; implicit-def: $vgpr2
	s_and_saveexec_b64 s[8:9], vcc
	s_cbranch_execz .LBB938_395
; %bb.394:
	s_lshl_b64 s[6:7], s[6:7], 2
	s_add_u32 s6, s68, s6
	s_addc_u32 s7, s69, s7
	s_waitcnt vmcnt(0)
	v_lshlrev_b32_e32 v2, 2, v0
	global_load_dword v2, v2, s[6:7]
.LBB938_395:
	s_or_b64 exec, exec, s[8:9]
	v_mbcnt_hi_u32_b32 v1, -1, v1
	v_and_b32_e32 v3, 63, v1
	v_cmp_ne_u32_e32 vcc, 63, v3
	s_min_u32 s8, s10, 0x100
	v_add_u32_e32 v6, 1, v3
	v_addc_co_u32_e32 v4, vcc, 0, v1, vcc
	v_lshlrev_b32_e32 v4, 2, v4
	s_waitcnt vmcnt(0)
	ds_bpermute_b32 v5, v4, v2
	v_and_b32_e32 v4, 0xc0, v0
	v_sub_u32_e64 v4, s8, v4 clamp
	v_cmp_lt_u32_e32 vcc, v6, v4
	s_and_saveexec_b64 s[6:7], vcc
	s_cbranch_execz .LBB938_397
; %bb.396:
	s_waitcnt lgkmcnt(0)
	v_add_u32_e32 v6, v5, v2
	v_ashrrev_i32_e32 v7, 31, v6
	v_lshl_add_u64 v[6:7], v[6:7], 2, s[66:67]
	global_load_dword v2, v[6:7], off
.LBB938_397:
	s_or_b64 exec, exec, s[6:7]
	v_cmp_gt_u32_e32 vcc, 62, v3
	v_add_u32_e32 v6, 2, v3
	s_waitcnt lgkmcnt(0)
	v_cndmask_b32_e64 v5, 0, 2, vcc
	v_add_lshl_u32 v5, v5, v1, 2
	s_waitcnt vmcnt(0)
	ds_bpermute_b32 v5, v5, v2
	v_cmp_lt_u32_e32 vcc, v6, v4
	s_and_saveexec_b64 s[6:7], vcc
	s_cbranch_execz .LBB938_399
; %bb.398:
	s_waitcnt lgkmcnt(0)
	v_add_u32_e32 v6, v5, v2
	v_ashrrev_i32_e32 v7, 31, v6
	v_lshl_add_u64 v[6:7], v[6:7], 2, s[66:67]
	global_load_dword v2, v[6:7], off
.LBB938_399:
	s_or_b64 exec, exec, s[6:7]
	v_cmp_gt_u32_e32 vcc, 60, v3
	v_add_u32_e32 v6, 4, v3
	s_waitcnt lgkmcnt(0)
	v_cndmask_b32_e64 v5, 0, 4, vcc
	v_add_lshl_u32 v5, v5, v1, 2
	s_waitcnt vmcnt(0)
	ds_bpermute_b32 v5, v5, v2
	;; [unrolled: 18-line block ×4, first 2 shown]
	v_cmp_lt_u32_e32 vcc, v6, v4
	s_and_saveexec_b64 s[6:7], vcc
	s_cbranch_execz .LBB938_405
; %bb.404:
	s_waitcnt lgkmcnt(0)
	v_add_u32_e32 v6, v5, v2
	v_ashrrev_i32_e32 v7, 31, v6
	v_lshl_add_u64 v[6:7], v[6:7], 2, s[66:67]
	global_load_dword v2, v[6:7], off
.LBB938_405:
	s_or_b64 exec, exec, s[6:7]
	s_waitcnt lgkmcnt(0)
	v_lshlrev_b32_e32 v5, 2, v1
	v_or_b32_e32 v6, 0x80, v5
	s_waitcnt vmcnt(0)
	ds_bpermute_b32 v6, v6, v2
	v_add_u32_e32 v3, 32, v3
	v_cmp_lt_u32_e32 vcc, v3, v4
	s_and_saveexec_b64 s[6:7], vcc
	s_cbranch_execz .LBB938_407
; %bb.406:
	s_waitcnt lgkmcnt(0)
	v_add_u32_e32 v2, v6, v2
	v_ashrrev_i32_e32 v3, 31, v2
	v_lshl_add_u64 v[2:3], v[2:3], 2, s[66:67]
	global_load_dword v2, v[2:3], off
.LBB938_407:
	s_or_b64 exec, exec, s[6:7]
	v_cmp_eq_u32_e32 vcc, 0, v1
	s_and_saveexec_b64 s[6:7], vcc
	s_cbranch_execz .LBB938_409
; %bb.408:
	v_lshrrev_b32_e32 v3, 4, v0
	v_and_b32_e32 v3, 12, v3
	s_waitcnt vmcnt(0)
	ds_write_b32 v3, v2
.LBB938_409:
	s_or_b64 exec, exec, s[6:7]
	v_cmp_gt_u32_e32 vcc, 4, v0
	s_waitcnt lgkmcnt(0)
	s_barrier
                                        ; implicit-def: $vgpr4
	s_and_saveexec_b64 s[6:7], vcc
	s_cbranch_execz .LBB938_415
; %bb.410:
	s_waitcnt vmcnt(0)
	ds_read_b32 v2, v5
	v_and_b32_e32 v3, 3, v1
	v_cmp_ne_u32_e32 vcc, 3, v3
	s_add_i32 s8, s8, 63
	s_lshr_b32 s10, s8, 6
	v_addc_co_u32_e32 v1, vcc, 0, v1, vcc
	v_lshlrev_b32_e32 v1, 2, v1
	s_waitcnt lgkmcnt(0)
	ds_bpermute_b32 v1, v1, v2
	v_add_u32_e32 v4, 1, v3
	v_cmp_gt_u32_e32 vcc, s10, v4
	s_and_saveexec_b64 s[8:9], vcc
	s_cbranch_execz .LBB938_412
; %bb.411:
	s_waitcnt lgkmcnt(0)
	v_add_u32_e32 v6, v1, v2
	v_ashrrev_i32_e32 v7, 31, v6
	v_lshl_add_u64 v[6:7], v[6:7], 2, s[66:67]
	global_load_dword v2, v[6:7], off
.LBB938_412:
	s_or_b64 exec, exec, s[8:9]
	s_waitcnt lgkmcnt(0)
	v_or_b32_e32 v1, 8, v5
	s_waitcnt vmcnt(0)
	ds_bpermute_b32 v1, v1, v2
	v_add_u32_e32 v3, 2, v3
	v_cmp_gt_u32_e32 vcc, s10, v3
	s_mov_b64 s[8:9], s[4:5]
                                        ; implicit-def: $vgpr4
	s_and_saveexec_b64 s[10:11], vcc
	s_cbranch_execz .LBB938_414
; %bb.413:
	s_waitcnt lgkmcnt(0)
	v_add_u32_e32 v4, v1, v2
	s_or_b64 s[8:9], s[4:5], exec
.LBB938_414:
	s_or_b64 exec, exec, s[10:11]
	s_andn2_b64 s[4:5], s[4:5], exec
	s_and_b64 s[8:9], s[8:9], exec
	s_or_b64 s[4:5], s[4:5], s[8:9]
.LBB938_415:
	s_or_b64 exec, exec, s[6:7]
.LBB938_416:
	s_and_saveexec_b64 s[6:7], s[4:5]
	s_cbranch_execz .LBB938_418
; %bb.417:
	v_ashrrev_i32_e32 v5, 31, v4
	s_waitcnt vmcnt(0)
	v_lshl_add_u64 v[2:3], v[4:5], 2, s[66:67]
	global_load_dword v2, v[2:3], off
.LBB938_418:
	s_or_b64 exec, exec, s[6:7]
	v_cmp_eq_u32_e32 vcc, 0, v0
	s_and_saveexec_b64 s[4:5], vcc
	s_cbranch_execz .LBB938_420
; %bb.419:
	s_cmp_eq_u64 s[70:71], 0
	s_cselect_b64 s[6:7], -1, 0
	s_cmp_lg_u64 s[70:71], 0
	s_cselect_b64 s[8:9], -1, 0
	s_andn2_b64 s[10:11], s[34:35], exec
	s_and_b64 s[6:7], s[6:7], exec
	s_or_b64 s[34:35], s[10:11], s[6:7]
	s_andn2_b64 s[6:7], s[36:37], exec
	s_and_b64 s[8:9], s[8:9], exec
	s_or_b64 s[36:37], s[6:7], s[8:9]
.LBB938_420:
	s_or_b64 exec, exec, s[4:5]
	v_mov_b32_e32 v0, s33
	s_and_saveexec_b64 s[4:5], s[36:37]
	s_cbranch_execz .LBB938_390
.LBB938_421:
	s_waitcnt vmcnt(0)
	v_add_u32_e32 v0, s33, v2
	s_waitcnt lgkmcnt(0)
	v_ashrrev_i32_e32 v1, 31, v0
	v_lshl_add_u64 v[0:1], v[0:1], 2, s[66:67]
	global_load_dword v0, v[0:1], off
	s_or_b64 s[34:35], s[34:35], exec
	s_or_b64 exec, exec, s[4:5]
	s_and_saveexec_b64 s[4:5], s[34:35]
	s_cbranch_execz .LBB938_391
.LBB938_422:
	s_load_dwordx2 s[0:1], s[0:1], 0x18
	s_lshl_b64 s[2:3], s[2:3], 2
	s_waitcnt lgkmcnt(0)
	v_mov_b32_e32 v1, 0
	s_add_u32 s0, s0, s2
	s_addc_u32 s1, s1, s3
	s_waitcnt vmcnt(0)
	global_store_dword v1, v0, s[0:1]
	s_endpgm
.LBB938_423:
	v_lshlrev_b32_e32 v1, 2, v1
	global_load_dword v33, v1, s[76:77]
	s_or_b64 exec, exec, s[78:79]
	s_and_saveexec_b64 s[76:77], vcc
	s_cbranch_execz .LBB938_88
.LBB938_424:
	s_waitcnt vmcnt(0)
	v_add_u32_e32 v2, v3, v2
	v_ashrrev_i32_e32 v3, 31, v2
	v_lshl_add_u64 v[2:3], v[2:3], 2, s[66:67]
	global_load_dword v2, v[2:3], off
	s_or_b64 exec, exec, s[76:77]
	s_and_saveexec_b64 s[76:77], s[4:5]
	s_cbranch_execz .LBB938_89
.LBB938_425:
	s_waitcnt vmcnt(0)
	v_add_u32_e32 v2, v2, v4
	v_ashrrev_i32_e32 v3, 31, v2
	v_lshl_add_u64 v[2:3], v[2:3], 2, s[66:67]
	global_load_dword v2, v[2:3], off
	s_or_b64 exec, exec, s[76:77]
	s_and_saveexec_b64 s[4:5], s[6:7]
	s_cbranch_execz .LBB938_90
.LBB938_426:
	s_waitcnt vmcnt(0)
	v_add_u32_e32 v2, v2, v5
	v_ashrrev_i32_e32 v3, 31, v2
	v_lshl_add_u64 v[2:3], v[2:3], 2, s[66:67]
	global_load_dword v2, v[2:3], off
	s_or_b64 exec, exec, s[4:5]
	s_and_saveexec_b64 s[4:5], s[8:9]
	s_cbranch_execz .LBB938_91
.LBB938_427:
	s_waitcnt vmcnt(0)
	v_add_u32_e32 v2, v2, v6
	v_ashrrev_i32_e32 v3, 31, v2
	v_lshl_add_u64 v[2:3], v[2:3], 2, s[66:67]
	global_load_dword v2, v[2:3], off
	s_or_b64 exec, exec, s[4:5]
	s_and_saveexec_b64 s[4:5], s[10:11]
	s_cbranch_execz .LBB938_92
.LBB938_428:
	s_waitcnt vmcnt(0)
	v_add_u32_e32 v2, v2, v7
	v_ashrrev_i32_e32 v3, 31, v2
	v_lshl_add_u64 v[2:3], v[2:3], 2, s[66:67]
	global_load_dword v2, v[2:3], off
	s_or_b64 exec, exec, s[4:5]
	s_and_saveexec_b64 s[4:5], s[12:13]
	s_cbranch_execz .LBB938_93
.LBB938_429:
	s_waitcnt vmcnt(0)
	v_add_u32_e32 v2, v2, v8
	v_ashrrev_i32_e32 v3, 31, v2
	v_lshl_add_u64 v[2:3], v[2:3], 2, s[66:67]
	global_load_dword v2, v[2:3], off
	s_or_b64 exec, exec, s[4:5]
	s_and_saveexec_b64 s[4:5], s[14:15]
	s_cbranch_execz .LBB938_94
.LBB938_430:
	s_waitcnt vmcnt(0)
	v_add_u32_e32 v2, v2, v9
	v_ashrrev_i32_e32 v3, 31, v2
	v_lshl_add_u64 v[2:3], v[2:3], 2, s[66:67]
	global_load_dword v2, v[2:3], off
	s_or_b64 exec, exec, s[4:5]
	s_and_saveexec_b64 s[4:5], s[16:17]
	s_cbranch_execz .LBB938_95
.LBB938_431:
	s_waitcnt vmcnt(0)
	v_add_u32_e32 v2, v2, v10
	v_ashrrev_i32_e32 v3, 31, v2
	v_lshl_add_u64 v[2:3], v[2:3], 2, s[66:67]
	global_load_dword v2, v[2:3], off
	s_or_b64 exec, exec, s[4:5]
	s_and_saveexec_b64 s[4:5], s[18:19]
	s_cbranch_execz .LBB938_96
.LBB938_432:
	s_waitcnt vmcnt(0)
	v_add_u32_e32 v2, v2, v11
	v_ashrrev_i32_e32 v3, 31, v2
	v_lshl_add_u64 v[2:3], v[2:3], 2, s[66:67]
	global_load_dword v2, v[2:3], off
	s_or_b64 exec, exec, s[4:5]
	s_and_saveexec_b64 s[4:5], s[20:21]
	s_cbranch_execz .LBB938_97
.LBB938_433:
	s_waitcnt vmcnt(0)
	v_add_u32_e32 v2, v2, v12
	v_ashrrev_i32_e32 v3, 31, v2
	v_lshl_add_u64 v[2:3], v[2:3], 2, s[66:67]
	global_load_dword v2, v[2:3], off
	s_or_b64 exec, exec, s[4:5]
	s_and_saveexec_b64 s[4:5], s[22:23]
	s_cbranch_execz .LBB938_98
.LBB938_434:
	s_waitcnt vmcnt(0)
	v_add_u32_e32 v2, v2, v13
	v_ashrrev_i32_e32 v3, 31, v2
	v_lshl_add_u64 v[2:3], v[2:3], 2, s[66:67]
	global_load_dword v2, v[2:3], off
	s_or_b64 exec, exec, s[4:5]
	s_and_saveexec_b64 s[4:5], s[24:25]
	s_cbranch_execz .LBB938_99
.LBB938_435:
	s_waitcnt vmcnt(0)
	v_add_u32_e32 v2, v2, v14
	v_ashrrev_i32_e32 v3, 31, v2
	v_lshl_add_u64 v[2:3], v[2:3], 2, s[66:67]
	global_load_dword v2, v[2:3], off
	s_or_b64 exec, exec, s[4:5]
	s_and_saveexec_b64 s[4:5], s[26:27]
	s_cbranch_execz .LBB938_100
.LBB938_436:
	s_waitcnt vmcnt(0)
	v_add_u32_e32 v2, v2, v15
	v_ashrrev_i32_e32 v3, 31, v2
	v_lshl_add_u64 v[2:3], v[2:3], 2, s[66:67]
	global_load_dword v2, v[2:3], off
	s_or_b64 exec, exec, s[4:5]
	s_and_saveexec_b64 s[4:5], s[28:29]
	s_cbranch_execz .LBB938_101
.LBB938_437:
	s_waitcnt vmcnt(0)
	v_add_u32_e32 v2, v2, v16
	v_ashrrev_i32_e32 v3, 31, v2
	v_lshl_add_u64 v[2:3], v[2:3], 2, s[66:67]
	global_load_dword v2, v[2:3], off
	s_or_b64 exec, exec, s[4:5]
	s_and_saveexec_b64 s[4:5], s[30:31]
	s_cbranch_execz .LBB938_102
.LBB938_438:
	s_waitcnt vmcnt(0)
	v_add_u32_e32 v2, v2, v17
	v_ashrrev_i32_e32 v3, 31, v2
	v_lshl_add_u64 v[2:3], v[2:3], 2, s[66:67]
	global_load_dword v2, v[2:3], off
	s_or_b64 exec, exec, s[4:5]
	s_and_saveexec_b64 s[4:5], s[34:35]
	s_cbranch_execz .LBB938_103
.LBB938_439:
	s_waitcnt vmcnt(0)
	v_add_u32_e32 v2, v2, v18
	v_ashrrev_i32_e32 v3, 31, v2
	v_lshl_add_u64 v[2:3], v[2:3], 2, s[66:67]
	global_load_dword v2, v[2:3], off
	s_or_b64 exec, exec, s[4:5]
	s_and_saveexec_b64 s[4:5], s[36:37]
	s_cbranch_execz .LBB938_104
.LBB938_440:
	s_waitcnt vmcnt(0)
	v_add_u32_e32 v2, v2, v19
	v_ashrrev_i32_e32 v3, 31, v2
	v_lshl_add_u64 v[2:3], v[2:3], 2, s[66:67]
	global_load_dword v2, v[2:3], off
	s_or_b64 exec, exec, s[4:5]
	s_and_saveexec_b64 s[4:5], s[38:39]
	s_cbranch_execz .LBB938_105
.LBB938_441:
	s_waitcnt vmcnt(0)
	v_add_u32_e32 v2, v2, v20
	v_ashrrev_i32_e32 v3, 31, v2
	v_lshl_add_u64 v[2:3], v[2:3], 2, s[66:67]
	global_load_dword v2, v[2:3], off
	s_or_b64 exec, exec, s[4:5]
	s_and_saveexec_b64 s[4:5], s[40:41]
	s_cbranch_execz .LBB938_106
.LBB938_442:
	s_waitcnt vmcnt(0)
	v_add_u32_e32 v2, v2, v21
	v_ashrrev_i32_e32 v3, 31, v2
	v_lshl_add_u64 v[2:3], v[2:3], 2, s[66:67]
	global_load_dword v2, v[2:3], off
	s_or_b64 exec, exec, s[4:5]
	s_and_saveexec_b64 s[4:5], s[42:43]
	s_cbranch_execz .LBB938_107
.LBB938_443:
	s_waitcnt vmcnt(0)
	v_add_u32_e32 v2, v2, v22
	v_ashrrev_i32_e32 v3, 31, v2
	v_lshl_add_u64 v[2:3], v[2:3], 2, s[66:67]
	global_load_dword v2, v[2:3], off
	s_or_b64 exec, exec, s[4:5]
	s_and_saveexec_b64 s[4:5], s[44:45]
	s_cbranch_execz .LBB938_108
.LBB938_444:
	s_waitcnt vmcnt(0)
	v_add_u32_e32 v2, v2, v23
	v_ashrrev_i32_e32 v3, 31, v2
	v_lshl_add_u64 v[2:3], v[2:3], 2, s[66:67]
	global_load_dword v2, v[2:3], off
	s_or_b64 exec, exec, s[4:5]
	s_and_saveexec_b64 s[4:5], s[46:47]
	s_cbranch_execz .LBB938_109
.LBB938_445:
	s_waitcnt vmcnt(0)
	v_add_u32_e32 v2, v2, v24
	v_ashrrev_i32_e32 v3, 31, v2
	v_lshl_add_u64 v[2:3], v[2:3], 2, s[66:67]
	global_load_dword v2, v[2:3], off
	s_or_b64 exec, exec, s[4:5]
	s_and_saveexec_b64 s[4:5], s[48:49]
	s_cbranch_execz .LBB938_110
.LBB938_446:
	s_waitcnt vmcnt(0)
	v_add_u32_e32 v2, v2, v25
	v_ashrrev_i32_e32 v3, 31, v2
	v_lshl_add_u64 v[2:3], v[2:3], 2, s[66:67]
	global_load_dword v2, v[2:3], off
	s_or_b64 exec, exec, s[4:5]
	s_and_saveexec_b64 s[4:5], s[50:51]
	s_cbranch_execz .LBB938_111
.LBB938_447:
	s_waitcnt vmcnt(0)
	v_add_u32_e32 v2, v2, v26
	v_ashrrev_i32_e32 v3, 31, v2
	v_lshl_add_u64 v[2:3], v[2:3], 2, s[66:67]
	global_load_dword v2, v[2:3], off
	s_or_b64 exec, exec, s[4:5]
	s_and_saveexec_b64 s[4:5], s[52:53]
	s_cbranch_execz .LBB938_112
.LBB938_448:
	s_waitcnt vmcnt(0)
	v_add_u32_e32 v2, v2, v27
	v_ashrrev_i32_e32 v3, 31, v2
	v_lshl_add_u64 v[2:3], v[2:3], 2, s[66:67]
	global_load_dword v2, v[2:3], off
	s_or_b64 exec, exec, s[4:5]
	s_and_saveexec_b64 s[4:5], s[54:55]
	s_cbranch_execz .LBB938_113
.LBB938_449:
	s_waitcnt vmcnt(0)
	v_add_u32_e32 v2, v2, v28
	v_ashrrev_i32_e32 v3, 31, v2
	v_lshl_add_u64 v[2:3], v[2:3], 2, s[66:67]
	global_load_dword v2, v[2:3], off
	s_or_b64 exec, exec, s[4:5]
	s_and_saveexec_b64 s[4:5], s[56:57]
	s_cbranch_execz .LBB938_114
.LBB938_450:
	s_waitcnt vmcnt(0)
	v_add_u32_e32 v2, v2, v29
	v_ashrrev_i32_e32 v3, 31, v2
	v_lshl_add_u64 v[2:3], v[2:3], 2, s[66:67]
	global_load_dword v2, v[2:3], off
	s_or_b64 exec, exec, s[4:5]
	s_and_saveexec_b64 s[4:5], s[58:59]
	s_cbranch_execz .LBB938_115
.LBB938_451:
	s_waitcnt vmcnt(0)
	v_add_u32_e32 v2, v2, v30
	v_ashrrev_i32_e32 v3, 31, v2
	v_lshl_add_u64 v[2:3], v[2:3], 2, s[66:67]
	global_load_dword v2, v[2:3], off
	s_or_b64 exec, exec, s[4:5]
	s_and_saveexec_b64 s[4:5], s[60:61]
	s_cbranch_execz .LBB938_116
.LBB938_452:
	s_waitcnt vmcnt(0)
	v_add_u32_e32 v2, v2, v31
	v_ashrrev_i32_e32 v3, 31, v2
	v_lshl_add_u64 v[2:3], v[2:3], 2, s[66:67]
	global_load_dword v2, v[2:3], off
	s_or_b64 exec, exec, s[4:5]
	s_and_saveexec_b64 s[4:5], s[62:63]
	s_cbranch_execz .LBB938_117
.LBB938_453:
	s_waitcnt vmcnt(0)
	v_add_u32_e32 v2, v2, v32
	v_ashrrev_i32_e32 v3, 31, v2
	v_lshl_add_u64 v[2:3], v[2:3], 2, s[66:67]
	global_load_dword v2, v[2:3], off
	s_or_b64 exec, exec, s[4:5]
	s_and_saveexec_b64 s[4:5], s[64:65]
	s_cbranch_execnz .LBB938_118
	s_branch .LBB938_119
.LBB938_454:
	v_lshlrev_b32_e32 v1, 2, v1
	global_load_dword v17, v1, s[40:41]
	s_or_b64 exec, exec, s[42:43]
	s_and_saveexec_b64 s[40:41], vcc
	s_cbranch_execz .LBB938_180
.LBB938_455:
	s_waitcnt vmcnt(0)
	v_add_u32_e32 v2, v3, v2
	v_ashrrev_i32_e32 v3, 31, v2
	v_lshl_add_u64 v[2:3], v[2:3], 2, s[66:67]
	global_load_dword v2, v[2:3], off
	s_or_b64 exec, exec, s[40:41]
	s_and_saveexec_b64 s[40:41], s[4:5]
	s_cbranch_execz .LBB938_181
.LBB938_456:
	s_waitcnt vmcnt(0)
	v_add_u32_e32 v2, v2, v4
	v_ashrrev_i32_e32 v3, 31, v2
	v_lshl_add_u64 v[2:3], v[2:3], 2, s[66:67]
	global_load_dword v2, v[2:3], off
	s_or_b64 exec, exec, s[40:41]
	s_and_saveexec_b64 s[4:5], s[6:7]
	s_cbranch_execz .LBB938_182
.LBB938_457:
	s_waitcnt vmcnt(0)
	v_add_u32_e32 v2, v2, v5
	v_ashrrev_i32_e32 v3, 31, v2
	v_lshl_add_u64 v[2:3], v[2:3], 2, s[66:67]
	global_load_dword v2, v[2:3], off
	s_or_b64 exec, exec, s[4:5]
	s_and_saveexec_b64 s[4:5], s[8:9]
	s_cbranch_execz .LBB938_183
.LBB938_458:
	s_waitcnt vmcnt(0)
	v_add_u32_e32 v2, v2, v6
	v_ashrrev_i32_e32 v3, 31, v2
	v_lshl_add_u64 v[2:3], v[2:3], 2, s[66:67]
	global_load_dword v2, v[2:3], off
	s_or_b64 exec, exec, s[4:5]
	s_and_saveexec_b64 s[4:5], s[10:11]
	s_cbranch_execz .LBB938_184
.LBB938_459:
	s_waitcnt vmcnt(0)
	v_add_u32_e32 v2, v2, v7
	v_ashrrev_i32_e32 v3, 31, v2
	v_lshl_add_u64 v[2:3], v[2:3], 2, s[66:67]
	global_load_dword v2, v[2:3], off
	s_or_b64 exec, exec, s[4:5]
	s_and_saveexec_b64 s[4:5], s[12:13]
	s_cbranch_execz .LBB938_185
.LBB938_460:
	s_waitcnt vmcnt(0)
	v_add_u32_e32 v2, v2, v8
	v_ashrrev_i32_e32 v3, 31, v2
	v_lshl_add_u64 v[2:3], v[2:3], 2, s[66:67]
	global_load_dword v2, v[2:3], off
	s_or_b64 exec, exec, s[4:5]
	s_and_saveexec_b64 s[4:5], s[14:15]
	s_cbranch_execz .LBB938_186
.LBB938_461:
	s_waitcnt vmcnt(0)
	v_add_u32_e32 v2, v2, v9
	v_ashrrev_i32_e32 v3, 31, v2
	v_lshl_add_u64 v[2:3], v[2:3], 2, s[66:67]
	global_load_dword v2, v[2:3], off
	s_or_b64 exec, exec, s[4:5]
	s_and_saveexec_b64 s[4:5], s[16:17]
	s_cbranch_execz .LBB938_187
.LBB938_462:
	s_waitcnt vmcnt(0)
	v_add_u32_e32 v2, v2, v10
	v_ashrrev_i32_e32 v3, 31, v2
	v_lshl_add_u64 v[2:3], v[2:3], 2, s[66:67]
	global_load_dword v2, v[2:3], off
	s_or_b64 exec, exec, s[4:5]
	s_and_saveexec_b64 s[4:5], s[18:19]
	s_cbranch_execz .LBB938_188
.LBB938_463:
	s_waitcnt vmcnt(0)
	v_add_u32_e32 v2, v2, v11
	v_ashrrev_i32_e32 v3, 31, v2
	v_lshl_add_u64 v[2:3], v[2:3], 2, s[66:67]
	global_load_dword v2, v[2:3], off
	s_or_b64 exec, exec, s[4:5]
	s_and_saveexec_b64 s[4:5], s[20:21]
	s_cbranch_execz .LBB938_189
.LBB938_464:
	s_waitcnt vmcnt(0)
	v_add_u32_e32 v2, v2, v12
	v_ashrrev_i32_e32 v3, 31, v2
	v_lshl_add_u64 v[2:3], v[2:3], 2, s[66:67]
	global_load_dword v2, v[2:3], off
	s_or_b64 exec, exec, s[4:5]
	s_and_saveexec_b64 s[4:5], s[22:23]
	s_cbranch_execz .LBB938_190
.LBB938_465:
	s_waitcnt vmcnt(0)
	v_add_u32_e32 v2, v2, v13
	v_ashrrev_i32_e32 v3, 31, v2
	v_lshl_add_u64 v[2:3], v[2:3], 2, s[66:67]
	global_load_dword v2, v[2:3], off
	s_or_b64 exec, exec, s[4:5]
	s_and_saveexec_b64 s[4:5], s[24:25]
	s_cbranch_execz .LBB938_191
.LBB938_466:
	s_waitcnt vmcnt(0)
	v_add_u32_e32 v2, v2, v14
	v_ashrrev_i32_e32 v3, 31, v2
	v_lshl_add_u64 v[2:3], v[2:3], 2, s[66:67]
	global_load_dword v2, v[2:3], off
	s_or_b64 exec, exec, s[4:5]
	s_and_saveexec_b64 s[4:5], s[26:27]
	s_cbranch_execz .LBB938_192
.LBB938_467:
	s_waitcnt vmcnt(0)
	v_add_u32_e32 v2, v2, v15
	v_ashrrev_i32_e32 v3, 31, v2
	v_lshl_add_u64 v[2:3], v[2:3], 2, s[66:67]
	global_load_dword v2, v[2:3], off
	s_or_b64 exec, exec, s[4:5]
	s_and_saveexec_b64 s[4:5], s[28:29]
	s_cbranch_execz .LBB938_193
.LBB938_468:
	s_waitcnt vmcnt(0)
	v_add_u32_e32 v2, v2, v16
	v_ashrrev_i32_e32 v3, 31, v2
	v_lshl_add_u64 v[2:3], v[2:3], 2, s[66:67]
	global_load_dword v2, v[2:3], off
	s_or_b64 exec, exec, s[4:5]
	s_and_saveexec_b64 s[4:5], s[30:31]
	s_cbranch_execnz .LBB938_194
	s_branch .LBB938_195
.LBB938_469:
	v_lshlrev_b32_e32 v1, 2, v0
	global_load_dword v5, v1, s[10:11] offset:3072
	s_or_b64 exec, exec, s[12:13]
	s_and_saveexec_b64 s[10:11], vcc
	s_cbranch_execz .LBB938_310
.LBB938_470:
	s_waitcnt vmcnt(0)
	v_add_u32_e32 v2, v3, v2
	v_ashrrev_i32_e32 v3, 31, v2
	v_lshl_add_u64 v[2:3], v[2:3], 2, s[66:67]
	global_load_dword v2, v[2:3], off
	s_or_b64 exec, exec, s[10:11]
	s_and_saveexec_b64 s[10:11], s[4:5]
	s_cbranch_execz .LBB938_311
.LBB938_471:
	s_waitcnt vmcnt(0)
	v_add_u32_e32 v2, v2, v4
	v_ashrrev_i32_e32 v3, 31, v2
	v_lshl_add_u64 v[2:3], v[2:3], 2, s[66:67]
	global_load_dword v2, v[2:3], off
	s_or_b64 exec, exec, s[10:11]
	s_and_saveexec_b64 s[4:5], s[6:7]
	s_cbranch_execnz .LBB938_312
	s_branch .LBB938_313
	.section	.rodata,"a",@progbits
	.p2align	6, 0x0
	.amdhsa_kernel _ZN7rocprim17ROCPRIM_400000_NS6detail17trampoline_kernelINS0_14default_configENS1_22reduce_config_selectorIiEEZNS1_11reduce_implILb1ES3_N6thrust23THRUST_200600_302600_NS6detail15normal_iteratorINS8_10device_ptrIiEEEEPii9plus_mod3IiEEE10hipError_tPvRmT1_T2_T3_mT4_P12ihipStream_tbEUlT_E1_NS1_11comp_targetILNS1_3genE0ELNS1_11target_archE4294967295ELNS1_3gpuE0ELNS1_3repE0EEENS1_30default_config_static_selectorELNS0_4arch9wavefront6targetE1EEEvSK_
		.amdhsa_group_segment_fixed_size 112
		.amdhsa_private_segment_fixed_size 0
		.amdhsa_kernarg_size 48
		.amdhsa_user_sgpr_count 2
		.amdhsa_user_sgpr_dispatch_ptr 0
		.amdhsa_user_sgpr_queue_ptr 0
		.amdhsa_user_sgpr_kernarg_segment_ptr 1
		.amdhsa_user_sgpr_dispatch_id 0
		.amdhsa_user_sgpr_kernarg_preload_length 0
		.amdhsa_user_sgpr_kernarg_preload_offset 0
		.amdhsa_user_sgpr_private_segment_size 0
		.amdhsa_uses_dynamic_stack 0
		.amdhsa_enable_private_segment 0
		.amdhsa_system_sgpr_workgroup_id_x 1
		.amdhsa_system_sgpr_workgroup_id_y 0
		.amdhsa_system_sgpr_workgroup_id_z 0
		.amdhsa_system_sgpr_workgroup_info 0
		.amdhsa_system_vgpr_workitem_id 0
		.amdhsa_next_free_vgpr 36
		.amdhsa_next_free_sgpr 82
		.amdhsa_accum_offset 36
		.amdhsa_reserve_vcc 1
		.amdhsa_float_round_mode_32 0
		.amdhsa_float_round_mode_16_64 0
		.amdhsa_float_denorm_mode_32 3
		.amdhsa_float_denorm_mode_16_64 3
		.amdhsa_dx10_clamp 1
		.amdhsa_ieee_mode 1
		.amdhsa_fp16_overflow 0
		.amdhsa_tg_split 0
		.amdhsa_exception_fp_ieee_invalid_op 0
		.amdhsa_exception_fp_denorm_src 0
		.amdhsa_exception_fp_ieee_div_zero 0
		.amdhsa_exception_fp_ieee_overflow 0
		.amdhsa_exception_fp_ieee_underflow 0
		.amdhsa_exception_fp_ieee_inexact 0
		.amdhsa_exception_int_div_zero 0
	.end_amdhsa_kernel
	.section	.text._ZN7rocprim17ROCPRIM_400000_NS6detail17trampoline_kernelINS0_14default_configENS1_22reduce_config_selectorIiEEZNS1_11reduce_implILb1ES3_N6thrust23THRUST_200600_302600_NS6detail15normal_iteratorINS8_10device_ptrIiEEEEPii9plus_mod3IiEEE10hipError_tPvRmT1_T2_T3_mT4_P12ihipStream_tbEUlT_E1_NS1_11comp_targetILNS1_3genE0ELNS1_11target_archE4294967295ELNS1_3gpuE0ELNS1_3repE0EEENS1_30default_config_static_selectorELNS0_4arch9wavefront6targetE1EEEvSK_,"axG",@progbits,_ZN7rocprim17ROCPRIM_400000_NS6detail17trampoline_kernelINS0_14default_configENS1_22reduce_config_selectorIiEEZNS1_11reduce_implILb1ES3_N6thrust23THRUST_200600_302600_NS6detail15normal_iteratorINS8_10device_ptrIiEEEEPii9plus_mod3IiEEE10hipError_tPvRmT1_T2_T3_mT4_P12ihipStream_tbEUlT_E1_NS1_11comp_targetILNS1_3genE0ELNS1_11target_archE4294967295ELNS1_3gpuE0ELNS1_3repE0EEENS1_30default_config_static_selectorELNS0_4arch9wavefront6targetE1EEEvSK_,comdat
.Lfunc_end938:
	.size	_ZN7rocprim17ROCPRIM_400000_NS6detail17trampoline_kernelINS0_14default_configENS1_22reduce_config_selectorIiEEZNS1_11reduce_implILb1ES3_N6thrust23THRUST_200600_302600_NS6detail15normal_iteratorINS8_10device_ptrIiEEEEPii9plus_mod3IiEEE10hipError_tPvRmT1_T2_T3_mT4_P12ihipStream_tbEUlT_E1_NS1_11comp_targetILNS1_3genE0ELNS1_11target_archE4294967295ELNS1_3gpuE0ELNS1_3repE0EEENS1_30default_config_static_selectorELNS0_4arch9wavefront6targetE1EEEvSK_, .Lfunc_end938-_ZN7rocprim17ROCPRIM_400000_NS6detail17trampoline_kernelINS0_14default_configENS1_22reduce_config_selectorIiEEZNS1_11reduce_implILb1ES3_N6thrust23THRUST_200600_302600_NS6detail15normal_iteratorINS8_10device_ptrIiEEEEPii9plus_mod3IiEEE10hipError_tPvRmT1_T2_T3_mT4_P12ihipStream_tbEUlT_E1_NS1_11comp_targetILNS1_3genE0ELNS1_11target_archE4294967295ELNS1_3gpuE0ELNS1_3repE0EEENS1_30default_config_static_selectorELNS0_4arch9wavefront6targetE1EEEvSK_
                                        ; -- End function
	.set _ZN7rocprim17ROCPRIM_400000_NS6detail17trampoline_kernelINS0_14default_configENS1_22reduce_config_selectorIiEEZNS1_11reduce_implILb1ES3_N6thrust23THRUST_200600_302600_NS6detail15normal_iteratorINS8_10device_ptrIiEEEEPii9plus_mod3IiEEE10hipError_tPvRmT1_T2_T3_mT4_P12ihipStream_tbEUlT_E1_NS1_11comp_targetILNS1_3genE0ELNS1_11target_archE4294967295ELNS1_3gpuE0ELNS1_3repE0EEENS1_30default_config_static_selectorELNS0_4arch9wavefront6targetE1EEEvSK_.num_vgpr, 36
	.set _ZN7rocprim17ROCPRIM_400000_NS6detail17trampoline_kernelINS0_14default_configENS1_22reduce_config_selectorIiEEZNS1_11reduce_implILb1ES3_N6thrust23THRUST_200600_302600_NS6detail15normal_iteratorINS8_10device_ptrIiEEEEPii9plus_mod3IiEEE10hipError_tPvRmT1_T2_T3_mT4_P12ihipStream_tbEUlT_E1_NS1_11comp_targetILNS1_3genE0ELNS1_11target_archE4294967295ELNS1_3gpuE0ELNS1_3repE0EEENS1_30default_config_static_selectorELNS0_4arch9wavefront6targetE1EEEvSK_.num_agpr, 0
	.set _ZN7rocprim17ROCPRIM_400000_NS6detail17trampoline_kernelINS0_14default_configENS1_22reduce_config_selectorIiEEZNS1_11reduce_implILb1ES3_N6thrust23THRUST_200600_302600_NS6detail15normal_iteratorINS8_10device_ptrIiEEEEPii9plus_mod3IiEEE10hipError_tPvRmT1_T2_T3_mT4_P12ihipStream_tbEUlT_E1_NS1_11comp_targetILNS1_3genE0ELNS1_11target_archE4294967295ELNS1_3gpuE0ELNS1_3repE0EEENS1_30default_config_static_selectorELNS0_4arch9wavefront6targetE1EEEvSK_.numbered_sgpr, 82
	.set _ZN7rocprim17ROCPRIM_400000_NS6detail17trampoline_kernelINS0_14default_configENS1_22reduce_config_selectorIiEEZNS1_11reduce_implILb1ES3_N6thrust23THRUST_200600_302600_NS6detail15normal_iteratorINS8_10device_ptrIiEEEEPii9plus_mod3IiEEE10hipError_tPvRmT1_T2_T3_mT4_P12ihipStream_tbEUlT_E1_NS1_11comp_targetILNS1_3genE0ELNS1_11target_archE4294967295ELNS1_3gpuE0ELNS1_3repE0EEENS1_30default_config_static_selectorELNS0_4arch9wavefront6targetE1EEEvSK_.num_named_barrier, 0
	.set _ZN7rocprim17ROCPRIM_400000_NS6detail17trampoline_kernelINS0_14default_configENS1_22reduce_config_selectorIiEEZNS1_11reduce_implILb1ES3_N6thrust23THRUST_200600_302600_NS6detail15normal_iteratorINS8_10device_ptrIiEEEEPii9plus_mod3IiEEE10hipError_tPvRmT1_T2_T3_mT4_P12ihipStream_tbEUlT_E1_NS1_11comp_targetILNS1_3genE0ELNS1_11target_archE4294967295ELNS1_3gpuE0ELNS1_3repE0EEENS1_30default_config_static_selectorELNS0_4arch9wavefront6targetE1EEEvSK_.private_seg_size, 0
	.set _ZN7rocprim17ROCPRIM_400000_NS6detail17trampoline_kernelINS0_14default_configENS1_22reduce_config_selectorIiEEZNS1_11reduce_implILb1ES3_N6thrust23THRUST_200600_302600_NS6detail15normal_iteratorINS8_10device_ptrIiEEEEPii9plus_mod3IiEEE10hipError_tPvRmT1_T2_T3_mT4_P12ihipStream_tbEUlT_E1_NS1_11comp_targetILNS1_3genE0ELNS1_11target_archE4294967295ELNS1_3gpuE0ELNS1_3repE0EEENS1_30default_config_static_selectorELNS0_4arch9wavefront6targetE1EEEvSK_.uses_vcc, 1
	.set _ZN7rocprim17ROCPRIM_400000_NS6detail17trampoline_kernelINS0_14default_configENS1_22reduce_config_selectorIiEEZNS1_11reduce_implILb1ES3_N6thrust23THRUST_200600_302600_NS6detail15normal_iteratorINS8_10device_ptrIiEEEEPii9plus_mod3IiEEE10hipError_tPvRmT1_T2_T3_mT4_P12ihipStream_tbEUlT_E1_NS1_11comp_targetILNS1_3genE0ELNS1_11target_archE4294967295ELNS1_3gpuE0ELNS1_3repE0EEENS1_30default_config_static_selectorELNS0_4arch9wavefront6targetE1EEEvSK_.uses_flat_scratch, 0
	.set _ZN7rocprim17ROCPRIM_400000_NS6detail17trampoline_kernelINS0_14default_configENS1_22reduce_config_selectorIiEEZNS1_11reduce_implILb1ES3_N6thrust23THRUST_200600_302600_NS6detail15normal_iteratorINS8_10device_ptrIiEEEEPii9plus_mod3IiEEE10hipError_tPvRmT1_T2_T3_mT4_P12ihipStream_tbEUlT_E1_NS1_11comp_targetILNS1_3genE0ELNS1_11target_archE4294967295ELNS1_3gpuE0ELNS1_3repE0EEENS1_30default_config_static_selectorELNS0_4arch9wavefront6targetE1EEEvSK_.has_dyn_sized_stack, 0
	.set _ZN7rocprim17ROCPRIM_400000_NS6detail17trampoline_kernelINS0_14default_configENS1_22reduce_config_selectorIiEEZNS1_11reduce_implILb1ES3_N6thrust23THRUST_200600_302600_NS6detail15normal_iteratorINS8_10device_ptrIiEEEEPii9plus_mod3IiEEE10hipError_tPvRmT1_T2_T3_mT4_P12ihipStream_tbEUlT_E1_NS1_11comp_targetILNS1_3genE0ELNS1_11target_archE4294967295ELNS1_3gpuE0ELNS1_3repE0EEENS1_30default_config_static_selectorELNS0_4arch9wavefront6targetE1EEEvSK_.has_recursion, 0
	.set _ZN7rocprim17ROCPRIM_400000_NS6detail17trampoline_kernelINS0_14default_configENS1_22reduce_config_selectorIiEEZNS1_11reduce_implILb1ES3_N6thrust23THRUST_200600_302600_NS6detail15normal_iteratorINS8_10device_ptrIiEEEEPii9plus_mod3IiEEE10hipError_tPvRmT1_T2_T3_mT4_P12ihipStream_tbEUlT_E1_NS1_11comp_targetILNS1_3genE0ELNS1_11target_archE4294967295ELNS1_3gpuE0ELNS1_3repE0EEENS1_30default_config_static_selectorELNS0_4arch9wavefront6targetE1EEEvSK_.has_indirect_call, 0
	.section	.AMDGPU.csdata,"",@progbits
; Kernel info:
; codeLenInByte = 16776
; TotalNumSgprs: 88
; NumVgprs: 36
; NumAgprs: 0
; TotalNumVgprs: 36
; ScratchSize: 0
; MemoryBound: 0
; FloatMode: 240
; IeeeMode: 1
; LDSByteSize: 112 bytes/workgroup (compile time only)
; SGPRBlocks: 10
; VGPRBlocks: 4
; NumSGPRsForWavesPerEU: 88
; NumVGPRsForWavesPerEU: 36
; AccumOffset: 36
; Occupancy: 8
; WaveLimiterHint : 1
; COMPUTE_PGM_RSRC2:SCRATCH_EN: 0
; COMPUTE_PGM_RSRC2:USER_SGPR: 2
; COMPUTE_PGM_RSRC2:TRAP_HANDLER: 0
; COMPUTE_PGM_RSRC2:TGID_X_EN: 1
; COMPUTE_PGM_RSRC2:TGID_Y_EN: 0
; COMPUTE_PGM_RSRC2:TGID_Z_EN: 0
; COMPUTE_PGM_RSRC2:TIDIG_COMP_CNT: 0
; COMPUTE_PGM_RSRC3_GFX90A:ACCUM_OFFSET: 8
; COMPUTE_PGM_RSRC3_GFX90A:TG_SPLIT: 0
	.section	.text._ZN7rocprim17ROCPRIM_400000_NS6detail17trampoline_kernelINS0_14default_configENS1_22reduce_config_selectorIiEEZNS1_11reduce_implILb1ES3_N6thrust23THRUST_200600_302600_NS6detail15normal_iteratorINS8_10device_ptrIiEEEEPii9plus_mod3IiEEE10hipError_tPvRmT1_T2_T3_mT4_P12ihipStream_tbEUlT_E1_NS1_11comp_targetILNS1_3genE5ELNS1_11target_archE942ELNS1_3gpuE9ELNS1_3repE0EEENS1_30default_config_static_selectorELNS0_4arch9wavefront6targetE1EEEvSK_,"axG",@progbits,_ZN7rocprim17ROCPRIM_400000_NS6detail17trampoline_kernelINS0_14default_configENS1_22reduce_config_selectorIiEEZNS1_11reduce_implILb1ES3_N6thrust23THRUST_200600_302600_NS6detail15normal_iteratorINS8_10device_ptrIiEEEEPii9plus_mod3IiEEE10hipError_tPvRmT1_T2_T3_mT4_P12ihipStream_tbEUlT_E1_NS1_11comp_targetILNS1_3genE5ELNS1_11target_archE942ELNS1_3gpuE9ELNS1_3repE0EEENS1_30default_config_static_selectorELNS0_4arch9wavefront6targetE1EEEvSK_,comdat
	.protected	_ZN7rocprim17ROCPRIM_400000_NS6detail17trampoline_kernelINS0_14default_configENS1_22reduce_config_selectorIiEEZNS1_11reduce_implILb1ES3_N6thrust23THRUST_200600_302600_NS6detail15normal_iteratorINS8_10device_ptrIiEEEEPii9plus_mod3IiEEE10hipError_tPvRmT1_T2_T3_mT4_P12ihipStream_tbEUlT_E1_NS1_11comp_targetILNS1_3genE5ELNS1_11target_archE942ELNS1_3gpuE9ELNS1_3repE0EEENS1_30default_config_static_selectorELNS0_4arch9wavefront6targetE1EEEvSK_ ; -- Begin function _ZN7rocprim17ROCPRIM_400000_NS6detail17trampoline_kernelINS0_14default_configENS1_22reduce_config_selectorIiEEZNS1_11reduce_implILb1ES3_N6thrust23THRUST_200600_302600_NS6detail15normal_iteratorINS8_10device_ptrIiEEEEPii9plus_mod3IiEEE10hipError_tPvRmT1_T2_T3_mT4_P12ihipStream_tbEUlT_E1_NS1_11comp_targetILNS1_3genE5ELNS1_11target_archE942ELNS1_3gpuE9ELNS1_3repE0EEENS1_30default_config_static_selectorELNS0_4arch9wavefront6targetE1EEEvSK_
	.globl	_ZN7rocprim17ROCPRIM_400000_NS6detail17trampoline_kernelINS0_14default_configENS1_22reduce_config_selectorIiEEZNS1_11reduce_implILb1ES3_N6thrust23THRUST_200600_302600_NS6detail15normal_iteratorINS8_10device_ptrIiEEEEPii9plus_mod3IiEEE10hipError_tPvRmT1_T2_T3_mT4_P12ihipStream_tbEUlT_E1_NS1_11comp_targetILNS1_3genE5ELNS1_11target_archE942ELNS1_3gpuE9ELNS1_3repE0EEENS1_30default_config_static_selectorELNS0_4arch9wavefront6targetE1EEEvSK_
	.p2align	8
	.type	_ZN7rocprim17ROCPRIM_400000_NS6detail17trampoline_kernelINS0_14default_configENS1_22reduce_config_selectorIiEEZNS1_11reduce_implILb1ES3_N6thrust23THRUST_200600_302600_NS6detail15normal_iteratorINS8_10device_ptrIiEEEEPii9plus_mod3IiEEE10hipError_tPvRmT1_T2_T3_mT4_P12ihipStream_tbEUlT_E1_NS1_11comp_targetILNS1_3genE5ELNS1_11target_archE942ELNS1_3gpuE9ELNS1_3repE0EEENS1_30default_config_static_selectorELNS0_4arch9wavefront6targetE1EEEvSK_,@function
_ZN7rocprim17ROCPRIM_400000_NS6detail17trampoline_kernelINS0_14default_configENS1_22reduce_config_selectorIiEEZNS1_11reduce_implILb1ES3_N6thrust23THRUST_200600_302600_NS6detail15normal_iteratorINS8_10device_ptrIiEEEEPii9plus_mod3IiEEE10hipError_tPvRmT1_T2_T3_mT4_P12ihipStream_tbEUlT_E1_NS1_11comp_targetILNS1_3genE5ELNS1_11target_archE942ELNS1_3gpuE9ELNS1_3repE0EEENS1_30default_config_static_selectorELNS0_4arch9wavefront6targetE1EEEvSK_: ; @_ZN7rocprim17ROCPRIM_400000_NS6detail17trampoline_kernelINS0_14default_configENS1_22reduce_config_selectorIiEEZNS1_11reduce_implILb1ES3_N6thrust23THRUST_200600_302600_NS6detail15normal_iteratorINS8_10device_ptrIiEEEEPii9plus_mod3IiEEE10hipError_tPvRmT1_T2_T3_mT4_P12ihipStream_tbEUlT_E1_NS1_11comp_targetILNS1_3genE5ELNS1_11target_archE942ELNS1_3gpuE9ELNS1_3repE0EEENS1_30default_config_static_selectorELNS0_4arch9wavefront6targetE1EEEvSK_
; %bb.0:
	.section	.rodata,"a",@progbits
	.p2align	6, 0x0
	.amdhsa_kernel _ZN7rocprim17ROCPRIM_400000_NS6detail17trampoline_kernelINS0_14default_configENS1_22reduce_config_selectorIiEEZNS1_11reduce_implILb1ES3_N6thrust23THRUST_200600_302600_NS6detail15normal_iteratorINS8_10device_ptrIiEEEEPii9plus_mod3IiEEE10hipError_tPvRmT1_T2_T3_mT4_P12ihipStream_tbEUlT_E1_NS1_11comp_targetILNS1_3genE5ELNS1_11target_archE942ELNS1_3gpuE9ELNS1_3repE0EEENS1_30default_config_static_selectorELNS0_4arch9wavefront6targetE1EEEvSK_
		.amdhsa_group_segment_fixed_size 0
		.amdhsa_private_segment_fixed_size 0
		.amdhsa_kernarg_size 48
		.amdhsa_user_sgpr_count 2
		.amdhsa_user_sgpr_dispatch_ptr 0
		.amdhsa_user_sgpr_queue_ptr 0
		.amdhsa_user_sgpr_kernarg_segment_ptr 1
		.amdhsa_user_sgpr_dispatch_id 0
		.amdhsa_user_sgpr_kernarg_preload_length 0
		.amdhsa_user_sgpr_kernarg_preload_offset 0
		.amdhsa_user_sgpr_private_segment_size 0
		.amdhsa_uses_dynamic_stack 0
		.amdhsa_enable_private_segment 0
		.amdhsa_system_sgpr_workgroup_id_x 1
		.amdhsa_system_sgpr_workgroup_id_y 0
		.amdhsa_system_sgpr_workgroup_id_z 0
		.amdhsa_system_sgpr_workgroup_info 0
		.amdhsa_system_vgpr_workitem_id 0
		.amdhsa_next_free_vgpr 1
		.amdhsa_next_free_sgpr 0
		.amdhsa_accum_offset 4
		.amdhsa_reserve_vcc 0
		.amdhsa_float_round_mode_32 0
		.amdhsa_float_round_mode_16_64 0
		.amdhsa_float_denorm_mode_32 3
		.amdhsa_float_denorm_mode_16_64 3
		.amdhsa_dx10_clamp 1
		.amdhsa_ieee_mode 1
		.amdhsa_fp16_overflow 0
		.amdhsa_tg_split 0
		.amdhsa_exception_fp_ieee_invalid_op 0
		.amdhsa_exception_fp_denorm_src 0
		.amdhsa_exception_fp_ieee_div_zero 0
		.amdhsa_exception_fp_ieee_overflow 0
		.amdhsa_exception_fp_ieee_underflow 0
		.amdhsa_exception_fp_ieee_inexact 0
		.amdhsa_exception_int_div_zero 0
	.end_amdhsa_kernel
	.section	.text._ZN7rocprim17ROCPRIM_400000_NS6detail17trampoline_kernelINS0_14default_configENS1_22reduce_config_selectorIiEEZNS1_11reduce_implILb1ES3_N6thrust23THRUST_200600_302600_NS6detail15normal_iteratorINS8_10device_ptrIiEEEEPii9plus_mod3IiEEE10hipError_tPvRmT1_T2_T3_mT4_P12ihipStream_tbEUlT_E1_NS1_11comp_targetILNS1_3genE5ELNS1_11target_archE942ELNS1_3gpuE9ELNS1_3repE0EEENS1_30default_config_static_selectorELNS0_4arch9wavefront6targetE1EEEvSK_,"axG",@progbits,_ZN7rocprim17ROCPRIM_400000_NS6detail17trampoline_kernelINS0_14default_configENS1_22reduce_config_selectorIiEEZNS1_11reduce_implILb1ES3_N6thrust23THRUST_200600_302600_NS6detail15normal_iteratorINS8_10device_ptrIiEEEEPii9plus_mod3IiEEE10hipError_tPvRmT1_T2_T3_mT4_P12ihipStream_tbEUlT_E1_NS1_11comp_targetILNS1_3genE5ELNS1_11target_archE942ELNS1_3gpuE9ELNS1_3repE0EEENS1_30default_config_static_selectorELNS0_4arch9wavefront6targetE1EEEvSK_,comdat
.Lfunc_end939:
	.size	_ZN7rocprim17ROCPRIM_400000_NS6detail17trampoline_kernelINS0_14default_configENS1_22reduce_config_selectorIiEEZNS1_11reduce_implILb1ES3_N6thrust23THRUST_200600_302600_NS6detail15normal_iteratorINS8_10device_ptrIiEEEEPii9plus_mod3IiEEE10hipError_tPvRmT1_T2_T3_mT4_P12ihipStream_tbEUlT_E1_NS1_11comp_targetILNS1_3genE5ELNS1_11target_archE942ELNS1_3gpuE9ELNS1_3repE0EEENS1_30default_config_static_selectorELNS0_4arch9wavefront6targetE1EEEvSK_, .Lfunc_end939-_ZN7rocprim17ROCPRIM_400000_NS6detail17trampoline_kernelINS0_14default_configENS1_22reduce_config_selectorIiEEZNS1_11reduce_implILb1ES3_N6thrust23THRUST_200600_302600_NS6detail15normal_iteratorINS8_10device_ptrIiEEEEPii9plus_mod3IiEEE10hipError_tPvRmT1_T2_T3_mT4_P12ihipStream_tbEUlT_E1_NS1_11comp_targetILNS1_3genE5ELNS1_11target_archE942ELNS1_3gpuE9ELNS1_3repE0EEENS1_30default_config_static_selectorELNS0_4arch9wavefront6targetE1EEEvSK_
                                        ; -- End function
	.set _ZN7rocprim17ROCPRIM_400000_NS6detail17trampoline_kernelINS0_14default_configENS1_22reduce_config_selectorIiEEZNS1_11reduce_implILb1ES3_N6thrust23THRUST_200600_302600_NS6detail15normal_iteratorINS8_10device_ptrIiEEEEPii9plus_mod3IiEEE10hipError_tPvRmT1_T2_T3_mT4_P12ihipStream_tbEUlT_E1_NS1_11comp_targetILNS1_3genE5ELNS1_11target_archE942ELNS1_3gpuE9ELNS1_3repE0EEENS1_30default_config_static_selectorELNS0_4arch9wavefront6targetE1EEEvSK_.num_vgpr, 0
	.set _ZN7rocprim17ROCPRIM_400000_NS6detail17trampoline_kernelINS0_14default_configENS1_22reduce_config_selectorIiEEZNS1_11reduce_implILb1ES3_N6thrust23THRUST_200600_302600_NS6detail15normal_iteratorINS8_10device_ptrIiEEEEPii9plus_mod3IiEEE10hipError_tPvRmT1_T2_T3_mT4_P12ihipStream_tbEUlT_E1_NS1_11comp_targetILNS1_3genE5ELNS1_11target_archE942ELNS1_3gpuE9ELNS1_3repE0EEENS1_30default_config_static_selectorELNS0_4arch9wavefront6targetE1EEEvSK_.num_agpr, 0
	.set _ZN7rocprim17ROCPRIM_400000_NS6detail17trampoline_kernelINS0_14default_configENS1_22reduce_config_selectorIiEEZNS1_11reduce_implILb1ES3_N6thrust23THRUST_200600_302600_NS6detail15normal_iteratorINS8_10device_ptrIiEEEEPii9plus_mod3IiEEE10hipError_tPvRmT1_T2_T3_mT4_P12ihipStream_tbEUlT_E1_NS1_11comp_targetILNS1_3genE5ELNS1_11target_archE942ELNS1_3gpuE9ELNS1_3repE0EEENS1_30default_config_static_selectorELNS0_4arch9wavefront6targetE1EEEvSK_.numbered_sgpr, 0
	.set _ZN7rocprim17ROCPRIM_400000_NS6detail17trampoline_kernelINS0_14default_configENS1_22reduce_config_selectorIiEEZNS1_11reduce_implILb1ES3_N6thrust23THRUST_200600_302600_NS6detail15normal_iteratorINS8_10device_ptrIiEEEEPii9plus_mod3IiEEE10hipError_tPvRmT1_T2_T3_mT4_P12ihipStream_tbEUlT_E1_NS1_11comp_targetILNS1_3genE5ELNS1_11target_archE942ELNS1_3gpuE9ELNS1_3repE0EEENS1_30default_config_static_selectorELNS0_4arch9wavefront6targetE1EEEvSK_.num_named_barrier, 0
	.set _ZN7rocprim17ROCPRIM_400000_NS6detail17trampoline_kernelINS0_14default_configENS1_22reduce_config_selectorIiEEZNS1_11reduce_implILb1ES3_N6thrust23THRUST_200600_302600_NS6detail15normal_iteratorINS8_10device_ptrIiEEEEPii9plus_mod3IiEEE10hipError_tPvRmT1_T2_T3_mT4_P12ihipStream_tbEUlT_E1_NS1_11comp_targetILNS1_3genE5ELNS1_11target_archE942ELNS1_3gpuE9ELNS1_3repE0EEENS1_30default_config_static_selectorELNS0_4arch9wavefront6targetE1EEEvSK_.private_seg_size, 0
	.set _ZN7rocprim17ROCPRIM_400000_NS6detail17trampoline_kernelINS0_14default_configENS1_22reduce_config_selectorIiEEZNS1_11reduce_implILb1ES3_N6thrust23THRUST_200600_302600_NS6detail15normal_iteratorINS8_10device_ptrIiEEEEPii9plus_mod3IiEEE10hipError_tPvRmT1_T2_T3_mT4_P12ihipStream_tbEUlT_E1_NS1_11comp_targetILNS1_3genE5ELNS1_11target_archE942ELNS1_3gpuE9ELNS1_3repE0EEENS1_30default_config_static_selectorELNS0_4arch9wavefront6targetE1EEEvSK_.uses_vcc, 0
	.set _ZN7rocprim17ROCPRIM_400000_NS6detail17trampoline_kernelINS0_14default_configENS1_22reduce_config_selectorIiEEZNS1_11reduce_implILb1ES3_N6thrust23THRUST_200600_302600_NS6detail15normal_iteratorINS8_10device_ptrIiEEEEPii9plus_mod3IiEEE10hipError_tPvRmT1_T2_T3_mT4_P12ihipStream_tbEUlT_E1_NS1_11comp_targetILNS1_3genE5ELNS1_11target_archE942ELNS1_3gpuE9ELNS1_3repE0EEENS1_30default_config_static_selectorELNS0_4arch9wavefront6targetE1EEEvSK_.uses_flat_scratch, 0
	.set _ZN7rocprim17ROCPRIM_400000_NS6detail17trampoline_kernelINS0_14default_configENS1_22reduce_config_selectorIiEEZNS1_11reduce_implILb1ES3_N6thrust23THRUST_200600_302600_NS6detail15normal_iteratorINS8_10device_ptrIiEEEEPii9plus_mod3IiEEE10hipError_tPvRmT1_T2_T3_mT4_P12ihipStream_tbEUlT_E1_NS1_11comp_targetILNS1_3genE5ELNS1_11target_archE942ELNS1_3gpuE9ELNS1_3repE0EEENS1_30default_config_static_selectorELNS0_4arch9wavefront6targetE1EEEvSK_.has_dyn_sized_stack, 0
	.set _ZN7rocprim17ROCPRIM_400000_NS6detail17trampoline_kernelINS0_14default_configENS1_22reduce_config_selectorIiEEZNS1_11reduce_implILb1ES3_N6thrust23THRUST_200600_302600_NS6detail15normal_iteratorINS8_10device_ptrIiEEEEPii9plus_mod3IiEEE10hipError_tPvRmT1_T2_T3_mT4_P12ihipStream_tbEUlT_E1_NS1_11comp_targetILNS1_3genE5ELNS1_11target_archE942ELNS1_3gpuE9ELNS1_3repE0EEENS1_30default_config_static_selectorELNS0_4arch9wavefront6targetE1EEEvSK_.has_recursion, 0
	.set _ZN7rocprim17ROCPRIM_400000_NS6detail17trampoline_kernelINS0_14default_configENS1_22reduce_config_selectorIiEEZNS1_11reduce_implILb1ES3_N6thrust23THRUST_200600_302600_NS6detail15normal_iteratorINS8_10device_ptrIiEEEEPii9plus_mod3IiEEE10hipError_tPvRmT1_T2_T3_mT4_P12ihipStream_tbEUlT_E1_NS1_11comp_targetILNS1_3genE5ELNS1_11target_archE942ELNS1_3gpuE9ELNS1_3repE0EEENS1_30default_config_static_selectorELNS0_4arch9wavefront6targetE1EEEvSK_.has_indirect_call, 0
	.section	.AMDGPU.csdata,"",@progbits
; Kernel info:
; codeLenInByte = 0
; TotalNumSgprs: 6
; NumVgprs: 0
; NumAgprs: 0
; TotalNumVgprs: 0
; ScratchSize: 0
; MemoryBound: 0
; FloatMode: 240
; IeeeMode: 1
; LDSByteSize: 0 bytes/workgroup (compile time only)
; SGPRBlocks: 0
; VGPRBlocks: 0
; NumSGPRsForWavesPerEU: 6
; NumVGPRsForWavesPerEU: 1
; AccumOffset: 4
; Occupancy: 8
; WaveLimiterHint : 0
; COMPUTE_PGM_RSRC2:SCRATCH_EN: 0
; COMPUTE_PGM_RSRC2:USER_SGPR: 2
; COMPUTE_PGM_RSRC2:TRAP_HANDLER: 0
; COMPUTE_PGM_RSRC2:TGID_X_EN: 1
; COMPUTE_PGM_RSRC2:TGID_Y_EN: 0
; COMPUTE_PGM_RSRC2:TGID_Z_EN: 0
; COMPUTE_PGM_RSRC2:TIDIG_COMP_CNT: 0
; COMPUTE_PGM_RSRC3_GFX90A:ACCUM_OFFSET: 0
; COMPUTE_PGM_RSRC3_GFX90A:TG_SPLIT: 0
	.section	.text._ZN7rocprim17ROCPRIM_400000_NS6detail17trampoline_kernelINS0_14default_configENS1_22reduce_config_selectorIiEEZNS1_11reduce_implILb1ES3_N6thrust23THRUST_200600_302600_NS6detail15normal_iteratorINS8_10device_ptrIiEEEEPii9plus_mod3IiEEE10hipError_tPvRmT1_T2_T3_mT4_P12ihipStream_tbEUlT_E1_NS1_11comp_targetILNS1_3genE4ELNS1_11target_archE910ELNS1_3gpuE8ELNS1_3repE0EEENS1_30default_config_static_selectorELNS0_4arch9wavefront6targetE1EEEvSK_,"axG",@progbits,_ZN7rocprim17ROCPRIM_400000_NS6detail17trampoline_kernelINS0_14default_configENS1_22reduce_config_selectorIiEEZNS1_11reduce_implILb1ES3_N6thrust23THRUST_200600_302600_NS6detail15normal_iteratorINS8_10device_ptrIiEEEEPii9plus_mod3IiEEE10hipError_tPvRmT1_T2_T3_mT4_P12ihipStream_tbEUlT_E1_NS1_11comp_targetILNS1_3genE4ELNS1_11target_archE910ELNS1_3gpuE8ELNS1_3repE0EEENS1_30default_config_static_selectorELNS0_4arch9wavefront6targetE1EEEvSK_,comdat
	.protected	_ZN7rocprim17ROCPRIM_400000_NS6detail17trampoline_kernelINS0_14default_configENS1_22reduce_config_selectorIiEEZNS1_11reduce_implILb1ES3_N6thrust23THRUST_200600_302600_NS6detail15normal_iteratorINS8_10device_ptrIiEEEEPii9plus_mod3IiEEE10hipError_tPvRmT1_T2_T3_mT4_P12ihipStream_tbEUlT_E1_NS1_11comp_targetILNS1_3genE4ELNS1_11target_archE910ELNS1_3gpuE8ELNS1_3repE0EEENS1_30default_config_static_selectorELNS0_4arch9wavefront6targetE1EEEvSK_ ; -- Begin function _ZN7rocprim17ROCPRIM_400000_NS6detail17trampoline_kernelINS0_14default_configENS1_22reduce_config_selectorIiEEZNS1_11reduce_implILb1ES3_N6thrust23THRUST_200600_302600_NS6detail15normal_iteratorINS8_10device_ptrIiEEEEPii9plus_mod3IiEEE10hipError_tPvRmT1_T2_T3_mT4_P12ihipStream_tbEUlT_E1_NS1_11comp_targetILNS1_3genE4ELNS1_11target_archE910ELNS1_3gpuE8ELNS1_3repE0EEENS1_30default_config_static_selectorELNS0_4arch9wavefront6targetE1EEEvSK_
	.globl	_ZN7rocprim17ROCPRIM_400000_NS6detail17trampoline_kernelINS0_14default_configENS1_22reduce_config_selectorIiEEZNS1_11reduce_implILb1ES3_N6thrust23THRUST_200600_302600_NS6detail15normal_iteratorINS8_10device_ptrIiEEEEPii9plus_mod3IiEEE10hipError_tPvRmT1_T2_T3_mT4_P12ihipStream_tbEUlT_E1_NS1_11comp_targetILNS1_3genE4ELNS1_11target_archE910ELNS1_3gpuE8ELNS1_3repE0EEENS1_30default_config_static_selectorELNS0_4arch9wavefront6targetE1EEEvSK_
	.p2align	8
	.type	_ZN7rocprim17ROCPRIM_400000_NS6detail17trampoline_kernelINS0_14default_configENS1_22reduce_config_selectorIiEEZNS1_11reduce_implILb1ES3_N6thrust23THRUST_200600_302600_NS6detail15normal_iteratorINS8_10device_ptrIiEEEEPii9plus_mod3IiEEE10hipError_tPvRmT1_T2_T3_mT4_P12ihipStream_tbEUlT_E1_NS1_11comp_targetILNS1_3genE4ELNS1_11target_archE910ELNS1_3gpuE8ELNS1_3repE0EEENS1_30default_config_static_selectorELNS0_4arch9wavefront6targetE1EEEvSK_,@function
_ZN7rocprim17ROCPRIM_400000_NS6detail17trampoline_kernelINS0_14default_configENS1_22reduce_config_selectorIiEEZNS1_11reduce_implILb1ES3_N6thrust23THRUST_200600_302600_NS6detail15normal_iteratorINS8_10device_ptrIiEEEEPii9plus_mod3IiEEE10hipError_tPvRmT1_T2_T3_mT4_P12ihipStream_tbEUlT_E1_NS1_11comp_targetILNS1_3genE4ELNS1_11target_archE910ELNS1_3gpuE8ELNS1_3repE0EEENS1_30default_config_static_selectorELNS0_4arch9wavefront6targetE1EEEvSK_: ; @_ZN7rocprim17ROCPRIM_400000_NS6detail17trampoline_kernelINS0_14default_configENS1_22reduce_config_selectorIiEEZNS1_11reduce_implILb1ES3_N6thrust23THRUST_200600_302600_NS6detail15normal_iteratorINS8_10device_ptrIiEEEEPii9plus_mod3IiEEE10hipError_tPvRmT1_T2_T3_mT4_P12ihipStream_tbEUlT_E1_NS1_11comp_targetILNS1_3genE4ELNS1_11target_archE910ELNS1_3gpuE8ELNS1_3repE0EEENS1_30default_config_static_selectorELNS0_4arch9wavefront6targetE1EEEvSK_
; %bb.0:
	.section	.rodata,"a",@progbits
	.p2align	6, 0x0
	.amdhsa_kernel _ZN7rocprim17ROCPRIM_400000_NS6detail17trampoline_kernelINS0_14default_configENS1_22reduce_config_selectorIiEEZNS1_11reduce_implILb1ES3_N6thrust23THRUST_200600_302600_NS6detail15normal_iteratorINS8_10device_ptrIiEEEEPii9plus_mod3IiEEE10hipError_tPvRmT1_T2_T3_mT4_P12ihipStream_tbEUlT_E1_NS1_11comp_targetILNS1_3genE4ELNS1_11target_archE910ELNS1_3gpuE8ELNS1_3repE0EEENS1_30default_config_static_selectorELNS0_4arch9wavefront6targetE1EEEvSK_
		.amdhsa_group_segment_fixed_size 0
		.amdhsa_private_segment_fixed_size 0
		.amdhsa_kernarg_size 48
		.amdhsa_user_sgpr_count 2
		.amdhsa_user_sgpr_dispatch_ptr 0
		.amdhsa_user_sgpr_queue_ptr 0
		.amdhsa_user_sgpr_kernarg_segment_ptr 1
		.amdhsa_user_sgpr_dispatch_id 0
		.amdhsa_user_sgpr_kernarg_preload_length 0
		.amdhsa_user_sgpr_kernarg_preload_offset 0
		.amdhsa_user_sgpr_private_segment_size 0
		.amdhsa_uses_dynamic_stack 0
		.amdhsa_enable_private_segment 0
		.amdhsa_system_sgpr_workgroup_id_x 1
		.amdhsa_system_sgpr_workgroup_id_y 0
		.amdhsa_system_sgpr_workgroup_id_z 0
		.amdhsa_system_sgpr_workgroup_info 0
		.amdhsa_system_vgpr_workitem_id 0
		.amdhsa_next_free_vgpr 1
		.amdhsa_next_free_sgpr 0
		.amdhsa_accum_offset 4
		.amdhsa_reserve_vcc 0
		.amdhsa_float_round_mode_32 0
		.amdhsa_float_round_mode_16_64 0
		.amdhsa_float_denorm_mode_32 3
		.amdhsa_float_denorm_mode_16_64 3
		.amdhsa_dx10_clamp 1
		.amdhsa_ieee_mode 1
		.amdhsa_fp16_overflow 0
		.amdhsa_tg_split 0
		.amdhsa_exception_fp_ieee_invalid_op 0
		.amdhsa_exception_fp_denorm_src 0
		.amdhsa_exception_fp_ieee_div_zero 0
		.amdhsa_exception_fp_ieee_overflow 0
		.amdhsa_exception_fp_ieee_underflow 0
		.amdhsa_exception_fp_ieee_inexact 0
		.amdhsa_exception_int_div_zero 0
	.end_amdhsa_kernel
	.section	.text._ZN7rocprim17ROCPRIM_400000_NS6detail17trampoline_kernelINS0_14default_configENS1_22reduce_config_selectorIiEEZNS1_11reduce_implILb1ES3_N6thrust23THRUST_200600_302600_NS6detail15normal_iteratorINS8_10device_ptrIiEEEEPii9plus_mod3IiEEE10hipError_tPvRmT1_T2_T3_mT4_P12ihipStream_tbEUlT_E1_NS1_11comp_targetILNS1_3genE4ELNS1_11target_archE910ELNS1_3gpuE8ELNS1_3repE0EEENS1_30default_config_static_selectorELNS0_4arch9wavefront6targetE1EEEvSK_,"axG",@progbits,_ZN7rocprim17ROCPRIM_400000_NS6detail17trampoline_kernelINS0_14default_configENS1_22reduce_config_selectorIiEEZNS1_11reduce_implILb1ES3_N6thrust23THRUST_200600_302600_NS6detail15normal_iteratorINS8_10device_ptrIiEEEEPii9plus_mod3IiEEE10hipError_tPvRmT1_T2_T3_mT4_P12ihipStream_tbEUlT_E1_NS1_11comp_targetILNS1_3genE4ELNS1_11target_archE910ELNS1_3gpuE8ELNS1_3repE0EEENS1_30default_config_static_selectorELNS0_4arch9wavefront6targetE1EEEvSK_,comdat
.Lfunc_end940:
	.size	_ZN7rocprim17ROCPRIM_400000_NS6detail17trampoline_kernelINS0_14default_configENS1_22reduce_config_selectorIiEEZNS1_11reduce_implILb1ES3_N6thrust23THRUST_200600_302600_NS6detail15normal_iteratorINS8_10device_ptrIiEEEEPii9plus_mod3IiEEE10hipError_tPvRmT1_T2_T3_mT4_P12ihipStream_tbEUlT_E1_NS1_11comp_targetILNS1_3genE4ELNS1_11target_archE910ELNS1_3gpuE8ELNS1_3repE0EEENS1_30default_config_static_selectorELNS0_4arch9wavefront6targetE1EEEvSK_, .Lfunc_end940-_ZN7rocprim17ROCPRIM_400000_NS6detail17trampoline_kernelINS0_14default_configENS1_22reduce_config_selectorIiEEZNS1_11reduce_implILb1ES3_N6thrust23THRUST_200600_302600_NS6detail15normal_iteratorINS8_10device_ptrIiEEEEPii9plus_mod3IiEEE10hipError_tPvRmT1_T2_T3_mT4_P12ihipStream_tbEUlT_E1_NS1_11comp_targetILNS1_3genE4ELNS1_11target_archE910ELNS1_3gpuE8ELNS1_3repE0EEENS1_30default_config_static_selectorELNS0_4arch9wavefront6targetE1EEEvSK_
                                        ; -- End function
	.set _ZN7rocprim17ROCPRIM_400000_NS6detail17trampoline_kernelINS0_14default_configENS1_22reduce_config_selectorIiEEZNS1_11reduce_implILb1ES3_N6thrust23THRUST_200600_302600_NS6detail15normal_iteratorINS8_10device_ptrIiEEEEPii9plus_mod3IiEEE10hipError_tPvRmT1_T2_T3_mT4_P12ihipStream_tbEUlT_E1_NS1_11comp_targetILNS1_3genE4ELNS1_11target_archE910ELNS1_3gpuE8ELNS1_3repE0EEENS1_30default_config_static_selectorELNS0_4arch9wavefront6targetE1EEEvSK_.num_vgpr, 0
	.set _ZN7rocprim17ROCPRIM_400000_NS6detail17trampoline_kernelINS0_14default_configENS1_22reduce_config_selectorIiEEZNS1_11reduce_implILb1ES3_N6thrust23THRUST_200600_302600_NS6detail15normal_iteratorINS8_10device_ptrIiEEEEPii9plus_mod3IiEEE10hipError_tPvRmT1_T2_T3_mT4_P12ihipStream_tbEUlT_E1_NS1_11comp_targetILNS1_3genE4ELNS1_11target_archE910ELNS1_3gpuE8ELNS1_3repE0EEENS1_30default_config_static_selectorELNS0_4arch9wavefront6targetE1EEEvSK_.num_agpr, 0
	.set _ZN7rocprim17ROCPRIM_400000_NS6detail17trampoline_kernelINS0_14default_configENS1_22reduce_config_selectorIiEEZNS1_11reduce_implILb1ES3_N6thrust23THRUST_200600_302600_NS6detail15normal_iteratorINS8_10device_ptrIiEEEEPii9plus_mod3IiEEE10hipError_tPvRmT1_T2_T3_mT4_P12ihipStream_tbEUlT_E1_NS1_11comp_targetILNS1_3genE4ELNS1_11target_archE910ELNS1_3gpuE8ELNS1_3repE0EEENS1_30default_config_static_selectorELNS0_4arch9wavefront6targetE1EEEvSK_.numbered_sgpr, 0
	.set _ZN7rocprim17ROCPRIM_400000_NS6detail17trampoline_kernelINS0_14default_configENS1_22reduce_config_selectorIiEEZNS1_11reduce_implILb1ES3_N6thrust23THRUST_200600_302600_NS6detail15normal_iteratorINS8_10device_ptrIiEEEEPii9plus_mod3IiEEE10hipError_tPvRmT1_T2_T3_mT4_P12ihipStream_tbEUlT_E1_NS1_11comp_targetILNS1_3genE4ELNS1_11target_archE910ELNS1_3gpuE8ELNS1_3repE0EEENS1_30default_config_static_selectorELNS0_4arch9wavefront6targetE1EEEvSK_.num_named_barrier, 0
	.set _ZN7rocprim17ROCPRIM_400000_NS6detail17trampoline_kernelINS0_14default_configENS1_22reduce_config_selectorIiEEZNS1_11reduce_implILb1ES3_N6thrust23THRUST_200600_302600_NS6detail15normal_iteratorINS8_10device_ptrIiEEEEPii9plus_mod3IiEEE10hipError_tPvRmT1_T2_T3_mT4_P12ihipStream_tbEUlT_E1_NS1_11comp_targetILNS1_3genE4ELNS1_11target_archE910ELNS1_3gpuE8ELNS1_3repE0EEENS1_30default_config_static_selectorELNS0_4arch9wavefront6targetE1EEEvSK_.private_seg_size, 0
	.set _ZN7rocprim17ROCPRIM_400000_NS6detail17trampoline_kernelINS0_14default_configENS1_22reduce_config_selectorIiEEZNS1_11reduce_implILb1ES3_N6thrust23THRUST_200600_302600_NS6detail15normal_iteratorINS8_10device_ptrIiEEEEPii9plus_mod3IiEEE10hipError_tPvRmT1_T2_T3_mT4_P12ihipStream_tbEUlT_E1_NS1_11comp_targetILNS1_3genE4ELNS1_11target_archE910ELNS1_3gpuE8ELNS1_3repE0EEENS1_30default_config_static_selectorELNS0_4arch9wavefront6targetE1EEEvSK_.uses_vcc, 0
	.set _ZN7rocprim17ROCPRIM_400000_NS6detail17trampoline_kernelINS0_14default_configENS1_22reduce_config_selectorIiEEZNS1_11reduce_implILb1ES3_N6thrust23THRUST_200600_302600_NS6detail15normal_iteratorINS8_10device_ptrIiEEEEPii9plus_mod3IiEEE10hipError_tPvRmT1_T2_T3_mT4_P12ihipStream_tbEUlT_E1_NS1_11comp_targetILNS1_3genE4ELNS1_11target_archE910ELNS1_3gpuE8ELNS1_3repE0EEENS1_30default_config_static_selectorELNS0_4arch9wavefront6targetE1EEEvSK_.uses_flat_scratch, 0
	.set _ZN7rocprim17ROCPRIM_400000_NS6detail17trampoline_kernelINS0_14default_configENS1_22reduce_config_selectorIiEEZNS1_11reduce_implILb1ES3_N6thrust23THRUST_200600_302600_NS6detail15normal_iteratorINS8_10device_ptrIiEEEEPii9plus_mod3IiEEE10hipError_tPvRmT1_T2_T3_mT4_P12ihipStream_tbEUlT_E1_NS1_11comp_targetILNS1_3genE4ELNS1_11target_archE910ELNS1_3gpuE8ELNS1_3repE0EEENS1_30default_config_static_selectorELNS0_4arch9wavefront6targetE1EEEvSK_.has_dyn_sized_stack, 0
	.set _ZN7rocprim17ROCPRIM_400000_NS6detail17trampoline_kernelINS0_14default_configENS1_22reduce_config_selectorIiEEZNS1_11reduce_implILb1ES3_N6thrust23THRUST_200600_302600_NS6detail15normal_iteratorINS8_10device_ptrIiEEEEPii9plus_mod3IiEEE10hipError_tPvRmT1_T2_T3_mT4_P12ihipStream_tbEUlT_E1_NS1_11comp_targetILNS1_3genE4ELNS1_11target_archE910ELNS1_3gpuE8ELNS1_3repE0EEENS1_30default_config_static_selectorELNS0_4arch9wavefront6targetE1EEEvSK_.has_recursion, 0
	.set _ZN7rocprim17ROCPRIM_400000_NS6detail17trampoline_kernelINS0_14default_configENS1_22reduce_config_selectorIiEEZNS1_11reduce_implILb1ES3_N6thrust23THRUST_200600_302600_NS6detail15normal_iteratorINS8_10device_ptrIiEEEEPii9plus_mod3IiEEE10hipError_tPvRmT1_T2_T3_mT4_P12ihipStream_tbEUlT_E1_NS1_11comp_targetILNS1_3genE4ELNS1_11target_archE910ELNS1_3gpuE8ELNS1_3repE0EEENS1_30default_config_static_selectorELNS0_4arch9wavefront6targetE1EEEvSK_.has_indirect_call, 0
	.section	.AMDGPU.csdata,"",@progbits
; Kernel info:
; codeLenInByte = 0
; TotalNumSgprs: 6
; NumVgprs: 0
; NumAgprs: 0
; TotalNumVgprs: 0
; ScratchSize: 0
; MemoryBound: 0
; FloatMode: 240
; IeeeMode: 1
; LDSByteSize: 0 bytes/workgroup (compile time only)
; SGPRBlocks: 0
; VGPRBlocks: 0
; NumSGPRsForWavesPerEU: 6
; NumVGPRsForWavesPerEU: 1
; AccumOffset: 4
; Occupancy: 8
; WaveLimiterHint : 0
; COMPUTE_PGM_RSRC2:SCRATCH_EN: 0
; COMPUTE_PGM_RSRC2:USER_SGPR: 2
; COMPUTE_PGM_RSRC2:TRAP_HANDLER: 0
; COMPUTE_PGM_RSRC2:TGID_X_EN: 1
; COMPUTE_PGM_RSRC2:TGID_Y_EN: 0
; COMPUTE_PGM_RSRC2:TGID_Z_EN: 0
; COMPUTE_PGM_RSRC2:TIDIG_COMP_CNT: 0
; COMPUTE_PGM_RSRC3_GFX90A:ACCUM_OFFSET: 0
; COMPUTE_PGM_RSRC3_GFX90A:TG_SPLIT: 0
	.section	.text._ZN7rocprim17ROCPRIM_400000_NS6detail17trampoline_kernelINS0_14default_configENS1_22reduce_config_selectorIiEEZNS1_11reduce_implILb1ES3_N6thrust23THRUST_200600_302600_NS6detail15normal_iteratorINS8_10device_ptrIiEEEEPii9plus_mod3IiEEE10hipError_tPvRmT1_T2_T3_mT4_P12ihipStream_tbEUlT_E1_NS1_11comp_targetILNS1_3genE3ELNS1_11target_archE908ELNS1_3gpuE7ELNS1_3repE0EEENS1_30default_config_static_selectorELNS0_4arch9wavefront6targetE1EEEvSK_,"axG",@progbits,_ZN7rocprim17ROCPRIM_400000_NS6detail17trampoline_kernelINS0_14default_configENS1_22reduce_config_selectorIiEEZNS1_11reduce_implILb1ES3_N6thrust23THRUST_200600_302600_NS6detail15normal_iteratorINS8_10device_ptrIiEEEEPii9plus_mod3IiEEE10hipError_tPvRmT1_T2_T3_mT4_P12ihipStream_tbEUlT_E1_NS1_11comp_targetILNS1_3genE3ELNS1_11target_archE908ELNS1_3gpuE7ELNS1_3repE0EEENS1_30default_config_static_selectorELNS0_4arch9wavefront6targetE1EEEvSK_,comdat
	.protected	_ZN7rocprim17ROCPRIM_400000_NS6detail17trampoline_kernelINS0_14default_configENS1_22reduce_config_selectorIiEEZNS1_11reduce_implILb1ES3_N6thrust23THRUST_200600_302600_NS6detail15normal_iteratorINS8_10device_ptrIiEEEEPii9plus_mod3IiEEE10hipError_tPvRmT1_T2_T3_mT4_P12ihipStream_tbEUlT_E1_NS1_11comp_targetILNS1_3genE3ELNS1_11target_archE908ELNS1_3gpuE7ELNS1_3repE0EEENS1_30default_config_static_selectorELNS0_4arch9wavefront6targetE1EEEvSK_ ; -- Begin function _ZN7rocprim17ROCPRIM_400000_NS6detail17trampoline_kernelINS0_14default_configENS1_22reduce_config_selectorIiEEZNS1_11reduce_implILb1ES3_N6thrust23THRUST_200600_302600_NS6detail15normal_iteratorINS8_10device_ptrIiEEEEPii9plus_mod3IiEEE10hipError_tPvRmT1_T2_T3_mT4_P12ihipStream_tbEUlT_E1_NS1_11comp_targetILNS1_3genE3ELNS1_11target_archE908ELNS1_3gpuE7ELNS1_3repE0EEENS1_30default_config_static_selectorELNS0_4arch9wavefront6targetE1EEEvSK_
	.globl	_ZN7rocprim17ROCPRIM_400000_NS6detail17trampoline_kernelINS0_14default_configENS1_22reduce_config_selectorIiEEZNS1_11reduce_implILb1ES3_N6thrust23THRUST_200600_302600_NS6detail15normal_iteratorINS8_10device_ptrIiEEEEPii9plus_mod3IiEEE10hipError_tPvRmT1_T2_T3_mT4_P12ihipStream_tbEUlT_E1_NS1_11comp_targetILNS1_3genE3ELNS1_11target_archE908ELNS1_3gpuE7ELNS1_3repE0EEENS1_30default_config_static_selectorELNS0_4arch9wavefront6targetE1EEEvSK_
	.p2align	8
	.type	_ZN7rocprim17ROCPRIM_400000_NS6detail17trampoline_kernelINS0_14default_configENS1_22reduce_config_selectorIiEEZNS1_11reduce_implILb1ES3_N6thrust23THRUST_200600_302600_NS6detail15normal_iteratorINS8_10device_ptrIiEEEEPii9plus_mod3IiEEE10hipError_tPvRmT1_T2_T3_mT4_P12ihipStream_tbEUlT_E1_NS1_11comp_targetILNS1_3genE3ELNS1_11target_archE908ELNS1_3gpuE7ELNS1_3repE0EEENS1_30default_config_static_selectorELNS0_4arch9wavefront6targetE1EEEvSK_,@function
_ZN7rocprim17ROCPRIM_400000_NS6detail17trampoline_kernelINS0_14default_configENS1_22reduce_config_selectorIiEEZNS1_11reduce_implILb1ES3_N6thrust23THRUST_200600_302600_NS6detail15normal_iteratorINS8_10device_ptrIiEEEEPii9plus_mod3IiEEE10hipError_tPvRmT1_T2_T3_mT4_P12ihipStream_tbEUlT_E1_NS1_11comp_targetILNS1_3genE3ELNS1_11target_archE908ELNS1_3gpuE7ELNS1_3repE0EEENS1_30default_config_static_selectorELNS0_4arch9wavefront6targetE1EEEvSK_: ; @_ZN7rocprim17ROCPRIM_400000_NS6detail17trampoline_kernelINS0_14default_configENS1_22reduce_config_selectorIiEEZNS1_11reduce_implILb1ES3_N6thrust23THRUST_200600_302600_NS6detail15normal_iteratorINS8_10device_ptrIiEEEEPii9plus_mod3IiEEE10hipError_tPvRmT1_T2_T3_mT4_P12ihipStream_tbEUlT_E1_NS1_11comp_targetILNS1_3genE3ELNS1_11target_archE908ELNS1_3gpuE7ELNS1_3repE0EEENS1_30default_config_static_selectorELNS0_4arch9wavefront6targetE1EEEvSK_
; %bb.0:
	.section	.rodata,"a",@progbits
	.p2align	6, 0x0
	.amdhsa_kernel _ZN7rocprim17ROCPRIM_400000_NS6detail17trampoline_kernelINS0_14default_configENS1_22reduce_config_selectorIiEEZNS1_11reduce_implILb1ES3_N6thrust23THRUST_200600_302600_NS6detail15normal_iteratorINS8_10device_ptrIiEEEEPii9plus_mod3IiEEE10hipError_tPvRmT1_T2_T3_mT4_P12ihipStream_tbEUlT_E1_NS1_11comp_targetILNS1_3genE3ELNS1_11target_archE908ELNS1_3gpuE7ELNS1_3repE0EEENS1_30default_config_static_selectorELNS0_4arch9wavefront6targetE1EEEvSK_
		.amdhsa_group_segment_fixed_size 0
		.amdhsa_private_segment_fixed_size 0
		.amdhsa_kernarg_size 48
		.amdhsa_user_sgpr_count 2
		.amdhsa_user_sgpr_dispatch_ptr 0
		.amdhsa_user_sgpr_queue_ptr 0
		.amdhsa_user_sgpr_kernarg_segment_ptr 1
		.amdhsa_user_sgpr_dispatch_id 0
		.amdhsa_user_sgpr_kernarg_preload_length 0
		.amdhsa_user_sgpr_kernarg_preload_offset 0
		.amdhsa_user_sgpr_private_segment_size 0
		.amdhsa_uses_dynamic_stack 0
		.amdhsa_enable_private_segment 0
		.amdhsa_system_sgpr_workgroup_id_x 1
		.amdhsa_system_sgpr_workgroup_id_y 0
		.amdhsa_system_sgpr_workgroup_id_z 0
		.amdhsa_system_sgpr_workgroup_info 0
		.amdhsa_system_vgpr_workitem_id 0
		.amdhsa_next_free_vgpr 1
		.amdhsa_next_free_sgpr 0
		.amdhsa_accum_offset 4
		.amdhsa_reserve_vcc 0
		.amdhsa_float_round_mode_32 0
		.amdhsa_float_round_mode_16_64 0
		.amdhsa_float_denorm_mode_32 3
		.amdhsa_float_denorm_mode_16_64 3
		.amdhsa_dx10_clamp 1
		.amdhsa_ieee_mode 1
		.amdhsa_fp16_overflow 0
		.amdhsa_tg_split 0
		.amdhsa_exception_fp_ieee_invalid_op 0
		.amdhsa_exception_fp_denorm_src 0
		.amdhsa_exception_fp_ieee_div_zero 0
		.amdhsa_exception_fp_ieee_overflow 0
		.amdhsa_exception_fp_ieee_underflow 0
		.amdhsa_exception_fp_ieee_inexact 0
		.amdhsa_exception_int_div_zero 0
	.end_amdhsa_kernel
	.section	.text._ZN7rocprim17ROCPRIM_400000_NS6detail17trampoline_kernelINS0_14default_configENS1_22reduce_config_selectorIiEEZNS1_11reduce_implILb1ES3_N6thrust23THRUST_200600_302600_NS6detail15normal_iteratorINS8_10device_ptrIiEEEEPii9plus_mod3IiEEE10hipError_tPvRmT1_T2_T3_mT4_P12ihipStream_tbEUlT_E1_NS1_11comp_targetILNS1_3genE3ELNS1_11target_archE908ELNS1_3gpuE7ELNS1_3repE0EEENS1_30default_config_static_selectorELNS0_4arch9wavefront6targetE1EEEvSK_,"axG",@progbits,_ZN7rocprim17ROCPRIM_400000_NS6detail17trampoline_kernelINS0_14default_configENS1_22reduce_config_selectorIiEEZNS1_11reduce_implILb1ES3_N6thrust23THRUST_200600_302600_NS6detail15normal_iteratorINS8_10device_ptrIiEEEEPii9plus_mod3IiEEE10hipError_tPvRmT1_T2_T3_mT4_P12ihipStream_tbEUlT_E1_NS1_11comp_targetILNS1_3genE3ELNS1_11target_archE908ELNS1_3gpuE7ELNS1_3repE0EEENS1_30default_config_static_selectorELNS0_4arch9wavefront6targetE1EEEvSK_,comdat
.Lfunc_end941:
	.size	_ZN7rocprim17ROCPRIM_400000_NS6detail17trampoline_kernelINS0_14default_configENS1_22reduce_config_selectorIiEEZNS1_11reduce_implILb1ES3_N6thrust23THRUST_200600_302600_NS6detail15normal_iteratorINS8_10device_ptrIiEEEEPii9plus_mod3IiEEE10hipError_tPvRmT1_T2_T3_mT4_P12ihipStream_tbEUlT_E1_NS1_11comp_targetILNS1_3genE3ELNS1_11target_archE908ELNS1_3gpuE7ELNS1_3repE0EEENS1_30default_config_static_selectorELNS0_4arch9wavefront6targetE1EEEvSK_, .Lfunc_end941-_ZN7rocprim17ROCPRIM_400000_NS6detail17trampoline_kernelINS0_14default_configENS1_22reduce_config_selectorIiEEZNS1_11reduce_implILb1ES3_N6thrust23THRUST_200600_302600_NS6detail15normal_iteratorINS8_10device_ptrIiEEEEPii9plus_mod3IiEEE10hipError_tPvRmT1_T2_T3_mT4_P12ihipStream_tbEUlT_E1_NS1_11comp_targetILNS1_3genE3ELNS1_11target_archE908ELNS1_3gpuE7ELNS1_3repE0EEENS1_30default_config_static_selectorELNS0_4arch9wavefront6targetE1EEEvSK_
                                        ; -- End function
	.set _ZN7rocprim17ROCPRIM_400000_NS6detail17trampoline_kernelINS0_14default_configENS1_22reduce_config_selectorIiEEZNS1_11reduce_implILb1ES3_N6thrust23THRUST_200600_302600_NS6detail15normal_iteratorINS8_10device_ptrIiEEEEPii9plus_mod3IiEEE10hipError_tPvRmT1_T2_T3_mT4_P12ihipStream_tbEUlT_E1_NS1_11comp_targetILNS1_3genE3ELNS1_11target_archE908ELNS1_3gpuE7ELNS1_3repE0EEENS1_30default_config_static_selectorELNS0_4arch9wavefront6targetE1EEEvSK_.num_vgpr, 0
	.set _ZN7rocprim17ROCPRIM_400000_NS6detail17trampoline_kernelINS0_14default_configENS1_22reduce_config_selectorIiEEZNS1_11reduce_implILb1ES3_N6thrust23THRUST_200600_302600_NS6detail15normal_iteratorINS8_10device_ptrIiEEEEPii9plus_mod3IiEEE10hipError_tPvRmT1_T2_T3_mT4_P12ihipStream_tbEUlT_E1_NS1_11comp_targetILNS1_3genE3ELNS1_11target_archE908ELNS1_3gpuE7ELNS1_3repE0EEENS1_30default_config_static_selectorELNS0_4arch9wavefront6targetE1EEEvSK_.num_agpr, 0
	.set _ZN7rocprim17ROCPRIM_400000_NS6detail17trampoline_kernelINS0_14default_configENS1_22reduce_config_selectorIiEEZNS1_11reduce_implILb1ES3_N6thrust23THRUST_200600_302600_NS6detail15normal_iteratorINS8_10device_ptrIiEEEEPii9plus_mod3IiEEE10hipError_tPvRmT1_T2_T3_mT4_P12ihipStream_tbEUlT_E1_NS1_11comp_targetILNS1_3genE3ELNS1_11target_archE908ELNS1_3gpuE7ELNS1_3repE0EEENS1_30default_config_static_selectorELNS0_4arch9wavefront6targetE1EEEvSK_.numbered_sgpr, 0
	.set _ZN7rocprim17ROCPRIM_400000_NS6detail17trampoline_kernelINS0_14default_configENS1_22reduce_config_selectorIiEEZNS1_11reduce_implILb1ES3_N6thrust23THRUST_200600_302600_NS6detail15normal_iteratorINS8_10device_ptrIiEEEEPii9plus_mod3IiEEE10hipError_tPvRmT1_T2_T3_mT4_P12ihipStream_tbEUlT_E1_NS1_11comp_targetILNS1_3genE3ELNS1_11target_archE908ELNS1_3gpuE7ELNS1_3repE0EEENS1_30default_config_static_selectorELNS0_4arch9wavefront6targetE1EEEvSK_.num_named_barrier, 0
	.set _ZN7rocprim17ROCPRIM_400000_NS6detail17trampoline_kernelINS0_14default_configENS1_22reduce_config_selectorIiEEZNS1_11reduce_implILb1ES3_N6thrust23THRUST_200600_302600_NS6detail15normal_iteratorINS8_10device_ptrIiEEEEPii9plus_mod3IiEEE10hipError_tPvRmT1_T2_T3_mT4_P12ihipStream_tbEUlT_E1_NS1_11comp_targetILNS1_3genE3ELNS1_11target_archE908ELNS1_3gpuE7ELNS1_3repE0EEENS1_30default_config_static_selectorELNS0_4arch9wavefront6targetE1EEEvSK_.private_seg_size, 0
	.set _ZN7rocprim17ROCPRIM_400000_NS6detail17trampoline_kernelINS0_14default_configENS1_22reduce_config_selectorIiEEZNS1_11reduce_implILb1ES3_N6thrust23THRUST_200600_302600_NS6detail15normal_iteratorINS8_10device_ptrIiEEEEPii9plus_mod3IiEEE10hipError_tPvRmT1_T2_T3_mT4_P12ihipStream_tbEUlT_E1_NS1_11comp_targetILNS1_3genE3ELNS1_11target_archE908ELNS1_3gpuE7ELNS1_3repE0EEENS1_30default_config_static_selectorELNS0_4arch9wavefront6targetE1EEEvSK_.uses_vcc, 0
	.set _ZN7rocprim17ROCPRIM_400000_NS6detail17trampoline_kernelINS0_14default_configENS1_22reduce_config_selectorIiEEZNS1_11reduce_implILb1ES3_N6thrust23THRUST_200600_302600_NS6detail15normal_iteratorINS8_10device_ptrIiEEEEPii9plus_mod3IiEEE10hipError_tPvRmT1_T2_T3_mT4_P12ihipStream_tbEUlT_E1_NS1_11comp_targetILNS1_3genE3ELNS1_11target_archE908ELNS1_3gpuE7ELNS1_3repE0EEENS1_30default_config_static_selectorELNS0_4arch9wavefront6targetE1EEEvSK_.uses_flat_scratch, 0
	.set _ZN7rocprim17ROCPRIM_400000_NS6detail17trampoline_kernelINS0_14default_configENS1_22reduce_config_selectorIiEEZNS1_11reduce_implILb1ES3_N6thrust23THRUST_200600_302600_NS6detail15normal_iteratorINS8_10device_ptrIiEEEEPii9plus_mod3IiEEE10hipError_tPvRmT1_T2_T3_mT4_P12ihipStream_tbEUlT_E1_NS1_11comp_targetILNS1_3genE3ELNS1_11target_archE908ELNS1_3gpuE7ELNS1_3repE0EEENS1_30default_config_static_selectorELNS0_4arch9wavefront6targetE1EEEvSK_.has_dyn_sized_stack, 0
	.set _ZN7rocprim17ROCPRIM_400000_NS6detail17trampoline_kernelINS0_14default_configENS1_22reduce_config_selectorIiEEZNS1_11reduce_implILb1ES3_N6thrust23THRUST_200600_302600_NS6detail15normal_iteratorINS8_10device_ptrIiEEEEPii9plus_mod3IiEEE10hipError_tPvRmT1_T2_T3_mT4_P12ihipStream_tbEUlT_E1_NS1_11comp_targetILNS1_3genE3ELNS1_11target_archE908ELNS1_3gpuE7ELNS1_3repE0EEENS1_30default_config_static_selectorELNS0_4arch9wavefront6targetE1EEEvSK_.has_recursion, 0
	.set _ZN7rocprim17ROCPRIM_400000_NS6detail17trampoline_kernelINS0_14default_configENS1_22reduce_config_selectorIiEEZNS1_11reduce_implILb1ES3_N6thrust23THRUST_200600_302600_NS6detail15normal_iteratorINS8_10device_ptrIiEEEEPii9plus_mod3IiEEE10hipError_tPvRmT1_T2_T3_mT4_P12ihipStream_tbEUlT_E1_NS1_11comp_targetILNS1_3genE3ELNS1_11target_archE908ELNS1_3gpuE7ELNS1_3repE0EEENS1_30default_config_static_selectorELNS0_4arch9wavefront6targetE1EEEvSK_.has_indirect_call, 0
	.section	.AMDGPU.csdata,"",@progbits
; Kernel info:
; codeLenInByte = 0
; TotalNumSgprs: 6
; NumVgprs: 0
; NumAgprs: 0
; TotalNumVgprs: 0
; ScratchSize: 0
; MemoryBound: 0
; FloatMode: 240
; IeeeMode: 1
; LDSByteSize: 0 bytes/workgroup (compile time only)
; SGPRBlocks: 0
; VGPRBlocks: 0
; NumSGPRsForWavesPerEU: 6
; NumVGPRsForWavesPerEU: 1
; AccumOffset: 4
; Occupancy: 8
; WaveLimiterHint : 0
; COMPUTE_PGM_RSRC2:SCRATCH_EN: 0
; COMPUTE_PGM_RSRC2:USER_SGPR: 2
; COMPUTE_PGM_RSRC2:TRAP_HANDLER: 0
; COMPUTE_PGM_RSRC2:TGID_X_EN: 1
; COMPUTE_PGM_RSRC2:TGID_Y_EN: 0
; COMPUTE_PGM_RSRC2:TGID_Z_EN: 0
; COMPUTE_PGM_RSRC2:TIDIG_COMP_CNT: 0
; COMPUTE_PGM_RSRC3_GFX90A:ACCUM_OFFSET: 0
; COMPUTE_PGM_RSRC3_GFX90A:TG_SPLIT: 0
	.section	.text._ZN7rocprim17ROCPRIM_400000_NS6detail17trampoline_kernelINS0_14default_configENS1_22reduce_config_selectorIiEEZNS1_11reduce_implILb1ES3_N6thrust23THRUST_200600_302600_NS6detail15normal_iteratorINS8_10device_ptrIiEEEEPii9plus_mod3IiEEE10hipError_tPvRmT1_T2_T3_mT4_P12ihipStream_tbEUlT_E1_NS1_11comp_targetILNS1_3genE2ELNS1_11target_archE906ELNS1_3gpuE6ELNS1_3repE0EEENS1_30default_config_static_selectorELNS0_4arch9wavefront6targetE1EEEvSK_,"axG",@progbits,_ZN7rocprim17ROCPRIM_400000_NS6detail17trampoline_kernelINS0_14default_configENS1_22reduce_config_selectorIiEEZNS1_11reduce_implILb1ES3_N6thrust23THRUST_200600_302600_NS6detail15normal_iteratorINS8_10device_ptrIiEEEEPii9plus_mod3IiEEE10hipError_tPvRmT1_T2_T3_mT4_P12ihipStream_tbEUlT_E1_NS1_11comp_targetILNS1_3genE2ELNS1_11target_archE906ELNS1_3gpuE6ELNS1_3repE0EEENS1_30default_config_static_selectorELNS0_4arch9wavefront6targetE1EEEvSK_,comdat
	.protected	_ZN7rocprim17ROCPRIM_400000_NS6detail17trampoline_kernelINS0_14default_configENS1_22reduce_config_selectorIiEEZNS1_11reduce_implILb1ES3_N6thrust23THRUST_200600_302600_NS6detail15normal_iteratorINS8_10device_ptrIiEEEEPii9plus_mod3IiEEE10hipError_tPvRmT1_T2_T3_mT4_P12ihipStream_tbEUlT_E1_NS1_11comp_targetILNS1_3genE2ELNS1_11target_archE906ELNS1_3gpuE6ELNS1_3repE0EEENS1_30default_config_static_selectorELNS0_4arch9wavefront6targetE1EEEvSK_ ; -- Begin function _ZN7rocprim17ROCPRIM_400000_NS6detail17trampoline_kernelINS0_14default_configENS1_22reduce_config_selectorIiEEZNS1_11reduce_implILb1ES3_N6thrust23THRUST_200600_302600_NS6detail15normal_iteratorINS8_10device_ptrIiEEEEPii9plus_mod3IiEEE10hipError_tPvRmT1_T2_T3_mT4_P12ihipStream_tbEUlT_E1_NS1_11comp_targetILNS1_3genE2ELNS1_11target_archE906ELNS1_3gpuE6ELNS1_3repE0EEENS1_30default_config_static_selectorELNS0_4arch9wavefront6targetE1EEEvSK_
	.globl	_ZN7rocprim17ROCPRIM_400000_NS6detail17trampoline_kernelINS0_14default_configENS1_22reduce_config_selectorIiEEZNS1_11reduce_implILb1ES3_N6thrust23THRUST_200600_302600_NS6detail15normal_iteratorINS8_10device_ptrIiEEEEPii9plus_mod3IiEEE10hipError_tPvRmT1_T2_T3_mT4_P12ihipStream_tbEUlT_E1_NS1_11comp_targetILNS1_3genE2ELNS1_11target_archE906ELNS1_3gpuE6ELNS1_3repE0EEENS1_30default_config_static_selectorELNS0_4arch9wavefront6targetE1EEEvSK_
	.p2align	8
	.type	_ZN7rocprim17ROCPRIM_400000_NS6detail17trampoline_kernelINS0_14default_configENS1_22reduce_config_selectorIiEEZNS1_11reduce_implILb1ES3_N6thrust23THRUST_200600_302600_NS6detail15normal_iteratorINS8_10device_ptrIiEEEEPii9plus_mod3IiEEE10hipError_tPvRmT1_T2_T3_mT4_P12ihipStream_tbEUlT_E1_NS1_11comp_targetILNS1_3genE2ELNS1_11target_archE906ELNS1_3gpuE6ELNS1_3repE0EEENS1_30default_config_static_selectorELNS0_4arch9wavefront6targetE1EEEvSK_,@function
_ZN7rocprim17ROCPRIM_400000_NS6detail17trampoline_kernelINS0_14default_configENS1_22reduce_config_selectorIiEEZNS1_11reduce_implILb1ES3_N6thrust23THRUST_200600_302600_NS6detail15normal_iteratorINS8_10device_ptrIiEEEEPii9plus_mod3IiEEE10hipError_tPvRmT1_T2_T3_mT4_P12ihipStream_tbEUlT_E1_NS1_11comp_targetILNS1_3genE2ELNS1_11target_archE906ELNS1_3gpuE6ELNS1_3repE0EEENS1_30default_config_static_selectorELNS0_4arch9wavefront6targetE1EEEvSK_: ; @_ZN7rocprim17ROCPRIM_400000_NS6detail17trampoline_kernelINS0_14default_configENS1_22reduce_config_selectorIiEEZNS1_11reduce_implILb1ES3_N6thrust23THRUST_200600_302600_NS6detail15normal_iteratorINS8_10device_ptrIiEEEEPii9plus_mod3IiEEE10hipError_tPvRmT1_T2_T3_mT4_P12ihipStream_tbEUlT_E1_NS1_11comp_targetILNS1_3genE2ELNS1_11target_archE906ELNS1_3gpuE6ELNS1_3repE0EEENS1_30default_config_static_selectorELNS0_4arch9wavefront6targetE1EEEvSK_
; %bb.0:
	.section	.rodata,"a",@progbits
	.p2align	6, 0x0
	.amdhsa_kernel _ZN7rocprim17ROCPRIM_400000_NS6detail17trampoline_kernelINS0_14default_configENS1_22reduce_config_selectorIiEEZNS1_11reduce_implILb1ES3_N6thrust23THRUST_200600_302600_NS6detail15normal_iteratorINS8_10device_ptrIiEEEEPii9plus_mod3IiEEE10hipError_tPvRmT1_T2_T3_mT4_P12ihipStream_tbEUlT_E1_NS1_11comp_targetILNS1_3genE2ELNS1_11target_archE906ELNS1_3gpuE6ELNS1_3repE0EEENS1_30default_config_static_selectorELNS0_4arch9wavefront6targetE1EEEvSK_
		.amdhsa_group_segment_fixed_size 0
		.amdhsa_private_segment_fixed_size 0
		.amdhsa_kernarg_size 48
		.amdhsa_user_sgpr_count 2
		.amdhsa_user_sgpr_dispatch_ptr 0
		.amdhsa_user_sgpr_queue_ptr 0
		.amdhsa_user_sgpr_kernarg_segment_ptr 1
		.amdhsa_user_sgpr_dispatch_id 0
		.amdhsa_user_sgpr_kernarg_preload_length 0
		.amdhsa_user_sgpr_kernarg_preload_offset 0
		.amdhsa_user_sgpr_private_segment_size 0
		.amdhsa_uses_dynamic_stack 0
		.amdhsa_enable_private_segment 0
		.amdhsa_system_sgpr_workgroup_id_x 1
		.amdhsa_system_sgpr_workgroup_id_y 0
		.amdhsa_system_sgpr_workgroup_id_z 0
		.amdhsa_system_sgpr_workgroup_info 0
		.amdhsa_system_vgpr_workitem_id 0
		.amdhsa_next_free_vgpr 1
		.amdhsa_next_free_sgpr 0
		.amdhsa_accum_offset 4
		.amdhsa_reserve_vcc 0
		.amdhsa_float_round_mode_32 0
		.amdhsa_float_round_mode_16_64 0
		.amdhsa_float_denorm_mode_32 3
		.amdhsa_float_denorm_mode_16_64 3
		.amdhsa_dx10_clamp 1
		.amdhsa_ieee_mode 1
		.amdhsa_fp16_overflow 0
		.amdhsa_tg_split 0
		.amdhsa_exception_fp_ieee_invalid_op 0
		.amdhsa_exception_fp_denorm_src 0
		.amdhsa_exception_fp_ieee_div_zero 0
		.amdhsa_exception_fp_ieee_overflow 0
		.amdhsa_exception_fp_ieee_underflow 0
		.amdhsa_exception_fp_ieee_inexact 0
		.amdhsa_exception_int_div_zero 0
	.end_amdhsa_kernel
	.section	.text._ZN7rocprim17ROCPRIM_400000_NS6detail17trampoline_kernelINS0_14default_configENS1_22reduce_config_selectorIiEEZNS1_11reduce_implILb1ES3_N6thrust23THRUST_200600_302600_NS6detail15normal_iteratorINS8_10device_ptrIiEEEEPii9plus_mod3IiEEE10hipError_tPvRmT1_T2_T3_mT4_P12ihipStream_tbEUlT_E1_NS1_11comp_targetILNS1_3genE2ELNS1_11target_archE906ELNS1_3gpuE6ELNS1_3repE0EEENS1_30default_config_static_selectorELNS0_4arch9wavefront6targetE1EEEvSK_,"axG",@progbits,_ZN7rocprim17ROCPRIM_400000_NS6detail17trampoline_kernelINS0_14default_configENS1_22reduce_config_selectorIiEEZNS1_11reduce_implILb1ES3_N6thrust23THRUST_200600_302600_NS6detail15normal_iteratorINS8_10device_ptrIiEEEEPii9plus_mod3IiEEE10hipError_tPvRmT1_T2_T3_mT4_P12ihipStream_tbEUlT_E1_NS1_11comp_targetILNS1_3genE2ELNS1_11target_archE906ELNS1_3gpuE6ELNS1_3repE0EEENS1_30default_config_static_selectorELNS0_4arch9wavefront6targetE1EEEvSK_,comdat
.Lfunc_end942:
	.size	_ZN7rocprim17ROCPRIM_400000_NS6detail17trampoline_kernelINS0_14default_configENS1_22reduce_config_selectorIiEEZNS1_11reduce_implILb1ES3_N6thrust23THRUST_200600_302600_NS6detail15normal_iteratorINS8_10device_ptrIiEEEEPii9plus_mod3IiEEE10hipError_tPvRmT1_T2_T3_mT4_P12ihipStream_tbEUlT_E1_NS1_11comp_targetILNS1_3genE2ELNS1_11target_archE906ELNS1_3gpuE6ELNS1_3repE0EEENS1_30default_config_static_selectorELNS0_4arch9wavefront6targetE1EEEvSK_, .Lfunc_end942-_ZN7rocprim17ROCPRIM_400000_NS6detail17trampoline_kernelINS0_14default_configENS1_22reduce_config_selectorIiEEZNS1_11reduce_implILb1ES3_N6thrust23THRUST_200600_302600_NS6detail15normal_iteratorINS8_10device_ptrIiEEEEPii9plus_mod3IiEEE10hipError_tPvRmT1_T2_T3_mT4_P12ihipStream_tbEUlT_E1_NS1_11comp_targetILNS1_3genE2ELNS1_11target_archE906ELNS1_3gpuE6ELNS1_3repE0EEENS1_30default_config_static_selectorELNS0_4arch9wavefront6targetE1EEEvSK_
                                        ; -- End function
	.set _ZN7rocprim17ROCPRIM_400000_NS6detail17trampoline_kernelINS0_14default_configENS1_22reduce_config_selectorIiEEZNS1_11reduce_implILb1ES3_N6thrust23THRUST_200600_302600_NS6detail15normal_iteratorINS8_10device_ptrIiEEEEPii9plus_mod3IiEEE10hipError_tPvRmT1_T2_T3_mT4_P12ihipStream_tbEUlT_E1_NS1_11comp_targetILNS1_3genE2ELNS1_11target_archE906ELNS1_3gpuE6ELNS1_3repE0EEENS1_30default_config_static_selectorELNS0_4arch9wavefront6targetE1EEEvSK_.num_vgpr, 0
	.set _ZN7rocprim17ROCPRIM_400000_NS6detail17trampoline_kernelINS0_14default_configENS1_22reduce_config_selectorIiEEZNS1_11reduce_implILb1ES3_N6thrust23THRUST_200600_302600_NS6detail15normal_iteratorINS8_10device_ptrIiEEEEPii9plus_mod3IiEEE10hipError_tPvRmT1_T2_T3_mT4_P12ihipStream_tbEUlT_E1_NS1_11comp_targetILNS1_3genE2ELNS1_11target_archE906ELNS1_3gpuE6ELNS1_3repE0EEENS1_30default_config_static_selectorELNS0_4arch9wavefront6targetE1EEEvSK_.num_agpr, 0
	.set _ZN7rocprim17ROCPRIM_400000_NS6detail17trampoline_kernelINS0_14default_configENS1_22reduce_config_selectorIiEEZNS1_11reduce_implILb1ES3_N6thrust23THRUST_200600_302600_NS6detail15normal_iteratorINS8_10device_ptrIiEEEEPii9plus_mod3IiEEE10hipError_tPvRmT1_T2_T3_mT4_P12ihipStream_tbEUlT_E1_NS1_11comp_targetILNS1_3genE2ELNS1_11target_archE906ELNS1_3gpuE6ELNS1_3repE0EEENS1_30default_config_static_selectorELNS0_4arch9wavefront6targetE1EEEvSK_.numbered_sgpr, 0
	.set _ZN7rocprim17ROCPRIM_400000_NS6detail17trampoline_kernelINS0_14default_configENS1_22reduce_config_selectorIiEEZNS1_11reduce_implILb1ES3_N6thrust23THRUST_200600_302600_NS6detail15normal_iteratorINS8_10device_ptrIiEEEEPii9plus_mod3IiEEE10hipError_tPvRmT1_T2_T3_mT4_P12ihipStream_tbEUlT_E1_NS1_11comp_targetILNS1_3genE2ELNS1_11target_archE906ELNS1_3gpuE6ELNS1_3repE0EEENS1_30default_config_static_selectorELNS0_4arch9wavefront6targetE1EEEvSK_.num_named_barrier, 0
	.set _ZN7rocprim17ROCPRIM_400000_NS6detail17trampoline_kernelINS0_14default_configENS1_22reduce_config_selectorIiEEZNS1_11reduce_implILb1ES3_N6thrust23THRUST_200600_302600_NS6detail15normal_iteratorINS8_10device_ptrIiEEEEPii9plus_mod3IiEEE10hipError_tPvRmT1_T2_T3_mT4_P12ihipStream_tbEUlT_E1_NS1_11comp_targetILNS1_3genE2ELNS1_11target_archE906ELNS1_3gpuE6ELNS1_3repE0EEENS1_30default_config_static_selectorELNS0_4arch9wavefront6targetE1EEEvSK_.private_seg_size, 0
	.set _ZN7rocprim17ROCPRIM_400000_NS6detail17trampoline_kernelINS0_14default_configENS1_22reduce_config_selectorIiEEZNS1_11reduce_implILb1ES3_N6thrust23THRUST_200600_302600_NS6detail15normal_iteratorINS8_10device_ptrIiEEEEPii9plus_mod3IiEEE10hipError_tPvRmT1_T2_T3_mT4_P12ihipStream_tbEUlT_E1_NS1_11comp_targetILNS1_3genE2ELNS1_11target_archE906ELNS1_3gpuE6ELNS1_3repE0EEENS1_30default_config_static_selectorELNS0_4arch9wavefront6targetE1EEEvSK_.uses_vcc, 0
	.set _ZN7rocprim17ROCPRIM_400000_NS6detail17trampoline_kernelINS0_14default_configENS1_22reduce_config_selectorIiEEZNS1_11reduce_implILb1ES3_N6thrust23THRUST_200600_302600_NS6detail15normal_iteratorINS8_10device_ptrIiEEEEPii9plus_mod3IiEEE10hipError_tPvRmT1_T2_T3_mT4_P12ihipStream_tbEUlT_E1_NS1_11comp_targetILNS1_3genE2ELNS1_11target_archE906ELNS1_3gpuE6ELNS1_3repE0EEENS1_30default_config_static_selectorELNS0_4arch9wavefront6targetE1EEEvSK_.uses_flat_scratch, 0
	.set _ZN7rocprim17ROCPRIM_400000_NS6detail17trampoline_kernelINS0_14default_configENS1_22reduce_config_selectorIiEEZNS1_11reduce_implILb1ES3_N6thrust23THRUST_200600_302600_NS6detail15normal_iteratorINS8_10device_ptrIiEEEEPii9plus_mod3IiEEE10hipError_tPvRmT1_T2_T3_mT4_P12ihipStream_tbEUlT_E1_NS1_11comp_targetILNS1_3genE2ELNS1_11target_archE906ELNS1_3gpuE6ELNS1_3repE0EEENS1_30default_config_static_selectorELNS0_4arch9wavefront6targetE1EEEvSK_.has_dyn_sized_stack, 0
	.set _ZN7rocprim17ROCPRIM_400000_NS6detail17trampoline_kernelINS0_14default_configENS1_22reduce_config_selectorIiEEZNS1_11reduce_implILb1ES3_N6thrust23THRUST_200600_302600_NS6detail15normal_iteratorINS8_10device_ptrIiEEEEPii9plus_mod3IiEEE10hipError_tPvRmT1_T2_T3_mT4_P12ihipStream_tbEUlT_E1_NS1_11comp_targetILNS1_3genE2ELNS1_11target_archE906ELNS1_3gpuE6ELNS1_3repE0EEENS1_30default_config_static_selectorELNS0_4arch9wavefront6targetE1EEEvSK_.has_recursion, 0
	.set _ZN7rocprim17ROCPRIM_400000_NS6detail17trampoline_kernelINS0_14default_configENS1_22reduce_config_selectorIiEEZNS1_11reduce_implILb1ES3_N6thrust23THRUST_200600_302600_NS6detail15normal_iteratorINS8_10device_ptrIiEEEEPii9plus_mod3IiEEE10hipError_tPvRmT1_T2_T3_mT4_P12ihipStream_tbEUlT_E1_NS1_11comp_targetILNS1_3genE2ELNS1_11target_archE906ELNS1_3gpuE6ELNS1_3repE0EEENS1_30default_config_static_selectorELNS0_4arch9wavefront6targetE1EEEvSK_.has_indirect_call, 0
	.section	.AMDGPU.csdata,"",@progbits
; Kernel info:
; codeLenInByte = 0
; TotalNumSgprs: 6
; NumVgprs: 0
; NumAgprs: 0
; TotalNumVgprs: 0
; ScratchSize: 0
; MemoryBound: 0
; FloatMode: 240
; IeeeMode: 1
; LDSByteSize: 0 bytes/workgroup (compile time only)
; SGPRBlocks: 0
; VGPRBlocks: 0
; NumSGPRsForWavesPerEU: 6
; NumVGPRsForWavesPerEU: 1
; AccumOffset: 4
; Occupancy: 8
; WaveLimiterHint : 0
; COMPUTE_PGM_RSRC2:SCRATCH_EN: 0
; COMPUTE_PGM_RSRC2:USER_SGPR: 2
; COMPUTE_PGM_RSRC2:TRAP_HANDLER: 0
; COMPUTE_PGM_RSRC2:TGID_X_EN: 1
; COMPUTE_PGM_RSRC2:TGID_Y_EN: 0
; COMPUTE_PGM_RSRC2:TGID_Z_EN: 0
; COMPUTE_PGM_RSRC2:TIDIG_COMP_CNT: 0
; COMPUTE_PGM_RSRC3_GFX90A:ACCUM_OFFSET: 0
; COMPUTE_PGM_RSRC3_GFX90A:TG_SPLIT: 0
	.section	.text._ZN7rocprim17ROCPRIM_400000_NS6detail17trampoline_kernelINS0_14default_configENS1_22reduce_config_selectorIiEEZNS1_11reduce_implILb1ES3_N6thrust23THRUST_200600_302600_NS6detail15normal_iteratorINS8_10device_ptrIiEEEEPii9plus_mod3IiEEE10hipError_tPvRmT1_T2_T3_mT4_P12ihipStream_tbEUlT_E1_NS1_11comp_targetILNS1_3genE10ELNS1_11target_archE1201ELNS1_3gpuE5ELNS1_3repE0EEENS1_30default_config_static_selectorELNS0_4arch9wavefront6targetE1EEEvSK_,"axG",@progbits,_ZN7rocprim17ROCPRIM_400000_NS6detail17trampoline_kernelINS0_14default_configENS1_22reduce_config_selectorIiEEZNS1_11reduce_implILb1ES3_N6thrust23THRUST_200600_302600_NS6detail15normal_iteratorINS8_10device_ptrIiEEEEPii9plus_mod3IiEEE10hipError_tPvRmT1_T2_T3_mT4_P12ihipStream_tbEUlT_E1_NS1_11comp_targetILNS1_3genE10ELNS1_11target_archE1201ELNS1_3gpuE5ELNS1_3repE0EEENS1_30default_config_static_selectorELNS0_4arch9wavefront6targetE1EEEvSK_,comdat
	.protected	_ZN7rocprim17ROCPRIM_400000_NS6detail17trampoline_kernelINS0_14default_configENS1_22reduce_config_selectorIiEEZNS1_11reduce_implILb1ES3_N6thrust23THRUST_200600_302600_NS6detail15normal_iteratorINS8_10device_ptrIiEEEEPii9plus_mod3IiEEE10hipError_tPvRmT1_T2_T3_mT4_P12ihipStream_tbEUlT_E1_NS1_11comp_targetILNS1_3genE10ELNS1_11target_archE1201ELNS1_3gpuE5ELNS1_3repE0EEENS1_30default_config_static_selectorELNS0_4arch9wavefront6targetE1EEEvSK_ ; -- Begin function _ZN7rocprim17ROCPRIM_400000_NS6detail17trampoline_kernelINS0_14default_configENS1_22reduce_config_selectorIiEEZNS1_11reduce_implILb1ES3_N6thrust23THRUST_200600_302600_NS6detail15normal_iteratorINS8_10device_ptrIiEEEEPii9plus_mod3IiEEE10hipError_tPvRmT1_T2_T3_mT4_P12ihipStream_tbEUlT_E1_NS1_11comp_targetILNS1_3genE10ELNS1_11target_archE1201ELNS1_3gpuE5ELNS1_3repE0EEENS1_30default_config_static_selectorELNS0_4arch9wavefront6targetE1EEEvSK_
	.globl	_ZN7rocprim17ROCPRIM_400000_NS6detail17trampoline_kernelINS0_14default_configENS1_22reduce_config_selectorIiEEZNS1_11reduce_implILb1ES3_N6thrust23THRUST_200600_302600_NS6detail15normal_iteratorINS8_10device_ptrIiEEEEPii9plus_mod3IiEEE10hipError_tPvRmT1_T2_T3_mT4_P12ihipStream_tbEUlT_E1_NS1_11comp_targetILNS1_3genE10ELNS1_11target_archE1201ELNS1_3gpuE5ELNS1_3repE0EEENS1_30default_config_static_selectorELNS0_4arch9wavefront6targetE1EEEvSK_
	.p2align	8
	.type	_ZN7rocprim17ROCPRIM_400000_NS6detail17trampoline_kernelINS0_14default_configENS1_22reduce_config_selectorIiEEZNS1_11reduce_implILb1ES3_N6thrust23THRUST_200600_302600_NS6detail15normal_iteratorINS8_10device_ptrIiEEEEPii9plus_mod3IiEEE10hipError_tPvRmT1_T2_T3_mT4_P12ihipStream_tbEUlT_E1_NS1_11comp_targetILNS1_3genE10ELNS1_11target_archE1201ELNS1_3gpuE5ELNS1_3repE0EEENS1_30default_config_static_selectorELNS0_4arch9wavefront6targetE1EEEvSK_,@function
_ZN7rocprim17ROCPRIM_400000_NS6detail17trampoline_kernelINS0_14default_configENS1_22reduce_config_selectorIiEEZNS1_11reduce_implILb1ES3_N6thrust23THRUST_200600_302600_NS6detail15normal_iteratorINS8_10device_ptrIiEEEEPii9plus_mod3IiEEE10hipError_tPvRmT1_T2_T3_mT4_P12ihipStream_tbEUlT_E1_NS1_11comp_targetILNS1_3genE10ELNS1_11target_archE1201ELNS1_3gpuE5ELNS1_3repE0EEENS1_30default_config_static_selectorELNS0_4arch9wavefront6targetE1EEEvSK_: ; @_ZN7rocprim17ROCPRIM_400000_NS6detail17trampoline_kernelINS0_14default_configENS1_22reduce_config_selectorIiEEZNS1_11reduce_implILb1ES3_N6thrust23THRUST_200600_302600_NS6detail15normal_iteratorINS8_10device_ptrIiEEEEPii9plus_mod3IiEEE10hipError_tPvRmT1_T2_T3_mT4_P12ihipStream_tbEUlT_E1_NS1_11comp_targetILNS1_3genE10ELNS1_11target_archE1201ELNS1_3gpuE5ELNS1_3repE0EEENS1_30default_config_static_selectorELNS0_4arch9wavefront6targetE1EEEvSK_
; %bb.0:
	.section	.rodata,"a",@progbits
	.p2align	6, 0x0
	.amdhsa_kernel _ZN7rocprim17ROCPRIM_400000_NS6detail17trampoline_kernelINS0_14default_configENS1_22reduce_config_selectorIiEEZNS1_11reduce_implILb1ES3_N6thrust23THRUST_200600_302600_NS6detail15normal_iteratorINS8_10device_ptrIiEEEEPii9plus_mod3IiEEE10hipError_tPvRmT1_T2_T3_mT4_P12ihipStream_tbEUlT_E1_NS1_11comp_targetILNS1_3genE10ELNS1_11target_archE1201ELNS1_3gpuE5ELNS1_3repE0EEENS1_30default_config_static_selectorELNS0_4arch9wavefront6targetE1EEEvSK_
		.amdhsa_group_segment_fixed_size 0
		.amdhsa_private_segment_fixed_size 0
		.amdhsa_kernarg_size 48
		.amdhsa_user_sgpr_count 2
		.amdhsa_user_sgpr_dispatch_ptr 0
		.amdhsa_user_sgpr_queue_ptr 0
		.amdhsa_user_sgpr_kernarg_segment_ptr 1
		.amdhsa_user_sgpr_dispatch_id 0
		.amdhsa_user_sgpr_kernarg_preload_length 0
		.amdhsa_user_sgpr_kernarg_preload_offset 0
		.amdhsa_user_sgpr_private_segment_size 0
		.amdhsa_uses_dynamic_stack 0
		.amdhsa_enable_private_segment 0
		.amdhsa_system_sgpr_workgroup_id_x 1
		.amdhsa_system_sgpr_workgroup_id_y 0
		.amdhsa_system_sgpr_workgroup_id_z 0
		.amdhsa_system_sgpr_workgroup_info 0
		.amdhsa_system_vgpr_workitem_id 0
		.amdhsa_next_free_vgpr 1
		.amdhsa_next_free_sgpr 0
		.amdhsa_accum_offset 4
		.amdhsa_reserve_vcc 0
		.amdhsa_float_round_mode_32 0
		.amdhsa_float_round_mode_16_64 0
		.amdhsa_float_denorm_mode_32 3
		.amdhsa_float_denorm_mode_16_64 3
		.amdhsa_dx10_clamp 1
		.amdhsa_ieee_mode 1
		.amdhsa_fp16_overflow 0
		.amdhsa_tg_split 0
		.amdhsa_exception_fp_ieee_invalid_op 0
		.amdhsa_exception_fp_denorm_src 0
		.amdhsa_exception_fp_ieee_div_zero 0
		.amdhsa_exception_fp_ieee_overflow 0
		.amdhsa_exception_fp_ieee_underflow 0
		.amdhsa_exception_fp_ieee_inexact 0
		.amdhsa_exception_int_div_zero 0
	.end_amdhsa_kernel
	.section	.text._ZN7rocprim17ROCPRIM_400000_NS6detail17trampoline_kernelINS0_14default_configENS1_22reduce_config_selectorIiEEZNS1_11reduce_implILb1ES3_N6thrust23THRUST_200600_302600_NS6detail15normal_iteratorINS8_10device_ptrIiEEEEPii9plus_mod3IiEEE10hipError_tPvRmT1_T2_T3_mT4_P12ihipStream_tbEUlT_E1_NS1_11comp_targetILNS1_3genE10ELNS1_11target_archE1201ELNS1_3gpuE5ELNS1_3repE0EEENS1_30default_config_static_selectorELNS0_4arch9wavefront6targetE1EEEvSK_,"axG",@progbits,_ZN7rocprim17ROCPRIM_400000_NS6detail17trampoline_kernelINS0_14default_configENS1_22reduce_config_selectorIiEEZNS1_11reduce_implILb1ES3_N6thrust23THRUST_200600_302600_NS6detail15normal_iteratorINS8_10device_ptrIiEEEEPii9plus_mod3IiEEE10hipError_tPvRmT1_T2_T3_mT4_P12ihipStream_tbEUlT_E1_NS1_11comp_targetILNS1_3genE10ELNS1_11target_archE1201ELNS1_3gpuE5ELNS1_3repE0EEENS1_30default_config_static_selectorELNS0_4arch9wavefront6targetE1EEEvSK_,comdat
.Lfunc_end943:
	.size	_ZN7rocprim17ROCPRIM_400000_NS6detail17trampoline_kernelINS0_14default_configENS1_22reduce_config_selectorIiEEZNS1_11reduce_implILb1ES3_N6thrust23THRUST_200600_302600_NS6detail15normal_iteratorINS8_10device_ptrIiEEEEPii9plus_mod3IiEEE10hipError_tPvRmT1_T2_T3_mT4_P12ihipStream_tbEUlT_E1_NS1_11comp_targetILNS1_3genE10ELNS1_11target_archE1201ELNS1_3gpuE5ELNS1_3repE0EEENS1_30default_config_static_selectorELNS0_4arch9wavefront6targetE1EEEvSK_, .Lfunc_end943-_ZN7rocprim17ROCPRIM_400000_NS6detail17trampoline_kernelINS0_14default_configENS1_22reduce_config_selectorIiEEZNS1_11reduce_implILb1ES3_N6thrust23THRUST_200600_302600_NS6detail15normal_iteratorINS8_10device_ptrIiEEEEPii9plus_mod3IiEEE10hipError_tPvRmT1_T2_T3_mT4_P12ihipStream_tbEUlT_E1_NS1_11comp_targetILNS1_3genE10ELNS1_11target_archE1201ELNS1_3gpuE5ELNS1_3repE0EEENS1_30default_config_static_selectorELNS0_4arch9wavefront6targetE1EEEvSK_
                                        ; -- End function
	.set _ZN7rocprim17ROCPRIM_400000_NS6detail17trampoline_kernelINS0_14default_configENS1_22reduce_config_selectorIiEEZNS1_11reduce_implILb1ES3_N6thrust23THRUST_200600_302600_NS6detail15normal_iteratorINS8_10device_ptrIiEEEEPii9plus_mod3IiEEE10hipError_tPvRmT1_T2_T3_mT4_P12ihipStream_tbEUlT_E1_NS1_11comp_targetILNS1_3genE10ELNS1_11target_archE1201ELNS1_3gpuE5ELNS1_3repE0EEENS1_30default_config_static_selectorELNS0_4arch9wavefront6targetE1EEEvSK_.num_vgpr, 0
	.set _ZN7rocprim17ROCPRIM_400000_NS6detail17trampoline_kernelINS0_14default_configENS1_22reduce_config_selectorIiEEZNS1_11reduce_implILb1ES3_N6thrust23THRUST_200600_302600_NS6detail15normal_iteratorINS8_10device_ptrIiEEEEPii9plus_mod3IiEEE10hipError_tPvRmT1_T2_T3_mT4_P12ihipStream_tbEUlT_E1_NS1_11comp_targetILNS1_3genE10ELNS1_11target_archE1201ELNS1_3gpuE5ELNS1_3repE0EEENS1_30default_config_static_selectorELNS0_4arch9wavefront6targetE1EEEvSK_.num_agpr, 0
	.set _ZN7rocprim17ROCPRIM_400000_NS6detail17trampoline_kernelINS0_14default_configENS1_22reduce_config_selectorIiEEZNS1_11reduce_implILb1ES3_N6thrust23THRUST_200600_302600_NS6detail15normal_iteratorINS8_10device_ptrIiEEEEPii9plus_mod3IiEEE10hipError_tPvRmT1_T2_T3_mT4_P12ihipStream_tbEUlT_E1_NS1_11comp_targetILNS1_3genE10ELNS1_11target_archE1201ELNS1_3gpuE5ELNS1_3repE0EEENS1_30default_config_static_selectorELNS0_4arch9wavefront6targetE1EEEvSK_.numbered_sgpr, 0
	.set _ZN7rocprim17ROCPRIM_400000_NS6detail17trampoline_kernelINS0_14default_configENS1_22reduce_config_selectorIiEEZNS1_11reduce_implILb1ES3_N6thrust23THRUST_200600_302600_NS6detail15normal_iteratorINS8_10device_ptrIiEEEEPii9plus_mod3IiEEE10hipError_tPvRmT1_T2_T3_mT4_P12ihipStream_tbEUlT_E1_NS1_11comp_targetILNS1_3genE10ELNS1_11target_archE1201ELNS1_3gpuE5ELNS1_3repE0EEENS1_30default_config_static_selectorELNS0_4arch9wavefront6targetE1EEEvSK_.num_named_barrier, 0
	.set _ZN7rocprim17ROCPRIM_400000_NS6detail17trampoline_kernelINS0_14default_configENS1_22reduce_config_selectorIiEEZNS1_11reduce_implILb1ES3_N6thrust23THRUST_200600_302600_NS6detail15normal_iteratorINS8_10device_ptrIiEEEEPii9plus_mod3IiEEE10hipError_tPvRmT1_T2_T3_mT4_P12ihipStream_tbEUlT_E1_NS1_11comp_targetILNS1_3genE10ELNS1_11target_archE1201ELNS1_3gpuE5ELNS1_3repE0EEENS1_30default_config_static_selectorELNS0_4arch9wavefront6targetE1EEEvSK_.private_seg_size, 0
	.set _ZN7rocprim17ROCPRIM_400000_NS6detail17trampoline_kernelINS0_14default_configENS1_22reduce_config_selectorIiEEZNS1_11reduce_implILb1ES3_N6thrust23THRUST_200600_302600_NS6detail15normal_iteratorINS8_10device_ptrIiEEEEPii9plus_mod3IiEEE10hipError_tPvRmT1_T2_T3_mT4_P12ihipStream_tbEUlT_E1_NS1_11comp_targetILNS1_3genE10ELNS1_11target_archE1201ELNS1_3gpuE5ELNS1_3repE0EEENS1_30default_config_static_selectorELNS0_4arch9wavefront6targetE1EEEvSK_.uses_vcc, 0
	.set _ZN7rocprim17ROCPRIM_400000_NS6detail17trampoline_kernelINS0_14default_configENS1_22reduce_config_selectorIiEEZNS1_11reduce_implILb1ES3_N6thrust23THRUST_200600_302600_NS6detail15normal_iteratorINS8_10device_ptrIiEEEEPii9plus_mod3IiEEE10hipError_tPvRmT1_T2_T3_mT4_P12ihipStream_tbEUlT_E1_NS1_11comp_targetILNS1_3genE10ELNS1_11target_archE1201ELNS1_3gpuE5ELNS1_3repE0EEENS1_30default_config_static_selectorELNS0_4arch9wavefront6targetE1EEEvSK_.uses_flat_scratch, 0
	.set _ZN7rocprim17ROCPRIM_400000_NS6detail17trampoline_kernelINS0_14default_configENS1_22reduce_config_selectorIiEEZNS1_11reduce_implILb1ES3_N6thrust23THRUST_200600_302600_NS6detail15normal_iteratorINS8_10device_ptrIiEEEEPii9plus_mod3IiEEE10hipError_tPvRmT1_T2_T3_mT4_P12ihipStream_tbEUlT_E1_NS1_11comp_targetILNS1_3genE10ELNS1_11target_archE1201ELNS1_3gpuE5ELNS1_3repE0EEENS1_30default_config_static_selectorELNS0_4arch9wavefront6targetE1EEEvSK_.has_dyn_sized_stack, 0
	.set _ZN7rocprim17ROCPRIM_400000_NS6detail17trampoline_kernelINS0_14default_configENS1_22reduce_config_selectorIiEEZNS1_11reduce_implILb1ES3_N6thrust23THRUST_200600_302600_NS6detail15normal_iteratorINS8_10device_ptrIiEEEEPii9plus_mod3IiEEE10hipError_tPvRmT1_T2_T3_mT4_P12ihipStream_tbEUlT_E1_NS1_11comp_targetILNS1_3genE10ELNS1_11target_archE1201ELNS1_3gpuE5ELNS1_3repE0EEENS1_30default_config_static_selectorELNS0_4arch9wavefront6targetE1EEEvSK_.has_recursion, 0
	.set _ZN7rocprim17ROCPRIM_400000_NS6detail17trampoline_kernelINS0_14default_configENS1_22reduce_config_selectorIiEEZNS1_11reduce_implILb1ES3_N6thrust23THRUST_200600_302600_NS6detail15normal_iteratorINS8_10device_ptrIiEEEEPii9plus_mod3IiEEE10hipError_tPvRmT1_T2_T3_mT4_P12ihipStream_tbEUlT_E1_NS1_11comp_targetILNS1_3genE10ELNS1_11target_archE1201ELNS1_3gpuE5ELNS1_3repE0EEENS1_30default_config_static_selectorELNS0_4arch9wavefront6targetE1EEEvSK_.has_indirect_call, 0
	.section	.AMDGPU.csdata,"",@progbits
; Kernel info:
; codeLenInByte = 0
; TotalNumSgprs: 6
; NumVgprs: 0
; NumAgprs: 0
; TotalNumVgprs: 0
; ScratchSize: 0
; MemoryBound: 0
; FloatMode: 240
; IeeeMode: 1
; LDSByteSize: 0 bytes/workgroup (compile time only)
; SGPRBlocks: 0
; VGPRBlocks: 0
; NumSGPRsForWavesPerEU: 6
; NumVGPRsForWavesPerEU: 1
; AccumOffset: 4
; Occupancy: 8
; WaveLimiterHint : 0
; COMPUTE_PGM_RSRC2:SCRATCH_EN: 0
; COMPUTE_PGM_RSRC2:USER_SGPR: 2
; COMPUTE_PGM_RSRC2:TRAP_HANDLER: 0
; COMPUTE_PGM_RSRC2:TGID_X_EN: 1
; COMPUTE_PGM_RSRC2:TGID_Y_EN: 0
; COMPUTE_PGM_RSRC2:TGID_Z_EN: 0
; COMPUTE_PGM_RSRC2:TIDIG_COMP_CNT: 0
; COMPUTE_PGM_RSRC3_GFX90A:ACCUM_OFFSET: 0
; COMPUTE_PGM_RSRC3_GFX90A:TG_SPLIT: 0
	.section	.text._ZN7rocprim17ROCPRIM_400000_NS6detail17trampoline_kernelINS0_14default_configENS1_22reduce_config_selectorIiEEZNS1_11reduce_implILb1ES3_N6thrust23THRUST_200600_302600_NS6detail15normal_iteratorINS8_10device_ptrIiEEEEPii9plus_mod3IiEEE10hipError_tPvRmT1_T2_T3_mT4_P12ihipStream_tbEUlT_E1_NS1_11comp_targetILNS1_3genE10ELNS1_11target_archE1200ELNS1_3gpuE4ELNS1_3repE0EEENS1_30default_config_static_selectorELNS0_4arch9wavefront6targetE1EEEvSK_,"axG",@progbits,_ZN7rocprim17ROCPRIM_400000_NS6detail17trampoline_kernelINS0_14default_configENS1_22reduce_config_selectorIiEEZNS1_11reduce_implILb1ES3_N6thrust23THRUST_200600_302600_NS6detail15normal_iteratorINS8_10device_ptrIiEEEEPii9plus_mod3IiEEE10hipError_tPvRmT1_T2_T3_mT4_P12ihipStream_tbEUlT_E1_NS1_11comp_targetILNS1_3genE10ELNS1_11target_archE1200ELNS1_3gpuE4ELNS1_3repE0EEENS1_30default_config_static_selectorELNS0_4arch9wavefront6targetE1EEEvSK_,comdat
	.protected	_ZN7rocprim17ROCPRIM_400000_NS6detail17trampoline_kernelINS0_14default_configENS1_22reduce_config_selectorIiEEZNS1_11reduce_implILb1ES3_N6thrust23THRUST_200600_302600_NS6detail15normal_iteratorINS8_10device_ptrIiEEEEPii9plus_mod3IiEEE10hipError_tPvRmT1_T2_T3_mT4_P12ihipStream_tbEUlT_E1_NS1_11comp_targetILNS1_3genE10ELNS1_11target_archE1200ELNS1_3gpuE4ELNS1_3repE0EEENS1_30default_config_static_selectorELNS0_4arch9wavefront6targetE1EEEvSK_ ; -- Begin function _ZN7rocprim17ROCPRIM_400000_NS6detail17trampoline_kernelINS0_14default_configENS1_22reduce_config_selectorIiEEZNS1_11reduce_implILb1ES3_N6thrust23THRUST_200600_302600_NS6detail15normal_iteratorINS8_10device_ptrIiEEEEPii9plus_mod3IiEEE10hipError_tPvRmT1_T2_T3_mT4_P12ihipStream_tbEUlT_E1_NS1_11comp_targetILNS1_3genE10ELNS1_11target_archE1200ELNS1_3gpuE4ELNS1_3repE0EEENS1_30default_config_static_selectorELNS0_4arch9wavefront6targetE1EEEvSK_
	.globl	_ZN7rocprim17ROCPRIM_400000_NS6detail17trampoline_kernelINS0_14default_configENS1_22reduce_config_selectorIiEEZNS1_11reduce_implILb1ES3_N6thrust23THRUST_200600_302600_NS6detail15normal_iteratorINS8_10device_ptrIiEEEEPii9plus_mod3IiEEE10hipError_tPvRmT1_T2_T3_mT4_P12ihipStream_tbEUlT_E1_NS1_11comp_targetILNS1_3genE10ELNS1_11target_archE1200ELNS1_3gpuE4ELNS1_3repE0EEENS1_30default_config_static_selectorELNS0_4arch9wavefront6targetE1EEEvSK_
	.p2align	8
	.type	_ZN7rocprim17ROCPRIM_400000_NS6detail17trampoline_kernelINS0_14default_configENS1_22reduce_config_selectorIiEEZNS1_11reduce_implILb1ES3_N6thrust23THRUST_200600_302600_NS6detail15normal_iteratorINS8_10device_ptrIiEEEEPii9plus_mod3IiEEE10hipError_tPvRmT1_T2_T3_mT4_P12ihipStream_tbEUlT_E1_NS1_11comp_targetILNS1_3genE10ELNS1_11target_archE1200ELNS1_3gpuE4ELNS1_3repE0EEENS1_30default_config_static_selectorELNS0_4arch9wavefront6targetE1EEEvSK_,@function
_ZN7rocprim17ROCPRIM_400000_NS6detail17trampoline_kernelINS0_14default_configENS1_22reduce_config_selectorIiEEZNS1_11reduce_implILb1ES3_N6thrust23THRUST_200600_302600_NS6detail15normal_iteratorINS8_10device_ptrIiEEEEPii9plus_mod3IiEEE10hipError_tPvRmT1_T2_T3_mT4_P12ihipStream_tbEUlT_E1_NS1_11comp_targetILNS1_3genE10ELNS1_11target_archE1200ELNS1_3gpuE4ELNS1_3repE0EEENS1_30default_config_static_selectorELNS0_4arch9wavefront6targetE1EEEvSK_: ; @_ZN7rocprim17ROCPRIM_400000_NS6detail17trampoline_kernelINS0_14default_configENS1_22reduce_config_selectorIiEEZNS1_11reduce_implILb1ES3_N6thrust23THRUST_200600_302600_NS6detail15normal_iteratorINS8_10device_ptrIiEEEEPii9plus_mod3IiEEE10hipError_tPvRmT1_T2_T3_mT4_P12ihipStream_tbEUlT_E1_NS1_11comp_targetILNS1_3genE10ELNS1_11target_archE1200ELNS1_3gpuE4ELNS1_3repE0EEENS1_30default_config_static_selectorELNS0_4arch9wavefront6targetE1EEEvSK_
; %bb.0:
	.section	.rodata,"a",@progbits
	.p2align	6, 0x0
	.amdhsa_kernel _ZN7rocprim17ROCPRIM_400000_NS6detail17trampoline_kernelINS0_14default_configENS1_22reduce_config_selectorIiEEZNS1_11reduce_implILb1ES3_N6thrust23THRUST_200600_302600_NS6detail15normal_iteratorINS8_10device_ptrIiEEEEPii9plus_mod3IiEEE10hipError_tPvRmT1_T2_T3_mT4_P12ihipStream_tbEUlT_E1_NS1_11comp_targetILNS1_3genE10ELNS1_11target_archE1200ELNS1_3gpuE4ELNS1_3repE0EEENS1_30default_config_static_selectorELNS0_4arch9wavefront6targetE1EEEvSK_
		.amdhsa_group_segment_fixed_size 0
		.amdhsa_private_segment_fixed_size 0
		.amdhsa_kernarg_size 48
		.amdhsa_user_sgpr_count 2
		.amdhsa_user_sgpr_dispatch_ptr 0
		.amdhsa_user_sgpr_queue_ptr 0
		.amdhsa_user_sgpr_kernarg_segment_ptr 1
		.amdhsa_user_sgpr_dispatch_id 0
		.amdhsa_user_sgpr_kernarg_preload_length 0
		.amdhsa_user_sgpr_kernarg_preload_offset 0
		.amdhsa_user_sgpr_private_segment_size 0
		.amdhsa_uses_dynamic_stack 0
		.amdhsa_enable_private_segment 0
		.amdhsa_system_sgpr_workgroup_id_x 1
		.amdhsa_system_sgpr_workgroup_id_y 0
		.amdhsa_system_sgpr_workgroup_id_z 0
		.amdhsa_system_sgpr_workgroup_info 0
		.amdhsa_system_vgpr_workitem_id 0
		.amdhsa_next_free_vgpr 1
		.amdhsa_next_free_sgpr 0
		.amdhsa_accum_offset 4
		.amdhsa_reserve_vcc 0
		.amdhsa_float_round_mode_32 0
		.amdhsa_float_round_mode_16_64 0
		.amdhsa_float_denorm_mode_32 3
		.amdhsa_float_denorm_mode_16_64 3
		.amdhsa_dx10_clamp 1
		.amdhsa_ieee_mode 1
		.amdhsa_fp16_overflow 0
		.amdhsa_tg_split 0
		.amdhsa_exception_fp_ieee_invalid_op 0
		.amdhsa_exception_fp_denorm_src 0
		.amdhsa_exception_fp_ieee_div_zero 0
		.amdhsa_exception_fp_ieee_overflow 0
		.amdhsa_exception_fp_ieee_underflow 0
		.amdhsa_exception_fp_ieee_inexact 0
		.amdhsa_exception_int_div_zero 0
	.end_amdhsa_kernel
	.section	.text._ZN7rocprim17ROCPRIM_400000_NS6detail17trampoline_kernelINS0_14default_configENS1_22reduce_config_selectorIiEEZNS1_11reduce_implILb1ES3_N6thrust23THRUST_200600_302600_NS6detail15normal_iteratorINS8_10device_ptrIiEEEEPii9plus_mod3IiEEE10hipError_tPvRmT1_T2_T3_mT4_P12ihipStream_tbEUlT_E1_NS1_11comp_targetILNS1_3genE10ELNS1_11target_archE1200ELNS1_3gpuE4ELNS1_3repE0EEENS1_30default_config_static_selectorELNS0_4arch9wavefront6targetE1EEEvSK_,"axG",@progbits,_ZN7rocprim17ROCPRIM_400000_NS6detail17trampoline_kernelINS0_14default_configENS1_22reduce_config_selectorIiEEZNS1_11reduce_implILb1ES3_N6thrust23THRUST_200600_302600_NS6detail15normal_iteratorINS8_10device_ptrIiEEEEPii9plus_mod3IiEEE10hipError_tPvRmT1_T2_T3_mT4_P12ihipStream_tbEUlT_E1_NS1_11comp_targetILNS1_3genE10ELNS1_11target_archE1200ELNS1_3gpuE4ELNS1_3repE0EEENS1_30default_config_static_selectorELNS0_4arch9wavefront6targetE1EEEvSK_,comdat
.Lfunc_end944:
	.size	_ZN7rocprim17ROCPRIM_400000_NS6detail17trampoline_kernelINS0_14default_configENS1_22reduce_config_selectorIiEEZNS1_11reduce_implILb1ES3_N6thrust23THRUST_200600_302600_NS6detail15normal_iteratorINS8_10device_ptrIiEEEEPii9plus_mod3IiEEE10hipError_tPvRmT1_T2_T3_mT4_P12ihipStream_tbEUlT_E1_NS1_11comp_targetILNS1_3genE10ELNS1_11target_archE1200ELNS1_3gpuE4ELNS1_3repE0EEENS1_30default_config_static_selectorELNS0_4arch9wavefront6targetE1EEEvSK_, .Lfunc_end944-_ZN7rocprim17ROCPRIM_400000_NS6detail17trampoline_kernelINS0_14default_configENS1_22reduce_config_selectorIiEEZNS1_11reduce_implILb1ES3_N6thrust23THRUST_200600_302600_NS6detail15normal_iteratorINS8_10device_ptrIiEEEEPii9plus_mod3IiEEE10hipError_tPvRmT1_T2_T3_mT4_P12ihipStream_tbEUlT_E1_NS1_11comp_targetILNS1_3genE10ELNS1_11target_archE1200ELNS1_3gpuE4ELNS1_3repE0EEENS1_30default_config_static_selectorELNS0_4arch9wavefront6targetE1EEEvSK_
                                        ; -- End function
	.set _ZN7rocprim17ROCPRIM_400000_NS6detail17trampoline_kernelINS0_14default_configENS1_22reduce_config_selectorIiEEZNS1_11reduce_implILb1ES3_N6thrust23THRUST_200600_302600_NS6detail15normal_iteratorINS8_10device_ptrIiEEEEPii9plus_mod3IiEEE10hipError_tPvRmT1_T2_T3_mT4_P12ihipStream_tbEUlT_E1_NS1_11comp_targetILNS1_3genE10ELNS1_11target_archE1200ELNS1_3gpuE4ELNS1_3repE0EEENS1_30default_config_static_selectorELNS0_4arch9wavefront6targetE1EEEvSK_.num_vgpr, 0
	.set _ZN7rocprim17ROCPRIM_400000_NS6detail17trampoline_kernelINS0_14default_configENS1_22reduce_config_selectorIiEEZNS1_11reduce_implILb1ES3_N6thrust23THRUST_200600_302600_NS6detail15normal_iteratorINS8_10device_ptrIiEEEEPii9plus_mod3IiEEE10hipError_tPvRmT1_T2_T3_mT4_P12ihipStream_tbEUlT_E1_NS1_11comp_targetILNS1_3genE10ELNS1_11target_archE1200ELNS1_3gpuE4ELNS1_3repE0EEENS1_30default_config_static_selectorELNS0_4arch9wavefront6targetE1EEEvSK_.num_agpr, 0
	.set _ZN7rocprim17ROCPRIM_400000_NS6detail17trampoline_kernelINS0_14default_configENS1_22reduce_config_selectorIiEEZNS1_11reduce_implILb1ES3_N6thrust23THRUST_200600_302600_NS6detail15normal_iteratorINS8_10device_ptrIiEEEEPii9plus_mod3IiEEE10hipError_tPvRmT1_T2_T3_mT4_P12ihipStream_tbEUlT_E1_NS1_11comp_targetILNS1_3genE10ELNS1_11target_archE1200ELNS1_3gpuE4ELNS1_3repE0EEENS1_30default_config_static_selectorELNS0_4arch9wavefront6targetE1EEEvSK_.numbered_sgpr, 0
	.set _ZN7rocprim17ROCPRIM_400000_NS6detail17trampoline_kernelINS0_14default_configENS1_22reduce_config_selectorIiEEZNS1_11reduce_implILb1ES3_N6thrust23THRUST_200600_302600_NS6detail15normal_iteratorINS8_10device_ptrIiEEEEPii9plus_mod3IiEEE10hipError_tPvRmT1_T2_T3_mT4_P12ihipStream_tbEUlT_E1_NS1_11comp_targetILNS1_3genE10ELNS1_11target_archE1200ELNS1_3gpuE4ELNS1_3repE0EEENS1_30default_config_static_selectorELNS0_4arch9wavefront6targetE1EEEvSK_.num_named_barrier, 0
	.set _ZN7rocprim17ROCPRIM_400000_NS6detail17trampoline_kernelINS0_14default_configENS1_22reduce_config_selectorIiEEZNS1_11reduce_implILb1ES3_N6thrust23THRUST_200600_302600_NS6detail15normal_iteratorINS8_10device_ptrIiEEEEPii9plus_mod3IiEEE10hipError_tPvRmT1_T2_T3_mT4_P12ihipStream_tbEUlT_E1_NS1_11comp_targetILNS1_3genE10ELNS1_11target_archE1200ELNS1_3gpuE4ELNS1_3repE0EEENS1_30default_config_static_selectorELNS0_4arch9wavefront6targetE1EEEvSK_.private_seg_size, 0
	.set _ZN7rocprim17ROCPRIM_400000_NS6detail17trampoline_kernelINS0_14default_configENS1_22reduce_config_selectorIiEEZNS1_11reduce_implILb1ES3_N6thrust23THRUST_200600_302600_NS6detail15normal_iteratorINS8_10device_ptrIiEEEEPii9plus_mod3IiEEE10hipError_tPvRmT1_T2_T3_mT4_P12ihipStream_tbEUlT_E1_NS1_11comp_targetILNS1_3genE10ELNS1_11target_archE1200ELNS1_3gpuE4ELNS1_3repE0EEENS1_30default_config_static_selectorELNS0_4arch9wavefront6targetE1EEEvSK_.uses_vcc, 0
	.set _ZN7rocprim17ROCPRIM_400000_NS6detail17trampoline_kernelINS0_14default_configENS1_22reduce_config_selectorIiEEZNS1_11reduce_implILb1ES3_N6thrust23THRUST_200600_302600_NS6detail15normal_iteratorINS8_10device_ptrIiEEEEPii9plus_mod3IiEEE10hipError_tPvRmT1_T2_T3_mT4_P12ihipStream_tbEUlT_E1_NS1_11comp_targetILNS1_3genE10ELNS1_11target_archE1200ELNS1_3gpuE4ELNS1_3repE0EEENS1_30default_config_static_selectorELNS0_4arch9wavefront6targetE1EEEvSK_.uses_flat_scratch, 0
	.set _ZN7rocprim17ROCPRIM_400000_NS6detail17trampoline_kernelINS0_14default_configENS1_22reduce_config_selectorIiEEZNS1_11reduce_implILb1ES3_N6thrust23THRUST_200600_302600_NS6detail15normal_iteratorINS8_10device_ptrIiEEEEPii9plus_mod3IiEEE10hipError_tPvRmT1_T2_T3_mT4_P12ihipStream_tbEUlT_E1_NS1_11comp_targetILNS1_3genE10ELNS1_11target_archE1200ELNS1_3gpuE4ELNS1_3repE0EEENS1_30default_config_static_selectorELNS0_4arch9wavefront6targetE1EEEvSK_.has_dyn_sized_stack, 0
	.set _ZN7rocprim17ROCPRIM_400000_NS6detail17trampoline_kernelINS0_14default_configENS1_22reduce_config_selectorIiEEZNS1_11reduce_implILb1ES3_N6thrust23THRUST_200600_302600_NS6detail15normal_iteratorINS8_10device_ptrIiEEEEPii9plus_mod3IiEEE10hipError_tPvRmT1_T2_T3_mT4_P12ihipStream_tbEUlT_E1_NS1_11comp_targetILNS1_3genE10ELNS1_11target_archE1200ELNS1_3gpuE4ELNS1_3repE0EEENS1_30default_config_static_selectorELNS0_4arch9wavefront6targetE1EEEvSK_.has_recursion, 0
	.set _ZN7rocprim17ROCPRIM_400000_NS6detail17trampoline_kernelINS0_14default_configENS1_22reduce_config_selectorIiEEZNS1_11reduce_implILb1ES3_N6thrust23THRUST_200600_302600_NS6detail15normal_iteratorINS8_10device_ptrIiEEEEPii9plus_mod3IiEEE10hipError_tPvRmT1_T2_T3_mT4_P12ihipStream_tbEUlT_E1_NS1_11comp_targetILNS1_3genE10ELNS1_11target_archE1200ELNS1_3gpuE4ELNS1_3repE0EEENS1_30default_config_static_selectorELNS0_4arch9wavefront6targetE1EEEvSK_.has_indirect_call, 0
	.section	.AMDGPU.csdata,"",@progbits
; Kernel info:
; codeLenInByte = 0
; TotalNumSgprs: 6
; NumVgprs: 0
; NumAgprs: 0
; TotalNumVgprs: 0
; ScratchSize: 0
; MemoryBound: 0
; FloatMode: 240
; IeeeMode: 1
; LDSByteSize: 0 bytes/workgroup (compile time only)
; SGPRBlocks: 0
; VGPRBlocks: 0
; NumSGPRsForWavesPerEU: 6
; NumVGPRsForWavesPerEU: 1
; AccumOffset: 4
; Occupancy: 8
; WaveLimiterHint : 0
; COMPUTE_PGM_RSRC2:SCRATCH_EN: 0
; COMPUTE_PGM_RSRC2:USER_SGPR: 2
; COMPUTE_PGM_RSRC2:TRAP_HANDLER: 0
; COMPUTE_PGM_RSRC2:TGID_X_EN: 1
; COMPUTE_PGM_RSRC2:TGID_Y_EN: 0
; COMPUTE_PGM_RSRC2:TGID_Z_EN: 0
; COMPUTE_PGM_RSRC2:TIDIG_COMP_CNT: 0
; COMPUTE_PGM_RSRC3_GFX90A:ACCUM_OFFSET: 0
; COMPUTE_PGM_RSRC3_GFX90A:TG_SPLIT: 0
	.section	.text._ZN7rocprim17ROCPRIM_400000_NS6detail17trampoline_kernelINS0_14default_configENS1_22reduce_config_selectorIiEEZNS1_11reduce_implILb1ES3_N6thrust23THRUST_200600_302600_NS6detail15normal_iteratorINS8_10device_ptrIiEEEEPii9plus_mod3IiEEE10hipError_tPvRmT1_T2_T3_mT4_P12ihipStream_tbEUlT_E1_NS1_11comp_targetILNS1_3genE9ELNS1_11target_archE1100ELNS1_3gpuE3ELNS1_3repE0EEENS1_30default_config_static_selectorELNS0_4arch9wavefront6targetE1EEEvSK_,"axG",@progbits,_ZN7rocprim17ROCPRIM_400000_NS6detail17trampoline_kernelINS0_14default_configENS1_22reduce_config_selectorIiEEZNS1_11reduce_implILb1ES3_N6thrust23THRUST_200600_302600_NS6detail15normal_iteratorINS8_10device_ptrIiEEEEPii9plus_mod3IiEEE10hipError_tPvRmT1_T2_T3_mT4_P12ihipStream_tbEUlT_E1_NS1_11comp_targetILNS1_3genE9ELNS1_11target_archE1100ELNS1_3gpuE3ELNS1_3repE0EEENS1_30default_config_static_selectorELNS0_4arch9wavefront6targetE1EEEvSK_,comdat
	.protected	_ZN7rocprim17ROCPRIM_400000_NS6detail17trampoline_kernelINS0_14default_configENS1_22reduce_config_selectorIiEEZNS1_11reduce_implILb1ES3_N6thrust23THRUST_200600_302600_NS6detail15normal_iteratorINS8_10device_ptrIiEEEEPii9plus_mod3IiEEE10hipError_tPvRmT1_T2_T3_mT4_P12ihipStream_tbEUlT_E1_NS1_11comp_targetILNS1_3genE9ELNS1_11target_archE1100ELNS1_3gpuE3ELNS1_3repE0EEENS1_30default_config_static_selectorELNS0_4arch9wavefront6targetE1EEEvSK_ ; -- Begin function _ZN7rocprim17ROCPRIM_400000_NS6detail17trampoline_kernelINS0_14default_configENS1_22reduce_config_selectorIiEEZNS1_11reduce_implILb1ES3_N6thrust23THRUST_200600_302600_NS6detail15normal_iteratorINS8_10device_ptrIiEEEEPii9plus_mod3IiEEE10hipError_tPvRmT1_T2_T3_mT4_P12ihipStream_tbEUlT_E1_NS1_11comp_targetILNS1_3genE9ELNS1_11target_archE1100ELNS1_3gpuE3ELNS1_3repE0EEENS1_30default_config_static_selectorELNS0_4arch9wavefront6targetE1EEEvSK_
	.globl	_ZN7rocprim17ROCPRIM_400000_NS6detail17trampoline_kernelINS0_14default_configENS1_22reduce_config_selectorIiEEZNS1_11reduce_implILb1ES3_N6thrust23THRUST_200600_302600_NS6detail15normal_iteratorINS8_10device_ptrIiEEEEPii9plus_mod3IiEEE10hipError_tPvRmT1_T2_T3_mT4_P12ihipStream_tbEUlT_E1_NS1_11comp_targetILNS1_3genE9ELNS1_11target_archE1100ELNS1_3gpuE3ELNS1_3repE0EEENS1_30default_config_static_selectorELNS0_4arch9wavefront6targetE1EEEvSK_
	.p2align	8
	.type	_ZN7rocprim17ROCPRIM_400000_NS6detail17trampoline_kernelINS0_14default_configENS1_22reduce_config_selectorIiEEZNS1_11reduce_implILb1ES3_N6thrust23THRUST_200600_302600_NS6detail15normal_iteratorINS8_10device_ptrIiEEEEPii9plus_mod3IiEEE10hipError_tPvRmT1_T2_T3_mT4_P12ihipStream_tbEUlT_E1_NS1_11comp_targetILNS1_3genE9ELNS1_11target_archE1100ELNS1_3gpuE3ELNS1_3repE0EEENS1_30default_config_static_selectorELNS0_4arch9wavefront6targetE1EEEvSK_,@function
_ZN7rocprim17ROCPRIM_400000_NS6detail17trampoline_kernelINS0_14default_configENS1_22reduce_config_selectorIiEEZNS1_11reduce_implILb1ES3_N6thrust23THRUST_200600_302600_NS6detail15normal_iteratorINS8_10device_ptrIiEEEEPii9plus_mod3IiEEE10hipError_tPvRmT1_T2_T3_mT4_P12ihipStream_tbEUlT_E1_NS1_11comp_targetILNS1_3genE9ELNS1_11target_archE1100ELNS1_3gpuE3ELNS1_3repE0EEENS1_30default_config_static_selectorELNS0_4arch9wavefront6targetE1EEEvSK_: ; @_ZN7rocprim17ROCPRIM_400000_NS6detail17trampoline_kernelINS0_14default_configENS1_22reduce_config_selectorIiEEZNS1_11reduce_implILb1ES3_N6thrust23THRUST_200600_302600_NS6detail15normal_iteratorINS8_10device_ptrIiEEEEPii9plus_mod3IiEEE10hipError_tPvRmT1_T2_T3_mT4_P12ihipStream_tbEUlT_E1_NS1_11comp_targetILNS1_3genE9ELNS1_11target_archE1100ELNS1_3gpuE3ELNS1_3repE0EEENS1_30default_config_static_selectorELNS0_4arch9wavefront6targetE1EEEvSK_
; %bb.0:
	.section	.rodata,"a",@progbits
	.p2align	6, 0x0
	.amdhsa_kernel _ZN7rocprim17ROCPRIM_400000_NS6detail17trampoline_kernelINS0_14default_configENS1_22reduce_config_selectorIiEEZNS1_11reduce_implILb1ES3_N6thrust23THRUST_200600_302600_NS6detail15normal_iteratorINS8_10device_ptrIiEEEEPii9plus_mod3IiEEE10hipError_tPvRmT1_T2_T3_mT4_P12ihipStream_tbEUlT_E1_NS1_11comp_targetILNS1_3genE9ELNS1_11target_archE1100ELNS1_3gpuE3ELNS1_3repE0EEENS1_30default_config_static_selectorELNS0_4arch9wavefront6targetE1EEEvSK_
		.amdhsa_group_segment_fixed_size 0
		.amdhsa_private_segment_fixed_size 0
		.amdhsa_kernarg_size 48
		.amdhsa_user_sgpr_count 2
		.amdhsa_user_sgpr_dispatch_ptr 0
		.amdhsa_user_sgpr_queue_ptr 0
		.amdhsa_user_sgpr_kernarg_segment_ptr 1
		.amdhsa_user_sgpr_dispatch_id 0
		.amdhsa_user_sgpr_kernarg_preload_length 0
		.amdhsa_user_sgpr_kernarg_preload_offset 0
		.amdhsa_user_sgpr_private_segment_size 0
		.amdhsa_uses_dynamic_stack 0
		.amdhsa_enable_private_segment 0
		.amdhsa_system_sgpr_workgroup_id_x 1
		.amdhsa_system_sgpr_workgroup_id_y 0
		.amdhsa_system_sgpr_workgroup_id_z 0
		.amdhsa_system_sgpr_workgroup_info 0
		.amdhsa_system_vgpr_workitem_id 0
		.amdhsa_next_free_vgpr 1
		.amdhsa_next_free_sgpr 0
		.amdhsa_accum_offset 4
		.amdhsa_reserve_vcc 0
		.amdhsa_float_round_mode_32 0
		.amdhsa_float_round_mode_16_64 0
		.amdhsa_float_denorm_mode_32 3
		.amdhsa_float_denorm_mode_16_64 3
		.amdhsa_dx10_clamp 1
		.amdhsa_ieee_mode 1
		.amdhsa_fp16_overflow 0
		.amdhsa_tg_split 0
		.amdhsa_exception_fp_ieee_invalid_op 0
		.amdhsa_exception_fp_denorm_src 0
		.amdhsa_exception_fp_ieee_div_zero 0
		.amdhsa_exception_fp_ieee_overflow 0
		.amdhsa_exception_fp_ieee_underflow 0
		.amdhsa_exception_fp_ieee_inexact 0
		.amdhsa_exception_int_div_zero 0
	.end_amdhsa_kernel
	.section	.text._ZN7rocprim17ROCPRIM_400000_NS6detail17trampoline_kernelINS0_14default_configENS1_22reduce_config_selectorIiEEZNS1_11reduce_implILb1ES3_N6thrust23THRUST_200600_302600_NS6detail15normal_iteratorINS8_10device_ptrIiEEEEPii9plus_mod3IiEEE10hipError_tPvRmT1_T2_T3_mT4_P12ihipStream_tbEUlT_E1_NS1_11comp_targetILNS1_3genE9ELNS1_11target_archE1100ELNS1_3gpuE3ELNS1_3repE0EEENS1_30default_config_static_selectorELNS0_4arch9wavefront6targetE1EEEvSK_,"axG",@progbits,_ZN7rocprim17ROCPRIM_400000_NS6detail17trampoline_kernelINS0_14default_configENS1_22reduce_config_selectorIiEEZNS1_11reduce_implILb1ES3_N6thrust23THRUST_200600_302600_NS6detail15normal_iteratorINS8_10device_ptrIiEEEEPii9plus_mod3IiEEE10hipError_tPvRmT1_T2_T3_mT4_P12ihipStream_tbEUlT_E1_NS1_11comp_targetILNS1_3genE9ELNS1_11target_archE1100ELNS1_3gpuE3ELNS1_3repE0EEENS1_30default_config_static_selectorELNS0_4arch9wavefront6targetE1EEEvSK_,comdat
.Lfunc_end945:
	.size	_ZN7rocprim17ROCPRIM_400000_NS6detail17trampoline_kernelINS0_14default_configENS1_22reduce_config_selectorIiEEZNS1_11reduce_implILb1ES3_N6thrust23THRUST_200600_302600_NS6detail15normal_iteratorINS8_10device_ptrIiEEEEPii9plus_mod3IiEEE10hipError_tPvRmT1_T2_T3_mT4_P12ihipStream_tbEUlT_E1_NS1_11comp_targetILNS1_3genE9ELNS1_11target_archE1100ELNS1_3gpuE3ELNS1_3repE0EEENS1_30default_config_static_selectorELNS0_4arch9wavefront6targetE1EEEvSK_, .Lfunc_end945-_ZN7rocprim17ROCPRIM_400000_NS6detail17trampoline_kernelINS0_14default_configENS1_22reduce_config_selectorIiEEZNS1_11reduce_implILb1ES3_N6thrust23THRUST_200600_302600_NS6detail15normal_iteratorINS8_10device_ptrIiEEEEPii9plus_mod3IiEEE10hipError_tPvRmT1_T2_T3_mT4_P12ihipStream_tbEUlT_E1_NS1_11comp_targetILNS1_3genE9ELNS1_11target_archE1100ELNS1_3gpuE3ELNS1_3repE0EEENS1_30default_config_static_selectorELNS0_4arch9wavefront6targetE1EEEvSK_
                                        ; -- End function
	.set _ZN7rocprim17ROCPRIM_400000_NS6detail17trampoline_kernelINS0_14default_configENS1_22reduce_config_selectorIiEEZNS1_11reduce_implILb1ES3_N6thrust23THRUST_200600_302600_NS6detail15normal_iteratorINS8_10device_ptrIiEEEEPii9plus_mod3IiEEE10hipError_tPvRmT1_T2_T3_mT4_P12ihipStream_tbEUlT_E1_NS1_11comp_targetILNS1_3genE9ELNS1_11target_archE1100ELNS1_3gpuE3ELNS1_3repE0EEENS1_30default_config_static_selectorELNS0_4arch9wavefront6targetE1EEEvSK_.num_vgpr, 0
	.set _ZN7rocprim17ROCPRIM_400000_NS6detail17trampoline_kernelINS0_14default_configENS1_22reduce_config_selectorIiEEZNS1_11reduce_implILb1ES3_N6thrust23THRUST_200600_302600_NS6detail15normal_iteratorINS8_10device_ptrIiEEEEPii9plus_mod3IiEEE10hipError_tPvRmT1_T2_T3_mT4_P12ihipStream_tbEUlT_E1_NS1_11comp_targetILNS1_3genE9ELNS1_11target_archE1100ELNS1_3gpuE3ELNS1_3repE0EEENS1_30default_config_static_selectorELNS0_4arch9wavefront6targetE1EEEvSK_.num_agpr, 0
	.set _ZN7rocprim17ROCPRIM_400000_NS6detail17trampoline_kernelINS0_14default_configENS1_22reduce_config_selectorIiEEZNS1_11reduce_implILb1ES3_N6thrust23THRUST_200600_302600_NS6detail15normal_iteratorINS8_10device_ptrIiEEEEPii9plus_mod3IiEEE10hipError_tPvRmT1_T2_T3_mT4_P12ihipStream_tbEUlT_E1_NS1_11comp_targetILNS1_3genE9ELNS1_11target_archE1100ELNS1_3gpuE3ELNS1_3repE0EEENS1_30default_config_static_selectorELNS0_4arch9wavefront6targetE1EEEvSK_.numbered_sgpr, 0
	.set _ZN7rocprim17ROCPRIM_400000_NS6detail17trampoline_kernelINS0_14default_configENS1_22reduce_config_selectorIiEEZNS1_11reduce_implILb1ES3_N6thrust23THRUST_200600_302600_NS6detail15normal_iteratorINS8_10device_ptrIiEEEEPii9plus_mod3IiEEE10hipError_tPvRmT1_T2_T3_mT4_P12ihipStream_tbEUlT_E1_NS1_11comp_targetILNS1_3genE9ELNS1_11target_archE1100ELNS1_3gpuE3ELNS1_3repE0EEENS1_30default_config_static_selectorELNS0_4arch9wavefront6targetE1EEEvSK_.num_named_barrier, 0
	.set _ZN7rocprim17ROCPRIM_400000_NS6detail17trampoline_kernelINS0_14default_configENS1_22reduce_config_selectorIiEEZNS1_11reduce_implILb1ES3_N6thrust23THRUST_200600_302600_NS6detail15normal_iteratorINS8_10device_ptrIiEEEEPii9plus_mod3IiEEE10hipError_tPvRmT1_T2_T3_mT4_P12ihipStream_tbEUlT_E1_NS1_11comp_targetILNS1_3genE9ELNS1_11target_archE1100ELNS1_3gpuE3ELNS1_3repE0EEENS1_30default_config_static_selectorELNS0_4arch9wavefront6targetE1EEEvSK_.private_seg_size, 0
	.set _ZN7rocprim17ROCPRIM_400000_NS6detail17trampoline_kernelINS0_14default_configENS1_22reduce_config_selectorIiEEZNS1_11reduce_implILb1ES3_N6thrust23THRUST_200600_302600_NS6detail15normal_iteratorINS8_10device_ptrIiEEEEPii9plus_mod3IiEEE10hipError_tPvRmT1_T2_T3_mT4_P12ihipStream_tbEUlT_E1_NS1_11comp_targetILNS1_3genE9ELNS1_11target_archE1100ELNS1_3gpuE3ELNS1_3repE0EEENS1_30default_config_static_selectorELNS0_4arch9wavefront6targetE1EEEvSK_.uses_vcc, 0
	.set _ZN7rocprim17ROCPRIM_400000_NS6detail17trampoline_kernelINS0_14default_configENS1_22reduce_config_selectorIiEEZNS1_11reduce_implILb1ES3_N6thrust23THRUST_200600_302600_NS6detail15normal_iteratorINS8_10device_ptrIiEEEEPii9plus_mod3IiEEE10hipError_tPvRmT1_T2_T3_mT4_P12ihipStream_tbEUlT_E1_NS1_11comp_targetILNS1_3genE9ELNS1_11target_archE1100ELNS1_3gpuE3ELNS1_3repE0EEENS1_30default_config_static_selectorELNS0_4arch9wavefront6targetE1EEEvSK_.uses_flat_scratch, 0
	.set _ZN7rocprim17ROCPRIM_400000_NS6detail17trampoline_kernelINS0_14default_configENS1_22reduce_config_selectorIiEEZNS1_11reduce_implILb1ES3_N6thrust23THRUST_200600_302600_NS6detail15normal_iteratorINS8_10device_ptrIiEEEEPii9plus_mod3IiEEE10hipError_tPvRmT1_T2_T3_mT4_P12ihipStream_tbEUlT_E1_NS1_11comp_targetILNS1_3genE9ELNS1_11target_archE1100ELNS1_3gpuE3ELNS1_3repE0EEENS1_30default_config_static_selectorELNS0_4arch9wavefront6targetE1EEEvSK_.has_dyn_sized_stack, 0
	.set _ZN7rocprim17ROCPRIM_400000_NS6detail17trampoline_kernelINS0_14default_configENS1_22reduce_config_selectorIiEEZNS1_11reduce_implILb1ES3_N6thrust23THRUST_200600_302600_NS6detail15normal_iteratorINS8_10device_ptrIiEEEEPii9plus_mod3IiEEE10hipError_tPvRmT1_T2_T3_mT4_P12ihipStream_tbEUlT_E1_NS1_11comp_targetILNS1_3genE9ELNS1_11target_archE1100ELNS1_3gpuE3ELNS1_3repE0EEENS1_30default_config_static_selectorELNS0_4arch9wavefront6targetE1EEEvSK_.has_recursion, 0
	.set _ZN7rocprim17ROCPRIM_400000_NS6detail17trampoline_kernelINS0_14default_configENS1_22reduce_config_selectorIiEEZNS1_11reduce_implILb1ES3_N6thrust23THRUST_200600_302600_NS6detail15normal_iteratorINS8_10device_ptrIiEEEEPii9plus_mod3IiEEE10hipError_tPvRmT1_T2_T3_mT4_P12ihipStream_tbEUlT_E1_NS1_11comp_targetILNS1_3genE9ELNS1_11target_archE1100ELNS1_3gpuE3ELNS1_3repE0EEENS1_30default_config_static_selectorELNS0_4arch9wavefront6targetE1EEEvSK_.has_indirect_call, 0
	.section	.AMDGPU.csdata,"",@progbits
; Kernel info:
; codeLenInByte = 0
; TotalNumSgprs: 6
; NumVgprs: 0
; NumAgprs: 0
; TotalNumVgprs: 0
; ScratchSize: 0
; MemoryBound: 0
; FloatMode: 240
; IeeeMode: 1
; LDSByteSize: 0 bytes/workgroup (compile time only)
; SGPRBlocks: 0
; VGPRBlocks: 0
; NumSGPRsForWavesPerEU: 6
; NumVGPRsForWavesPerEU: 1
; AccumOffset: 4
; Occupancy: 8
; WaveLimiterHint : 0
; COMPUTE_PGM_RSRC2:SCRATCH_EN: 0
; COMPUTE_PGM_RSRC2:USER_SGPR: 2
; COMPUTE_PGM_RSRC2:TRAP_HANDLER: 0
; COMPUTE_PGM_RSRC2:TGID_X_EN: 1
; COMPUTE_PGM_RSRC2:TGID_Y_EN: 0
; COMPUTE_PGM_RSRC2:TGID_Z_EN: 0
; COMPUTE_PGM_RSRC2:TIDIG_COMP_CNT: 0
; COMPUTE_PGM_RSRC3_GFX90A:ACCUM_OFFSET: 0
; COMPUTE_PGM_RSRC3_GFX90A:TG_SPLIT: 0
	.section	.text._ZN7rocprim17ROCPRIM_400000_NS6detail17trampoline_kernelINS0_14default_configENS1_22reduce_config_selectorIiEEZNS1_11reduce_implILb1ES3_N6thrust23THRUST_200600_302600_NS6detail15normal_iteratorINS8_10device_ptrIiEEEEPii9plus_mod3IiEEE10hipError_tPvRmT1_T2_T3_mT4_P12ihipStream_tbEUlT_E1_NS1_11comp_targetILNS1_3genE8ELNS1_11target_archE1030ELNS1_3gpuE2ELNS1_3repE0EEENS1_30default_config_static_selectorELNS0_4arch9wavefront6targetE1EEEvSK_,"axG",@progbits,_ZN7rocprim17ROCPRIM_400000_NS6detail17trampoline_kernelINS0_14default_configENS1_22reduce_config_selectorIiEEZNS1_11reduce_implILb1ES3_N6thrust23THRUST_200600_302600_NS6detail15normal_iteratorINS8_10device_ptrIiEEEEPii9plus_mod3IiEEE10hipError_tPvRmT1_T2_T3_mT4_P12ihipStream_tbEUlT_E1_NS1_11comp_targetILNS1_3genE8ELNS1_11target_archE1030ELNS1_3gpuE2ELNS1_3repE0EEENS1_30default_config_static_selectorELNS0_4arch9wavefront6targetE1EEEvSK_,comdat
	.protected	_ZN7rocprim17ROCPRIM_400000_NS6detail17trampoline_kernelINS0_14default_configENS1_22reduce_config_selectorIiEEZNS1_11reduce_implILb1ES3_N6thrust23THRUST_200600_302600_NS6detail15normal_iteratorINS8_10device_ptrIiEEEEPii9plus_mod3IiEEE10hipError_tPvRmT1_T2_T3_mT4_P12ihipStream_tbEUlT_E1_NS1_11comp_targetILNS1_3genE8ELNS1_11target_archE1030ELNS1_3gpuE2ELNS1_3repE0EEENS1_30default_config_static_selectorELNS0_4arch9wavefront6targetE1EEEvSK_ ; -- Begin function _ZN7rocprim17ROCPRIM_400000_NS6detail17trampoline_kernelINS0_14default_configENS1_22reduce_config_selectorIiEEZNS1_11reduce_implILb1ES3_N6thrust23THRUST_200600_302600_NS6detail15normal_iteratorINS8_10device_ptrIiEEEEPii9plus_mod3IiEEE10hipError_tPvRmT1_T2_T3_mT4_P12ihipStream_tbEUlT_E1_NS1_11comp_targetILNS1_3genE8ELNS1_11target_archE1030ELNS1_3gpuE2ELNS1_3repE0EEENS1_30default_config_static_selectorELNS0_4arch9wavefront6targetE1EEEvSK_
	.globl	_ZN7rocprim17ROCPRIM_400000_NS6detail17trampoline_kernelINS0_14default_configENS1_22reduce_config_selectorIiEEZNS1_11reduce_implILb1ES3_N6thrust23THRUST_200600_302600_NS6detail15normal_iteratorINS8_10device_ptrIiEEEEPii9plus_mod3IiEEE10hipError_tPvRmT1_T2_T3_mT4_P12ihipStream_tbEUlT_E1_NS1_11comp_targetILNS1_3genE8ELNS1_11target_archE1030ELNS1_3gpuE2ELNS1_3repE0EEENS1_30default_config_static_selectorELNS0_4arch9wavefront6targetE1EEEvSK_
	.p2align	8
	.type	_ZN7rocprim17ROCPRIM_400000_NS6detail17trampoline_kernelINS0_14default_configENS1_22reduce_config_selectorIiEEZNS1_11reduce_implILb1ES3_N6thrust23THRUST_200600_302600_NS6detail15normal_iteratorINS8_10device_ptrIiEEEEPii9plus_mod3IiEEE10hipError_tPvRmT1_T2_T3_mT4_P12ihipStream_tbEUlT_E1_NS1_11comp_targetILNS1_3genE8ELNS1_11target_archE1030ELNS1_3gpuE2ELNS1_3repE0EEENS1_30default_config_static_selectorELNS0_4arch9wavefront6targetE1EEEvSK_,@function
_ZN7rocprim17ROCPRIM_400000_NS6detail17trampoline_kernelINS0_14default_configENS1_22reduce_config_selectorIiEEZNS1_11reduce_implILb1ES3_N6thrust23THRUST_200600_302600_NS6detail15normal_iteratorINS8_10device_ptrIiEEEEPii9plus_mod3IiEEE10hipError_tPvRmT1_T2_T3_mT4_P12ihipStream_tbEUlT_E1_NS1_11comp_targetILNS1_3genE8ELNS1_11target_archE1030ELNS1_3gpuE2ELNS1_3repE0EEENS1_30default_config_static_selectorELNS0_4arch9wavefront6targetE1EEEvSK_: ; @_ZN7rocprim17ROCPRIM_400000_NS6detail17trampoline_kernelINS0_14default_configENS1_22reduce_config_selectorIiEEZNS1_11reduce_implILb1ES3_N6thrust23THRUST_200600_302600_NS6detail15normal_iteratorINS8_10device_ptrIiEEEEPii9plus_mod3IiEEE10hipError_tPvRmT1_T2_T3_mT4_P12ihipStream_tbEUlT_E1_NS1_11comp_targetILNS1_3genE8ELNS1_11target_archE1030ELNS1_3gpuE2ELNS1_3repE0EEENS1_30default_config_static_selectorELNS0_4arch9wavefront6targetE1EEEvSK_
; %bb.0:
	.section	.rodata,"a",@progbits
	.p2align	6, 0x0
	.amdhsa_kernel _ZN7rocprim17ROCPRIM_400000_NS6detail17trampoline_kernelINS0_14default_configENS1_22reduce_config_selectorIiEEZNS1_11reduce_implILb1ES3_N6thrust23THRUST_200600_302600_NS6detail15normal_iteratorINS8_10device_ptrIiEEEEPii9plus_mod3IiEEE10hipError_tPvRmT1_T2_T3_mT4_P12ihipStream_tbEUlT_E1_NS1_11comp_targetILNS1_3genE8ELNS1_11target_archE1030ELNS1_3gpuE2ELNS1_3repE0EEENS1_30default_config_static_selectorELNS0_4arch9wavefront6targetE1EEEvSK_
		.amdhsa_group_segment_fixed_size 0
		.amdhsa_private_segment_fixed_size 0
		.amdhsa_kernarg_size 48
		.amdhsa_user_sgpr_count 2
		.amdhsa_user_sgpr_dispatch_ptr 0
		.amdhsa_user_sgpr_queue_ptr 0
		.amdhsa_user_sgpr_kernarg_segment_ptr 1
		.amdhsa_user_sgpr_dispatch_id 0
		.amdhsa_user_sgpr_kernarg_preload_length 0
		.amdhsa_user_sgpr_kernarg_preload_offset 0
		.amdhsa_user_sgpr_private_segment_size 0
		.amdhsa_uses_dynamic_stack 0
		.amdhsa_enable_private_segment 0
		.amdhsa_system_sgpr_workgroup_id_x 1
		.amdhsa_system_sgpr_workgroup_id_y 0
		.amdhsa_system_sgpr_workgroup_id_z 0
		.amdhsa_system_sgpr_workgroup_info 0
		.amdhsa_system_vgpr_workitem_id 0
		.amdhsa_next_free_vgpr 1
		.amdhsa_next_free_sgpr 0
		.amdhsa_accum_offset 4
		.amdhsa_reserve_vcc 0
		.amdhsa_float_round_mode_32 0
		.amdhsa_float_round_mode_16_64 0
		.amdhsa_float_denorm_mode_32 3
		.amdhsa_float_denorm_mode_16_64 3
		.amdhsa_dx10_clamp 1
		.amdhsa_ieee_mode 1
		.amdhsa_fp16_overflow 0
		.amdhsa_tg_split 0
		.amdhsa_exception_fp_ieee_invalid_op 0
		.amdhsa_exception_fp_denorm_src 0
		.amdhsa_exception_fp_ieee_div_zero 0
		.amdhsa_exception_fp_ieee_overflow 0
		.amdhsa_exception_fp_ieee_underflow 0
		.amdhsa_exception_fp_ieee_inexact 0
		.amdhsa_exception_int_div_zero 0
	.end_amdhsa_kernel
	.section	.text._ZN7rocprim17ROCPRIM_400000_NS6detail17trampoline_kernelINS0_14default_configENS1_22reduce_config_selectorIiEEZNS1_11reduce_implILb1ES3_N6thrust23THRUST_200600_302600_NS6detail15normal_iteratorINS8_10device_ptrIiEEEEPii9plus_mod3IiEEE10hipError_tPvRmT1_T2_T3_mT4_P12ihipStream_tbEUlT_E1_NS1_11comp_targetILNS1_3genE8ELNS1_11target_archE1030ELNS1_3gpuE2ELNS1_3repE0EEENS1_30default_config_static_selectorELNS0_4arch9wavefront6targetE1EEEvSK_,"axG",@progbits,_ZN7rocprim17ROCPRIM_400000_NS6detail17trampoline_kernelINS0_14default_configENS1_22reduce_config_selectorIiEEZNS1_11reduce_implILb1ES3_N6thrust23THRUST_200600_302600_NS6detail15normal_iteratorINS8_10device_ptrIiEEEEPii9plus_mod3IiEEE10hipError_tPvRmT1_T2_T3_mT4_P12ihipStream_tbEUlT_E1_NS1_11comp_targetILNS1_3genE8ELNS1_11target_archE1030ELNS1_3gpuE2ELNS1_3repE0EEENS1_30default_config_static_selectorELNS0_4arch9wavefront6targetE1EEEvSK_,comdat
.Lfunc_end946:
	.size	_ZN7rocprim17ROCPRIM_400000_NS6detail17trampoline_kernelINS0_14default_configENS1_22reduce_config_selectorIiEEZNS1_11reduce_implILb1ES3_N6thrust23THRUST_200600_302600_NS6detail15normal_iteratorINS8_10device_ptrIiEEEEPii9plus_mod3IiEEE10hipError_tPvRmT1_T2_T3_mT4_P12ihipStream_tbEUlT_E1_NS1_11comp_targetILNS1_3genE8ELNS1_11target_archE1030ELNS1_3gpuE2ELNS1_3repE0EEENS1_30default_config_static_selectorELNS0_4arch9wavefront6targetE1EEEvSK_, .Lfunc_end946-_ZN7rocprim17ROCPRIM_400000_NS6detail17trampoline_kernelINS0_14default_configENS1_22reduce_config_selectorIiEEZNS1_11reduce_implILb1ES3_N6thrust23THRUST_200600_302600_NS6detail15normal_iteratorINS8_10device_ptrIiEEEEPii9plus_mod3IiEEE10hipError_tPvRmT1_T2_T3_mT4_P12ihipStream_tbEUlT_E1_NS1_11comp_targetILNS1_3genE8ELNS1_11target_archE1030ELNS1_3gpuE2ELNS1_3repE0EEENS1_30default_config_static_selectorELNS0_4arch9wavefront6targetE1EEEvSK_
                                        ; -- End function
	.set _ZN7rocprim17ROCPRIM_400000_NS6detail17trampoline_kernelINS0_14default_configENS1_22reduce_config_selectorIiEEZNS1_11reduce_implILb1ES3_N6thrust23THRUST_200600_302600_NS6detail15normal_iteratorINS8_10device_ptrIiEEEEPii9plus_mod3IiEEE10hipError_tPvRmT1_T2_T3_mT4_P12ihipStream_tbEUlT_E1_NS1_11comp_targetILNS1_3genE8ELNS1_11target_archE1030ELNS1_3gpuE2ELNS1_3repE0EEENS1_30default_config_static_selectorELNS0_4arch9wavefront6targetE1EEEvSK_.num_vgpr, 0
	.set _ZN7rocprim17ROCPRIM_400000_NS6detail17trampoline_kernelINS0_14default_configENS1_22reduce_config_selectorIiEEZNS1_11reduce_implILb1ES3_N6thrust23THRUST_200600_302600_NS6detail15normal_iteratorINS8_10device_ptrIiEEEEPii9plus_mod3IiEEE10hipError_tPvRmT1_T2_T3_mT4_P12ihipStream_tbEUlT_E1_NS1_11comp_targetILNS1_3genE8ELNS1_11target_archE1030ELNS1_3gpuE2ELNS1_3repE0EEENS1_30default_config_static_selectorELNS0_4arch9wavefront6targetE1EEEvSK_.num_agpr, 0
	.set _ZN7rocprim17ROCPRIM_400000_NS6detail17trampoline_kernelINS0_14default_configENS1_22reduce_config_selectorIiEEZNS1_11reduce_implILb1ES3_N6thrust23THRUST_200600_302600_NS6detail15normal_iteratorINS8_10device_ptrIiEEEEPii9plus_mod3IiEEE10hipError_tPvRmT1_T2_T3_mT4_P12ihipStream_tbEUlT_E1_NS1_11comp_targetILNS1_3genE8ELNS1_11target_archE1030ELNS1_3gpuE2ELNS1_3repE0EEENS1_30default_config_static_selectorELNS0_4arch9wavefront6targetE1EEEvSK_.numbered_sgpr, 0
	.set _ZN7rocprim17ROCPRIM_400000_NS6detail17trampoline_kernelINS0_14default_configENS1_22reduce_config_selectorIiEEZNS1_11reduce_implILb1ES3_N6thrust23THRUST_200600_302600_NS6detail15normal_iteratorINS8_10device_ptrIiEEEEPii9plus_mod3IiEEE10hipError_tPvRmT1_T2_T3_mT4_P12ihipStream_tbEUlT_E1_NS1_11comp_targetILNS1_3genE8ELNS1_11target_archE1030ELNS1_3gpuE2ELNS1_3repE0EEENS1_30default_config_static_selectorELNS0_4arch9wavefront6targetE1EEEvSK_.num_named_barrier, 0
	.set _ZN7rocprim17ROCPRIM_400000_NS6detail17trampoline_kernelINS0_14default_configENS1_22reduce_config_selectorIiEEZNS1_11reduce_implILb1ES3_N6thrust23THRUST_200600_302600_NS6detail15normal_iteratorINS8_10device_ptrIiEEEEPii9plus_mod3IiEEE10hipError_tPvRmT1_T2_T3_mT4_P12ihipStream_tbEUlT_E1_NS1_11comp_targetILNS1_3genE8ELNS1_11target_archE1030ELNS1_3gpuE2ELNS1_3repE0EEENS1_30default_config_static_selectorELNS0_4arch9wavefront6targetE1EEEvSK_.private_seg_size, 0
	.set _ZN7rocprim17ROCPRIM_400000_NS6detail17trampoline_kernelINS0_14default_configENS1_22reduce_config_selectorIiEEZNS1_11reduce_implILb1ES3_N6thrust23THRUST_200600_302600_NS6detail15normal_iteratorINS8_10device_ptrIiEEEEPii9plus_mod3IiEEE10hipError_tPvRmT1_T2_T3_mT4_P12ihipStream_tbEUlT_E1_NS1_11comp_targetILNS1_3genE8ELNS1_11target_archE1030ELNS1_3gpuE2ELNS1_3repE0EEENS1_30default_config_static_selectorELNS0_4arch9wavefront6targetE1EEEvSK_.uses_vcc, 0
	.set _ZN7rocprim17ROCPRIM_400000_NS6detail17trampoline_kernelINS0_14default_configENS1_22reduce_config_selectorIiEEZNS1_11reduce_implILb1ES3_N6thrust23THRUST_200600_302600_NS6detail15normal_iteratorINS8_10device_ptrIiEEEEPii9plus_mod3IiEEE10hipError_tPvRmT1_T2_T3_mT4_P12ihipStream_tbEUlT_E1_NS1_11comp_targetILNS1_3genE8ELNS1_11target_archE1030ELNS1_3gpuE2ELNS1_3repE0EEENS1_30default_config_static_selectorELNS0_4arch9wavefront6targetE1EEEvSK_.uses_flat_scratch, 0
	.set _ZN7rocprim17ROCPRIM_400000_NS6detail17trampoline_kernelINS0_14default_configENS1_22reduce_config_selectorIiEEZNS1_11reduce_implILb1ES3_N6thrust23THRUST_200600_302600_NS6detail15normal_iteratorINS8_10device_ptrIiEEEEPii9plus_mod3IiEEE10hipError_tPvRmT1_T2_T3_mT4_P12ihipStream_tbEUlT_E1_NS1_11comp_targetILNS1_3genE8ELNS1_11target_archE1030ELNS1_3gpuE2ELNS1_3repE0EEENS1_30default_config_static_selectorELNS0_4arch9wavefront6targetE1EEEvSK_.has_dyn_sized_stack, 0
	.set _ZN7rocprim17ROCPRIM_400000_NS6detail17trampoline_kernelINS0_14default_configENS1_22reduce_config_selectorIiEEZNS1_11reduce_implILb1ES3_N6thrust23THRUST_200600_302600_NS6detail15normal_iteratorINS8_10device_ptrIiEEEEPii9plus_mod3IiEEE10hipError_tPvRmT1_T2_T3_mT4_P12ihipStream_tbEUlT_E1_NS1_11comp_targetILNS1_3genE8ELNS1_11target_archE1030ELNS1_3gpuE2ELNS1_3repE0EEENS1_30default_config_static_selectorELNS0_4arch9wavefront6targetE1EEEvSK_.has_recursion, 0
	.set _ZN7rocprim17ROCPRIM_400000_NS6detail17trampoline_kernelINS0_14default_configENS1_22reduce_config_selectorIiEEZNS1_11reduce_implILb1ES3_N6thrust23THRUST_200600_302600_NS6detail15normal_iteratorINS8_10device_ptrIiEEEEPii9plus_mod3IiEEE10hipError_tPvRmT1_T2_T3_mT4_P12ihipStream_tbEUlT_E1_NS1_11comp_targetILNS1_3genE8ELNS1_11target_archE1030ELNS1_3gpuE2ELNS1_3repE0EEENS1_30default_config_static_selectorELNS0_4arch9wavefront6targetE1EEEvSK_.has_indirect_call, 0
	.section	.AMDGPU.csdata,"",@progbits
; Kernel info:
; codeLenInByte = 0
; TotalNumSgprs: 6
; NumVgprs: 0
; NumAgprs: 0
; TotalNumVgprs: 0
; ScratchSize: 0
; MemoryBound: 0
; FloatMode: 240
; IeeeMode: 1
; LDSByteSize: 0 bytes/workgroup (compile time only)
; SGPRBlocks: 0
; VGPRBlocks: 0
; NumSGPRsForWavesPerEU: 6
; NumVGPRsForWavesPerEU: 1
; AccumOffset: 4
; Occupancy: 8
; WaveLimiterHint : 0
; COMPUTE_PGM_RSRC2:SCRATCH_EN: 0
; COMPUTE_PGM_RSRC2:USER_SGPR: 2
; COMPUTE_PGM_RSRC2:TRAP_HANDLER: 0
; COMPUTE_PGM_RSRC2:TGID_X_EN: 1
; COMPUTE_PGM_RSRC2:TGID_Y_EN: 0
; COMPUTE_PGM_RSRC2:TGID_Z_EN: 0
; COMPUTE_PGM_RSRC2:TIDIG_COMP_CNT: 0
; COMPUTE_PGM_RSRC3_GFX90A:ACCUM_OFFSET: 0
; COMPUTE_PGM_RSRC3_GFX90A:TG_SPLIT: 0
	.section	.text._ZN7rocprim17ROCPRIM_400000_NS6detail17trampoline_kernelINS0_14default_configENS1_22reduce_config_selectorIsEEZNS1_11reduce_implILb1ES3_PsS7_s9plus_mod3IsEEE10hipError_tPvRmT1_T2_T3_mT4_P12ihipStream_tbEUlT_E0_NS1_11comp_targetILNS1_3genE0ELNS1_11target_archE4294967295ELNS1_3gpuE0ELNS1_3repE0EEENS1_30default_config_static_selectorELNS0_4arch9wavefront6targetE1EEEvSD_,"axG",@progbits,_ZN7rocprim17ROCPRIM_400000_NS6detail17trampoline_kernelINS0_14default_configENS1_22reduce_config_selectorIsEEZNS1_11reduce_implILb1ES3_PsS7_s9plus_mod3IsEEE10hipError_tPvRmT1_T2_T3_mT4_P12ihipStream_tbEUlT_E0_NS1_11comp_targetILNS1_3genE0ELNS1_11target_archE4294967295ELNS1_3gpuE0ELNS1_3repE0EEENS1_30default_config_static_selectorELNS0_4arch9wavefront6targetE1EEEvSD_,comdat
	.protected	_ZN7rocprim17ROCPRIM_400000_NS6detail17trampoline_kernelINS0_14default_configENS1_22reduce_config_selectorIsEEZNS1_11reduce_implILb1ES3_PsS7_s9plus_mod3IsEEE10hipError_tPvRmT1_T2_T3_mT4_P12ihipStream_tbEUlT_E0_NS1_11comp_targetILNS1_3genE0ELNS1_11target_archE4294967295ELNS1_3gpuE0ELNS1_3repE0EEENS1_30default_config_static_selectorELNS0_4arch9wavefront6targetE1EEEvSD_ ; -- Begin function _ZN7rocprim17ROCPRIM_400000_NS6detail17trampoline_kernelINS0_14default_configENS1_22reduce_config_selectorIsEEZNS1_11reduce_implILb1ES3_PsS7_s9plus_mod3IsEEE10hipError_tPvRmT1_T2_T3_mT4_P12ihipStream_tbEUlT_E0_NS1_11comp_targetILNS1_3genE0ELNS1_11target_archE4294967295ELNS1_3gpuE0ELNS1_3repE0EEENS1_30default_config_static_selectorELNS0_4arch9wavefront6targetE1EEEvSD_
	.globl	_ZN7rocprim17ROCPRIM_400000_NS6detail17trampoline_kernelINS0_14default_configENS1_22reduce_config_selectorIsEEZNS1_11reduce_implILb1ES3_PsS7_s9plus_mod3IsEEE10hipError_tPvRmT1_T2_T3_mT4_P12ihipStream_tbEUlT_E0_NS1_11comp_targetILNS1_3genE0ELNS1_11target_archE4294967295ELNS1_3gpuE0ELNS1_3repE0EEENS1_30default_config_static_selectorELNS0_4arch9wavefront6targetE1EEEvSD_
	.p2align	8
	.type	_ZN7rocprim17ROCPRIM_400000_NS6detail17trampoline_kernelINS0_14default_configENS1_22reduce_config_selectorIsEEZNS1_11reduce_implILb1ES3_PsS7_s9plus_mod3IsEEE10hipError_tPvRmT1_T2_T3_mT4_P12ihipStream_tbEUlT_E0_NS1_11comp_targetILNS1_3genE0ELNS1_11target_archE4294967295ELNS1_3gpuE0ELNS1_3repE0EEENS1_30default_config_static_selectorELNS0_4arch9wavefront6targetE1EEEvSD_,@function
_ZN7rocprim17ROCPRIM_400000_NS6detail17trampoline_kernelINS0_14default_configENS1_22reduce_config_selectorIsEEZNS1_11reduce_implILb1ES3_PsS7_s9plus_mod3IsEEE10hipError_tPvRmT1_T2_T3_mT4_P12ihipStream_tbEUlT_E0_NS1_11comp_targetILNS1_3genE0ELNS1_11target_archE4294967295ELNS1_3gpuE0ELNS1_3repE0EEENS1_30default_config_static_selectorELNS0_4arch9wavefront6targetE1EEEvSD_: ; @_ZN7rocprim17ROCPRIM_400000_NS6detail17trampoline_kernelINS0_14default_configENS1_22reduce_config_selectorIsEEZNS1_11reduce_implILb1ES3_PsS7_s9plus_mod3IsEEE10hipError_tPvRmT1_T2_T3_mT4_P12ihipStream_tbEUlT_E0_NS1_11comp_targetILNS1_3genE0ELNS1_11target_archE4294967295ELNS1_3gpuE0ELNS1_3repE0EEENS1_30default_config_static_selectorELNS0_4arch9wavefront6targetE1EEEvSD_
; %bb.0:
	s_load_dwordx8 s[12:19], s[0:1], 0x0
	s_load_dwordx2 s[20:21], s[0:1], 0x38
	v_lshlrev_b32_e32 v6, 1, v0
	v_mbcnt_lo_u32_b32 v1, -1, 0
	s_waitcnt lgkmcnt(0)
	s_lshl_b64 s[4:5], s[14:15], 1
	s_add_u32 s10, s12, s4
	s_addc_u32 s11, s13, s5
	s_lshl_b32 s4, s2, 10
	s_mov_b32 s5, 0
	s_lshr_b64 s[6:7], s[16:17], 10
	s_lshl_b64 s[8:9], s[4:5], 1
	s_add_u32 s24, s10, s8
	s_mov_b32 s3, s5
	s_addc_u32 s25, s11, s9
	s_cmp_lg_u64 s[6:7], s[2:3]
	s_cbranch_scc0 .LBB947_6
; %bb.1:
	global_load_ushort v2, v6, s[24:25]
	global_load_ushort v3, v6, s[24:25] offset:256
	global_load_ushort v7, v6, s[24:25] offset:512
	global_load_ushort v8, v6, s[24:25] offset:768
	global_load_ushort v9, v6, s[24:25] offset:1024
	global_load_ushort v10, v6, s[24:25] offset:1280
	global_load_ushort v11, v6, s[24:25] offset:1536
	global_load_ushort v12, v6, s[24:25] offset:1792
	s_waitcnt vmcnt(7)
	v_bfe_i32 v2, v2, 0, 16
	s_waitcnt vmcnt(6)
	v_bfe_i32 v4, v3, 0, 16
	v_ashrrev_i32_e32 v3, 31, v2
	v_ashrrev_i32_e32 v5, 31, v4
	v_lshl_add_u64 v[2:3], v[2:3], 1, s[20:21]
	v_lshl_add_u64 v[2:3], v[4:5], 1, v[2:3]
	global_load_ushort v4, v[2:3], off
	s_waitcnt vmcnt(6)
	v_bfe_i32 v2, v7, 0, 16
	v_ashrrev_i32_e32 v3, 31, v2
	s_waitcnt vmcnt(0)
	v_bfe_i32 v4, v4, 0, 16
	v_ashrrev_i32_e32 v5, 31, v4
	v_lshl_add_u64 v[4:5], v[4:5], 1, s[20:21]
	v_lshl_add_u64 v[2:3], v[2:3], 1, v[4:5]
	global_load_ushort v4, v[2:3], off
	v_bfe_i32 v2, v8, 0, 16
	v_ashrrev_i32_e32 v3, 31, v2
	s_waitcnt vmcnt(0)
	v_bfe_i32 v4, v4, 0, 16
	v_ashrrev_i32_e32 v5, 31, v4
	v_lshl_add_u64 v[4:5], v[4:5], 1, s[20:21]
	v_lshl_add_u64 v[2:3], v[2:3], 1, v[4:5]
	global_load_ushort v4, v[2:3], off
	;; [unrolled: 8-line block ×6, first 2 shown]
	s_waitcnt vmcnt(0)
	v_and_b32_e32 v3, 0xffff, v2
	s_nop 1
	v_mov_b32_dpp v4, v3 quad_perm:[1,0,3,2] row_mask:0xf bank_mask:0xf bound_ctrl:1
	v_lshlrev_b32_e32 v7, 16, v4
	v_bfe_i32 v2, v2, 0, 16
	v_bfe_i32 v5, v4, 15, 1
	v_ashrrev_i32_e32 v4, 15, v7
	v_ashrrev_i32_e32 v3, 31, v2
	v_lshl_add_u64 v[4:5], s[20:21], 0, v[4:5]
	v_lshl_add_u64 v[2:3], v[2:3], 1, v[4:5]
	global_load_ushort v2, v[2:3], off
	s_waitcnt vmcnt(0)
	v_and_b32_e32 v3, 0xffff, v2
	s_nop 1
	v_mov_b32_dpp v4, v3 quad_perm:[2,3,0,1] row_mask:0xf bank_mask:0xf bound_ctrl:1
	v_lshlrev_b32_e32 v7, 16, v4
	v_bfe_i32 v2, v2, 0, 16
	v_bfe_i32 v5, v4, 15, 1
	v_ashrrev_i32_e32 v4, 15, v7
	v_ashrrev_i32_e32 v3, 31, v2
	v_lshl_add_u64 v[4:5], s[20:21], 0, v[4:5]
	v_lshl_add_u64 v[2:3], v[2:3], 1, v[4:5]
	global_load_ushort v2, v[2:3], off
	s_waitcnt vmcnt(0)
	v_and_b32_e32 v3, 0xffff, v2
	s_nop 1
	v_mov_b32_dpp v4, v3 row_ror:4 row_mask:0xf bank_mask:0xf bound_ctrl:1
	v_lshlrev_b32_e32 v7, 16, v4
	v_bfe_i32 v2, v2, 0, 16
	v_bfe_i32 v5, v4, 15, 1
	v_ashrrev_i32_e32 v4, 15, v7
	v_ashrrev_i32_e32 v3, 31, v2
	v_lshl_add_u64 v[4:5], s[20:21], 0, v[4:5]
	v_lshl_add_u64 v[2:3], v[2:3], 1, v[4:5]
	global_load_ushort v2, v[2:3], off
	s_waitcnt vmcnt(0)
	v_and_b32_e32 v3, 0xffff, v2
	s_nop 1
	v_mov_b32_dpp v4, v3 row_ror:8 row_mask:0xf bank_mask:0xf bound_ctrl:1
	v_lshlrev_b32_e32 v7, 16, v4
	v_bfe_i32 v2, v2, 0, 16
	v_bfe_i32 v5, v4, 15, 1
	v_ashrrev_i32_e32 v4, 15, v7
	v_ashrrev_i32_e32 v3, 31, v2
	v_lshl_add_u64 v[4:5], s[20:21], 0, v[4:5]
	v_lshl_add_u64 v[2:3], v[2:3], 1, v[4:5]
	global_load_ushort v2, v[2:3], off
	s_waitcnt vmcnt(0)
	v_and_b32_e32 v3, 0xffff, v2
	s_nop 1
	v_mov_b32_dpp v4, v3 row_bcast:15 row_mask:0xf bank_mask:0xf bound_ctrl:1
	v_lshlrev_b32_e32 v7, 16, v4
	v_bfe_i32 v2, v2, 0, 16
	v_bfe_i32 v5, v4, 15, 1
	v_ashrrev_i32_e32 v4, 15, v7
	v_ashrrev_i32_e32 v3, 31, v2
	v_lshl_add_u64 v[4:5], s[20:21], 0, v[4:5]
	v_lshl_add_u64 v[2:3], v[2:3], 1, v[4:5]
	global_load_ushort v2, v[2:3], off
	v_mbcnt_hi_u32_b32 v7, -1, v1
	v_cmp_eq_u32_e32 vcc, 0, v7
	s_waitcnt vmcnt(0)
	v_and_b32_e32 v3, 0xffff, v2
	s_nop 1
	v_mov_b32_dpp v5, v3 row_bcast:31 row_mask:0xf bank_mask:0xf bound_ctrl:1
	v_lshlrev_b32_e32 v4, 16, v5
	v_bfe_i32 v2, v2, 0, 16
	v_ashrrev_i32_e32 v4, 15, v4
	v_bfe_i32 v5, v5, 15, 1
	v_ashrrev_i32_e32 v3, 31, v2
	v_lshl_add_u64 v[4:5], s[20:21], 0, v[4:5]
	v_lshl_add_u64 v[2:3], v[2:3], 1, v[4:5]
	global_load_ushort v2, v[2:3], off
	v_lshlrev_b32_e32 v5, 2, v7
	v_or_b32_e32 v3, 0xfc, v5
	s_waitcnt vmcnt(0)
	ds_bpermute_b32 v2, v3, v2
	s_and_saveexec_b64 s[6:7], vcc
	s_cbranch_execz .LBB947_3
; %bb.2:
	v_lshrrev_b32_e32 v3, 5, v0
	v_and_b32_e32 v3, 2, v3
	s_waitcnt lgkmcnt(0)
	ds_write_b16 v3, v2 offset:4
.LBB947_3:
	s_or_b64 exec, exec, s[6:7]
	v_cmp_gt_u32_e32 vcc, 64, v0
	s_mov_b64 s[6:7], 0
	s_mov_b64 s[22:23], 0
	s_waitcnt lgkmcnt(0)
	s_barrier
                                        ; implicit-def: $vgpr3
                                        ; implicit-def: $vgpr4
	s_and_saveexec_b64 s[8:9], vcc
	s_xor_b64 s[8:9], exec, s[8:9]
	s_cbranch_execz .LBB947_5
; %bb.4:
	v_and_b32_e32 v3, 1, v7
	v_lshlrev_b32_e32 v3, 1, v3
	ds_read_u16 v3, v3 offset:4
	v_or_b32_e32 v4, 4, v5
	s_mov_b64 s[22:23], exec
	s_waitcnt lgkmcnt(0)
	v_and_b32_e32 v5, 0xffff, v3
	ds_bpermute_b32 v4, v4, v5
.LBB947_5:
	s_or_b64 exec, exec, s[8:9]
	s_and_b64 vcc, exec, s[6:7]
	s_cbranch_vccnz .LBB947_7
	s_branch .LBB947_47
.LBB947_6:
	s_mov_b64 s[22:23], 0
                                        ; implicit-def: $vgpr3
                                        ; implicit-def: $vgpr4
                                        ; implicit-def: $vgpr2
	s_cbranch_execz .LBB947_47
.LBB947_7:
	s_sub_i32 s28, s16, s4
	v_mov_b32_e32 v2, 0
	v_cmp_gt_u32_e32 vcc, s28, v0
	v_mov_b32_e32 v3, v2
	s_waitcnt lgkmcnt(0)
	v_mov_b32_e32 v4, v2
	v_mov_b32_e32 v5, v2
	s_and_saveexec_b64 s[4:5], vcc
	s_cbranch_execz .LBB947_9
; %bb.8:
	global_load_ushort v3, v6, s[24:25]
	v_mov_b32_e32 v9, v2
	v_mov_b32_e32 v10, v2
	;; [unrolled: 1-line block ×3, first 2 shown]
	s_waitcnt vmcnt(0)
	v_and_b32_e32 v8, 0xffff, v3
	v_mov_b64_e32 v[2:3], v[8:9]
	v_mov_b64_e32 v[4:5], v[10:11]
.LBB947_9:
	s_or_b64 exec, exec, s[4:5]
	v_or_b32_e32 v7, 0x80, v0
	v_cmp_gt_u32_e64 s[14:15], s28, v7
	s_and_saveexec_b64 s[4:5], s[14:15]
	s_cbranch_execz .LBB947_11
; %bb.10:
	global_load_ushort v7, v6, s[24:25] offset:256
	s_mov_b32 s6, 0x5040100
	s_waitcnt vmcnt(0)
	v_perm_b32 v2, v7, v2, s6
.LBB947_11:
	s_or_b64 exec, exec, s[4:5]
	v_or_b32_e32 v7, 0x100, v0
	v_cmp_gt_u32_e64 s[12:13], s28, v7
	s_and_saveexec_b64 s[4:5], s[12:13]
	s_cbranch_execz .LBB947_13
; %bb.12:
	global_load_ushort v7, v6, s[24:25] offset:512
	s_mov_b32 s6, 0xffff
	s_waitcnt vmcnt(0)
	v_bfi_b32 v3, s6, v7, v3
.LBB947_13:
	s_or_b64 exec, exec, s[4:5]
	v_or_b32_e32 v7, 0x180, v0
	v_cmp_gt_u32_e64 s[10:11], s28, v7
	s_and_saveexec_b64 s[4:5], s[10:11]
	s_cbranch_execz .LBB947_15
; %bb.14:
	global_load_ushort v7, v6, s[24:25] offset:768
	s_mov_b32 s6, 0x5040100
	s_waitcnt vmcnt(0)
	v_perm_b32 v3, v7, v3, s6
.LBB947_15:
	s_or_b64 exec, exec, s[4:5]
	v_or_b32_e32 v7, 0x200, v0
	v_cmp_gt_u32_e64 s[8:9], s28, v7
	s_and_saveexec_b64 s[4:5], s[8:9]
	s_cbranch_execz .LBB947_17
; %bb.16:
	global_load_ushort v7, v6, s[24:25] offset:1024
	s_mov_b32 s6, 0xffff
	s_waitcnt vmcnt(0)
	v_bfi_b32 v4, s6, v7, v4
.LBB947_17:
	;; [unrolled: 22-line block ×3, first 2 shown]
	s_or_b64 exec, exec, s[26:27]
	v_or_b32_e32 v7, 0x380, v0
	v_cmp_gt_u32_e32 vcc, s28, v7
	s_and_saveexec_b64 s[26:27], vcc
	s_cbranch_execnz .LBB947_52
; %bb.22:
	s_or_b64 exec, exec, s[26:27]
	s_and_saveexec_b64 s[24:25], s[14:15]
	s_cbranch_execnz .LBB947_53
.LBB947_23:
	s_or_b64 exec, exec, s[24:25]
	s_and_saveexec_b64 s[14:15], s[12:13]
	s_cbranch_execnz .LBB947_54
.LBB947_24:
	s_or_b64 exec, exec, s[14:15]
	s_and_saveexec_b64 s[12:13], s[10:11]
	s_cbranch_execnz .LBB947_55
.LBB947_25:
	s_or_b64 exec, exec, s[12:13]
	s_and_saveexec_b64 s[10:11], s[8:9]
	s_cbranch_execnz .LBB947_56
.LBB947_26:
	s_or_b64 exec, exec, s[10:11]
	s_and_saveexec_b64 s[8:9], s[6:7]
	s_cbranch_execnz .LBB947_57
.LBB947_27:
	s_or_b64 exec, exec, s[8:9]
	s_and_saveexec_b64 s[6:7], s[4:5]
	s_cbranch_execnz .LBB947_58
.LBB947_28:
	s_or_b64 exec, exec, s[6:7]
	s_and_saveexec_b64 s[4:5], vcc
	s_cbranch_execz .LBB947_30
.LBB947_29:
	s_waitcnt vmcnt(0)
	v_bfe_i32 v2, v2, 0, 16
	v_lshrrev_b32_e32 v4, 16, v5
	v_ashrrev_i32_e32 v3, 31, v2
	v_bfe_i32 v4, v4, 0, 16
	v_lshl_add_u64 v[2:3], v[2:3], 1, s[20:21]
	v_ashrrev_i32_e32 v5, 31, v4
	v_lshl_add_u64 v[2:3], v[4:5], 1, v[2:3]
	global_load_ushort v2, v[2:3], off
.LBB947_30:
	s_or_b64 exec, exec, s[4:5]
	v_mbcnt_hi_u32_b32 v1, -1, v1
	v_and_b32_e32 v3, 63, v1
	v_cmp_ne_u32_e32 vcc, 63, v3
	s_waitcnt vmcnt(0)
	v_and_b32_e32 v6, 0xffff, v2
	s_min_u32 s6, s28, 0x80
	v_addc_co_u32_e32 v4, vcc, 0, v1, vcc
	v_lshlrev_b32_e32 v4, 2, v4
	ds_bpermute_b32 v4, v4, v6
	v_and_b32_e32 v5, 64, v0
	v_sub_u32_e64 v5, s6, v5 clamp
	v_add_u32_e32 v7, 1, v3
	v_cmp_lt_u32_e32 vcc, v7, v5
	s_and_saveexec_b64 s[4:5], vcc
	s_xor_b64 s[4:5], exec, s[4:5]
	s_cbranch_execz .LBB947_32
; %bb.31:
	v_bfe_i32 v6, v2, 0, 16
	v_ashrrev_i32_e32 v7, 31, v6
	s_waitcnt lgkmcnt(0)
	v_lshlrev_b32_e32 v2, 16, v4
	v_lshl_add_u64 v[6:7], v[6:7], 1, s[20:21]
	v_ashrrev_i32_e32 v8, 15, v2
	v_bfe_i32 v9, v4, 15, 1
	v_lshl_add_u64 v[6:7], v[6:7], 0, v[8:9]
	global_load_ushort v2, v[6:7], off
	s_waitcnt vmcnt(0)
	v_and_b32_e32 v6, 0xffff, v2
.LBB947_32:
	s_or_b64 exec, exec, s[4:5]
	v_cmp_gt_u32_e32 vcc, 62, v3
	v_add_u32_e32 v7, 2, v3
	s_waitcnt lgkmcnt(0)
	v_cndmask_b32_e64 v4, 0, 2, vcc
	v_add_lshl_u32 v4, v4, v1, 2
	ds_bpermute_b32 v4, v4, v6
	v_cmp_lt_u32_e32 vcc, v7, v5
	s_and_saveexec_b64 s[4:5], vcc
	s_cbranch_execz .LBB947_34
; %bb.33:
	v_bfe_i32 v6, v2, 0, 16
	v_ashrrev_i32_e32 v7, 31, v6
	s_waitcnt lgkmcnt(0)
	v_lshlrev_b32_e32 v2, 16, v4
	v_lshl_add_u64 v[6:7], v[6:7], 1, s[20:21]
	v_ashrrev_i32_e32 v8, 15, v2
	v_bfe_i32 v9, v4, 15, 1
	v_lshl_add_u64 v[6:7], v[6:7], 0, v[8:9]
	global_load_ushort v2, v[6:7], off
	s_waitcnt vmcnt(0)
	v_and_b32_e32 v6, 0xffff, v2
.LBB947_34:
	s_or_b64 exec, exec, s[4:5]
	v_cmp_gt_u32_e32 vcc, 60, v3
	v_add_u32_e32 v7, 4, v3
	s_waitcnt lgkmcnt(0)
	v_cndmask_b32_e64 v4, 0, 4, vcc
	v_add_lshl_u32 v4, v4, v1, 2
	ds_bpermute_b32 v4, v4, v6
	v_cmp_lt_u32_e32 vcc, v7, v5
	s_and_saveexec_b64 s[4:5], vcc
	;; [unrolled: 23-line block ×4, first 2 shown]
	s_cbranch_execz .LBB947_40
; %bb.39:
	v_bfe_i32 v6, v2, 0, 16
	v_ashrrev_i32_e32 v7, 31, v6
	s_waitcnt lgkmcnt(0)
	v_lshlrev_b32_e32 v2, 16, v4
	v_lshl_add_u64 v[6:7], v[6:7], 1, s[20:21]
	v_ashrrev_i32_e32 v8, 15, v2
	v_bfe_i32 v9, v4, 15, 1
	v_lshl_add_u64 v[6:7], v[6:7], 0, v[8:9]
	global_load_ushort v2, v[6:7], off
	s_waitcnt vmcnt(0)
	v_and_b32_e32 v6, 0xffff, v2
.LBB947_40:
	s_or_b64 exec, exec, s[4:5]
	v_lshlrev_b32_e32 v7, 2, v1
	s_waitcnt lgkmcnt(0)
	v_or_b32_e32 v4, 0x80, v7
	ds_bpermute_b32 v4, v4, v6
	v_add_u32_e32 v3, 32, v3
	v_cmp_lt_u32_e32 vcc, v3, v5
	s_and_saveexec_b64 s[4:5], vcc
	s_cbranch_execz .LBB947_42
; %bb.41:
	v_bfe_i32 v2, v2, 0, 16
	v_ashrrev_i32_e32 v3, 31, v2
	s_waitcnt lgkmcnt(0)
	v_lshlrev_b32_e32 v5, 16, v4
	v_lshl_add_u64 v[2:3], v[2:3], 1, s[20:21]
	v_ashrrev_i32_e32 v8, 15, v5
	v_bfe_i32 v9, v4, 15, 1
	v_lshl_add_u64 v[2:3], v[2:3], 0, v[8:9]
	global_load_ushort v2, v[2:3], off
.LBB947_42:
	s_or_b64 exec, exec, s[4:5]
	v_cmp_eq_u32_e32 vcc, 0, v1
	s_and_saveexec_b64 s[4:5], vcc
	s_cbranch_execz .LBB947_44
; %bb.43:
	v_lshrrev_b32_e32 v3, 5, v0
	v_and_b32_e32 v3, 2, v3
	s_waitcnt vmcnt(0)
	ds_write_b16 v3, v2
.LBB947_44:
	s_or_b64 exec, exec, s[4:5]
	v_cmp_gt_u32_e32 vcc, 2, v0
	s_waitcnt lgkmcnt(0)
	s_barrier
                                        ; implicit-def: $vgpr3
                                        ; implicit-def: $vgpr4
	s_and_saveexec_b64 s[4:5], vcc
	s_cbranch_execz .LBB947_46
; %bb.45:
	s_waitcnt vmcnt(0)
	v_lshlrev_b32_e32 v2, 1, v1
	ds_read_u16 v3, v2
	s_add_i32 s6, s6, 63
	v_and_b32_e32 v1, 1, v1
	s_lshr_b32 s6, s6, 6
	v_add_u32_e32 v1, 1, v1
	v_or_b32_e32 v2, 4, v7
	v_cmp_gt_u32_e32 vcc, s6, v1
	s_waitcnt lgkmcnt(0)
	v_and_b32_e32 v1, 0xffff, v3
	ds_bpermute_b32 v4, v2, v1
	s_andn2_b64 s[6:7], s[22:23], exec
	s_and_b64 s[8:9], vcc, exec
	s_or_b64 s[22:23], s[6:7], s[8:9]
	v_mov_b32_e32 v2, v3
.LBB947_46:
	s_or_b64 exec, exec, s[4:5]
.LBB947_47:
	s_and_saveexec_b64 s[4:5], s[22:23]
	s_cbranch_execnz .LBB947_50
; %bb.48:
	s_or_b64 exec, exec, s[4:5]
	v_cmp_eq_u32_e32 vcc, 0, v0
	s_and_saveexec_b64 s[4:5], vcc
	s_cbranch_execnz .LBB947_51
.LBB947_49:
	s_endpgm
.LBB947_50:
	s_waitcnt vmcnt(0)
	v_bfe_i32 v2, v3, 0, 16
	v_ashrrev_i32_e32 v3, 31, v2
	s_waitcnt lgkmcnt(0)
	v_lshlrev_b32_e32 v1, 16, v4
	v_lshl_add_u64 v[2:3], v[2:3], 1, s[20:21]
	v_ashrrev_i32_e32 v6, 15, v1
	v_bfe_i32 v7, v4, 15, 1
	v_lshl_add_u64 v[2:3], v[2:3], 0, v[6:7]
	global_load_ushort v2, v[2:3], off
	s_or_b64 exec, exec, s[4:5]
	v_cmp_eq_u32_e32 vcc, 0, v0
	s_and_saveexec_b64 s[4:5], vcc
	s_cbranch_execz .LBB947_49
.LBB947_51:
	s_load_dwordx4 s[4:7], s[0:1], 0x20
	s_load_dword s8, s[0:1], 0x30
	v_mov_b32_e32 v1, 0
	s_waitcnt lgkmcnt(0)
	s_mul_i32 s1, s6, s5
	s_mul_hi_u32 s5, s6, s4
	s_mul_i32 s7, s7, s4
	s_add_i32 s1, s5, s1
	s_mul_i32 s0, s6, s4
	s_add_i32 s1, s1, s7
	s_lshl_b64 s[0:1], s[0:1], 1
	s_add_u32 s4, s18, s0
	s_addc_u32 s5, s19, s1
	s_cmp_eq_u64 s[16:17], 0
	s_cselect_b64 vcc, -1, 0
	s_lshl_b64 s[0:1], s[2:3], 1
	v_mov_b32_e32 v0, s8
	s_add_u32 s0, s4, s0
	s_waitcnt vmcnt(0)
	v_cndmask_b32_e32 v0, v2, v0, vcc
	s_addc_u32 s1, s5, s1
	global_store_short v1, v0, s[0:1]
	s_endpgm
.LBB947_52:
	global_load_ushort v6, v6, s[24:25] offset:1792
	s_mov_b32 s24, 0x5040100
	s_waitcnt vmcnt(0)
	v_perm_b32 v5, v6, v5, s24
	s_or_b64 exec, exec, s[26:27]
	s_and_saveexec_b64 s[24:25], s[14:15]
	s_cbranch_execz .LBB947_23
.LBB947_53:
	v_bfe_i32 v6, v2, 0, 16
	v_lshrrev_b32_e32 v2, 16, v2
	v_ashrrev_i32_e32 v7, 31, v6
	v_bfe_i32 v8, v2, 0, 16
	v_lshl_add_u64 v[6:7], v[6:7], 1, s[20:21]
	v_ashrrev_i32_e32 v9, 31, v8
	v_lshl_add_u64 v[6:7], v[8:9], 1, v[6:7]
	global_load_ushort v2, v[6:7], off
	s_or_b64 exec, exec, s[24:25]
	s_and_saveexec_b64 s[14:15], s[12:13]
	s_cbranch_execz .LBB947_24
.LBB947_54:
	s_waitcnt vmcnt(0)
	v_bfe_i32 v6, v2, 0, 16
	v_ashrrev_i32_e32 v7, 31, v6
	v_bfe_i32 v8, v3, 0, 16
	v_lshl_add_u64 v[6:7], v[6:7], 1, s[20:21]
	v_ashrrev_i32_e32 v9, 31, v8
	v_lshl_add_u64 v[6:7], v[8:9], 1, v[6:7]
	global_load_ushort v2, v[6:7], off
	s_or_b64 exec, exec, s[14:15]
	s_and_saveexec_b64 s[12:13], s[10:11]
	s_cbranch_execz .LBB947_25
.LBB947_55:
	s_waitcnt vmcnt(0)
	v_bfe_i32 v6, v2, 0, 16
	v_lshrrev_b32_e32 v2, 16, v3
	v_ashrrev_i32_e32 v7, 31, v6
	v_bfe_i32 v2, v2, 0, 16
	v_lshl_add_u64 v[6:7], v[6:7], 1, s[20:21]
	v_ashrrev_i32_e32 v3, 31, v2
	v_lshl_add_u64 v[2:3], v[2:3], 1, v[6:7]
	global_load_ushort v2, v[2:3], off
	s_or_b64 exec, exec, s[12:13]
	s_and_saveexec_b64 s[10:11], s[8:9]
	s_cbranch_execz .LBB947_26
.LBB947_56:
	s_waitcnt vmcnt(0)
	v_bfe_i32 v2, v2, 0, 16
	v_ashrrev_i32_e32 v3, 31, v2
	v_bfe_i32 v6, v4, 0, 16
	v_lshl_add_u64 v[2:3], v[2:3], 1, s[20:21]
	v_ashrrev_i32_e32 v7, 31, v6
	v_lshl_add_u64 v[2:3], v[6:7], 1, v[2:3]
	global_load_ushort v2, v[2:3], off
	s_or_b64 exec, exec, s[10:11]
	s_and_saveexec_b64 s[8:9], s[6:7]
	s_cbranch_execz .LBB947_27
.LBB947_57:
	s_waitcnt vmcnt(0)
	v_bfe_i32 v2, v2, 0, 16
	v_lshrrev_b32_e32 v4, 16, v4
	v_ashrrev_i32_e32 v3, 31, v2
	v_bfe_i32 v6, v4, 0, 16
	v_lshl_add_u64 v[2:3], v[2:3], 1, s[20:21]
	v_ashrrev_i32_e32 v7, 31, v6
	v_lshl_add_u64 v[2:3], v[6:7], 1, v[2:3]
	global_load_ushort v2, v[2:3], off
	s_or_b64 exec, exec, s[8:9]
	s_and_saveexec_b64 s[6:7], s[4:5]
	s_cbranch_execz .LBB947_28
.LBB947_58:
	s_waitcnt vmcnt(0)
	v_bfe_i32 v2, v2, 0, 16
	v_ashrrev_i32_e32 v3, 31, v2
	v_bfe_i32 v6, v5, 0, 16
	v_lshl_add_u64 v[2:3], v[2:3], 1, s[20:21]
	v_ashrrev_i32_e32 v7, 31, v6
	v_lshl_add_u64 v[2:3], v[6:7], 1, v[2:3]
	global_load_ushort v2, v[2:3], off
	s_or_b64 exec, exec, s[6:7]
	s_and_saveexec_b64 s[4:5], vcc
	s_cbranch_execnz .LBB947_29
	s_branch .LBB947_30
	.section	.rodata,"a",@progbits
	.p2align	6, 0x0
	.amdhsa_kernel _ZN7rocprim17ROCPRIM_400000_NS6detail17trampoline_kernelINS0_14default_configENS1_22reduce_config_selectorIsEEZNS1_11reduce_implILb1ES3_PsS7_s9plus_mod3IsEEE10hipError_tPvRmT1_T2_T3_mT4_P12ihipStream_tbEUlT_E0_NS1_11comp_targetILNS1_3genE0ELNS1_11target_archE4294967295ELNS1_3gpuE0ELNS1_3repE0EEENS1_30default_config_static_selectorELNS0_4arch9wavefront6targetE1EEEvSD_
		.amdhsa_group_segment_fixed_size 8
		.amdhsa_private_segment_fixed_size 0
		.amdhsa_kernarg_size 64
		.amdhsa_user_sgpr_count 2
		.amdhsa_user_sgpr_dispatch_ptr 0
		.amdhsa_user_sgpr_queue_ptr 0
		.amdhsa_user_sgpr_kernarg_segment_ptr 1
		.amdhsa_user_sgpr_dispatch_id 0
		.amdhsa_user_sgpr_kernarg_preload_length 0
		.amdhsa_user_sgpr_kernarg_preload_offset 0
		.amdhsa_user_sgpr_private_segment_size 0
		.amdhsa_uses_dynamic_stack 0
		.amdhsa_enable_private_segment 0
		.amdhsa_system_sgpr_workgroup_id_x 1
		.amdhsa_system_sgpr_workgroup_id_y 0
		.amdhsa_system_sgpr_workgroup_id_z 0
		.amdhsa_system_sgpr_workgroup_info 0
		.amdhsa_system_vgpr_workitem_id 0
		.amdhsa_next_free_vgpr 13
		.amdhsa_next_free_sgpr 30
		.amdhsa_accum_offset 16
		.amdhsa_reserve_vcc 1
		.amdhsa_float_round_mode_32 0
		.amdhsa_float_round_mode_16_64 0
		.amdhsa_float_denorm_mode_32 3
		.amdhsa_float_denorm_mode_16_64 3
		.amdhsa_dx10_clamp 1
		.amdhsa_ieee_mode 1
		.amdhsa_fp16_overflow 0
		.amdhsa_tg_split 0
		.amdhsa_exception_fp_ieee_invalid_op 0
		.amdhsa_exception_fp_denorm_src 0
		.amdhsa_exception_fp_ieee_div_zero 0
		.amdhsa_exception_fp_ieee_overflow 0
		.amdhsa_exception_fp_ieee_underflow 0
		.amdhsa_exception_fp_ieee_inexact 0
		.amdhsa_exception_int_div_zero 0
	.end_amdhsa_kernel
	.section	.text._ZN7rocprim17ROCPRIM_400000_NS6detail17trampoline_kernelINS0_14default_configENS1_22reduce_config_selectorIsEEZNS1_11reduce_implILb1ES3_PsS7_s9plus_mod3IsEEE10hipError_tPvRmT1_T2_T3_mT4_P12ihipStream_tbEUlT_E0_NS1_11comp_targetILNS1_3genE0ELNS1_11target_archE4294967295ELNS1_3gpuE0ELNS1_3repE0EEENS1_30default_config_static_selectorELNS0_4arch9wavefront6targetE1EEEvSD_,"axG",@progbits,_ZN7rocprim17ROCPRIM_400000_NS6detail17trampoline_kernelINS0_14default_configENS1_22reduce_config_selectorIsEEZNS1_11reduce_implILb1ES3_PsS7_s9plus_mod3IsEEE10hipError_tPvRmT1_T2_T3_mT4_P12ihipStream_tbEUlT_E0_NS1_11comp_targetILNS1_3genE0ELNS1_11target_archE4294967295ELNS1_3gpuE0ELNS1_3repE0EEENS1_30default_config_static_selectorELNS0_4arch9wavefront6targetE1EEEvSD_,comdat
.Lfunc_end947:
	.size	_ZN7rocprim17ROCPRIM_400000_NS6detail17trampoline_kernelINS0_14default_configENS1_22reduce_config_selectorIsEEZNS1_11reduce_implILb1ES3_PsS7_s9plus_mod3IsEEE10hipError_tPvRmT1_T2_T3_mT4_P12ihipStream_tbEUlT_E0_NS1_11comp_targetILNS1_3genE0ELNS1_11target_archE4294967295ELNS1_3gpuE0ELNS1_3repE0EEENS1_30default_config_static_selectorELNS0_4arch9wavefront6targetE1EEEvSD_, .Lfunc_end947-_ZN7rocprim17ROCPRIM_400000_NS6detail17trampoline_kernelINS0_14default_configENS1_22reduce_config_selectorIsEEZNS1_11reduce_implILb1ES3_PsS7_s9plus_mod3IsEEE10hipError_tPvRmT1_T2_T3_mT4_P12ihipStream_tbEUlT_E0_NS1_11comp_targetILNS1_3genE0ELNS1_11target_archE4294967295ELNS1_3gpuE0ELNS1_3repE0EEENS1_30default_config_static_selectorELNS0_4arch9wavefront6targetE1EEEvSD_
                                        ; -- End function
	.set _ZN7rocprim17ROCPRIM_400000_NS6detail17trampoline_kernelINS0_14default_configENS1_22reduce_config_selectorIsEEZNS1_11reduce_implILb1ES3_PsS7_s9plus_mod3IsEEE10hipError_tPvRmT1_T2_T3_mT4_P12ihipStream_tbEUlT_E0_NS1_11comp_targetILNS1_3genE0ELNS1_11target_archE4294967295ELNS1_3gpuE0ELNS1_3repE0EEENS1_30default_config_static_selectorELNS0_4arch9wavefront6targetE1EEEvSD_.num_vgpr, 13
	.set _ZN7rocprim17ROCPRIM_400000_NS6detail17trampoline_kernelINS0_14default_configENS1_22reduce_config_selectorIsEEZNS1_11reduce_implILb1ES3_PsS7_s9plus_mod3IsEEE10hipError_tPvRmT1_T2_T3_mT4_P12ihipStream_tbEUlT_E0_NS1_11comp_targetILNS1_3genE0ELNS1_11target_archE4294967295ELNS1_3gpuE0ELNS1_3repE0EEENS1_30default_config_static_selectorELNS0_4arch9wavefront6targetE1EEEvSD_.num_agpr, 0
	.set _ZN7rocprim17ROCPRIM_400000_NS6detail17trampoline_kernelINS0_14default_configENS1_22reduce_config_selectorIsEEZNS1_11reduce_implILb1ES3_PsS7_s9plus_mod3IsEEE10hipError_tPvRmT1_T2_T3_mT4_P12ihipStream_tbEUlT_E0_NS1_11comp_targetILNS1_3genE0ELNS1_11target_archE4294967295ELNS1_3gpuE0ELNS1_3repE0EEENS1_30default_config_static_selectorELNS0_4arch9wavefront6targetE1EEEvSD_.numbered_sgpr, 30
	.set _ZN7rocprim17ROCPRIM_400000_NS6detail17trampoline_kernelINS0_14default_configENS1_22reduce_config_selectorIsEEZNS1_11reduce_implILb1ES3_PsS7_s9plus_mod3IsEEE10hipError_tPvRmT1_T2_T3_mT4_P12ihipStream_tbEUlT_E0_NS1_11comp_targetILNS1_3genE0ELNS1_11target_archE4294967295ELNS1_3gpuE0ELNS1_3repE0EEENS1_30default_config_static_selectorELNS0_4arch9wavefront6targetE1EEEvSD_.num_named_barrier, 0
	.set _ZN7rocprim17ROCPRIM_400000_NS6detail17trampoline_kernelINS0_14default_configENS1_22reduce_config_selectorIsEEZNS1_11reduce_implILb1ES3_PsS7_s9plus_mod3IsEEE10hipError_tPvRmT1_T2_T3_mT4_P12ihipStream_tbEUlT_E0_NS1_11comp_targetILNS1_3genE0ELNS1_11target_archE4294967295ELNS1_3gpuE0ELNS1_3repE0EEENS1_30default_config_static_selectorELNS0_4arch9wavefront6targetE1EEEvSD_.private_seg_size, 0
	.set _ZN7rocprim17ROCPRIM_400000_NS6detail17trampoline_kernelINS0_14default_configENS1_22reduce_config_selectorIsEEZNS1_11reduce_implILb1ES3_PsS7_s9plus_mod3IsEEE10hipError_tPvRmT1_T2_T3_mT4_P12ihipStream_tbEUlT_E0_NS1_11comp_targetILNS1_3genE0ELNS1_11target_archE4294967295ELNS1_3gpuE0ELNS1_3repE0EEENS1_30default_config_static_selectorELNS0_4arch9wavefront6targetE1EEEvSD_.uses_vcc, 1
	.set _ZN7rocprim17ROCPRIM_400000_NS6detail17trampoline_kernelINS0_14default_configENS1_22reduce_config_selectorIsEEZNS1_11reduce_implILb1ES3_PsS7_s9plus_mod3IsEEE10hipError_tPvRmT1_T2_T3_mT4_P12ihipStream_tbEUlT_E0_NS1_11comp_targetILNS1_3genE0ELNS1_11target_archE4294967295ELNS1_3gpuE0ELNS1_3repE0EEENS1_30default_config_static_selectorELNS0_4arch9wavefront6targetE1EEEvSD_.uses_flat_scratch, 0
	.set _ZN7rocprim17ROCPRIM_400000_NS6detail17trampoline_kernelINS0_14default_configENS1_22reduce_config_selectorIsEEZNS1_11reduce_implILb1ES3_PsS7_s9plus_mod3IsEEE10hipError_tPvRmT1_T2_T3_mT4_P12ihipStream_tbEUlT_E0_NS1_11comp_targetILNS1_3genE0ELNS1_11target_archE4294967295ELNS1_3gpuE0ELNS1_3repE0EEENS1_30default_config_static_selectorELNS0_4arch9wavefront6targetE1EEEvSD_.has_dyn_sized_stack, 0
	.set _ZN7rocprim17ROCPRIM_400000_NS6detail17trampoline_kernelINS0_14default_configENS1_22reduce_config_selectorIsEEZNS1_11reduce_implILb1ES3_PsS7_s9plus_mod3IsEEE10hipError_tPvRmT1_T2_T3_mT4_P12ihipStream_tbEUlT_E0_NS1_11comp_targetILNS1_3genE0ELNS1_11target_archE4294967295ELNS1_3gpuE0ELNS1_3repE0EEENS1_30default_config_static_selectorELNS0_4arch9wavefront6targetE1EEEvSD_.has_recursion, 0
	.set _ZN7rocprim17ROCPRIM_400000_NS6detail17trampoline_kernelINS0_14default_configENS1_22reduce_config_selectorIsEEZNS1_11reduce_implILb1ES3_PsS7_s9plus_mod3IsEEE10hipError_tPvRmT1_T2_T3_mT4_P12ihipStream_tbEUlT_E0_NS1_11comp_targetILNS1_3genE0ELNS1_11target_archE4294967295ELNS1_3gpuE0ELNS1_3repE0EEENS1_30default_config_static_selectorELNS0_4arch9wavefront6targetE1EEEvSD_.has_indirect_call, 0
	.section	.AMDGPU.csdata,"",@progbits
; Kernel info:
; codeLenInByte = 3236
; TotalNumSgprs: 36
; NumVgprs: 13
; NumAgprs: 0
; TotalNumVgprs: 13
; ScratchSize: 0
; MemoryBound: 0
; FloatMode: 240
; IeeeMode: 1
; LDSByteSize: 8 bytes/workgroup (compile time only)
; SGPRBlocks: 4
; VGPRBlocks: 1
; NumSGPRsForWavesPerEU: 36
; NumVGPRsForWavesPerEU: 13
; AccumOffset: 16
; Occupancy: 8
; WaveLimiterHint : 1
; COMPUTE_PGM_RSRC2:SCRATCH_EN: 0
; COMPUTE_PGM_RSRC2:USER_SGPR: 2
; COMPUTE_PGM_RSRC2:TRAP_HANDLER: 0
; COMPUTE_PGM_RSRC2:TGID_X_EN: 1
; COMPUTE_PGM_RSRC2:TGID_Y_EN: 0
; COMPUTE_PGM_RSRC2:TGID_Z_EN: 0
; COMPUTE_PGM_RSRC2:TIDIG_COMP_CNT: 0
; COMPUTE_PGM_RSRC3_GFX90A:ACCUM_OFFSET: 3
; COMPUTE_PGM_RSRC3_GFX90A:TG_SPLIT: 0
	.section	.text._ZN7rocprim17ROCPRIM_400000_NS6detail17trampoline_kernelINS0_14default_configENS1_22reduce_config_selectorIsEEZNS1_11reduce_implILb1ES3_PsS7_s9plus_mod3IsEEE10hipError_tPvRmT1_T2_T3_mT4_P12ihipStream_tbEUlT_E0_NS1_11comp_targetILNS1_3genE5ELNS1_11target_archE942ELNS1_3gpuE9ELNS1_3repE0EEENS1_30default_config_static_selectorELNS0_4arch9wavefront6targetE1EEEvSD_,"axG",@progbits,_ZN7rocprim17ROCPRIM_400000_NS6detail17trampoline_kernelINS0_14default_configENS1_22reduce_config_selectorIsEEZNS1_11reduce_implILb1ES3_PsS7_s9plus_mod3IsEEE10hipError_tPvRmT1_T2_T3_mT4_P12ihipStream_tbEUlT_E0_NS1_11comp_targetILNS1_3genE5ELNS1_11target_archE942ELNS1_3gpuE9ELNS1_3repE0EEENS1_30default_config_static_selectorELNS0_4arch9wavefront6targetE1EEEvSD_,comdat
	.protected	_ZN7rocprim17ROCPRIM_400000_NS6detail17trampoline_kernelINS0_14default_configENS1_22reduce_config_selectorIsEEZNS1_11reduce_implILb1ES3_PsS7_s9plus_mod3IsEEE10hipError_tPvRmT1_T2_T3_mT4_P12ihipStream_tbEUlT_E0_NS1_11comp_targetILNS1_3genE5ELNS1_11target_archE942ELNS1_3gpuE9ELNS1_3repE0EEENS1_30default_config_static_selectorELNS0_4arch9wavefront6targetE1EEEvSD_ ; -- Begin function _ZN7rocprim17ROCPRIM_400000_NS6detail17trampoline_kernelINS0_14default_configENS1_22reduce_config_selectorIsEEZNS1_11reduce_implILb1ES3_PsS7_s9plus_mod3IsEEE10hipError_tPvRmT1_T2_T3_mT4_P12ihipStream_tbEUlT_E0_NS1_11comp_targetILNS1_3genE5ELNS1_11target_archE942ELNS1_3gpuE9ELNS1_3repE0EEENS1_30default_config_static_selectorELNS0_4arch9wavefront6targetE1EEEvSD_
	.globl	_ZN7rocprim17ROCPRIM_400000_NS6detail17trampoline_kernelINS0_14default_configENS1_22reduce_config_selectorIsEEZNS1_11reduce_implILb1ES3_PsS7_s9plus_mod3IsEEE10hipError_tPvRmT1_T2_T3_mT4_P12ihipStream_tbEUlT_E0_NS1_11comp_targetILNS1_3genE5ELNS1_11target_archE942ELNS1_3gpuE9ELNS1_3repE0EEENS1_30default_config_static_selectorELNS0_4arch9wavefront6targetE1EEEvSD_
	.p2align	8
	.type	_ZN7rocprim17ROCPRIM_400000_NS6detail17trampoline_kernelINS0_14default_configENS1_22reduce_config_selectorIsEEZNS1_11reduce_implILb1ES3_PsS7_s9plus_mod3IsEEE10hipError_tPvRmT1_T2_T3_mT4_P12ihipStream_tbEUlT_E0_NS1_11comp_targetILNS1_3genE5ELNS1_11target_archE942ELNS1_3gpuE9ELNS1_3repE0EEENS1_30default_config_static_selectorELNS0_4arch9wavefront6targetE1EEEvSD_,@function
_ZN7rocprim17ROCPRIM_400000_NS6detail17trampoline_kernelINS0_14default_configENS1_22reduce_config_selectorIsEEZNS1_11reduce_implILb1ES3_PsS7_s9plus_mod3IsEEE10hipError_tPvRmT1_T2_T3_mT4_P12ihipStream_tbEUlT_E0_NS1_11comp_targetILNS1_3genE5ELNS1_11target_archE942ELNS1_3gpuE9ELNS1_3repE0EEENS1_30default_config_static_selectorELNS0_4arch9wavefront6targetE1EEEvSD_: ; @_ZN7rocprim17ROCPRIM_400000_NS6detail17trampoline_kernelINS0_14default_configENS1_22reduce_config_selectorIsEEZNS1_11reduce_implILb1ES3_PsS7_s9plus_mod3IsEEE10hipError_tPvRmT1_T2_T3_mT4_P12ihipStream_tbEUlT_E0_NS1_11comp_targetILNS1_3genE5ELNS1_11target_archE942ELNS1_3gpuE9ELNS1_3repE0EEENS1_30default_config_static_selectorELNS0_4arch9wavefront6targetE1EEEvSD_
; %bb.0:
	.section	.rodata,"a",@progbits
	.p2align	6, 0x0
	.amdhsa_kernel _ZN7rocprim17ROCPRIM_400000_NS6detail17trampoline_kernelINS0_14default_configENS1_22reduce_config_selectorIsEEZNS1_11reduce_implILb1ES3_PsS7_s9plus_mod3IsEEE10hipError_tPvRmT1_T2_T3_mT4_P12ihipStream_tbEUlT_E0_NS1_11comp_targetILNS1_3genE5ELNS1_11target_archE942ELNS1_3gpuE9ELNS1_3repE0EEENS1_30default_config_static_selectorELNS0_4arch9wavefront6targetE1EEEvSD_
		.amdhsa_group_segment_fixed_size 0
		.amdhsa_private_segment_fixed_size 0
		.amdhsa_kernarg_size 64
		.amdhsa_user_sgpr_count 2
		.amdhsa_user_sgpr_dispatch_ptr 0
		.amdhsa_user_sgpr_queue_ptr 0
		.amdhsa_user_sgpr_kernarg_segment_ptr 1
		.amdhsa_user_sgpr_dispatch_id 0
		.amdhsa_user_sgpr_kernarg_preload_length 0
		.amdhsa_user_sgpr_kernarg_preload_offset 0
		.amdhsa_user_sgpr_private_segment_size 0
		.amdhsa_uses_dynamic_stack 0
		.amdhsa_enable_private_segment 0
		.amdhsa_system_sgpr_workgroup_id_x 1
		.amdhsa_system_sgpr_workgroup_id_y 0
		.amdhsa_system_sgpr_workgroup_id_z 0
		.amdhsa_system_sgpr_workgroup_info 0
		.amdhsa_system_vgpr_workitem_id 0
		.amdhsa_next_free_vgpr 1
		.amdhsa_next_free_sgpr 0
		.amdhsa_accum_offset 4
		.amdhsa_reserve_vcc 0
		.amdhsa_float_round_mode_32 0
		.amdhsa_float_round_mode_16_64 0
		.amdhsa_float_denorm_mode_32 3
		.amdhsa_float_denorm_mode_16_64 3
		.amdhsa_dx10_clamp 1
		.amdhsa_ieee_mode 1
		.amdhsa_fp16_overflow 0
		.amdhsa_tg_split 0
		.amdhsa_exception_fp_ieee_invalid_op 0
		.amdhsa_exception_fp_denorm_src 0
		.amdhsa_exception_fp_ieee_div_zero 0
		.amdhsa_exception_fp_ieee_overflow 0
		.amdhsa_exception_fp_ieee_underflow 0
		.amdhsa_exception_fp_ieee_inexact 0
		.amdhsa_exception_int_div_zero 0
	.end_amdhsa_kernel
	.section	.text._ZN7rocprim17ROCPRIM_400000_NS6detail17trampoline_kernelINS0_14default_configENS1_22reduce_config_selectorIsEEZNS1_11reduce_implILb1ES3_PsS7_s9plus_mod3IsEEE10hipError_tPvRmT1_T2_T3_mT4_P12ihipStream_tbEUlT_E0_NS1_11comp_targetILNS1_3genE5ELNS1_11target_archE942ELNS1_3gpuE9ELNS1_3repE0EEENS1_30default_config_static_selectorELNS0_4arch9wavefront6targetE1EEEvSD_,"axG",@progbits,_ZN7rocprim17ROCPRIM_400000_NS6detail17trampoline_kernelINS0_14default_configENS1_22reduce_config_selectorIsEEZNS1_11reduce_implILb1ES3_PsS7_s9plus_mod3IsEEE10hipError_tPvRmT1_T2_T3_mT4_P12ihipStream_tbEUlT_E0_NS1_11comp_targetILNS1_3genE5ELNS1_11target_archE942ELNS1_3gpuE9ELNS1_3repE0EEENS1_30default_config_static_selectorELNS0_4arch9wavefront6targetE1EEEvSD_,comdat
.Lfunc_end948:
	.size	_ZN7rocprim17ROCPRIM_400000_NS6detail17trampoline_kernelINS0_14default_configENS1_22reduce_config_selectorIsEEZNS1_11reduce_implILb1ES3_PsS7_s9plus_mod3IsEEE10hipError_tPvRmT1_T2_T3_mT4_P12ihipStream_tbEUlT_E0_NS1_11comp_targetILNS1_3genE5ELNS1_11target_archE942ELNS1_3gpuE9ELNS1_3repE0EEENS1_30default_config_static_selectorELNS0_4arch9wavefront6targetE1EEEvSD_, .Lfunc_end948-_ZN7rocprim17ROCPRIM_400000_NS6detail17trampoline_kernelINS0_14default_configENS1_22reduce_config_selectorIsEEZNS1_11reduce_implILb1ES3_PsS7_s9plus_mod3IsEEE10hipError_tPvRmT1_T2_T3_mT4_P12ihipStream_tbEUlT_E0_NS1_11comp_targetILNS1_3genE5ELNS1_11target_archE942ELNS1_3gpuE9ELNS1_3repE0EEENS1_30default_config_static_selectorELNS0_4arch9wavefront6targetE1EEEvSD_
                                        ; -- End function
	.set _ZN7rocprim17ROCPRIM_400000_NS6detail17trampoline_kernelINS0_14default_configENS1_22reduce_config_selectorIsEEZNS1_11reduce_implILb1ES3_PsS7_s9plus_mod3IsEEE10hipError_tPvRmT1_T2_T3_mT4_P12ihipStream_tbEUlT_E0_NS1_11comp_targetILNS1_3genE5ELNS1_11target_archE942ELNS1_3gpuE9ELNS1_3repE0EEENS1_30default_config_static_selectorELNS0_4arch9wavefront6targetE1EEEvSD_.num_vgpr, 0
	.set _ZN7rocprim17ROCPRIM_400000_NS6detail17trampoline_kernelINS0_14default_configENS1_22reduce_config_selectorIsEEZNS1_11reduce_implILb1ES3_PsS7_s9plus_mod3IsEEE10hipError_tPvRmT1_T2_T3_mT4_P12ihipStream_tbEUlT_E0_NS1_11comp_targetILNS1_3genE5ELNS1_11target_archE942ELNS1_3gpuE9ELNS1_3repE0EEENS1_30default_config_static_selectorELNS0_4arch9wavefront6targetE1EEEvSD_.num_agpr, 0
	.set _ZN7rocprim17ROCPRIM_400000_NS6detail17trampoline_kernelINS0_14default_configENS1_22reduce_config_selectorIsEEZNS1_11reduce_implILb1ES3_PsS7_s9plus_mod3IsEEE10hipError_tPvRmT1_T2_T3_mT4_P12ihipStream_tbEUlT_E0_NS1_11comp_targetILNS1_3genE5ELNS1_11target_archE942ELNS1_3gpuE9ELNS1_3repE0EEENS1_30default_config_static_selectorELNS0_4arch9wavefront6targetE1EEEvSD_.numbered_sgpr, 0
	.set _ZN7rocprim17ROCPRIM_400000_NS6detail17trampoline_kernelINS0_14default_configENS1_22reduce_config_selectorIsEEZNS1_11reduce_implILb1ES3_PsS7_s9plus_mod3IsEEE10hipError_tPvRmT1_T2_T3_mT4_P12ihipStream_tbEUlT_E0_NS1_11comp_targetILNS1_3genE5ELNS1_11target_archE942ELNS1_3gpuE9ELNS1_3repE0EEENS1_30default_config_static_selectorELNS0_4arch9wavefront6targetE1EEEvSD_.num_named_barrier, 0
	.set _ZN7rocprim17ROCPRIM_400000_NS6detail17trampoline_kernelINS0_14default_configENS1_22reduce_config_selectorIsEEZNS1_11reduce_implILb1ES3_PsS7_s9plus_mod3IsEEE10hipError_tPvRmT1_T2_T3_mT4_P12ihipStream_tbEUlT_E0_NS1_11comp_targetILNS1_3genE5ELNS1_11target_archE942ELNS1_3gpuE9ELNS1_3repE0EEENS1_30default_config_static_selectorELNS0_4arch9wavefront6targetE1EEEvSD_.private_seg_size, 0
	.set _ZN7rocprim17ROCPRIM_400000_NS6detail17trampoline_kernelINS0_14default_configENS1_22reduce_config_selectorIsEEZNS1_11reduce_implILb1ES3_PsS7_s9plus_mod3IsEEE10hipError_tPvRmT1_T2_T3_mT4_P12ihipStream_tbEUlT_E0_NS1_11comp_targetILNS1_3genE5ELNS1_11target_archE942ELNS1_3gpuE9ELNS1_3repE0EEENS1_30default_config_static_selectorELNS0_4arch9wavefront6targetE1EEEvSD_.uses_vcc, 0
	.set _ZN7rocprim17ROCPRIM_400000_NS6detail17trampoline_kernelINS0_14default_configENS1_22reduce_config_selectorIsEEZNS1_11reduce_implILb1ES3_PsS7_s9plus_mod3IsEEE10hipError_tPvRmT1_T2_T3_mT4_P12ihipStream_tbEUlT_E0_NS1_11comp_targetILNS1_3genE5ELNS1_11target_archE942ELNS1_3gpuE9ELNS1_3repE0EEENS1_30default_config_static_selectorELNS0_4arch9wavefront6targetE1EEEvSD_.uses_flat_scratch, 0
	.set _ZN7rocprim17ROCPRIM_400000_NS6detail17trampoline_kernelINS0_14default_configENS1_22reduce_config_selectorIsEEZNS1_11reduce_implILb1ES3_PsS7_s9plus_mod3IsEEE10hipError_tPvRmT1_T2_T3_mT4_P12ihipStream_tbEUlT_E0_NS1_11comp_targetILNS1_3genE5ELNS1_11target_archE942ELNS1_3gpuE9ELNS1_3repE0EEENS1_30default_config_static_selectorELNS0_4arch9wavefront6targetE1EEEvSD_.has_dyn_sized_stack, 0
	.set _ZN7rocprim17ROCPRIM_400000_NS6detail17trampoline_kernelINS0_14default_configENS1_22reduce_config_selectorIsEEZNS1_11reduce_implILb1ES3_PsS7_s9plus_mod3IsEEE10hipError_tPvRmT1_T2_T3_mT4_P12ihipStream_tbEUlT_E0_NS1_11comp_targetILNS1_3genE5ELNS1_11target_archE942ELNS1_3gpuE9ELNS1_3repE0EEENS1_30default_config_static_selectorELNS0_4arch9wavefront6targetE1EEEvSD_.has_recursion, 0
	.set _ZN7rocprim17ROCPRIM_400000_NS6detail17trampoline_kernelINS0_14default_configENS1_22reduce_config_selectorIsEEZNS1_11reduce_implILb1ES3_PsS7_s9plus_mod3IsEEE10hipError_tPvRmT1_T2_T3_mT4_P12ihipStream_tbEUlT_E0_NS1_11comp_targetILNS1_3genE5ELNS1_11target_archE942ELNS1_3gpuE9ELNS1_3repE0EEENS1_30default_config_static_selectorELNS0_4arch9wavefront6targetE1EEEvSD_.has_indirect_call, 0
	.section	.AMDGPU.csdata,"",@progbits
; Kernel info:
; codeLenInByte = 0
; TotalNumSgprs: 6
; NumVgprs: 0
; NumAgprs: 0
; TotalNumVgprs: 0
; ScratchSize: 0
; MemoryBound: 0
; FloatMode: 240
; IeeeMode: 1
; LDSByteSize: 0 bytes/workgroup (compile time only)
; SGPRBlocks: 0
; VGPRBlocks: 0
; NumSGPRsForWavesPerEU: 6
; NumVGPRsForWavesPerEU: 1
; AccumOffset: 4
; Occupancy: 8
; WaveLimiterHint : 0
; COMPUTE_PGM_RSRC2:SCRATCH_EN: 0
; COMPUTE_PGM_RSRC2:USER_SGPR: 2
; COMPUTE_PGM_RSRC2:TRAP_HANDLER: 0
; COMPUTE_PGM_RSRC2:TGID_X_EN: 1
; COMPUTE_PGM_RSRC2:TGID_Y_EN: 0
; COMPUTE_PGM_RSRC2:TGID_Z_EN: 0
; COMPUTE_PGM_RSRC2:TIDIG_COMP_CNT: 0
; COMPUTE_PGM_RSRC3_GFX90A:ACCUM_OFFSET: 0
; COMPUTE_PGM_RSRC3_GFX90A:TG_SPLIT: 0
	.section	.text._ZN7rocprim17ROCPRIM_400000_NS6detail17trampoline_kernelINS0_14default_configENS1_22reduce_config_selectorIsEEZNS1_11reduce_implILb1ES3_PsS7_s9plus_mod3IsEEE10hipError_tPvRmT1_T2_T3_mT4_P12ihipStream_tbEUlT_E0_NS1_11comp_targetILNS1_3genE4ELNS1_11target_archE910ELNS1_3gpuE8ELNS1_3repE0EEENS1_30default_config_static_selectorELNS0_4arch9wavefront6targetE1EEEvSD_,"axG",@progbits,_ZN7rocprim17ROCPRIM_400000_NS6detail17trampoline_kernelINS0_14default_configENS1_22reduce_config_selectorIsEEZNS1_11reduce_implILb1ES3_PsS7_s9plus_mod3IsEEE10hipError_tPvRmT1_T2_T3_mT4_P12ihipStream_tbEUlT_E0_NS1_11comp_targetILNS1_3genE4ELNS1_11target_archE910ELNS1_3gpuE8ELNS1_3repE0EEENS1_30default_config_static_selectorELNS0_4arch9wavefront6targetE1EEEvSD_,comdat
	.protected	_ZN7rocprim17ROCPRIM_400000_NS6detail17trampoline_kernelINS0_14default_configENS1_22reduce_config_selectorIsEEZNS1_11reduce_implILb1ES3_PsS7_s9plus_mod3IsEEE10hipError_tPvRmT1_T2_T3_mT4_P12ihipStream_tbEUlT_E0_NS1_11comp_targetILNS1_3genE4ELNS1_11target_archE910ELNS1_3gpuE8ELNS1_3repE0EEENS1_30default_config_static_selectorELNS0_4arch9wavefront6targetE1EEEvSD_ ; -- Begin function _ZN7rocprim17ROCPRIM_400000_NS6detail17trampoline_kernelINS0_14default_configENS1_22reduce_config_selectorIsEEZNS1_11reduce_implILb1ES3_PsS7_s9plus_mod3IsEEE10hipError_tPvRmT1_T2_T3_mT4_P12ihipStream_tbEUlT_E0_NS1_11comp_targetILNS1_3genE4ELNS1_11target_archE910ELNS1_3gpuE8ELNS1_3repE0EEENS1_30default_config_static_selectorELNS0_4arch9wavefront6targetE1EEEvSD_
	.globl	_ZN7rocprim17ROCPRIM_400000_NS6detail17trampoline_kernelINS0_14default_configENS1_22reduce_config_selectorIsEEZNS1_11reduce_implILb1ES3_PsS7_s9plus_mod3IsEEE10hipError_tPvRmT1_T2_T3_mT4_P12ihipStream_tbEUlT_E0_NS1_11comp_targetILNS1_3genE4ELNS1_11target_archE910ELNS1_3gpuE8ELNS1_3repE0EEENS1_30default_config_static_selectorELNS0_4arch9wavefront6targetE1EEEvSD_
	.p2align	8
	.type	_ZN7rocprim17ROCPRIM_400000_NS6detail17trampoline_kernelINS0_14default_configENS1_22reduce_config_selectorIsEEZNS1_11reduce_implILb1ES3_PsS7_s9plus_mod3IsEEE10hipError_tPvRmT1_T2_T3_mT4_P12ihipStream_tbEUlT_E0_NS1_11comp_targetILNS1_3genE4ELNS1_11target_archE910ELNS1_3gpuE8ELNS1_3repE0EEENS1_30default_config_static_selectorELNS0_4arch9wavefront6targetE1EEEvSD_,@function
_ZN7rocprim17ROCPRIM_400000_NS6detail17trampoline_kernelINS0_14default_configENS1_22reduce_config_selectorIsEEZNS1_11reduce_implILb1ES3_PsS7_s9plus_mod3IsEEE10hipError_tPvRmT1_T2_T3_mT4_P12ihipStream_tbEUlT_E0_NS1_11comp_targetILNS1_3genE4ELNS1_11target_archE910ELNS1_3gpuE8ELNS1_3repE0EEENS1_30default_config_static_selectorELNS0_4arch9wavefront6targetE1EEEvSD_: ; @_ZN7rocprim17ROCPRIM_400000_NS6detail17trampoline_kernelINS0_14default_configENS1_22reduce_config_selectorIsEEZNS1_11reduce_implILb1ES3_PsS7_s9plus_mod3IsEEE10hipError_tPvRmT1_T2_T3_mT4_P12ihipStream_tbEUlT_E0_NS1_11comp_targetILNS1_3genE4ELNS1_11target_archE910ELNS1_3gpuE8ELNS1_3repE0EEENS1_30default_config_static_selectorELNS0_4arch9wavefront6targetE1EEEvSD_
; %bb.0:
	.section	.rodata,"a",@progbits
	.p2align	6, 0x0
	.amdhsa_kernel _ZN7rocprim17ROCPRIM_400000_NS6detail17trampoline_kernelINS0_14default_configENS1_22reduce_config_selectorIsEEZNS1_11reduce_implILb1ES3_PsS7_s9plus_mod3IsEEE10hipError_tPvRmT1_T2_T3_mT4_P12ihipStream_tbEUlT_E0_NS1_11comp_targetILNS1_3genE4ELNS1_11target_archE910ELNS1_3gpuE8ELNS1_3repE0EEENS1_30default_config_static_selectorELNS0_4arch9wavefront6targetE1EEEvSD_
		.amdhsa_group_segment_fixed_size 0
		.amdhsa_private_segment_fixed_size 0
		.amdhsa_kernarg_size 64
		.amdhsa_user_sgpr_count 2
		.amdhsa_user_sgpr_dispatch_ptr 0
		.amdhsa_user_sgpr_queue_ptr 0
		.amdhsa_user_sgpr_kernarg_segment_ptr 1
		.amdhsa_user_sgpr_dispatch_id 0
		.amdhsa_user_sgpr_kernarg_preload_length 0
		.amdhsa_user_sgpr_kernarg_preload_offset 0
		.amdhsa_user_sgpr_private_segment_size 0
		.amdhsa_uses_dynamic_stack 0
		.amdhsa_enable_private_segment 0
		.amdhsa_system_sgpr_workgroup_id_x 1
		.amdhsa_system_sgpr_workgroup_id_y 0
		.amdhsa_system_sgpr_workgroup_id_z 0
		.amdhsa_system_sgpr_workgroup_info 0
		.amdhsa_system_vgpr_workitem_id 0
		.amdhsa_next_free_vgpr 1
		.amdhsa_next_free_sgpr 0
		.amdhsa_accum_offset 4
		.amdhsa_reserve_vcc 0
		.amdhsa_float_round_mode_32 0
		.amdhsa_float_round_mode_16_64 0
		.amdhsa_float_denorm_mode_32 3
		.amdhsa_float_denorm_mode_16_64 3
		.amdhsa_dx10_clamp 1
		.amdhsa_ieee_mode 1
		.amdhsa_fp16_overflow 0
		.amdhsa_tg_split 0
		.amdhsa_exception_fp_ieee_invalid_op 0
		.amdhsa_exception_fp_denorm_src 0
		.amdhsa_exception_fp_ieee_div_zero 0
		.amdhsa_exception_fp_ieee_overflow 0
		.amdhsa_exception_fp_ieee_underflow 0
		.amdhsa_exception_fp_ieee_inexact 0
		.amdhsa_exception_int_div_zero 0
	.end_amdhsa_kernel
	.section	.text._ZN7rocprim17ROCPRIM_400000_NS6detail17trampoline_kernelINS0_14default_configENS1_22reduce_config_selectorIsEEZNS1_11reduce_implILb1ES3_PsS7_s9plus_mod3IsEEE10hipError_tPvRmT1_T2_T3_mT4_P12ihipStream_tbEUlT_E0_NS1_11comp_targetILNS1_3genE4ELNS1_11target_archE910ELNS1_3gpuE8ELNS1_3repE0EEENS1_30default_config_static_selectorELNS0_4arch9wavefront6targetE1EEEvSD_,"axG",@progbits,_ZN7rocprim17ROCPRIM_400000_NS6detail17trampoline_kernelINS0_14default_configENS1_22reduce_config_selectorIsEEZNS1_11reduce_implILb1ES3_PsS7_s9plus_mod3IsEEE10hipError_tPvRmT1_T2_T3_mT4_P12ihipStream_tbEUlT_E0_NS1_11comp_targetILNS1_3genE4ELNS1_11target_archE910ELNS1_3gpuE8ELNS1_3repE0EEENS1_30default_config_static_selectorELNS0_4arch9wavefront6targetE1EEEvSD_,comdat
.Lfunc_end949:
	.size	_ZN7rocprim17ROCPRIM_400000_NS6detail17trampoline_kernelINS0_14default_configENS1_22reduce_config_selectorIsEEZNS1_11reduce_implILb1ES3_PsS7_s9plus_mod3IsEEE10hipError_tPvRmT1_T2_T3_mT4_P12ihipStream_tbEUlT_E0_NS1_11comp_targetILNS1_3genE4ELNS1_11target_archE910ELNS1_3gpuE8ELNS1_3repE0EEENS1_30default_config_static_selectorELNS0_4arch9wavefront6targetE1EEEvSD_, .Lfunc_end949-_ZN7rocprim17ROCPRIM_400000_NS6detail17trampoline_kernelINS0_14default_configENS1_22reduce_config_selectorIsEEZNS1_11reduce_implILb1ES3_PsS7_s9plus_mod3IsEEE10hipError_tPvRmT1_T2_T3_mT4_P12ihipStream_tbEUlT_E0_NS1_11comp_targetILNS1_3genE4ELNS1_11target_archE910ELNS1_3gpuE8ELNS1_3repE0EEENS1_30default_config_static_selectorELNS0_4arch9wavefront6targetE1EEEvSD_
                                        ; -- End function
	.set _ZN7rocprim17ROCPRIM_400000_NS6detail17trampoline_kernelINS0_14default_configENS1_22reduce_config_selectorIsEEZNS1_11reduce_implILb1ES3_PsS7_s9plus_mod3IsEEE10hipError_tPvRmT1_T2_T3_mT4_P12ihipStream_tbEUlT_E0_NS1_11comp_targetILNS1_3genE4ELNS1_11target_archE910ELNS1_3gpuE8ELNS1_3repE0EEENS1_30default_config_static_selectorELNS0_4arch9wavefront6targetE1EEEvSD_.num_vgpr, 0
	.set _ZN7rocprim17ROCPRIM_400000_NS6detail17trampoline_kernelINS0_14default_configENS1_22reduce_config_selectorIsEEZNS1_11reduce_implILb1ES3_PsS7_s9plus_mod3IsEEE10hipError_tPvRmT1_T2_T3_mT4_P12ihipStream_tbEUlT_E0_NS1_11comp_targetILNS1_3genE4ELNS1_11target_archE910ELNS1_3gpuE8ELNS1_3repE0EEENS1_30default_config_static_selectorELNS0_4arch9wavefront6targetE1EEEvSD_.num_agpr, 0
	.set _ZN7rocprim17ROCPRIM_400000_NS6detail17trampoline_kernelINS0_14default_configENS1_22reduce_config_selectorIsEEZNS1_11reduce_implILb1ES3_PsS7_s9plus_mod3IsEEE10hipError_tPvRmT1_T2_T3_mT4_P12ihipStream_tbEUlT_E0_NS1_11comp_targetILNS1_3genE4ELNS1_11target_archE910ELNS1_3gpuE8ELNS1_3repE0EEENS1_30default_config_static_selectorELNS0_4arch9wavefront6targetE1EEEvSD_.numbered_sgpr, 0
	.set _ZN7rocprim17ROCPRIM_400000_NS6detail17trampoline_kernelINS0_14default_configENS1_22reduce_config_selectorIsEEZNS1_11reduce_implILb1ES3_PsS7_s9plus_mod3IsEEE10hipError_tPvRmT1_T2_T3_mT4_P12ihipStream_tbEUlT_E0_NS1_11comp_targetILNS1_3genE4ELNS1_11target_archE910ELNS1_3gpuE8ELNS1_3repE0EEENS1_30default_config_static_selectorELNS0_4arch9wavefront6targetE1EEEvSD_.num_named_barrier, 0
	.set _ZN7rocprim17ROCPRIM_400000_NS6detail17trampoline_kernelINS0_14default_configENS1_22reduce_config_selectorIsEEZNS1_11reduce_implILb1ES3_PsS7_s9plus_mod3IsEEE10hipError_tPvRmT1_T2_T3_mT4_P12ihipStream_tbEUlT_E0_NS1_11comp_targetILNS1_3genE4ELNS1_11target_archE910ELNS1_3gpuE8ELNS1_3repE0EEENS1_30default_config_static_selectorELNS0_4arch9wavefront6targetE1EEEvSD_.private_seg_size, 0
	.set _ZN7rocprim17ROCPRIM_400000_NS6detail17trampoline_kernelINS0_14default_configENS1_22reduce_config_selectorIsEEZNS1_11reduce_implILb1ES3_PsS7_s9plus_mod3IsEEE10hipError_tPvRmT1_T2_T3_mT4_P12ihipStream_tbEUlT_E0_NS1_11comp_targetILNS1_3genE4ELNS1_11target_archE910ELNS1_3gpuE8ELNS1_3repE0EEENS1_30default_config_static_selectorELNS0_4arch9wavefront6targetE1EEEvSD_.uses_vcc, 0
	.set _ZN7rocprim17ROCPRIM_400000_NS6detail17trampoline_kernelINS0_14default_configENS1_22reduce_config_selectorIsEEZNS1_11reduce_implILb1ES3_PsS7_s9plus_mod3IsEEE10hipError_tPvRmT1_T2_T3_mT4_P12ihipStream_tbEUlT_E0_NS1_11comp_targetILNS1_3genE4ELNS1_11target_archE910ELNS1_3gpuE8ELNS1_3repE0EEENS1_30default_config_static_selectorELNS0_4arch9wavefront6targetE1EEEvSD_.uses_flat_scratch, 0
	.set _ZN7rocprim17ROCPRIM_400000_NS6detail17trampoline_kernelINS0_14default_configENS1_22reduce_config_selectorIsEEZNS1_11reduce_implILb1ES3_PsS7_s9plus_mod3IsEEE10hipError_tPvRmT1_T2_T3_mT4_P12ihipStream_tbEUlT_E0_NS1_11comp_targetILNS1_3genE4ELNS1_11target_archE910ELNS1_3gpuE8ELNS1_3repE0EEENS1_30default_config_static_selectorELNS0_4arch9wavefront6targetE1EEEvSD_.has_dyn_sized_stack, 0
	.set _ZN7rocprim17ROCPRIM_400000_NS6detail17trampoline_kernelINS0_14default_configENS1_22reduce_config_selectorIsEEZNS1_11reduce_implILb1ES3_PsS7_s9plus_mod3IsEEE10hipError_tPvRmT1_T2_T3_mT4_P12ihipStream_tbEUlT_E0_NS1_11comp_targetILNS1_3genE4ELNS1_11target_archE910ELNS1_3gpuE8ELNS1_3repE0EEENS1_30default_config_static_selectorELNS0_4arch9wavefront6targetE1EEEvSD_.has_recursion, 0
	.set _ZN7rocprim17ROCPRIM_400000_NS6detail17trampoline_kernelINS0_14default_configENS1_22reduce_config_selectorIsEEZNS1_11reduce_implILb1ES3_PsS7_s9plus_mod3IsEEE10hipError_tPvRmT1_T2_T3_mT4_P12ihipStream_tbEUlT_E0_NS1_11comp_targetILNS1_3genE4ELNS1_11target_archE910ELNS1_3gpuE8ELNS1_3repE0EEENS1_30default_config_static_selectorELNS0_4arch9wavefront6targetE1EEEvSD_.has_indirect_call, 0
	.section	.AMDGPU.csdata,"",@progbits
; Kernel info:
; codeLenInByte = 0
; TotalNumSgprs: 6
; NumVgprs: 0
; NumAgprs: 0
; TotalNumVgprs: 0
; ScratchSize: 0
; MemoryBound: 0
; FloatMode: 240
; IeeeMode: 1
; LDSByteSize: 0 bytes/workgroup (compile time only)
; SGPRBlocks: 0
; VGPRBlocks: 0
; NumSGPRsForWavesPerEU: 6
; NumVGPRsForWavesPerEU: 1
; AccumOffset: 4
; Occupancy: 8
; WaveLimiterHint : 0
; COMPUTE_PGM_RSRC2:SCRATCH_EN: 0
; COMPUTE_PGM_RSRC2:USER_SGPR: 2
; COMPUTE_PGM_RSRC2:TRAP_HANDLER: 0
; COMPUTE_PGM_RSRC2:TGID_X_EN: 1
; COMPUTE_PGM_RSRC2:TGID_Y_EN: 0
; COMPUTE_PGM_RSRC2:TGID_Z_EN: 0
; COMPUTE_PGM_RSRC2:TIDIG_COMP_CNT: 0
; COMPUTE_PGM_RSRC3_GFX90A:ACCUM_OFFSET: 0
; COMPUTE_PGM_RSRC3_GFX90A:TG_SPLIT: 0
	.section	.text._ZN7rocprim17ROCPRIM_400000_NS6detail17trampoline_kernelINS0_14default_configENS1_22reduce_config_selectorIsEEZNS1_11reduce_implILb1ES3_PsS7_s9plus_mod3IsEEE10hipError_tPvRmT1_T2_T3_mT4_P12ihipStream_tbEUlT_E0_NS1_11comp_targetILNS1_3genE3ELNS1_11target_archE908ELNS1_3gpuE7ELNS1_3repE0EEENS1_30default_config_static_selectorELNS0_4arch9wavefront6targetE1EEEvSD_,"axG",@progbits,_ZN7rocprim17ROCPRIM_400000_NS6detail17trampoline_kernelINS0_14default_configENS1_22reduce_config_selectorIsEEZNS1_11reduce_implILb1ES3_PsS7_s9plus_mod3IsEEE10hipError_tPvRmT1_T2_T3_mT4_P12ihipStream_tbEUlT_E0_NS1_11comp_targetILNS1_3genE3ELNS1_11target_archE908ELNS1_3gpuE7ELNS1_3repE0EEENS1_30default_config_static_selectorELNS0_4arch9wavefront6targetE1EEEvSD_,comdat
	.protected	_ZN7rocprim17ROCPRIM_400000_NS6detail17trampoline_kernelINS0_14default_configENS1_22reduce_config_selectorIsEEZNS1_11reduce_implILb1ES3_PsS7_s9plus_mod3IsEEE10hipError_tPvRmT1_T2_T3_mT4_P12ihipStream_tbEUlT_E0_NS1_11comp_targetILNS1_3genE3ELNS1_11target_archE908ELNS1_3gpuE7ELNS1_3repE0EEENS1_30default_config_static_selectorELNS0_4arch9wavefront6targetE1EEEvSD_ ; -- Begin function _ZN7rocprim17ROCPRIM_400000_NS6detail17trampoline_kernelINS0_14default_configENS1_22reduce_config_selectorIsEEZNS1_11reduce_implILb1ES3_PsS7_s9plus_mod3IsEEE10hipError_tPvRmT1_T2_T3_mT4_P12ihipStream_tbEUlT_E0_NS1_11comp_targetILNS1_3genE3ELNS1_11target_archE908ELNS1_3gpuE7ELNS1_3repE0EEENS1_30default_config_static_selectorELNS0_4arch9wavefront6targetE1EEEvSD_
	.globl	_ZN7rocprim17ROCPRIM_400000_NS6detail17trampoline_kernelINS0_14default_configENS1_22reduce_config_selectorIsEEZNS1_11reduce_implILb1ES3_PsS7_s9plus_mod3IsEEE10hipError_tPvRmT1_T2_T3_mT4_P12ihipStream_tbEUlT_E0_NS1_11comp_targetILNS1_3genE3ELNS1_11target_archE908ELNS1_3gpuE7ELNS1_3repE0EEENS1_30default_config_static_selectorELNS0_4arch9wavefront6targetE1EEEvSD_
	.p2align	8
	.type	_ZN7rocprim17ROCPRIM_400000_NS6detail17trampoline_kernelINS0_14default_configENS1_22reduce_config_selectorIsEEZNS1_11reduce_implILb1ES3_PsS7_s9plus_mod3IsEEE10hipError_tPvRmT1_T2_T3_mT4_P12ihipStream_tbEUlT_E0_NS1_11comp_targetILNS1_3genE3ELNS1_11target_archE908ELNS1_3gpuE7ELNS1_3repE0EEENS1_30default_config_static_selectorELNS0_4arch9wavefront6targetE1EEEvSD_,@function
_ZN7rocprim17ROCPRIM_400000_NS6detail17trampoline_kernelINS0_14default_configENS1_22reduce_config_selectorIsEEZNS1_11reduce_implILb1ES3_PsS7_s9plus_mod3IsEEE10hipError_tPvRmT1_T2_T3_mT4_P12ihipStream_tbEUlT_E0_NS1_11comp_targetILNS1_3genE3ELNS1_11target_archE908ELNS1_3gpuE7ELNS1_3repE0EEENS1_30default_config_static_selectorELNS0_4arch9wavefront6targetE1EEEvSD_: ; @_ZN7rocprim17ROCPRIM_400000_NS6detail17trampoline_kernelINS0_14default_configENS1_22reduce_config_selectorIsEEZNS1_11reduce_implILb1ES3_PsS7_s9plus_mod3IsEEE10hipError_tPvRmT1_T2_T3_mT4_P12ihipStream_tbEUlT_E0_NS1_11comp_targetILNS1_3genE3ELNS1_11target_archE908ELNS1_3gpuE7ELNS1_3repE0EEENS1_30default_config_static_selectorELNS0_4arch9wavefront6targetE1EEEvSD_
; %bb.0:
	.section	.rodata,"a",@progbits
	.p2align	6, 0x0
	.amdhsa_kernel _ZN7rocprim17ROCPRIM_400000_NS6detail17trampoline_kernelINS0_14default_configENS1_22reduce_config_selectorIsEEZNS1_11reduce_implILb1ES3_PsS7_s9plus_mod3IsEEE10hipError_tPvRmT1_T2_T3_mT4_P12ihipStream_tbEUlT_E0_NS1_11comp_targetILNS1_3genE3ELNS1_11target_archE908ELNS1_3gpuE7ELNS1_3repE0EEENS1_30default_config_static_selectorELNS0_4arch9wavefront6targetE1EEEvSD_
		.amdhsa_group_segment_fixed_size 0
		.amdhsa_private_segment_fixed_size 0
		.amdhsa_kernarg_size 64
		.amdhsa_user_sgpr_count 2
		.amdhsa_user_sgpr_dispatch_ptr 0
		.amdhsa_user_sgpr_queue_ptr 0
		.amdhsa_user_sgpr_kernarg_segment_ptr 1
		.amdhsa_user_sgpr_dispatch_id 0
		.amdhsa_user_sgpr_kernarg_preload_length 0
		.amdhsa_user_sgpr_kernarg_preload_offset 0
		.amdhsa_user_sgpr_private_segment_size 0
		.amdhsa_uses_dynamic_stack 0
		.amdhsa_enable_private_segment 0
		.amdhsa_system_sgpr_workgroup_id_x 1
		.amdhsa_system_sgpr_workgroup_id_y 0
		.amdhsa_system_sgpr_workgroup_id_z 0
		.amdhsa_system_sgpr_workgroup_info 0
		.amdhsa_system_vgpr_workitem_id 0
		.amdhsa_next_free_vgpr 1
		.amdhsa_next_free_sgpr 0
		.amdhsa_accum_offset 4
		.amdhsa_reserve_vcc 0
		.amdhsa_float_round_mode_32 0
		.amdhsa_float_round_mode_16_64 0
		.amdhsa_float_denorm_mode_32 3
		.amdhsa_float_denorm_mode_16_64 3
		.amdhsa_dx10_clamp 1
		.amdhsa_ieee_mode 1
		.amdhsa_fp16_overflow 0
		.amdhsa_tg_split 0
		.amdhsa_exception_fp_ieee_invalid_op 0
		.amdhsa_exception_fp_denorm_src 0
		.amdhsa_exception_fp_ieee_div_zero 0
		.amdhsa_exception_fp_ieee_overflow 0
		.amdhsa_exception_fp_ieee_underflow 0
		.amdhsa_exception_fp_ieee_inexact 0
		.amdhsa_exception_int_div_zero 0
	.end_amdhsa_kernel
	.section	.text._ZN7rocprim17ROCPRIM_400000_NS6detail17trampoline_kernelINS0_14default_configENS1_22reduce_config_selectorIsEEZNS1_11reduce_implILb1ES3_PsS7_s9plus_mod3IsEEE10hipError_tPvRmT1_T2_T3_mT4_P12ihipStream_tbEUlT_E0_NS1_11comp_targetILNS1_3genE3ELNS1_11target_archE908ELNS1_3gpuE7ELNS1_3repE0EEENS1_30default_config_static_selectorELNS0_4arch9wavefront6targetE1EEEvSD_,"axG",@progbits,_ZN7rocprim17ROCPRIM_400000_NS6detail17trampoline_kernelINS0_14default_configENS1_22reduce_config_selectorIsEEZNS1_11reduce_implILb1ES3_PsS7_s9plus_mod3IsEEE10hipError_tPvRmT1_T2_T3_mT4_P12ihipStream_tbEUlT_E0_NS1_11comp_targetILNS1_3genE3ELNS1_11target_archE908ELNS1_3gpuE7ELNS1_3repE0EEENS1_30default_config_static_selectorELNS0_4arch9wavefront6targetE1EEEvSD_,comdat
.Lfunc_end950:
	.size	_ZN7rocprim17ROCPRIM_400000_NS6detail17trampoline_kernelINS0_14default_configENS1_22reduce_config_selectorIsEEZNS1_11reduce_implILb1ES3_PsS7_s9plus_mod3IsEEE10hipError_tPvRmT1_T2_T3_mT4_P12ihipStream_tbEUlT_E0_NS1_11comp_targetILNS1_3genE3ELNS1_11target_archE908ELNS1_3gpuE7ELNS1_3repE0EEENS1_30default_config_static_selectorELNS0_4arch9wavefront6targetE1EEEvSD_, .Lfunc_end950-_ZN7rocprim17ROCPRIM_400000_NS6detail17trampoline_kernelINS0_14default_configENS1_22reduce_config_selectorIsEEZNS1_11reduce_implILb1ES3_PsS7_s9plus_mod3IsEEE10hipError_tPvRmT1_T2_T3_mT4_P12ihipStream_tbEUlT_E0_NS1_11comp_targetILNS1_3genE3ELNS1_11target_archE908ELNS1_3gpuE7ELNS1_3repE0EEENS1_30default_config_static_selectorELNS0_4arch9wavefront6targetE1EEEvSD_
                                        ; -- End function
	.set _ZN7rocprim17ROCPRIM_400000_NS6detail17trampoline_kernelINS0_14default_configENS1_22reduce_config_selectorIsEEZNS1_11reduce_implILb1ES3_PsS7_s9plus_mod3IsEEE10hipError_tPvRmT1_T2_T3_mT4_P12ihipStream_tbEUlT_E0_NS1_11comp_targetILNS1_3genE3ELNS1_11target_archE908ELNS1_3gpuE7ELNS1_3repE0EEENS1_30default_config_static_selectorELNS0_4arch9wavefront6targetE1EEEvSD_.num_vgpr, 0
	.set _ZN7rocprim17ROCPRIM_400000_NS6detail17trampoline_kernelINS0_14default_configENS1_22reduce_config_selectorIsEEZNS1_11reduce_implILb1ES3_PsS7_s9plus_mod3IsEEE10hipError_tPvRmT1_T2_T3_mT4_P12ihipStream_tbEUlT_E0_NS1_11comp_targetILNS1_3genE3ELNS1_11target_archE908ELNS1_3gpuE7ELNS1_3repE0EEENS1_30default_config_static_selectorELNS0_4arch9wavefront6targetE1EEEvSD_.num_agpr, 0
	.set _ZN7rocprim17ROCPRIM_400000_NS6detail17trampoline_kernelINS0_14default_configENS1_22reduce_config_selectorIsEEZNS1_11reduce_implILb1ES3_PsS7_s9plus_mod3IsEEE10hipError_tPvRmT1_T2_T3_mT4_P12ihipStream_tbEUlT_E0_NS1_11comp_targetILNS1_3genE3ELNS1_11target_archE908ELNS1_3gpuE7ELNS1_3repE0EEENS1_30default_config_static_selectorELNS0_4arch9wavefront6targetE1EEEvSD_.numbered_sgpr, 0
	.set _ZN7rocprim17ROCPRIM_400000_NS6detail17trampoline_kernelINS0_14default_configENS1_22reduce_config_selectorIsEEZNS1_11reduce_implILb1ES3_PsS7_s9plus_mod3IsEEE10hipError_tPvRmT1_T2_T3_mT4_P12ihipStream_tbEUlT_E0_NS1_11comp_targetILNS1_3genE3ELNS1_11target_archE908ELNS1_3gpuE7ELNS1_3repE0EEENS1_30default_config_static_selectorELNS0_4arch9wavefront6targetE1EEEvSD_.num_named_barrier, 0
	.set _ZN7rocprim17ROCPRIM_400000_NS6detail17trampoline_kernelINS0_14default_configENS1_22reduce_config_selectorIsEEZNS1_11reduce_implILb1ES3_PsS7_s9plus_mod3IsEEE10hipError_tPvRmT1_T2_T3_mT4_P12ihipStream_tbEUlT_E0_NS1_11comp_targetILNS1_3genE3ELNS1_11target_archE908ELNS1_3gpuE7ELNS1_3repE0EEENS1_30default_config_static_selectorELNS0_4arch9wavefront6targetE1EEEvSD_.private_seg_size, 0
	.set _ZN7rocprim17ROCPRIM_400000_NS6detail17trampoline_kernelINS0_14default_configENS1_22reduce_config_selectorIsEEZNS1_11reduce_implILb1ES3_PsS7_s9plus_mod3IsEEE10hipError_tPvRmT1_T2_T3_mT4_P12ihipStream_tbEUlT_E0_NS1_11comp_targetILNS1_3genE3ELNS1_11target_archE908ELNS1_3gpuE7ELNS1_3repE0EEENS1_30default_config_static_selectorELNS0_4arch9wavefront6targetE1EEEvSD_.uses_vcc, 0
	.set _ZN7rocprim17ROCPRIM_400000_NS6detail17trampoline_kernelINS0_14default_configENS1_22reduce_config_selectorIsEEZNS1_11reduce_implILb1ES3_PsS7_s9plus_mod3IsEEE10hipError_tPvRmT1_T2_T3_mT4_P12ihipStream_tbEUlT_E0_NS1_11comp_targetILNS1_3genE3ELNS1_11target_archE908ELNS1_3gpuE7ELNS1_3repE0EEENS1_30default_config_static_selectorELNS0_4arch9wavefront6targetE1EEEvSD_.uses_flat_scratch, 0
	.set _ZN7rocprim17ROCPRIM_400000_NS6detail17trampoline_kernelINS0_14default_configENS1_22reduce_config_selectorIsEEZNS1_11reduce_implILb1ES3_PsS7_s9plus_mod3IsEEE10hipError_tPvRmT1_T2_T3_mT4_P12ihipStream_tbEUlT_E0_NS1_11comp_targetILNS1_3genE3ELNS1_11target_archE908ELNS1_3gpuE7ELNS1_3repE0EEENS1_30default_config_static_selectorELNS0_4arch9wavefront6targetE1EEEvSD_.has_dyn_sized_stack, 0
	.set _ZN7rocprim17ROCPRIM_400000_NS6detail17trampoline_kernelINS0_14default_configENS1_22reduce_config_selectorIsEEZNS1_11reduce_implILb1ES3_PsS7_s9plus_mod3IsEEE10hipError_tPvRmT1_T2_T3_mT4_P12ihipStream_tbEUlT_E0_NS1_11comp_targetILNS1_3genE3ELNS1_11target_archE908ELNS1_3gpuE7ELNS1_3repE0EEENS1_30default_config_static_selectorELNS0_4arch9wavefront6targetE1EEEvSD_.has_recursion, 0
	.set _ZN7rocprim17ROCPRIM_400000_NS6detail17trampoline_kernelINS0_14default_configENS1_22reduce_config_selectorIsEEZNS1_11reduce_implILb1ES3_PsS7_s9plus_mod3IsEEE10hipError_tPvRmT1_T2_T3_mT4_P12ihipStream_tbEUlT_E0_NS1_11comp_targetILNS1_3genE3ELNS1_11target_archE908ELNS1_3gpuE7ELNS1_3repE0EEENS1_30default_config_static_selectorELNS0_4arch9wavefront6targetE1EEEvSD_.has_indirect_call, 0
	.section	.AMDGPU.csdata,"",@progbits
; Kernel info:
; codeLenInByte = 0
; TotalNumSgprs: 6
; NumVgprs: 0
; NumAgprs: 0
; TotalNumVgprs: 0
; ScratchSize: 0
; MemoryBound: 0
; FloatMode: 240
; IeeeMode: 1
; LDSByteSize: 0 bytes/workgroup (compile time only)
; SGPRBlocks: 0
; VGPRBlocks: 0
; NumSGPRsForWavesPerEU: 6
; NumVGPRsForWavesPerEU: 1
; AccumOffset: 4
; Occupancy: 8
; WaveLimiterHint : 0
; COMPUTE_PGM_RSRC2:SCRATCH_EN: 0
; COMPUTE_PGM_RSRC2:USER_SGPR: 2
; COMPUTE_PGM_RSRC2:TRAP_HANDLER: 0
; COMPUTE_PGM_RSRC2:TGID_X_EN: 1
; COMPUTE_PGM_RSRC2:TGID_Y_EN: 0
; COMPUTE_PGM_RSRC2:TGID_Z_EN: 0
; COMPUTE_PGM_RSRC2:TIDIG_COMP_CNT: 0
; COMPUTE_PGM_RSRC3_GFX90A:ACCUM_OFFSET: 0
; COMPUTE_PGM_RSRC3_GFX90A:TG_SPLIT: 0
	.section	.text._ZN7rocprim17ROCPRIM_400000_NS6detail17trampoline_kernelINS0_14default_configENS1_22reduce_config_selectorIsEEZNS1_11reduce_implILb1ES3_PsS7_s9plus_mod3IsEEE10hipError_tPvRmT1_T2_T3_mT4_P12ihipStream_tbEUlT_E0_NS1_11comp_targetILNS1_3genE2ELNS1_11target_archE906ELNS1_3gpuE6ELNS1_3repE0EEENS1_30default_config_static_selectorELNS0_4arch9wavefront6targetE1EEEvSD_,"axG",@progbits,_ZN7rocprim17ROCPRIM_400000_NS6detail17trampoline_kernelINS0_14default_configENS1_22reduce_config_selectorIsEEZNS1_11reduce_implILb1ES3_PsS7_s9plus_mod3IsEEE10hipError_tPvRmT1_T2_T3_mT4_P12ihipStream_tbEUlT_E0_NS1_11comp_targetILNS1_3genE2ELNS1_11target_archE906ELNS1_3gpuE6ELNS1_3repE0EEENS1_30default_config_static_selectorELNS0_4arch9wavefront6targetE1EEEvSD_,comdat
	.protected	_ZN7rocprim17ROCPRIM_400000_NS6detail17trampoline_kernelINS0_14default_configENS1_22reduce_config_selectorIsEEZNS1_11reduce_implILb1ES3_PsS7_s9plus_mod3IsEEE10hipError_tPvRmT1_T2_T3_mT4_P12ihipStream_tbEUlT_E0_NS1_11comp_targetILNS1_3genE2ELNS1_11target_archE906ELNS1_3gpuE6ELNS1_3repE0EEENS1_30default_config_static_selectorELNS0_4arch9wavefront6targetE1EEEvSD_ ; -- Begin function _ZN7rocprim17ROCPRIM_400000_NS6detail17trampoline_kernelINS0_14default_configENS1_22reduce_config_selectorIsEEZNS1_11reduce_implILb1ES3_PsS7_s9plus_mod3IsEEE10hipError_tPvRmT1_T2_T3_mT4_P12ihipStream_tbEUlT_E0_NS1_11comp_targetILNS1_3genE2ELNS1_11target_archE906ELNS1_3gpuE6ELNS1_3repE0EEENS1_30default_config_static_selectorELNS0_4arch9wavefront6targetE1EEEvSD_
	.globl	_ZN7rocprim17ROCPRIM_400000_NS6detail17trampoline_kernelINS0_14default_configENS1_22reduce_config_selectorIsEEZNS1_11reduce_implILb1ES3_PsS7_s9plus_mod3IsEEE10hipError_tPvRmT1_T2_T3_mT4_P12ihipStream_tbEUlT_E0_NS1_11comp_targetILNS1_3genE2ELNS1_11target_archE906ELNS1_3gpuE6ELNS1_3repE0EEENS1_30default_config_static_selectorELNS0_4arch9wavefront6targetE1EEEvSD_
	.p2align	8
	.type	_ZN7rocprim17ROCPRIM_400000_NS6detail17trampoline_kernelINS0_14default_configENS1_22reduce_config_selectorIsEEZNS1_11reduce_implILb1ES3_PsS7_s9plus_mod3IsEEE10hipError_tPvRmT1_T2_T3_mT4_P12ihipStream_tbEUlT_E0_NS1_11comp_targetILNS1_3genE2ELNS1_11target_archE906ELNS1_3gpuE6ELNS1_3repE0EEENS1_30default_config_static_selectorELNS0_4arch9wavefront6targetE1EEEvSD_,@function
_ZN7rocprim17ROCPRIM_400000_NS6detail17trampoline_kernelINS0_14default_configENS1_22reduce_config_selectorIsEEZNS1_11reduce_implILb1ES3_PsS7_s9plus_mod3IsEEE10hipError_tPvRmT1_T2_T3_mT4_P12ihipStream_tbEUlT_E0_NS1_11comp_targetILNS1_3genE2ELNS1_11target_archE906ELNS1_3gpuE6ELNS1_3repE0EEENS1_30default_config_static_selectorELNS0_4arch9wavefront6targetE1EEEvSD_: ; @_ZN7rocprim17ROCPRIM_400000_NS6detail17trampoline_kernelINS0_14default_configENS1_22reduce_config_selectorIsEEZNS1_11reduce_implILb1ES3_PsS7_s9plus_mod3IsEEE10hipError_tPvRmT1_T2_T3_mT4_P12ihipStream_tbEUlT_E0_NS1_11comp_targetILNS1_3genE2ELNS1_11target_archE906ELNS1_3gpuE6ELNS1_3repE0EEENS1_30default_config_static_selectorELNS0_4arch9wavefront6targetE1EEEvSD_
; %bb.0:
	.section	.rodata,"a",@progbits
	.p2align	6, 0x0
	.amdhsa_kernel _ZN7rocprim17ROCPRIM_400000_NS6detail17trampoline_kernelINS0_14default_configENS1_22reduce_config_selectorIsEEZNS1_11reduce_implILb1ES3_PsS7_s9plus_mod3IsEEE10hipError_tPvRmT1_T2_T3_mT4_P12ihipStream_tbEUlT_E0_NS1_11comp_targetILNS1_3genE2ELNS1_11target_archE906ELNS1_3gpuE6ELNS1_3repE0EEENS1_30default_config_static_selectorELNS0_4arch9wavefront6targetE1EEEvSD_
		.amdhsa_group_segment_fixed_size 0
		.amdhsa_private_segment_fixed_size 0
		.amdhsa_kernarg_size 64
		.amdhsa_user_sgpr_count 2
		.amdhsa_user_sgpr_dispatch_ptr 0
		.amdhsa_user_sgpr_queue_ptr 0
		.amdhsa_user_sgpr_kernarg_segment_ptr 1
		.amdhsa_user_sgpr_dispatch_id 0
		.amdhsa_user_sgpr_kernarg_preload_length 0
		.amdhsa_user_sgpr_kernarg_preload_offset 0
		.amdhsa_user_sgpr_private_segment_size 0
		.amdhsa_uses_dynamic_stack 0
		.amdhsa_enable_private_segment 0
		.amdhsa_system_sgpr_workgroup_id_x 1
		.amdhsa_system_sgpr_workgroup_id_y 0
		.amdhsa_system_sgpr_workgroup_id_z 0
		.amdhsa_system_sgpr_workgroup_info 0
		.amdhsa_system_vgpr_workitem_id 0
		.amdhsa_next_free_vgpr 1
		.amdhsa_next_free_sgpr 0
		.amdhsa_accum_offset 4
		.amdhsa_reserve_vcc 0
		.amdhsa_float_round_mode_32 0
		.amdhsa_float_round_mode_16_64 0
		.amdhsa_float_denorm_mode_32 3
		.amdhsa_float_denorm_mode_16_64 3
		.amdhsa_dx10_clamp 1
		.amdhsa_ieee_mode 1
		.amdhsa_fp16_overflow 0
		.amdhsa_tg_split 0
		.amdhsa_exception_fp_ieee_invalid_op 0
		.amdhsa_exception_fp_denorm_src 0
		.amdhsa_exception_fp_ieee_div_zero 0
		.amdhsa_exception_fp_ieee_overflow 0
		.amdhsa_exception_fp_ieee_underflow 0
		.amdhsa_exception_fp_ieee_inexact 0
		.amdhsa_exception_int_div_zero 0
	.end_amdhsa_kernel
	.section	.text._ZN7rocprim17ROCPRIM_400000_NS6detail17trampoline_kernelINS0_14default_configENS1_22reduce_config_selectorIsEEZNS1_11reduce_implILb1ES3_PsS7_s9plus_mod3IsEEE10hipError_tPvRmT1_T2_T3_mT4_P12ihipStream_tbEUlT_E0_NS1_11comp_targetILNS1_3genE2ELNS1_11target_archE906ELNS1_3gpuE6ELNS1_3repE0EEENS1_30default_config_static_selectorELNS0_4arch9wavefront6targetE1EEEvSD_,"axG",@progbits,_ZN7rocprim17ROCPRIM_400000_NS6detail17trampoline_kernelINS0_14default_configENS1_22reduce_config_selectorIsEEZNS1_11reduce_implILb1ES3_PsS7_s9plus_mod3IsEEE10hipError_tPvRmT1_T2_T3_mT4_P12ihipStream_tbEUlT_E0_NS1_11comp_targetILNS1_3genE2ELNS1_11target_archE906ELNS1_3gpuE6ELNS1_3repE0EEENS1_30default_config_static_selectorELNS0_4arch9wavefront6targetE1EEEvSD_,comdat
.Lfunc_end951:
	.size	_ZN7rocprim17ROCPRIM_400000_NS6detail17trampoline_kernelINS0_14default_configENS1_22reduce_config_selectorIsEEZNS1_11reduce_implILb1ES3_PsS7_s9plus_mod3IsEEE10hipError_tPvRmT1_T2_T3_mT4_P12ihipStream_tbEUlT_E0_NS1_11comp_targetILNS1_3genE2ELNS1_11target_archE906ELNS1_3gpuE6ELNS1_3repE0EEENS1_30default_config_static_selectorELNS0_4arch9wavefront6targetE1EEEvSD_, .Lfunc_end951-_ZN7rocprim17ROCPRIM_400000_NS6detail17trampoline_kernelINS0_14default_configENS1_22reduce_config_selectorIsEEZNS1_11reduce_implILb1ES3_PsS7_s9plus_mod3IsEEE10hipError_tPvRmT1_T2_T3_mT4_P12ihipStream_tbEUlT_E0_NS1_11comp_targetILNS1_3genE2ELNS1_11target_archE906ELNS1_3gpuE6ELNS1_3repE0EEENS1_30default_config_static_selectorELNS0_4arch9wavefront6targetE1EEEvSD_
                                        ; -- End function
	.set _ZN7rocprim17ROCPRIM_400000_NS6detail17trampoline_kernelINS0_14default_configENS1_22reduce_config_selectorIsEEZNS1_11reduce_implILb1ES3_PsS7_s9plus_mod3IsEEE10hipError_tPvRmT1_T2_T3_mT4_P12ihipStream_tbEUlT_E0_NS1_11comp_targetILNS1_3genE2ELNS1_11target_archE906ELNS1_3gpuE6ELNS1_3repE0EEENS1_30default_config_static_selectorELNS0_4arch9wavefront6targetE1EEEvSD_.num_vgpr, 0
	.set _ZN7rocprim17ROCPRIM_400000_NS6detail17trampoline_kernelINS0_14default_configENS1_22reduce_config_selectorIsEEZNS1_11reduce_implILb1ES3_PsS7_s9plus_mod3IsEEE10hipError_tPvRmT1_T2_T3_mT4_P12ihipStream_tbEUlT_E0_NS1_11comp_targetILNS1_3genE2ELNS1_11target_archE906ELNS1_3gpuE6ELNS1_3repE0EEENS1_30default_config_static_selectorELNS0_4arch9wavefront6targetE1EEEvSD_.num_agpr, 0
	.set _ZN7rocprim17ROCPRIM_400000_NS6detail17trampoline_kernelINS0_14default_configENS1_22reduce_config_selectorIsEEZNS1_11reduce_implILb1ES3_PsS7_s9plus_mod3IsEEE10hipError_tPvRmT1_T2_T3_mT4_P12ihipStream_tbEUlT_E0_NS1_11comp_targetILNS1_3genE2ELNS1_11target_archE906ELNS1_3gpuE6ELNS1_3repE0EEENS1_30default_config_static_selectorELNS0_4arch9wavefront6targetE1EEEvSD_.numbered_sgpr, 0
	.set _ZN7rocprim17ROCPRIM_400000_NS6detail17trampoline_kernelINS0_14default_configENS1_22reduce_config_selectorIsEEZNS1_11reduce_implILb1ES3_PsS7_s9plus_mod3IsEEE10hipError_tPvRmT1_T2_T3_mT4_P12ihipStream_tbEUlT_E0_NS1_11comp_targetILNS1_3genE2ELNS1_11target_archE906ELNS1_3gpuE6ELNS1_3repE0EEENS1_30default_config_static_selectorELNS0_4arch9wavefront6targetE1EEEvSD_.num_named_barrier, 0
	.set _ZN7rocprim17ROCPRIM_400000_NS6detail17trampoline_kernelINS0_14default_configENS1_22reduce_config_selectorIsEEZNS1_11reduce_implILb1ES3_PsS7_s9plus_mod3IsEEE10hipError_tPvRmT1_T2_T3_mT4_P12ihipStream_tbEUlT_E0_NS1_11comp_targetILNS1_3genE2ELNS1_11target_archE906ELNS1_3gpuE6ELNS1_3repE0EEENS1_30default_config_static_selectorELNS0_4arch9wavefront6targetE1EEEvSD_.private_seg_size, 0
	.set _ZN7rocprim17ROCPRIM_400000_NS6detail17trampoline_kernelINS0_14default_configENS1_22reduce_config_selectorIsEEZNS1_11reduce_implILb1ES3_PsS7_s9plus_mod3IsEEE10hipError_tPvRmT1_T2_T3_mT4_P12ihipStream_tbEUlT_E0_NS1_11comp_targetILNS1_3genE2ELNS1_11target_archE906ELNS1_3gpuE6ELNS1_3repE0EEENS1_30default_config_static_selectorELNS0_4arch9wavefront6targetE1EEEvSD_.uses_vcc, 0
	.set _ZN7rocprim17ROCPRIM_400000_NS6detail17trampoline_kernelINS0_14default_configENS1_22reduce_config_selectorIsEEZNS1_11reduce_implILb1ES3_PsS7_s9plus_mod3IsEEE10hipError_tPvRmT1_T2_T3_mT4_P12ihipStream_tbEUlT_E0_NS1_11comp_targetILNS1_3genE2ELNS1_11target_archE906ELNS1_3gpuE6ELNS1_3repE0EEENS1_30default_config_static_selectorELNS0_4arch9wavefront6targetE1EEEvSD_.uses_flat_scratch, 0
	.set _ZN7rocprim17ROCPRIM_400000_NS6detail17trampoline_kernelINS0_14default_configENS1_22reduce_config_selectorIsEEZNS1_11reduce_implILb1ES3_PsS7_s9plus_mod3IsEEE10hipError_tPvRmT1_T2_T3_mT4_P12ihipStream_tbEUlT_E0_NS1_11comp_targetILNS1_3genE2ELNS1_11target_archE906ELNS1_3gpuE6ELNS1_3repE0EEENS1_30default_config_static_selectorELNS0_4arch9wavefront6targetE1EEEvSD_.has_dyn_sized_stack, 0
	.set _ZN7rocprim17ROCPRIM_400000_NS6detail17trampoline_kernelINS0_14default_configENS1_22reduce_config_selectorIsEEZNS1_11reduce_implILb1ES3_PsS7_s9plus_mod3IsEEE10hipError_tPvRmT1_T2_T3_mT4_P12ihipStream_tbEUlT_E0_NS1_11comp_targetILNS1_3genE2ELNS1_11target_archE906ELNS1_3gpuE6ELNS1_3repE0EEENS1_30default_config_static_selectorELNS0_4arch9wavefront6targetE1EEEvSD_.has_recursion, 0
	.set _ZN7rocprim17ROCPRIM_400000_NS6detail17trampoline_kernelINS0_14default_configENS1_22reduce_config_selectorIsEEZNS1_11reduce_implILb1ES3_PsS7_s9plus_mod3IsEEE10hipError_tPvRmT1_T2_T3_mT4_P12ihipStream_tbEUlT_E0_NS1_11comp_targetILNS1_3genE2ELNS1_11target_archE906ELNS1_3gpuE6ELNS1_3repE0EEENS1_30default_config_static_selectorELNS0_4arch9wavefront6targetE1EEEvSD_.has_indirect_call, 0
	.section	.AMDGPU.csdata,"",@progbits
; Kernel info:
; codeLenInByte = 0
; TotalNumSgprs: 6
; NumVgprs: 0
; NumAgprs: 0
; TotalNumVgprs: 0
; ScratchSize: 0
; MemoryBound: 0
; FloatMode: 240
; IeeeMode: 1
; LDSByteSize: 0 bytes/workgroup (compile time only)
; SGPRBlocks: 0
; VGPRBlocks: 0
; NumSGPRsForWavesPerEU: 6
; NumVGPRsForWavesPerEU: 1
; AccumOffset: 4
; Occupancy: 8
; WaveLimiterHint : 0
; COMPUTE_PGM_RSRC2:SCRATCH_EN: 0
; COMPUTE_PGM_RSRC2:USER_SGPR: 2
; COMPUTE_PGM_RSRC2:TRAP_HANDLER: 0
; COMPUTE_PGM_RSRC2:TGID_X_EN: 1
; COMPUTE_PGM_RSRC2:TGID_Y_EN: 0
; COMPUTE_PGM_RSRC2:TGID_Z_EN: 0
; COMPUTE_PGM_RSRC2:TIDIG_COMP_CNT: 0
; COMPUTE_PGM_RSRC3_GFX90A:ACCUM_OFFSET: 0
; COMPUTE_PGM_RSRC3_GFX90A:TG_SPLIT: 0
	.section	.text._ZN7rocprim17ROCPRIM_400000_NS6detail17trampoline_kernelINS0_14default_configENS1_22reduce_config_selectorIsEEZNS1_11reduce_implILb1ES3_PsS7_s9plus_mod3IsEEE10hipError_tPvRmT1_T2_T3_mT4_P12ihipStream_tbEUlT_E0_NS1_11comp_targetILNS1_3genE10ELNS1_11target_archE1201ELNS1_3gpuE5ELNS1_3repE0EEENS1_30default_config_static_selectorELNS0_4arch9wavefront6targetE1EEEvSD_,"axG",@progbits,_ZN7rocprim17ROCPRIM_400000_NS6detail17trampoline_kernelINS0_14default_configENS1_22reduce_config_selectorIsEEZNS1_11reduce_implILb1ES3_PsS7_s9plus_mod3IsEEE10hipError_tPvRmT1_T2_T3_mT4_P12ihipStream_tbEUlT_E0_NS1_11comp_targetILNS1_3genE10ELNS1_11target_archE1201ELNS1_3gpuE5ELNS1_3repE0EEENS1_30default_config_static_selectorELNS0_4arch9wavefront6targetE1EEEvSD_,comdat
	.protected	_ZN7rocprim17ROCPRIM_400000_NS6detail17trampoline_kernelINS0_14default_configENS1_22reduce_config_selectorIsEEZNS1_11reduce_implILb1ES3_PsS7_s9plus_mod3IsEEE10hipError_tPvRmT1_T2_T3_mT4_P12ihipStream_tbEUlT_E0_NS1_11comp_targetILNS1_3genE10ELNS1_11target_archE1201ELNS1_3gpuE5ELNS1_3repE0EEENS1_30default_config_static_selectorELNS0_4arch9wavefront6targetE1EEEvSD_ ; -- Begin function _ZN7rocprim17ROCPRIM_400000_NS6detail17trampoline_kernelINS0_14default_configENS1_22reduce_config_selectorIsEEZNS1_11reduce_implILb1ES3_PsS7_s9plus_mod3IsEEE10hipError_tPvRmT1_T2_T3_mT4_P12ihipStream_tbEUlT_E0_NS1_11comp_targetILNS1_3genE10ELNS1_11target_archE1201ELNS1_3gpuE5ELNS1_3repE0EEENS1_30default_config_static_selectorELNS0_4arch9wavefront6targetE1EEEvSD_
	.globl	_ZN7rocprim17ROCPRIM_400000_NS6detail17trampoline_kernelINS0_14default_configENS1_22reduce_config_selectorIsEEZNS1_11reduce_implILb1ES3_PsS7_s9plus_mod3IsEEE10hipError_tPvRmT1_T2_T3_mT4_P12ihipStream_tbEUlT_E0_NS1_11comp_targetILNS1_3genE10ELNS1_11target_archE1201ELNS1_3gpuE5ELNS1_3repE0EEENS1_30default_config_static_selectorELNS0_4arch9wavefront6targetE1EEEvSD_
	.p2align	8
	.type	_ZN7rocprim17ROCPRIM_400000_NS6detail17trampoline_kernelINS0_14default_configENS1_22reduce_config_selectorIsEEZNS1_11reduce_implILb1ES3_PsS7_s9plus_mod3IsEEE10hipError_tPvRmT1_T2_T3_mT4_P12ihipStream_tbEUlT_E0_NS1_11comp_targetILNS1_3genE10ELNS1_11target_archE1201ELNS1_3gpuE5ELNS1_3repE0EEENS1_30default_config_static_selectorELNS0_4arch9wavefront6targetE1EEEvSD_,@function
_ZN7rocprim17ROCPRIM_400000_NS6detail17trampoline_kernelINS0_14default_configENS1_22reduce_config_selectorIsEEZNS1_11reduce_implILb1ES3_PsS7_s9plus_mod3IsEEE10hipError_tPvRmT1_T2_T3_mT4_P12ihipStream_tbEUlT_E0_NS1_11comp_targetILNS1_3genE10ELNS1_11target_archE1201ELNS1_3gpuE5ELNS1_3repE0EEENS1_30default_config_static_selectorELNS0_4arch9wavefront6targetE1EEEvSD_: ; @_ZN7rocprim17ROCPRIM_400000_NS6detail17trampoline_kernelINS0_14default_configENS1_22reduce_config_selectorIsEEZNS1_11reduce_implILb1ES3_PsS7_s9plus_mod3IsEEE10hipError_tPvRmT1_T2_T3_mT4_P12ihipStream_tbEUlT_E0_NS1_11comp_targetILNS1_3genE10ELNS1_11target_archE1201ELNS1_3gpuE5ELNS1_3repE0EEENS1_30default_config_static_selectorELNS0_4arch9wavefront6targetE1EEEvSD_
; %bb.0:
	.section	.rodata,"a",@progbits
	.p2align	6, 0x0
	.amdhsa_kernel _ZN7rocprim17ROCPRIM_400000_NS6detail17trampoline_kernelINS0_14default_configENS1_22reduce_config_selectorIsEEZNS1_11reduce_implILb1ES3_PsS7_s9plus_mod3IsEEE10hipError_tPvRmT1_T2_T3_mT4_P12ihipStream_tbEUlT_E0_NS1_11comp_targetILNS1_3genE10ELNS1_11target_archE1201ELNS1_3gpuE5ELNS1_3repE0EEENS1_30default_config_static_selectorELNS0_4arch9wavefront6targetE1EEEvSD_
		.amdhsa_group_segment_fixed_size 0
		.amdhsa_private_segment_fixed_size 0
		.amdhsa_kernarg_size 64
		.amdhsa_user_sgpr_count 2
		.amdhsa_user_sgpr_dispatch_ptr 0
		.amdhsa_user_sgpr_queue_ptr 0
		.amdhsa_user_sgpr_kernarg_segment_ptr 1
		.amdhsa_user_sgpr_dispatch_id 0
		.amdhsa_user_sgpr_kernarg_preload_length 0
		.amdhsa_user_sgpr_kernarg_preload_offset 0
		.amdhsa_user_sgpr_private_segment_size 0
		.amdhsa_uses_dynamic_stack 0
		.amdhsa_enable_private_segment 0
		.amdhsa_system_sgpr_workgroup_id_x 1
		.amdhsa_system_sgpr_workgroup_id_y 0
		.amdhsa_system_sgpr_workgroup_id_z 0
		.amdhsa_system_sgpr_workgroup_info 0
		.amdhsa_system_vgpr_workitem_id 0
		.amdhsa_next_free_vgpr 1
		.amdhsa_next_free_sgpr 0
		.amdhsa_accum_offset 4
		.amdhsa_reserve_vcc 0
		.amdhsa_float_round_mode_32 0
		.amdhsa_float_round_mode_16_64 0
		.amdhsa_float_denorm_mode_32 3
		.amdhsa_float_denorm_mode_16_64 3
		.amdhsa_dx10_clamp 1
		.amdhsa_ieee_mode 1
		.amdhsa_fp16_overflow 0
		.amdhsa_tg_split 0
		.amdhsa_exception_fp_ieee_invalid_op 0
		.amdhsa_exception_fp_denorm_src 0
		.amdhsa_exception_fp_ieee_div_zero 0
		.amdhsa_exception_fp_ieee_overflow 0
		.amdhsa_exception_fp_ieee_underflow 0
		.amdhsa_exception_fp_ieee_inexact 0
		.amdhsa_exception_int_div_zero 0
	.end_amdhsa_kernel
	.section	.text._ZN7rocprim17ROCPRIM_400000_NS6detail17trampoline_kernelINS0_14default_configENS1_22reduce_config_selectorIsEEZNS1_11reduce_implILb1ES3_PsS7_s9plus_mod3IsEEE10hipError_tPvRmT1_T2_T3_mT4_P12ihipStream_tbEUlT_E0_NS1_11comp_targetILNS1_3genE10ELNS1_11target_archE1201ELNS1_3gpuE5ELNS1_3repE0EEENS1_30default_config_static_selectorELNS0_4arch9wavefront6targetE1EEEvSD_,"axG",@progbits,_ZN7rocprim17ROCPRIM_400000_NS6detail17trampoline_kernelINS0_14default_configENS1_22reduce_config_selectorIsEEZNS1_11reduce_implILb1ES3_PsS7_s9plus_mod3IsEEE10hipError_tPvRmT1_T2_T3_mT4_P12ihipStream_tbEUlT_E0_NS1_11comp_targetILNS1_3genE10ELNS1_11target_archE1201ELNS1_3gpuE5ELNS1_3repE0EEENS1_30default_config_static_selectorELNS0_4arch9wavefront6targetE1EEEvSD_,comdat
.Lfunc_end952:
	.size	_ZN7rocprim17ROCPRIM_400000_NS6detail17trampoline_kernelINS0_14default_configENS1_22reduce_config_selectorIsEEZNS1_11reduce_implILb1ES3_PsS7_s9plus_mod3IsEEE10hipError_tPvRmT1_T2_T3_mT4_P12ihipStream_tbEUlT_E0_NS1_11comp_targetILNS1_3genE10ELNS1_11target_archE1201ELNS1_3gpuE5ELNS1_3repE0EEENS1_30default_config_static_selectorELNS0_4arch9wavefront6targetE1EEEvSD_, .Lfunc_end952-_ZN7rocprim17ROCPRIM_400000_NS6detail17trampoline_kernelINS0_14default_configENS1_22reduce_config_selectorIsEEZNS1_11reduce_implILb1ES3_PsS7_s9plus_mod3IsEEE10hipError_tPvRmT1_T2_T3_mT4_P12ihipStream_tbEUlT_E0_NS1_11comp_targetILNS1_3genE10ELNS1_11target_archE1201ELNS1_3gpuE5ELNS1_3repE0EEENS1_30default_config_static_selectorELNS0_4arch9wavefront6targetE1EEEvSD_
                                        ; -- End function
	.set _ZN7rocprim17ROCPRIM_400000_NS6detail17trampoline_kernelINS0_14default_configENS1_22reduce_config_selectorIsEEZNS1_11reduce_implILb1ES3_PsS7_s9plus_mod3IsEEE10hipError_tPvRmT1_T2_T3_mT4_P12ihipStream_tbEUlT_E0_NS1_11comp_targetILNS1_3genE10ELNS1_11target_archE1201ELNS1_3gpuE5ELNS1_3repE0EEENS1_30default_config_static_selectorELNS0_4arch9wavefront6targetE1EEEvSD_.num_vgpr, 0
	.set _ZN7rocprim17ROCPRIM_400000_NS6detail17trampoline_kernelINS0_14default_configENS1_22reduce_config_selectorIsEEZNS1_11reduce_implILb1ES3_PsS7_s9plus_mod3IsEEE10hipError_tPvRmT1_T2_T3_mT4_P12ihipStream_tbEUlT_E0_NS1_11comp_targetILNS1_3genE10ELNS1_11target_archE1201ELNS1_3gpuE5ELNS1_3repE0EEENS1_30default_config_static_selectorELNS0_4arch9wavefront6targetE1EEEvSD_.num_agpr, 0
	.set _ZN7rocprim17ROCPRIM_400000_NS6detail17trampoline_kernelINS0_14default_configENS1_22reduce_config_selectorIsEEZNS1_11reduce_implILb1ES3_PsS7_s9plus_mod3IsEEE10hipError_tPvRmT1_T2_T3_mT4_P12ihipStream_tbEUlT_E0_NS1_11comp_targetILNS1_3genE10ELNS1_11target_archE1201ELNS1_3gpuE5ELNS1_3repE0EEENS1_30default_config_static_selectorELNS0_4arch9wavefront6targetE1EEEvSD_.numbered_sgpr, 0
	.set _ZN7rocprim17ROCPRIM_400000_NS6detail17trampoline_kernelINS0_14default_configENS1_22reduce_config_selectorIsEEZNS1_11reduce_implILb1ES3_PsS7_s9plus_mod3IsEEE10hipError_tPvRmT1_T2_T3_mT4_P12ihipStream_tbEUlT_E0_NS1_11comp_targetILNS1_3genE10ELNS1_11target_archE1201ELNS1_3gpuE5ELNS1_3repE0EEENS1_30default_config_static_selectorELNS0_4arch9wavefront6targetE1EEEvSD_.num_named_barrier, 0
	.set _ZN7rocprim17ROCPRIM_400000_NS6detail17trampoline_kernelINS0_14default_configENS1_22reduce_config_selectorIsEEZNS1_11reduce_implILb1ES3_PsS7_s9plus_mod3IsEEE10hipError_tPvRmT1_T2_T3_mT4_P12ihipStream_tbEUlT_E0_NS1_11comp_targetILNS1_3genE10ELNS1_11target_archE1201ELNS1_3gpuE5ELNS1_3repE0EEENS1_30default_config_static_selectorELNS0_4arch9wavefront6targetE1EEEvSD_.private_seg_size, 0
	.set _ZN7rocprim17ROCPRIM_400000_NS6detail17trampoline_kernelINS0_14default_configENS1_22reduce_config_selectorIsEEZNS1_11reduce_implILb1ES3_PsS7_s9plus_mod3IsEEE10hipError_tPvRmT1_T2_T3_mT4_P12ihipStream_tbEUlT_E0_NS1_11comp_targetILNS1_3genE10ELNS1_11target_archE1201ELNS1_3gpuE5ELNS1_3repE0EEENS1_30default_config_static_selectorELNS0_4arch9wavefront6targetE1EEEvSD_.uses_vcc, 0
	.set _ZN7rocprim17ROCPRIM_400000_NS6detail17trampoline_kernelINS0_14default_configENS1_22reduce_config_selectorIsEEZNS1_11reduce_implILb1ES3_PsS7_s9plus_mod3IsEEE10hipError_tPvRmT1_T2_T3_mT4_P12ihipStream_tbEUlT_E0_NS1_11comp_targetILNS1_3genE10ELNS1_11target_archE1201ELNS1_3gpuE5ELNS1_3repE0EEENS1_30default_config_static_selectorELNS0_4arch9wavefront6targetE1EEEvSD_.uses_flat_scratch, 0
	.set _ZN7rocprim17ROCPRIM_400000_NS6detail17trampoline_kernelINS0_14default_configENS1_22reduce_config_selectorIsEEZNS1_11reduce_implILb1ES3_PsS7_s9plus_mod3IsEEE10hipError_tPvRmT1_T2_T3_mT4_P12ihipStream_tbEUlT_E0_NS1_11comp_targetILNS1_3genE10ELNS1_11target_archE1201ELNS1_3gpuE5ELNS1_3repE0EEENS1_30default_config_static_selectorELNS0_4arch9wavefront6targetE1EEEvSD_.has_dyn_sized_stack, 0
	.set _ZN7rocprim17ROCPRIM_400000_NS6detail17trampoline_kernelINS0_14default_configENS1_22reduce_config_selectorIsEEZNS1_11reduce_implILb1ES3_PsS7_s9plus_mod3IsEEE10hipError_tPvRmT1_T2_T3_mT4_P12ihipStream_tbEUlT_E0_NS1_11comp_targetILNS1_3genE10ELNS1_11target_archE1201ELNS1_3gpuE5ELNS1_3repE0EEENS1_30default_config_static_selectorELNS0_4arch9wavefront6targetE1EEEvSD_.has_recursion, 0
	.set _ZN7rocprim17ROCPRIM_400000_NS6detail17trampoline_kernelINS0_14default_configENS1_22reduce_config_selectorIsEEZNS1_11reduce_implILb1ES3_PsS7_s9plus_mod3IsEEE10hipError_tPvRmT1_T2_T3_mT4_P12ihipStream_tbEUlT_E0_NS1_11comp_targetILNS1_3genE10ELNS1_11target_archE1201ELNS1_3gpuE5ELNS1_3repE0EEENS1_30default_config_static_selectorELNS0_4arch9wavefront6targetE1EEEvSD_.has_indirect_call, 0
	.section	.AMDGPU.csdata,"",@progbits
; Kernel info:
; codeLenInByte = 0
; TotalNumSgprs: 6
; NumVgprs: 0
; NumAgprs: 0
; TotalNumVgprs: 0
; ScratchSize: 0
; MemoryBound: 0
; FloatMode: 240
; IeeeMode: 1
; LDSByteSize: 0 bytes/workgroup (compile time only)
; SGPRBlocks: 0
; VGPRBlocks: 0
; NumSGPRsForWavesPerEU: 6
; NumVGPRsForWavesPerEU: 1
; AccumOffset: 4
; Occupancy: 8
; WaveLimiterHint : 0
; COMPUTE_PGM_RSRC2:SCRATCH_EN: 0
; COMPUTE_PGM_RSRC2:USER_SGPR: 2
; COMPUTE_PGM_RSRC2:TRAP_HANDLER: 0
; COMPUTE_PGM_RSRC2:TGID_X_EN: 1
; COMPUTE_PGM_RSRC2:TGID_Y_EN: 0
; COMPUTE_PGM_RSRC2:TGID_Z_EN: 0
; COMPUTE_PGM_RSRC2:TIDIG_COMP_CNT: 0
; COMPUTE_PGM_RSRC3_GFX90A:ACCUM_OFFSET: 0
; COMPUTE_PGM_RSRC3_GFX90A:TG_SPLIT: 0
	.section	.text._ZN7rocprim17ROCPRIM_400000_NS6detail17trampoline_kernelINS0_14default_configENS1_22reduce_config_selectorIsEEZNS1_11reduce_implILb1ES3_PsS7_s9plus_mod3IsEEE10hipError_tPvRmT1_T2_T3_mT4_P12ihipStream_tbEUlT_E0_NS1_11comp_targetILNS1_3genE10ELNS1_11target_archE1200ELNS1_3gpuE4ELNS1_3repE0EEENS1_30default_config_static_selectorELNS0_4arch9wavefront6targetE1EEEvSD_,"axG",@progbits,_ZN7rocprim17ROCPRIM_400000_NS6detail17trampoline_kernelINS0_14default_configENS1_22reduce_config_selectorIsEEZNS1_11reduce_implILb1ES3_PsS7_s9plus_mod3IsEEE10hipError_tPvRmT1_T2_T3_mT4_P12ihipStream_tbEUlT_E0_NS1_11comp_targetILNS1_3genE10ELNS1_11target_archE1200ELNS1_3gpuE4ELNS1_3repE0EEENS1_30default_config_static_selectorELNS0_4arch9wavefront6targetE1EEEvSD_,comdat
	.protected	_ZN7rocprim17ROCPRIM_400000_NS6detail17trampoline_kernelINS0_14default_configENS1_22reduce_config_selectorIsEEZNS1_11reduce_implILb1ES3_PsS7_s9plus_mod3IsEEE10hipError_tPvRmT1_T2_T3_mT4_P12ihipStream_tbEUlT_E0_NS1_11comp_targetILNS1_3genE10ELNS1_11target_archE1200ELNS1_3gpuE4ELNS1_3repE0EEENS1_30default_config_static_selectorELNS0_4arch9wavefront6targetE1EEEvSD_ ; -- Begin function _ZN7rocprim17ROCPRIM_400000_NS6detail17trampoline_kernelINS0_14default_configENS1_22reduce_config_selectorIsEEZNS1_11reduce_implILb1ES3_PsS7_s9plus_mod3IsEEE10hipError_tPvRmT1_T2_T3_mT4_P12ihipStream_tbEUlT_E0_NS1_11comp_targetILNS1_3genE10ELNS1_11target_archE1200ELNS1_3gpuE4ELNS1_3repE0EEENS1_30default_config_static_selectorELNS0_4arch9wavefront6targetE1EEEvSD_
	.globl	_ZN7rocprim17ROCPRIM_400000_NS6detail17trampoline_kernelINS0_14default_configENS1_22reduce_config_selectorIsEEZNS1_11reduce_implILb1ES3_PsS7_s9plus_mod3IsEEE10hipError_tPvRmT1_T2_T3_mT4_P12ihipStream_tbEUlT_E0_NS1_11comp_targetILNS1_3genE10ELNS1_11target_archE1200ELNS1_3gpuE4ELNS1_3repE0EEENS1_30default_config_static_selectorELNS0_4arch9wavefront6targetE1EEEvSD_
	.p2align	8
	.type	_ZN7rocprim17ROCPRIM_400000_NS6detail17trampoline_kernelINS0_14default_configENS1_22reduce_config_selectorIsEEZNS1_11reduce_implILb1ES3_PsS7_s9plus_mod3IsEEE10hipError_tPvRmT1_T2_T3_mT4_P12ihipStream_tbEUlT_E0_NS1_11comp_targetILNS1_3genE10ELNS1_11target_archE1200ELNS1_3gpuE4ELNS1_3repE0EEENS1_30default_config_static_selectorELNS0_4arch9wavefront6targetE1EEEvSD_,@function
_ZN7rocprim17ROCPRIM_400000_NS6detail17trampoline_kernelINS0_14default_configENS1_22reduce_config_selectorIsEEZNS1_11reduce_implILb1ES3_PsS7_s9plus_mod3IsEEE10hipError_tPvRmT1_T2_T3_mT4_P12ihipStream_tbEUlT_E0_NS1_11comp_targetILNS1_3genE10ELNS1_11target_archE1200ELNS1_3gpuE4ELNS1_3repE0EEENS1_30default_config_static_selectorELNS0_4arch9wavefront6targetE1EEEvSD_: ; @_ZN7rocprim17ROCPRIM_400000_NS6detail17trampoline_kernelINS0_14default_configENS1_22reduce_config_selectorIsEEZNS1_11reduce_implILb1ES3_PsS7_s9plus_mod3IsEEE10hipError_tPvRmT1_T2_T3_mT4_P12ihipStream_tbEUlT_E0_NS1_11comp_targetILNS1_3genE10ELNS1_11target_archE1200ELNS1_3gpuE4ELNS1_3repE0EEENS1_30default_config_static_selectorELNS0_4arch9wavefront6targetE1EEEvSD_
; %bb.0:
	.section	.rodata,"a",@progbits
	.p2align	6, 0x0
	.amdhsa_kernel _ZN7rocprim17ROCPRIM_400000_NS6detail17trampoline_kernelINS0_14default_configENS1_22reduce_config_selectorIsEEZNS1_11reduce_implILb1ES3_PsS7_s9plus_mod3IsEEE10hipError_tPvRmT1_T2_T3_mT4_P12ihipStream_tbEUlT_E0_NS1_11comp_targetILNS1_3genE10ELNS1_11target_archE1200ELNS1_3gpuE4ELNS1_3repE0EEENS1_30default_config_static_selectorELNS0_4arch9wavefront6targetE1EEEvSD_
		.amdhsa_group_segment_fixed_size 0
		.amdhsa_private_segment_fixed_size 0
		.amdhsa_kernarg_size 64
		.amdhsa_user_sgpr_count 2
		.amdhsa_user_sgpr_dispatch_ptr 0
		.amdhsa_user_sgpr_queue_ptr 0
		.amdhsa_user_sgpr_kernarg_segment_ptr 1
		.amdhsa_user_sgpr_dispatch_id 0
		.amdhsa_user_sgpr_kernarg_preload_length 0
		.amdhsa_user_sgpr_kernarg_preload_offset 0
		.amdhsa_user_sgpr_private_segment_size 0
		.amdhsa_uses_dynamic_stack 0
		.amdhsa_enable_private_segment 0
		.amdhsa_system_sgpr_workgroup_id_x 1
		.amdhsa_system_sgpr_workgroup_id_y 0
		.amdhsa_system_sgpr_workgroup_id_z 0
		.amdhsa_system_sgpr_workgroup_info 0
		.amdhsa_system_vgpr_workitem_id 0
		.amdhsa_next_free_vgpr 1
		.amdhsa_next_free_sgpr 0
		.amdhsa_accum_offset 4
		.amdhsa_reserve_vcc 0
		.amdhsa_float_round_mode_32 0
		.amdhsa_float_round_mode_16_64 0
		.amdhsa_float_denorm_mode_32 3
		.amdhsa_float_denorm_mode_16_64 3
		.amdhsa_dx10_clamp 1
		.amdhsa_ieee_mode 1
		.amdhsa_fp16_overflow 0
		.amdhsa_tg_split 0
		.amdhsa_exception_fp_ieee_invalid_op 0
		.amdhsa_exception_fp_denorm_src 0
		.amdhsa_exception_fp_ieee_div_zero 0
		.amdhsa_exception_fp_ieee_overflow 0
		.amdhsa_exception_fp_ieee_underflow 0
		.amdhsa_exception_fp_ieee_inexact 0
		.amdhsa_exception_int_div_zero 0
	.end_amdhsa_kernel
	.section	.text._ZN7rocprim17ROCPRIM_400000_NS6detail17trampoline_kernelINS0_14default_configENS1_22reduce_config_selectorIsEEZNS1_11reduce_implILb1ES3_PsS7_s9plus_mod3IsEEE10hipError_tPvRmT1_T2_T3_mT4_P12ihipStream_tbEUlT_E0_NS1_11comp_targetILNS1_3genE10ELNS1_11target_archE1200ELNS1_3gpuE4ELNS1_3repE0EEENS1_30default_config_static_selectorELNS0_4arch9wavefront6targetE1EEEvSD_,"axG",@progbits,_ZN7rocprim17ROCPRIM_400000_NS6detail17trampoline_kernelINS0_14default_configENS1_22reduce_config_selectorIsEEZNS1_11reduce_implILb1ES3_PsS7_s9plus_mod3IsEEE10hipError_tPvRmT1_T2_T3_mT4_P12ihipStream_tbEUlT_E0_NS1_11comp_targetILNS1_3genE10ELNS1_11target_archE1200ELNS1_3gpuE4ELNS1_3repE0EEENS1_30default_config_static_selectorELNS0_4arch9wavefront6targetE1EEEvSD_,comdat
.Lfunc_end953:
	.size	_ZN7rocprim17ROCPRIM_400000_NS6detail17trampoline_kernelINS0_14default_configENS1_22reduce_config_selectorIsEEZNS1_11reduce_implILb1ES3_PsS7_s9plus_mod3IsEEE10hipError_tPvRmT1_T2_T3_mT4_P12ihipStream_tbEUlT_E0_NS1_11comp_targetILNS1_3genE10ELNS1_11target_archE1200ELNS1_3gpuE4ELNS1_3repE0EEENS1_30default_config_static_selectorELNS0_4arch9wavefront6targetE1EEEvSD_, .Lfunc_end953-_ZN7rocprim17ROCPRIM_400000_NS6detail17trampoline_kernelINS0_14default_configENS1_22reduce_config_selectorIsEEZNS1_11reduce_implILb1ES3_PsS7_s9plus_mod3IsEEE10hipError_tPvRmT1_T2_T3_mT4_P12ihipStream_tbEUlT_E0_NS1_11comp_targetILNS1_3genE10ELNS1_11target_archE1200ELNS1_3gpuE4ELNS1_3repE0EEENS1_30default_config_static_selectorELNS0_4arch9wavefront6targetE1EEEvSD_
                                        ; -- End function
	.set _ZN7rocprim17ROCPRIM_400000_NS6detail17trampoline_kernelINS0_14default_configENS1_22reduce_config_selectorIsEEZNS1_11reduce_implILb1ES3_PsS7_s9plus_mod3IsEEE10hipError_tPvRmT1_T2_T3_mT4_P12ihipStream_tbEUlT_E0_NS1_11comp_targetILNS1_3genE10ELNS1_11target_archE1200ELNS1_3gpuE4ELNS1_3repE0EEENS1_30default_config_static_selectorELNS0_4arch9wavefront6targetE1EEEvSD_.num_vgpr, 0
	.set _ZN7rocprim17ROCPRIM_400000_NS6detail17trampoline_kernelINS0_14default_configENS1_22reduce_config_selectorIsEEZNS1_11reduce_implILb1ES3_PsS7_s9plus_mod3IsEEE10hipError_tPvRmT1_T2_T3_mT4_P12ihipStream_tbEUlT_E0_NS1_11comp_targetILNS1_3genE10ELNS1_11target_archE1200ELNS1_3gpuE4ELNS1_3repE0EEENS1_30default_config_static_selectorELNS0_4arch9wavefront6targetE1EEEvSD_.num_agpr, 0
	.set _ZN7rocprim17ROCPRIM_400000_NS6detail17trampoline_kernelINS0_14default_configENS1_22reduce_config_selectorIsEEZNS1_11reduce_implILb1ES3_PsS7_s9plus_mod3IsEEE10hipError_tPvRmT1_T2_T3_mT4_P12ihipStream_tbEUlT_E0_NS1_11comp_targetILNS1_3genE10ELNS1_11target_archE1200ELNS1_3gpuE4ELNS1_3repE0EEENS1_30default_config_static_selectorELNS0_4arch9wavefront6targetE1EEEvSD_.numbered_sgpr, 0
	.set _ZN7rocprim17ROCPRIM_400000_NS6detail17trampoline_kernelINS0_14default_configENS1_22reduce_config_selectorIsEEZNS1_11reduce_implILb1ES3_PsS7_s9plus_mod3IsEEE10hipError_tPvRmT1_T2_T3_mT4_P12ihipStream_tbEUlT_E0_NS1_11comp_targetILNS1_3genE10ELNS1_11target_archE1200ELNS1_3gpuE4ELNS1_3repE0EEENS1_30default_config_static_selectorELNS0_4arch9wavefront6targetE1EEEvSD_.num_named_barrier, 0
	.set _ZN7rocprim17ROCPRIM_400000_NS6detail17trampoline_kernelINS0_14default_configENS1_22reduce_config_selectorIsEEZNS1_11reduce_implILb1ES3_PsS7_s9plus_mod3IsEEE10hipError_tPvRmT1_T2_T3_mT4_P12ihipStream_tbEUlT_E0_NS1_11comp_targetILNS1_3genE10ELNS1_11target_archE1200ELNS1_3gpuE4ELNS1_3repE0EEENS1_30default_config_static_selectorELNS0_4arch9wavefront6targetE1EEEvSD_.private_seg_size, 0
	.set _ZN7rocprim17ROCPRIM_400000_NS6detail17trampoline_kernelINS0_14default_configENS1_22reduce_config_selectorIsEEZNS1_11reduce_implILb1ES3_PsS7_s9plus_mod3IsEEE10hipError_tPvRmT1_T2_T3_mT4_P12ihipStream_tbEUlT_E0_NS1_11comp_targetILNS1_3genE10ELNS1_11target_archE1200ELNS1_3gpuE4ELNS1_3repE0EEENS1_30default_config_static_selectorELNS0_4arch9wavefront6targetE1EEEvSD_.uses_vcc, 0
	.set _ZN7rocprim17ROCPRIM_400000_NS6detail17trampoline_kernelINS0_14default_configENS1_22reduce_config_selectorIsEEZNS1_11reduce_implILb1ES3_PsS7_s9plus_mod3IsEEE10hipError_tPvRmT1_T2_T3_mT4_P12ihipStream_tbEUlT_E0_NS1_11comp_targetILNS1_3genE10ELNS1_11target_archE1200ELNS1_3gpuE4ELNS1_3repE0EEENS1_30default_config_static_selectorELNS0_4arch9wavefront6targetE1EEEvSD_.uses_flat_scratch, 0
	.set _ZN7rocprim17ROCPRIM_400000_NS6detail17trampoline_kernelINS0_14default_configENS1_22reduce_config_selectorIsEEZNS1_11reduce_implILb1ES3_PsS7_s9plus_mod3IsEEE10hipError_tPvRmT1_T2_T3_mT4_P12ihipStream_tbEUlT_E0_NS1_11comp_targetILNS1_3genE10ELNS1_11target_archE1200ELNS1_3gpuE4ELNS1_3repE0EEENS1_30default_config_static_selectorELNS0_4arch9wavefront6targetE1EEEvSD_.has_dyn_sized_stack, 0
	.set _ZN7rocprim17ROCPRIM_400000_NS6detail17trampoline_kernelINS0_14default_configENS1_22reduce_config_selectorIsEEZNS1_11reduce_implILb1ES3_PsS7_s9plus_mod3IsEEE10hipError_tPvRmT1_T2_T3_mT4_P12ihipStream_tbEUlT_E0_NS1_11comp_targetILNS1_3genE10ELNS1_11target_archE1200ELNS1_3gpuE4ELNS1_3repE0EEENS1_30default_config_static_selectorELNS0_4arch9wavefront6targetE1EEEvSD_.has_recursion, 0
	.set _ZN7rocprim17ROCPRIM_400000_NS6detail17trampoline_kernelINS0_14default_configENS1_22reduce_config_selectorIsEEZNS1_11reduce_implILb1ES3_PsS7_s9plus_mod3IsEEE10hipError_tPvRmT1_T2_T3_mT4_P12ihipStream_tbEUlT_E0_NS1_11comp_targetILNS1_3genE10ELNS1_11target_archE1200ELNS1_3gpuE4ELNS1_3repE0EEENS1_30default_config_static_selectorELNS0_4arch9wavefront6targetE1EEEvSD_.has_indirect_call, 0
	.section	.AMDGPU.csdata,"",@progbits
; Kernel info:
; codeLenInByte = 0
; TotalNumSgprs: 6
; NumVgprs: 0
; NumAgprs: 0
; TotalNumVgprs: 0
; ScratchSize: 0
; MemoryBound: 0
; FloatMode: 240
; IeeeMode: 1
; LDSByteSize: 0 bytes/workgroup (compile time only)
; SGPRBlocks: 0
; VGPRBlocks: 0
; NumSGPRsForWavesPerEU: 6
; NumVGPRsForWavesPerEU: 1
; AccumOffset: 4
; Occupancy: 8
; WaveLimiterHint : 0
; COMPUTE_PGM_RSRC2:SCRATCH_EN: 0
; COMPUTE_PGM_RSRC2:USER_SGPR: 2
; COMPUTE_PGM_RSRC2:TRAP_HANDLER: 0
; COMPUTE_PGM_RSRC2:TGID_X_EN: 1
; COMPUTE_PGM_RSRC2:TGID_Y_EN: 0
; COMPUTE_PGM_RSRC2:TGID_Z_EN: 0
; COMPUTE_PGM_RSRC2:TIDIG_COMP_CNT: 0
; COMPUTE_PGM_RSRC3_GFX90A:ACCUM_OFFSET: 0
; COMPUTE_PGM_RSRC3_GFX90A:TG_SPLIT: 0
	.section	.text._ZN7rocprim17ROCPRIM_400000_NS6detail17trampoline_kernelINS0_14default_configENS1_22reduce_config_selectorIsEEZNS1_11reduce_implILb1ES3_PsS7_s9plus_mod3IsEEE10hipError_tPvRmT1_T2_T3_mT4_P12ihipStream_tbEUlT_E0_NS1_11comp_targetILNS1_3genE9ELNS1_11target_archE1100ELNS1_3gpuE3ELNS1_3repE0EEENS1_30default_config_static_selectorELNS0_4arch9wavefront6targetE1EEEvSD_,"axG",@progbits,_ZN7rocprim17ROCPRIM_400000_NS6detail17trampoline_kernelINS0_14default_configENS1_22reduce_config_selectorIsEEZNS1_11reduce_implILb1ES3_PsS7_s9plus_mod3IsEEE10hipError_tPvRmT1_T2_T3_mT4_P12ihipStream_tbEUlT_E0_NS1_11comp_targetILNS1_3genE9ELNS1_11target_archE1100ELNS1_3gpuE3ELNS1_3repE0EEENS1_30default_config_static_selectorELNS0_4arch9wavefront6targetE1EEEvSD_,comdat
	.protected	_ZN7rocprim17ROCPRIM_400000_NS6detail17trampoline_kernelINS0_14default_configENS1_22reduce_config_selectorIsEEZNS1_11reduce_implILb1ES3_PsS7_s9plus_mod3IsEEE10hipError_tPvRmT1_T2_T3_mT4_P12ihipStream_tbEUlT_E0_NS1_11comp_targetILNS1_3genE9ELNS1_11target_archE1100ELNS1_3gpuE3ELNS1_3repE0EEENS1_30default_config_static_selectorELNS0_4arch9wavefront6targetE1EEEvSD_ ; -- Begin function _ZN7rocprim17ROCPRIM_400000_NS6detail17trampoline_kernelINS0_14default_configENS1_22reduce_config_selectorIsEEZNS1_11reduce_implILb1ES3_PsS7_s9plus_mod3IsEEE10hipError_tPvRmT1_T2_T3_mT4_P12ihipStream_tbEUlT_E0_NS1_11comp_targetILNS1_3genE9ELNS1_11target_archE1100ELNS1_3gpuE3ELNS1_3repE0EEENS1_30default_config_static_selectorELNS0_4arch9wavefront6targetE1EEEvSD_
	.globl	_ZN7rocprim17ROCPRIM_400000_NS6detail17trampoline_kernelINS0_14default_configENS1_22reduce_config_selectorIsEEZNS1_11reduce_implILb1ES3_PsS7_s9plus_mod3IsEEE10hipError_tPvRmT1_T2_T3_mT4_P12ihipStream_tbEUlT_E0_NS1_11comp_targetILNS1_3genE9ELNS1_11target_archE1100ELNS1_3gpuE3ELNS1_3repE0EEENS1_30default_config_static_selectorELNS0_4arch9wavefront6targetE1EEEvSD_
	.p2align	8
	.type	_ZN7rocprim17ROCPRIM_400000_NS6detail17trampoline_kernelINS0_14default_configENS1_22reduce_config_selectorIsEEZNS1_11reduce_implILb1ES3_PsS7_s9plus_mod3IsEEE10hipError_tPvRmT1_T2_T3_mT4_P12ihipStream_tbEUlT_E0_NS1_11comp_targetILNS1_3genE9ELNS1_11target_archE1100ELNS1_3gpuE3ELNS1_3repE0EEENS1_30default_config_static_selectorELNS0_4arch9wavefront6targetE1EEEvSD_,@function
_ZN7rocprim17ROCPRIM_400000_NS6detail17trampoline_kernelINS0_14default_configENS1_22reduce_config_selectorIsEEZNS1_11reduce_implILb1ES3_PsS7_s9plus_mod3IsEEE10hipError_tPvRmT1_T2_T3_mT4_P12ihipStream_tbEUlT_E0_NS1_11comp_targetILNS1_3genE9ELNS1_11target_archE1100ELNS1_3gpuE3ELNS1_3repE0EEENS1_30default_config_static_selectorELNS0_4arch9wavefront6targetE1EEEvSD_: ; @_ZN7rocprim17ROCPRIM_400000_NS6detail17trampoline_kernelINS0_14default_configENS1_22reduce_config_selectorIsEEZNS1_11reduce_implILb1ES3_PsS7_s9plus_mod3IsEEE10hipError_tPvRmT1_T2_T3_mT4_P12ihipStream_tbEUlT_E0_NS1_11comp_targetILNS1_3genE9ELNS1_11target_archE1100ELNS1_3gpuE3ELNS1_3repE0EEENS1_30default_config_static_selectorELNS0_4arch9wavefront6targetE1EEEvSD_
; %bb.0:
	.section	.rodata,"a",@progbits
	.p2align	6, 0x0
	.amdhsa_kernel _ZN7rocprim17ROCPRIM_400000_NS6detail17trampoline_kernelINS0_14default_configENS1_22reduce_config_selectorIsEEZNS1_11reduce_implILb1ES3_PsS7_s9plus_mod3IsEEE10hipError_tPvRmT1_T2_T3_mT4_P12ihipStream_tbEUlT_E0_NS1_11comp_targetILNS1_3genE9ELNS1_11target_archE1100ELNS1_3gpuE3ELNS1_3repE0EEENS1_30default_config_static_selectorELNS0_4arch9wavefront6targetE1EEEvSD_
		.amdhsa_group_segment_fixed_size 0
		.amdhsa_private_segment_fixed_size 0
		.amdhsa_kernarg_size 64
		.amdhsa_user_sgpr_count 2
		.amdhsa_user_sgpr_dispatch_ptr 0
		.amdhsa_user_sgpr_queue_ptr 0
		.amdhsa_user_sgpr_kernarg_segment_ptr 1
		.amdhsa_user_sgpr_dispatch_id 0
		.amdhsa_user_sgpr_kernarg_preload_length 0
		.amdhsa_user_sgpr_kernarg_preload_offset 0
		.amdhsa_user_sgpr_private_segment_size 0
		.amdhsa_uses_dynamic_stack 0
		.amdhsa_enable_private_segment 0
		.amdhsa_system_sgpr_workgroup_id_x 1
		.amdhsa_system_sgpr_workgroup_id_y 0
		.amdhsa_system_sgpr_workgroup_id_z 0
		.amdhsa_system_sgpr_workgroup_info 0
		.amdhsa_system_vgpr_workitem_id 0
		.amdhsa_next_free_vgpr 1
		.amdhsa_next_free_sgpr 0
		.amdhsa_accum_offset 4
		.amdhsa_reserve_vcc 0
		.amdhsa_float_round_mode_32 0
		.amdhsa_float_round_mode_16_64 0
		.amdhsa_float_denorm_mode_32 3
		.amdhsa_float_denorm_mode_16_64 3
		.amdhsa_dx10_clamp 1
		.amdhsa_ieee_mode 1
		.amdhsa_fp16_overflow 0
		.amdhsa_tg_split 0
		.amdhsa_exception_fp_ieee_invalid_op 0
		.amdhsa_exception_fp_denorm_src 0
		.amdhsa_exception_fp_ieee_div_zero 0
		.amdhsa_exception_fp_ieee_overflow 0
		.amdhsa_exception_fp_ieee_underflow 0
		.amdhsa_exception_fp_ieee_inexact 0
		.amdhsa_exception_int_div_zero 0
	.end_amdhsa_kernel
	.section	.text._ZN7rocprim17ROCPRIM_400000_NS6detail17trampoline_kernelINS0_14default_configENS1_22reduce_config_selectorIsEEZNS1_11reduce_implILb1ES3_PsS7_s9plus_mod3IsEEE10hipError_tPvRmT1_T2_T3_mT4_P12ihipStream_tbEUlT_E0_NS1_11comp_targetILNS1_3genE9ELNS1_11target_archE1100ELNS1_3gpuE3ELNS1_3repE0EEENS1_30default_config_static_selectorELNS0_4arch9wavefront6targetE1EEEvSD_,"axG",@progbits,_ZN7rocprim17ROCPRIM_400000_NS6detail17trampoline_kernelINS0_14default_configENS1_22reduce_config_selectorIsEEZNS1_11reduce_implILb1ES3_PsS7_s9plus_mod3IsEEE10hipError_tPvRmT1_T2_T3_mT4_P12ihipStream_tbEUlT_E0_NS1_11comp_targetILNS1_3genE9ELNS1_11target_archE1100ELNS1_3gpuE3ELNS1_3repE0EEENS1_30default_config_static_selectorELNS0_4arch9wavefront6targetE1EEEvSD_,comdat
.Lfunc_end954:
	.size	_ZN7rocprim17ROCPRIM_400000_NS6detail17trampoline_kernelINS0_14default_configENS1_22reduce_config_selectorIsEEZNS1_11reduce_implILb1ES3_PsS7_s9plus_mod3IsEEE10hipError_tPvRmT1_T2_T3_mT4_P12ihipStream_tbEUlT_E0_NS1_11comp_targetILNS1_3genE9ELNS1_11target_archE1100ELNS1_3gpuE3ELNS1_3repE0EEENS1_30default_config_static_selectorELNS0_4arch9wavefront6targetE1EEEvSD_, .Lfunc_end954-_ZN7rocprim17ROCPRIM_400000_NS6detail17trampoline_kernelINS0_14default_configENS1_22reduce_config_selectorIsEEZNS1_11reduce_implILb1ES3_PsS7_s9plus_mod3IsEEE10hipError_tPvRmT1_T2_T3_mT4_P12ihipStream_tbEUlT_E0_NS1_11comp_targetILNS1_3genE9ELNS1_11target_archE1100ELNS1_3gpuE3ELNS1_3repE0EEENS1_30default_config_static_selectorELNS0_4arch9wavefront6targetE1EEEvSD_
                                        ; -- End function
	.set _ZN7rocprim17ROCPRIM_400000_NS6detail17trampoline_kernelINS0_14default_configENS1_22reduce_config_selectorIsEEZNS1_11reduce_implILb1ES3_PsS7_s9plus_mod3IsEEE10hipError_tPvRmT1_T2_T3_mT4_P12ihipStream_tbEUlT_E0_NS1_11comp_targetILNS1_3genE9ELNS1_11target_archE1100ELNS1_3gpuE3ELNS1_3repE0EEENS1_30default_config_static_selectorELNS0_4arch9wavefront6targetE1EEEvSD_.num_vgpr, 0
	.set _ZN7rocprim17ROCPRIM_400000_NS6detail17trampoline_kernelINS0_14default_configENS1_22reduce_config_selectorIsEEZNS1_11reduce_implILb1ES3_PsS7_s9plus_mod3IsEEE10hipError_tPvRmT1_T2_T3_mT4_P12ihipStream_tbEUlT_E0_NS1_11comp_targetILNS1_3genE9ELNS1_11target_archE1100ELNS1_3gpuE3ELNS1_3repE0EEENS1_30default_config_static_selectorELNS0_4arch9wavefront6targetE1EEEvSD_.num_agpr, 0
	.set _ZN7rocprim17ROCPRIM_400000_NS6detail17trampoline_kernelINS0_14default_configENS1_22reduce_config_selectorIsEEZNS1_11reduce_implILb1ES3_PsS7_s9plus_mod3IsEEE10hipError_tPvRmT1_T2_T3_mT4_P12ihipStream_tbEUlT_E0_NS1_11comp_targetILNS1_3genE9ELNS1_11target_archE1100ELNS1_3gpuE3ELNS1_3repE0EEENS1_30default_config_static_selectorELNS0_4arch9wavefront6targetE1EEEvSD_.numbered_sgpr, 0
	.set _ZN7rocprim17ROCPRIM_400000_NS6detail17trampoline_kernelINS0_14default_configENS1_22reduce_config_selectorIsEEZNS1_11reduce_implILb1ES3_PsS7_s9plus_mod3IsEEE10hipError_tPvRmT1_T2_T3_mT4_P12ihipStream_tbEUlT_E0_NS1_11comp_targetILNS1_3genE9ELNS1_11target_archE1100ELNS1_3gpuE3ELNS1_3repE0EEENS1_30default_config_static_selectorELNS0_4arch9wavefront6targetE1EEEvSD_.num_named_barrier, 0
	.set _ZN7rocprim17ROCPRIM_400000_NS6detail17trampoline_kernelINS0_14default_configENS1_22reduce_config_selectorIsEEZNS1_11reduce_implILb1ES3_PsS7_s9plus_mod3IsEEE10hipError_tPvRmT1_T2_T3_mT4_P12ihipStream_tbEUlT_E0_NS1_11comp_targetILNS1_3genE9ELNS1_11target_archE1100ELNS1_3gpuE3ELNS1_3repE0EEENS1_30default_config_static_selectorELNS0_4arch9wavefront6targetE1EEEvSD_.private_seg_size, 0
	.set _ZN7rocprim17ROCPRIM_400000_NS6detail17trampoline_kernelINS0_14default_configENS1_22reduce_config_selectorIsEEZNS1_11reduce_implILb1ES3_PsS7_s9plus_mod3IsEEE10hipError_tPvRmT1_T2_T3_mT4_P12ihipStream_tbEUlT_E0_NS1_11comp_targetILNS1_3genE9ELNS1_11target_archE1100ELNS1_3gpuE3ELNS1_3repE0EEENS1_30default_config_static_selectorELNS0_4arch9wavefront6targetE1EEEvSD_.uses_vcc, 0
	.set _ZN7rocprim17ROCPRIM_400000_NS6detail17trampoline_kernelINS0_14default_configENS1_22reduce_config_selectorIsEEZNS1_11reduce_implILb1ES3_PsS7_s9plus_mod3IsEEE10hipError_tPvRmT1_T2_T3_mT4_P12ihipStream_tbEUlT_E0_NS1_11comp_targetILNS1_3genE9ELNS1_11target_archE1100ELNS1_3gpuE3ELNS1_3repE0EEENS1_30default_config_static_selectorELNS0_4arch9wavefront6targetE1EEEvSD_.uses_flat_scratch, 0
	.set _ZN7rocprim17ROCPRIM_400000_NS6detail17trampoline_kernelINS0_14default_configENS1_22reduce_config_selectorIsEEZNS1_11reduce_implILb1ES3_PsS7_s9plus_mod3IsEEE10hipError_tPvRmT1_T2_T3_mT4_P12ihipStream_tbEUlT_E0_NS1_11comp_targetILNS1_3genE9ELNS1_11target_archE1100ELNS1_3gpuE3ELNS1_3repE0EEENS1_30default_config_static_selectorELNS0_4arch9wavefront6targetE1EEEvSD_.has_dyn_sized_stack, 0
	.set _ZN7rocprim17ROCPRIM_400000_NS6detail17trampoline_kernelINS0_14default_configENS1_22reduce_config_selectorIsEEZNS1_11reduce_implILb1ES3_PsS7_s9plus_mod3IsEEE10hipError_tPvRmT1_T2_T3_mT4_P12ihipStream_tbEUlT_E0_NS1_11comp_targetILNS1_3genE9ELNS1_11target_archE1100ELNS1_3gpuE3ELNS1_3repE0EEENS1_30default_config_static_selectorELNS0_4arch9wavefront6targetE1EEEvSD_.has_recursion, 0
	.set _ZN7rocprim17ROCPRIM_400000_NS6detail17trampoline_kernelINS0_14default_configENS1_22reduce_config_selectorIsEEZNS1_11reduce_implILb1ES3_PsS7_s9plus_mod3IsEEE10hipError_tPvRmT1_T2_T3_mT4_P12ihipStream_tbEUlT_E0_NS1_11comp_targetILNS1_3genE9ELNS1_11target_archE1100ELNS1_3gpuE3ELNS1_3repE0EEENS1_30default_config_static_selectorELNS0_4arch9wavefront6targetE1EEEvSD_.has_indirect_call, 0
	.section	.AMDGPU.csdata,"",@progbits
; Kernel info:
; codeLenInByte = 0
; TotalNumSgprs: 6
; NumVgprs: 0
; NumAgprs: 0
; TotalNumVgprs: 0
; ScratchSize: 0
; MemoryBound: 0
; FloatMode: 240
; IeeeMode: 1
; LDSByteSize: 0 bytes/workgroup (compile time only)
; SGPRBlocks: 0
; VGPRBlocks: 0
; NumSGPRsForWavesPerEU: 6
; NumVGPRsForWavesPerEU: 1
; AccumOffset: 4
; Occupancy: 8
; WaveLimiterHint : 0
; COMPUTE_PGM_RSRC2:SCRATCH_EN: 0
; COMPUTE_PGM_RSRC2:USER_SGPR: 2
; COMPUTE_PGM_RSRC2:TRAP_HANDLER: 0
; COMPUTE_PGM_RSRC2:TGID_X_EN: 1
; COMPUTE_PGM_RSRC2:TGID_Y_EN: 0
; COMPUTE_PGM_RSRC2:TGID_Z_EN: 0
; COMPUTE_PGM_RSRC2:TIDIG_COMP_CNT: 0
; COMPUTE_PGM_RSRC3_GFX90A:ACCUM_OFFSET: 0
; COMPUTE_PGM_RSRC3_GFX90A:TG_SPLIT: 0
	.section	.text._ZN7rocprim17ROCPRIM_400000_NS6detail17trampoline_kernelINS0_14default_configENS1_22reduce_config_selectorIsEEZNS1_11reduce_implILb1ES3_PsS7_s9plus_mod3IsEEE10hipError_tPvRmT1_T2_T3_mT4_P12ihipStream_tbEUlT_E0_NS1_11comp_targetILNS1_3genE8ELNS1_11target_archE1030ELNS1_3gpuE2ELNS1_3repE0EEENS1_30default_config_static_selectorELNS0_4arch9wavefront6targetE1EEEvSD_,"axG",@progbits,_ZN7rocprim17ROCPRIM_400000_NS6detail17trampoline_kernelINS0_14default_configENS1_22reduce_config_selectorIsEEZNS1_11reduce_implILb1ES3_PsS7_s9plus_mod3IsEEE10hipError_tPvRmT1_T2_T3_mT4_P12ihipStream_tbEUlT_E0_NS1_11comp_targetILNS1_3genE8ELNS1_11target_archE1030ELNS1_3gpuE2ELNS1_3repE0EEENS1_30default_config_static_selectorELNS0_4arch9wavefront6targetE1EEEvSD_,comdat
	.protected	_ZN7rocprim17ROCPRIM_400000_NS6detail17trampoline_kernelINS0_14default_configENS1_22reduce_config_selectorIsEEZNS1_11reduce_implILb1ES3_PsS7_s9plus_mod3IsEEE10hipError_tPvRmT1_T2_T3_mT4_P12ihipStream_tbEUlT_E0_NS1_11comp_targetILNS1_3genE8ELNS1_11target_archE1030ELNS1_3gpuE2ELNS1_3repE0EEENS1_30default_config_static_selectorELNS0_4arch9wavefront6targetE1EEEvSD_ ; -- Begin function _ZN7rocprim17ROCPRIM_400000_NS6detail17trampoline_kernelINS0_14default_configENS1_22reduce_config_selectorIsEEZNS1_11reduce_implILb1ES3_PsS7_s9plus_mod3IsEEE10hipError_tPvRmT1_T2_T3_mT4_P12ihipStream_tbEUlT_E0_NS1_11comp_targetILNS1_3genE8ELNS1_11target_archE1030ELNS1_3gpuE2ELNS1_3repE0EEENS1_30default_config_static_selectorELNS0_4arch9wavefront6targetE1EEEvSD_
	.globl	_ZN7rocprim17ROCPRIM_400000_NS6detail17trampoline_kernelINS0_14default_configENS1_22reduce_config_selectorIsEEZNS1_11reduce_implILb1ES3_PsS7_s9plus_mod3IsEEE10hipError_tPvRmT1_T2_T3_mT4_P12ihipStream_tbEUlT_E0_NS1_11comp_targetILNS1_3genE8ELNS1_11target_archE1030ELNS1_3gpuE2ELNS1_3repE0EEENS1_30default_config_static_selectorELNS0_4arch9wavefront6targetE1EEEvSD_
	.p2align	8
	.type	_ZN7rocprim17ROCPRIM_400000_NS6detail17trampoline_kernelINS0_14default_configENS1_22reduce_config_selectorIsEEZNS1_11reduce_implILb1ES3_PsS7_s9plus_mod3IsEEE10hipError_tPvRmT1_T2_T3_mT4_P12ihipStream_tbEUlT_E0_NS1_11comp_targetILNS1_3genE8ELNS1_11target_archE1030ELNS1_3gpuE2ELNS1_3repE0EEENS1_30default_config_static_selectorELNS0_4arch9wavefront6targetE1EEEvSD_,@function
_ZN7rocprim17ROCPRIM_400000_NS6detail17trampoline_kernelINS0_14default_configENS1_22reduce_config_selectorIsEEZNS1_11reduce_implILb1ES3_PsS7_s9plus_mod3IsEEE10hipError_tPvRmT1_T2_T3_mT4_P12ihipStream_tbEUlT_E0_NS1_11comp_targetILNS1_3genE8ELNS1_11target_archE1030ELNS1_3gpuE2ELNS1_3repE0EEENS1_30default_config_static_selectorELNS0_4arch9wavefront6targetE1EEEvSD_: ; @_ZN7rocprim17ROCPRIM_400000_NS6detail17trampoline_kernelINS0_14default_configENS1_22reduce_config_selectorIsEEZNS1_11reduce_implILb1ES3_PsS7_s9plus_mod3IsEEE10hipError_tPvRmT1_T2_T3_mT4_P12ihipStream_tbEUlT_E0_NS1_11comp_targetILNS1_3genE8ELNS1_11target_archE1030ELNS1_3gpuE2ELNS1_3repE0EEENS1_30default_config_static_selectorELNS0_4arch9wavefront6targetE1EEEvSD_
; %bb.0:
	.section	.rodata,"a",@progbits
	.p2align	6, 0x0
	.amdhsa_kernel _ZN7rocprim17ROCPRIM_400000_NS6detail17trampoline_kernelINS0_14default_configENS1_22reduce_config_selectorIsEEZNS1_11reduce_implILb1ES3_PsS7_s9plus_mod3IsEEE10hipError_tPvRmT1_T2_T3_mT4_P12ihipStream_tbEUlT_E0_NS1_11comp_targetILNS1_3genE8ELNS1_11target_archE1030ELNS1_3gpuE2ELNS1_3repE0EEENS1_30default_config_static_selectorELNS0_4arch9wavefront6targetE1EEEvSD_
		.amdhsa_group_segment_fixed_size 0
		.amdhsa_private_segment_fixed_size 0
		.amdhsa_kernarg_size 64
		.amdhsa_user_sgpr_count 2
		.amdhsa_user_sgpr_dispatch_ptr 0
		.amdhsa_user_sgpr_queue_ptr 0
		.amdhsa_user_sgpr_kernarg_segment_ptr 1
		.amdhsa_user_sgpr_dispatch_id 0
		.amdhsa_user_sgpr_kernarg_preload_length 0
		.amdhsa_user_sgpr_kernarg_preload_offset 0
		.amdhsa_user_sgpr_private_segment_size 0
		.amdhsa_uses_dynamic_stack 0
		.amdhsa_enable_private_segment 0
		.amdhsa_system_sgpr_workgroup_id_x 1
		.amdhsa_system_sgpr_workgroup_id_y 0
		.amdhsa_system_sgpr_workgroup_id_z 0
		.amdhsa_system_sgpr_workgroup_info 0
		.amdhsa_system_vgpr_workitem_id 0
		.amdhsa_next_free_vgpr 1
		.amdhsa_next_free_sgpr 0
		.amdhsa_accum_offset 4
		.amdhsa_reserve_vcc 0
		.amdhsa_float_round_mode_32 0
		.amdhsa_float_round_mode_16_64 0
		.amdhsa_float_denorm_mode_32 3
		.amdhsa_float_denorm_mode_16_64 3
		.amdhsa_dx10_clamp 1
		.amdhsa_ieee_mode 1
		.amdhsa_fp16_overflow 0
		.amdhsa_tg_split 0
		.amdhsa_exception_fp_ieee_invalid_op 0
		.amdhsa_exception_fp_denorm_src 0
		.amdhsa_exception_fp_ieee_div_zero 0
		.amdhsa_exception_fp_ieee_overflow 0
		.amdhsa_exception_fp_ieee_underflow 0
		.amdhsa_exception_fp_ieee_inexact 0
		.amdhsa_exception_int_div_zero 0
	.end_amdhsa_kernel
	.section	.text._ZN7rocprim17ROCPRIM_400000_NS6detail17trampoline_kernelINS0_14default_configENS1_22reduce_config_selectorIsEEZNS1_11reduce_implILb1ES3_PsS7_s9plus_mod3IsEEE10hipError_tPvRmT1_T2_T3_mT4_P12ihipStream_tbEUlT_E0_NS1_11comp_targetILNS1_3genE8ELNS1_11target_archE1030ELNS1_3gpuE2ELNS1_3repE0EEENS1_30default_config_static_selectorELNS0_4arch9wavefront6targetE1EEEvSD_,"axG",@progbits,_ZN7rocprim17ROCPRIM_400000_NS6detail17trampoline_kernelINS0_14default_configENS1_22reduce_config_selectorIsEEZNS1_11reduce_implILb1ES3_PsS7_s9plus_mod3IsEEE10hipError_tPvRmT1_T2_T3_mT4_P12ihipStream_tbEUlT_E0_NS1_11comp_targetILNS1_3genE8ELNS1_11target_archE1030ELNS1_3gpuE2ELNS1_3repE0EEENS1_30default_config_static_selectorELNS0_4arch9wavefront6targetE1EEEvSD_,comdat
.Lfunc_end955:
	.size	_ZN7rocprim17ROCPRIM_400000_NS6detail17trampoline_kernelINS0_14default_configENS1_22reduce_config_selectorIsEEZNS1_11reduce_implILb1ES3_PsS7_s9plus_mod3IsEEE10hipError_tPvRmT1_T2_T3_mT4_P12ihipStream_tbEUlT_E0_NS1_11comp_targetILNS1_3genE8ELNS1_11target_archE1030ELNS1_3gpuE2ELNS1_3repE0EEENS1_30default_config_static_selectorELNS0_4arch9wavefront6targetE1EEEvSD_, .Lfunc_end955-_ZN7rocprim17ROCPRIM_400000_NS6detail17trampoline_kernelINS0_14default_configENS1_22reduce_config_selectorIsEEZNS1_11reduce_implILb1ES3_PsS7_s9plus_mod3IsEEE10hipError_tPvRmT1_T2_T3_mT4_P12ihipStream_tbEUlT_E0_NS1_11comp_targetILNS1_3genE8ELNS1_11target_archE1030ELNS1_3gpuE2ELNS1_3repE0EEENS1_30default_config_static_selectorELNS0_4arch9wavefront6targetE1EEEvSD_
                                        ; -- End function
	.set _ZN7rocprim17ROCPRIM_400000_NS6detail17trampoline_kernelINS0_14default_configENS1_22reduce_config_selectorIsEEZNS1_11reduce_implILb1ES3_PsS7_s9plus_mod3IsEEE10hipError_tPvRmT1_T2_T3_mT4_P12ihipStream_tbEUlT_E0_NS1_11comp_targetILNS1_3genE8ELNS1_11target_archE1030ELNS1_3gpuE2ELNS1_3repE0EEENS1_30default_config_static_selectorELNS0_4arch9wavefront6targetE1EEEvSD_.num_vgpr, 0
	.set _ZN7rocprim17ROCPRIM_400000_NS6detail17trampoline_kernelINS0_14default_configENS1_22reduce_config_selectorIsEEZNS1_11reduce_implILb1ES3_PsS7_s9plus_mod3IsEEE10hipError_tPvRmT1_T2_T3_mT4_P12ihipStream_tbEUlT_E0_NS1_11comp_targetILNS1_3genE8ELNS1_11target_archE1030ELNS1_3gpuE2ELNS1_3repE0EEENS1_30default_config_static_selectorELNS0_4arch9wavefront6targetE1EEEvSD_.num_agpr, 0
	.set _ZN7rocprim17ROCPRIM_400000_NS6detail17trampoline_kernelINS0_14default_configENS1_22reduce_config_selectorIsEEZNS1_11reduce_implILb1ES3_PsS7_s9plus_mod3IsEEE10hipError_tPvRmT1_T2_T3_mT4_P12ihipStream_tbEUlT_E0_NS1_11comp_targetILNS1_3genE8ELNS1_11target_archE1030ELNS1_3gpuE2ELNS1_3repE0EEENS1_30default_config_static_selectorELNS0_4arch9wavefront6targetE1EEEvSD_.numbered_sgpr, 0
	.set _ZN7rocprim17ROCPRIM_400000_NS6detail17trampoline_kernelINS0_14default_configENS1_22reduce_config_selectorIsEEZNS1_11reduce_implILb1ES3_PsS7_s9plus_mod3IsEEE10hipError_tPvRmT1_T2_T3_mT4_P12ihipStream_tbEUlT_E0_NS1_11comp_targetILNS1_3genE8ELNS1_11target_archE1030ELNS1_3gpuE2ELNS1_3repE0EEENS1_30default_config_static_selectorELNS0_4arch9wavefront6targetE1EEEvSD_.num_named_barrier, 0
	.set _ZN7rocprim17ROCPRIM_400000_NS6detail17trampoline_kernelINS0_14default_configENS1_22reduce_config_selectorIsEEZNS1_11reduce_implILb1ES3_PsS7_s9plus_mod3IsEEE10hipError_tPvRmT1_T2_T3_mT4_P12ihipStream_tbEUlT_E0_NS1_11comp_targetILNS1_3genE8ELNS1_11target_archE1030ELNS1_3gpuE2ELNS1_3repE0EEENS1_30default_config_static_selectorELNS0_4arch9wavefront6targetE1EEEvSD_.private_seg_size, 0
	.set _ZN7rocprim17ROCPRIM_400000_NS6detail17trampoline_kernelINS0_14default_configENS1_22reduce_config_selectorIsEEZNS1_11reduce_implILb1ES3_PsS7_s9plus_mod3IsEEE10hipError_tPvRmT1_T2_T3_mT4_P12ihipStream_tbEUlT_E0_NS1_11comp_targetILNS1_3genE8ELNS1_11target_archE1030ELNS1_3gpuE2ELNS1_3repE0EEENS1_30default_config_static_selectorELNS0_4arch9wavefront6targetE1EEEvSD_.uses_vcc, 0
	.set _ZN7rocprim17ROCPRIM_400000_NS6detail17trampoline_kernelINS0_14default_configENS1_22reduce_config_selectorIsEEZNS1_11reduce_implILb1ES3_PsS7_s9plus_mod3IsEEE10hipError_tPvRmT1_T2_T3_mT4_P12ihipStream_tbEUlT_E0_NS1_11comp_targetILNS1_3genE8ELNS1_11target_archE1030ELNS1_3gpuE2ELNS1_3repE0EEENS1_30default_config_static_selectorELNS0_4arch9wavefront6targetE1EEEvSD_.uses_flat_scratch, 0
	.set _ZN7rocprim17ROCPRIM_400000_NS6detail17trampoline_kernelINS0_14default_configENS1_22reduce_config_selectorIsEEZNS1_11reduce_implILb1ES3_PsS7_s9plus_mod3IsEEE10hipError_tPvRmT1_T2_T3_mT4_P12ihipStream_tbEUlT_E0_NS1_11comp_targetILNS1_3genE8ELNS1_11target_archE1030ELNS1_3gpuE2ELNS1_3repE0EEENS1_30default_config_static_selectorELNS0_4arch9wavefront6targetE1EEEvSD_.has_dyn_sized_stack, 0
	.set _ZN7rocprim17ROCPRIM_400000_NS6detail17trampoline_kernelINS0_14default_configENS1_22reduce_config_selectorIsEEZNS1_11reduce_implILb1ES3_PsS7_s9plus_mod3IsEEE10hipError_tPvRmT1_T2_T3_mT4_P12ihipStream_tbEUlT_E0_NS1_11comp_targetILNS1_3genE8ELNS1_11target_archE1030ELNS1_3gpuE2ELNS1_3repE0EEENS1_30default_config_static_selectorELNS0_4arch9wavefront6targetE1EEEvSD_.has_recursion, 0
	.set _ZN7rocprim17ROCPRIM_400000_NS6detail17trampoline_kernelINS0_14default_configENS1_22reduce_config_selectorIsEEZNS1_11reduce_implILb1ES3_PsS7_s9plus_mod3IsEEE10hipError_tPvRmT1_T2_T3_mT4_P12ihipStream_tbEUlT_E0_NS1_11comp_targetILNS1_3genE8ELNS1_11target_archE1030ELNS1_3gpuE2ELNS1_3repE0EEENS1_30default_config_static_selectorELNS0_4arch9wavefront6targetE1EEEvSD_.has_indirect_call, 0
	.section	.AMDGPU.csdata,"",@progbits
; Kernel info:
; codeLenInByte = 0
; TotalNumSgprs: 6
; NumVgprs: 0
; NumAgprs: 0
; TotalNumVgprs: 0
; ScratchSize: 0
; MemoryBound: 0
; FloatMode: 240
; IeeeMode: 1
; LDSByteSize: 0 bytes/workgroup (compile time only)
; SGPRBlocks: 0
; VGPRBlocks: 0
; NumSGPRsForWavesPerEU: 6
; NumVGPRsForWavesPerEU: 1
; AccumOffset: 4
; Occupancy: 8
; WaveLimiterHint : 0
; COMPUTE_PGM_RSRC2:SCRATCH_EN: 0
; COMPUTE_PGM_RSRC2:USER_SGPR: 2
; COMPUTE_PGM_RSRC2:TRAP_HANDLER: 0
; COMPUTE_PGM_RSRC2:TGID_X_EN: 1
; COMPUTE_PGM_RSRC2:TGID_Y_EN: 0
; COMPUTE_PGM_RSRC2:TGID_Z_EN: 0
; COMPUTE_PGM_RSRC2:TIDIG_COMP_CNT: 0
; COMPUTE_PGM_RSRC3_GFX90A:ACCUM_OFFSET: 0
; COMPUTE_PGM_RSRC3_GFX90A:TG_SPLIT: 0
	.section	.text._ZN7rocprim17ROCPRIM_400000_NS6detail17trampoline_kernelINS0_14default_configENS1_22reduce_config_selectorIsEEZNS1_11reduce_implILb1ES3_PsS7_s9plus_mod3IsEEE10hipError_tPvRmT1_T2_T3_mT4_P12ihipStream_tbEUlT_E1_NS1_11comp_targetILNS1_3genE0ELNS1_11target_archE4294967295ELNS1_3gpuE0ELNS1_3repE0EEENS1_30default_config_static_selectorELNS0_4arch9wavefront6targetE1EEEvSD_,"axG",@progbits,_ZN7rocprim17ROCPRIM_400000_NS6detail17trampoline_kernelINS0_14default_configENS1_22reduce_config_selectorIsEEZNS1_11reduce_implILb1ES3_PsS7_s9plus_mod3IsEEE10hipError_tPvRmT1_T2_T3_mT4_P12ihipStream_tbEUlT_E1_NS1_11comp_targetILNS1_3genE0ELNS1_11target_archE4294967295ELNS1_3gpuE0ELNS1_3repE0EEENS1_30default_config_static_selectorELNS0_4arch9wavefront6targetE1EEEvSD_,comdat
	.protected	_ZN7rocprim17ROCPRIM_400000_NS6detail17trampoline_kernelINS0_14default_configENS1_22reduce_config_selectorIsEEZNS1_11reduce_implILb1ES3_PsS7_s9plus_mod3IsEEE10hipError_tPvRmT1_T2_T3_mT4_P12ihipStream_tbEUlT_E1_NS1_11comp_targetILNS1_3genE0ELNS1_11target_archE4294967295ELNS1_3gpuE0ELNS1_3repE0EEENS1_30default_config_static_selectorELNS0_4arch9wavefront6targetE1EEEvSD_ ; -- Begin function _ZN7rocprim17ROCPRIM_400000_NS6detail17trampoline_kernelINS0_14default_configENS1_22reduce_config_selectorIsEEZNS1_11reduce_implILb1ES3_PsS7_s9plus_mod3IsEEE10hipError_tPvRmT1_T2_T3_mT4_P12ihipStream_tbEUlT_E1_NS1_11comp_targetILNS1_3genE0ELNS1_11target_archE4294967295ELNS1_3gpuE0ELNS1_3repE0EEENS1_30default_config_static_selectorELNS0_4arch9wavefront6targetE1EEEvSD_
	.globl	_ZN7rocprim17ROCPRIM_400000_NS6detail17trampoline_kernelINS0_14default_configENS1_22reduce_config_selectorIsEEZNS1_11reduce_implILb1ES3_PsS7_s9plus_mod3IsEEE10hipError_tPvRmT1_T2_T3_mT4_P12ihipStream_tbEUlT_E1_NS1_11comp_targetILNS1_3genE0ELNS1_11target_archE4294967295ELNS1_3gpuE0ELNS1_3repE0EEENS1_30default_config_static_selectorELNS0_4arch9wavefront6targetE1EEEvSD_
	.p2align	8
	.type	_ZN7rocprim17ROCPRIM_400000_NS6detail17trampoline_kernelINS0_14default_configENS1_22reduce_config_selectorIsEEZNS1_11reduce_implILb1ES3_PsS7_s9plus_mod3IsEEE10hipError_tPvRmT1_T2_T3_mT4_P12ihipStream_tbEUlT_E1_NS1_11comp_targetILNS1_3genE0ELNS1_11target_archE4294967295ELNS1_3gpuE0ELNS1_3repE0EEENS1_30default_config_static_selectorELNS0_4arch9wavefront6targetE1EEEvSD_,@function
_ZN7rocprim17ROCPRIM_400000_NS6detail17trampoline_kernelINS0_14default_configENS1_22reduce_config_selectorIsEEZNS1_11reduce_implILb1ES3_PsS7_s9plus_mod3IsEEE10hipError_tPvRmT1_T2_T3_mT4_P12ihipStream_tbEUlT_E1_NS1_11comp_targetILNS1_3genE0ELNS1_11target_archE4294967295ELNS1_3gpuE0ELNS1_3repE0EEENS1_30default_config_static_selectorELNS0_4arch9wavefront6targetE1EEEvSD_: ; @_ZN7rocprim17ROCPRIM_400000_NS6detail17trampoline_kernelINS0_14default_configENS1_22reduce_config_selectorIsEEZNS1_11reduce_implILb1ES3_PsS7_s9plus_mod3IsEEE10hipError_tPvRmT1_T2_T3_mT4_P12ihipStream_tbEUlT_E1_NS1_11comp_targetILNS1_3genE0ELNS1_11target_archE4294967295ELNS1_3gpuE0ELNS1_3repE0EEENS1_30default_config_static_selectorELNS0_4arch9wavefront6targetE1EEEvSD_
; %bb.0:
	s_load_dword s82, s[0:1], 0x4
	s_load_dwordx4 s[68:71], s[0:1], 0x8
	s_load_dword s33, s[0:1], 0x20
	s_load_dwordx2 s[66:67], s[0:1], 0x28
	s_waitcnt lgkmcnt(0)
	s_cmp_lt_i32 s82, 8
	s_cbranch_scc1 .LBB956_10
; %bb.1:
	s_cmp_gt_i32 s82, 31
	s_cbranch_scc0 .LBB956_11
; %bb.2:
	s_cmp_gt_i32 s82, 63
	s_cbranch_scc0 .LBB956_12
; %bb.3:
	s_cmp_eq_u32 s82, 64
	s_mov_b64 s[40:41], 0
	s_cbranch_scc0 .LBB956_13
; %bb.4:
	s_mov_b32 s3, 0
	s_lshl_b32 s4, s2, 13
	s_mov_b32 s5, s3
	s_lshr_b64 s[6:7], s[70:71], 13
	s_lshl_b64 s[8:9], s[4:5], 1
	s_add_u32 s42, s68, s8
	s_addc_u32 s43, s69, s9
	s_cmp_lg_u64 s[6:7], s[2:3]
                                        ; implicit-def: $vgpr38 : SGPR spill to VGPR lane
	s_cbranch_scc0 .LBB956_22
; %bb.5:
	v_lshlrev_b32_e32 v2, 1, v0
	global_load_ushort v1, v2, s[42:43]
	global_load_ushort v3, v2, s[42:43] offset:256
	global_load_ushort v8, v2, s[42:43] offset:512
	;; [unrolled: 1-line block ×7, first 2 shown]
	s_movk_i32 s5, 0x2000
	s_waitcnt vmcnt(7)
	v_bfe_i32 v4, v1, 0, 16
	s_waitcnt vmcnt(6)
	v_bfe_i32 v6, v3, 0, 16
	v_ashrrev_i32_e32 v5, 31, v4
	v_ashrrev_i32_e32 v7, 31, v6
	v_lshl_add_u64 v[4:5], v[4:5], 1, s[66:67]
	v_lshl_add_u64 v[4:5], v[6:7], 1, v[4:5]
	global_load_ushort v1, v[4:5], off
	s_waitcnt vmcnt(6)
	v_bfe_i32 v4, v8, 0, 16
	v_ashrrev_i32_e32 v5, 31, v4
	s_waitcnt vmcnt(0)
	v_bfe_i32 v6, v1, 0, 16
	v_ashrrev_i32_e32 v7, 31, v6
	v_lshl_add_u64 v[6:7], v[6:7], 1, s[66:67]
	v_lshl_add_u64 v[4:5], v[4:5], 1, v[6:7]
	global_load_ushort v1, v[4:5], off
	v_bfe_i32 v4, v9, 0, 16
	v_ashrrev_i32_e32 v5, 31, v4
	s_waitcnt vmcnt(0)
	v_bfe_i32 v6, v1, 0, 16
	v_ashrrev_i32_e32 v7, 31, v6
	v_lshl_add_u64 v[6:7], v[6:7], 1, s[66:67]
	v_lshl_add_u64 v[4:5], v[4:5], 1, v[6:7]
	global_load_ushort v1, v[4:5], off
	;; [unrolled: 8-line block ×5, first 2 shown]
	global_load_ushort v3, v2, s[42:43] offset:2048
	v_bfe_i32 v4, v13, 0, 16
	v_ashrrev_i32_e32 v5, 31, v4
	s_waitcnt vmcnt(1)
	v_bfe_i32 v6, v1, 0, 16
	v_ashrrev_i32_e32 v7, 31, v6
	v_lshl_add_u64 v[6:7], v[6:7], 1, s[66:67]
	v_lshl_add_u64 v[4:5], v[4:5], 1, v[6:7]
	global_load_ushort v1, v[4:5], off
	global_load_ushort v8, v2, s[42:43] offset:2304
	global_load_ushort v9, v2, s[42:43] offset:2560
	;; [unrolled: 1-line block ×7, first 2 shown]
	s_waitcnt vmcnt(8)
	v_bfe_i32 v4, v3, 0, 16
	v_ashrrev_i32_e32 v5, 31, v4
	v_mov_b32_e32 v3, 0
	v_lshl_add_u64 v[2:3], s[42:43], 0, v[2:3]
	s_waitcnt vmcnt(7)
	v_bfe_i32 v6, v1, 0, 16
	v_ashrrev_i32_e32 v7, 31, v6
	v_lshl_add_u64 v[6:7], v[6:7], 1, s[66:67]
	v_lshl_add_u64 v[4:5], v[4:5], 1, v[6:7]
	global_load_ushort v1, v[4:5], off
	s_waitcnt vmcnt(7)
	v_bfe_i32 v4, v8, 0, 16
	v_ashrrev_i32_e32 v5, 31, v4
	s_waitcnt vmcnt(0)
	v_bfe_i32 v6, v1, 0, 16
	v_ashrrev_i32_e32 v7, 31, v6
	v_lshl_add_u64 v[6:7], v[6:7], 1, s[66:67]
	v_lshl_add_u64 v[4:5], v[4:5], 1, v[6:7]
	global_load_ushort v1, v[4:5], off
	v_bfe_i32 v4, v9, 0, 16
	v_ashrrev_i32_e32 v5, 31, v4
	s_waitcnt vmcnt(0)
	v_bfe_i32 v6, v1, 0, 16
	v_ashrrev_i32_e32 v7, 31, v6
	v_lshl_add_u64 v[6:7], v[6:7], 1, s[66:67]
	v_lshl_add_u64 v[4:5], v[4:5], 1, v[6:7]
	global_load_ushort v1, v[4:5], off
	;; [unrolled: 8-line block ×6, first 2 shown]
	v_bfe_i32 v6, v14, 0, 16
	v_add_co_u32_e32 v4, vcc, s5, v2
	v_ashrrev_i32_e32 v7, 31, v6
	s_nop 0
	v_addc_co_u32_e32 v5, vcc, 0, v3, vcc
	global_load_ushort v10, v[4:5], off offset:-4096
	s_movk_i32 s5, 0x1000
	s_waitcnt vmcnt(1)
	v_bfe_i32 v8, v1, 0, 16
	v_ashrrev_i32_e32 v9, 31, v8
	v_lshl_add_u64 v[8:9], v[8:9], 1, s[66:67]
	v_lshl_add_u64 v[6:7], v[6:7], 1, v[8:9]
	global_load_ushort v1, v[6:7], off
	v_add_co_u32_e32 v6, vcc, s5, v2
	s_waitcnt vmcnt(1)
	v_bfe_i32 v8, v10, 0, 16
	v_ashrrev_i32_e32 v9, 31, v8
	v_addc_co_u32_e32 v7, vcc, 0, v3, vcc
	global_load_ushort v12, v[6:7], off offset:256
	global_load_ushort v13, v[4:5], off
	global_load_ushort v14, v[4:5], off offset:256
	global_load_ushort v15, v[4:5], off offset:512
	;; [unrolled: 1-line block ×6, first 2 shown]
	s_movk_i32 s5, 0x3000
	v_add_co_u32_e32 v2, vcc, s5, v2
	s_waitcnt vmcnt(8)
	v_bfe_i32 v10, v1, 0, 16
	v_ashrrev_i32_e32 v11, 31, v10
	v_lshl_add_u64 v[10:11], v[10:11], 1, s[66:67]
	v_lshl_add_u64 v[8:9], v[8:9], 1, v[10:11]
	global_load_ushort v1, v[8:9], off
	global_load_ushort v20, v[6:7], off offset:512
	global_load_ushort v21, v[6:7], off offset:768
	;; [unrolled: 1-line block ×7, first 2 shown]
	s_waitcnt vmcnt(15)
	v_bfe_i32 v8, v12, 0, 16
	v_ashrrev_i32_e32 v9, 31, v8
	v_addc_co_u32_e32 v3, vcc, 0, v3, vcc
	s_waitcnt vmcnt(7)
	v_bfe_i32 v10, v1, 0, 16
	v_ashrrev_i32_e32 v11, 31, v10
	v_lshl_add_u64 v[10:11], v[10:11], 1, s[66:67]
	v_lshl_add_u64 v[8:9], v[8:9], 1, v[10:11]
	global_load_ushort v1, v[8:9], off
	s_waitcnt vmcnt(7)
	v_bfe_i32 v8, v20, 0, 16
	v_ashrrev_i32_e32 v9, 31, v8
	s_waitcnt vmcnt(0)
	v_bfe_i32 v10, v1, 0, 16
	v_ashrrev_i32_e32 v11, 31, v10
	v_lshl_add_u64 v[10:11], v[10:11], 1, s[66:67]
	v_lshl_add_u64 v[8:9], v[8:9], 1, v[10:11]
	global_load_ushort v1, v[8:9], off
	v_bfe_i32 v8, v21, 0, 16
	v_ashrrev_i32_e32 v9, 31, v8
	s_waitcnt vmcnt(0)
	v_bfe_i32 v10, v1, 0, 16
	v_ashrrev_i32_e32 v11, 31, v10
	v_lshl_add_u64 v[10:11], v[10:11], 1, s[66:67]
	v_lshl_add_u64 v[8:9], v[8:9], 1, v[10:11]
	global_load_ushort v1, v[8:9], off
	;; [unrolled: 8-line block ×6, first 2 shown]
	global_load_ushort v12, v[6:7], off offset:2304
	v_bfe_i32 v8, v26, 0, 16
	v_ashrrev_i32_e32 v9, 31, v8
	s_waitcnt vmcnt(1)
	v_bfe_i32 v10, v1, 0, 16
	v_ashrrev_i32_e32 v11, 31, v10
	v_lshl_add_u64 v[10:11], v[10:11], 1, s[66:67]
	v_lshl_add_u64 v[8:9], v[8:9], 1, v[10:11]
	global_load_ushort v1, v[8:9], off
	global_load_ushort v10, v[6:7], off offset:2560
	global_load_ushort v11, v[6:7], off offset:2816
	;; [unrolled: 1-line block ×6, first 2 shown]
	global_load_ushort v24, v[2:3], off
	s_waitcnt vmcnt(8)
	v_bfe_i32 v6, v12, 0, 16
	v_ashrrev_i32_e32 v7, 31, v6
	s_waitcnt vmcnt(7)
	v_bfe_i32 v8, v1, 0, 16
	v_ashrrev_i32_e32 v9, 31, v8
	v_lshl_add_u64 v[8:9], v[8:9], 1, s[66:67]
	v_lshl_add_u64 v[6:7], v[6:7], 1, v[8:9]
	global_load_ushort v1, v[6:7], off
	s_waitcnt vmcnt(7)
	v_bfe_i32 v6, v10, 0, 16
	v_ashrrev_i32_e32 v7, 31, v6
	s_waitcnt vmcnt(0)
	v_bfe_i32 v8, v1, 0, 16
	v_ashrrev_i32_e32 v9, 31, v8
	v_lshl_add_u64 v[8:9], v[8:9], 1, s[66:67]
	v_lshl_add_u64 v[6:7], v[6:7], 1, v[8:9]
	global_load_ushort v1, v[6:7], off
	v_bfe_i32 v6, v11, 0, 16
	v_ashrrev_i32_e32 v7, 31, v6
	s_waitcnt vmcnt(0)
	v_bfe_i32 v8, v1, 0, 16
	v_ashrrev_i32_e32 v9, 31, v8
	v_lshl_add_u64 v[8:9], v[8:9], 1, s[66:67]
	v_lshl_add_u64 v[6:7], v[6:7], 1, v[8:9]
	global_load_ushort v1, v[6:7], off
	;; [unrolled: 8-line block ×12, first 2 shown]
	global_load_ushort v10, v[4:5], off offset:1792
	v_bfe_i32 v6, v19, 0, 16
	v_ashrrev_i32_e32 v7, 31, v6
	s_waitcnt vmcnt(1)
	v_bfe_i32 v8, v1, 0, 16
	v_ashrrev_i32_e32 v9, 31, v8
	v_lshl_add_u64 v[8:9], v[8:9], 1, s[66:67]
	v_lshl_add_u64 v[6:7], v[6:7], 1, v[8:9]
	global_load_ushort v1, v[6:7], off
	global_load_ushort v11, v[4:5], off offset:2048
	global_load_ushort v12, v[4:5], off offset:2304
	;; [unrolled: 1-line block ×7, first 2 shown]
	s_waitcnt vmcnt(8)
	v_bfe_i32 v6, v10, 0, 16
	v_ashrrev_i32_e32 v7, 31, v6
	s_waitcnt vmcnt(7)
	v_bfe_i32 v8, v1, 0, 16
	v_ashrrev_i32_e32 v9, 31, v8
	v_lshl_add_u64 v[8:9], v[8:9], 1, s[66:67]
	v_lshl_add_u64 v[6:7], v[6:7], 1, v[8:9]
	global_load_ushort v1, v[6:7], off
	s_waitcnt vmcnt(7)
	v_bfe_i32 v6, v11, 0, 16
	v_ashrrev_i32_e32 v7, 31, v6
	s_waitcnt vmcnt(0)
	v_bfe_i32 v8, v1, 0, 16
	v_ashrrev_i32_e32 v9, 31, v8
	v_lshl_add_u64 v[8:9], v[8:9], 1, s[66:67]
	v_lshl_add_u64 v[6:7], v[6:7], 1, v[8:9]
	global_load_ushort v1, v[6:7], off
	v_bfe_i32 v6, v12, 0, 16
	v_ashrrev_i32_e32 v7, 31, v6
	s_waitcnt vmcnt(0)
	v_bfe_i32 v8, v1, 0, 16
	v_ashrrev_i32_e32 v9, 31, v8
	v_lshl_add_u64 v[8:9], v[8:9], 1, s[66:67]
	v_lshl_add_u64 v[6:7], v[6:7], 1, v[8:9]
	global_load_ushort v1, v[6:7], off
	v_bfe_i32 v6, v13, 0, 16
	v_ashrrev_i32_e32 v7, 31, v6
	s_waitcnt vmcnt(0)
	v_bfe_i32 v8, v1, 0, 16
	v_ashrrev_i32_e32 v9, 31, v8
	v_lshl_add_u64 v[8:9], v[8:9], 1, s[66:67]
	v_lshl_add_u64 v[6:7], v[6:7], 1, v[8:9]
	global_load_ushort v1, v[6:7], off
	v_bfe_i32 v6, v14, 0, 16
	v_ashrrev_i32_e32 v7, 31, v6
	s_waitcnt vmcnt(0)
	v_bfe_i32 v8, v1, 0, 16
	v_ashrrev_i32_e32 v9, 31, v8
	v_lshl_add_u64 v[8:9], v[8:9], 1, s[66:67]
	v_lshl_add_u64 v[6:7], v[6:7], 1, v[8:9]
	global_load_ushort v1, v[6:7], off
	v_bfe_i32 v6, v15, 0, 16
	v_ashrrev_i32_e32 v7, 31, v6
	s_waitcnt vmcnt(0)
	v_bfe_i32 v8, v1, 0, 16
	v_ashrrev_i32_e32 v9, 31, v8
	v_lshl_add_u64 v[8:9], v[8:9], 1, s[66:67]
	v_lshl_add_u64 v[6:7], v[6:7], 1, v[8:9]
	global_load_ushort v1, v[6:7], off
	v_bfe_i32 v6, v16, 0, 16
	v_ashrrev_i32_e32 v7, 31, v6
	s_waitcnt vmcnt(0)
	v_bfe_i32 v8, v1, 0, 16
	v_ashrrev_i32_e32 v9, 31, v8
	v_lshl_add_u64 v[8:9], v[8:9], 1, s[66:67]
	v_lshl_add_u64 v[6:7], v[6:7], 1, v[8:9]
	global_load_ushort v1, v[6:7], off
	global_load_ushort v8, v[4:5], off offset:3840
	v_bfe_i32 v4, v17, 0, 16
	v_ashrrev_i32_e32 v5, 31, v4
	s_waitcnt vmcnt(1)
	v_bfe_i32 v6, v1, 0, 16
	v_ashrrev_i32_e32 v7, 31, v6
	v_lshl_add_u64 v[6:7], v[6:7], 1, s[66:67]
	v_lshl_add_u64 v[4:5], v[4:5], 1, v[6:7]
	global_load_ushort v1, v[4:5], off
	s_waitcnt vmcnt(1)
	v_bfe_i32 v4, v8, 0, 16
	v_ashrrev_i32_e32 v5, 31, v4
	s_waitcnt vmcnt(0)
	v_bfe_i32 v6, v1, 0, 16
	v_ashrrev_i32_e32 v7, 31, v6
	v_lshl_add_u64 v[6:7], v[6:7], 1, s[66:67]
	v_lshl_add_u64 v[4:5], v[4:5], 1, v[6:7]
	global_load_ushort v1, v[4:5], off
	global_load_ushort v8, v[2:3], off offset:256
	v_bfe_i32 v4, v24, 0, 16
	v_ashrrev_i32_e32 v5, 31, v4
	s_waitcnt vmcnt(1)
	v_bfe_i32 v6, v1, 0, 16
	v_ashrrev_i32_e32 v7, 31, v6
	v_lshl_add_u64 v[6:7], v[6:7], 1, s[66:67]
	v_lshl_add_u64 v[4:5], v[4:5], 1, v[6:7]
	global_load_ushort v1, v[4:5], off
	global_load_ushort v9, v[2:3], off offset:512
	global_load_ushort v10, v[2:3], off offset:768
	global_load_ushort v11, v[2:3], off offset:1024
	global_load_ushort v12, v[2:3], off offset:1280
	global_load_ushort v13, v[2:3], off offset:1536
	global_load_ushort v14, v[2:3], off offset:1792
	global_load_ushort v15, v[2:3], off offset:2048
	s_waitcnt vmcnt(8)
	v_bfe_i32 v4, v8, 0, 16
	v_ashrrev_i32_e32 v5, 31, v4
	s_waitcnt vmcnt(7)
	v_bfe_i32 v6, v1, 0, 16
	v_ashrrev_i32_e32 v7, 31, v6
	v_lshl_add_u64 v[6:7], v[6:7], 1, s[66:67]
	v_lshl_add_u64 v[4:5], v[4:5], 1, v[6:7]
	global_load_ushort v1, v[4:5], off
	s_waitcnt vmcnt(7)
	v_bfe_i32 v4, v9, 0, 16
	v_ashrrev_i32_e32 v5, 31, v4
	s_waitcnt vmcnt(0)
	v_bfe_i32 v6, v1, 0, 16
	v_ashrrev_i32_e32 v7, 31, v6
	v_lshl_add_u64 v[6:7], v[6:7], 1, s[66:67]
	v_lshl_add_u64 v[4:5], v[4:5], 1, v[6:7]
	global_load_ushort v1, v[4:5], off
	v_bfe_i32 v4, v10, 0, 16
	v_ashrrev_i32_e32 v5, 31, v4
	s_waitcnt vmcnt(0)
	v_bfe_i32 v6, v1, 0, 16
	v_ashrrev_i32_e32 v7, 31, v6
	v_lshl_add_u64 v[6:7], v[6:7], 1, s[66:67]
	v_lshl_add_u64 v[4:5], v[4:5], 1, v[6:7]
	global_load_ushort v1, v[4:5], off
	v_bfe_i32 v4, v11, 0, 16
	v_ashrrev_i32_e32 v5, 31, v4
	s_waitcnt vmcnt(0)
	v_bfe_i32 v6, v1, 0, 16
	v_ashrrev_i32_e32 v7, 31, v6
	v_lshl_add_u64 v[6:7], v[6:7], 1, s[66:67]
	v_lshl_add_u64 v[4:5], v[4:5], 1, v[6:7]
	global_load_ushort v1, v[4:5], off
	v_bfe_i32 v4, v12, 0, 16
	v_ashrrev_i32_e32 v5, 31, v4
	s_waitcnt vmcnt(0)
	v_bfe_i32 v6, v1, 0, 16
	v_ashrrev_i32_e32 v7, 31, v6
	v_lshl_add_u64 v[6:7], v[6:7], 1, s[66:67]
	v_lshl_add_u64 v[4:5], v[4:5], 1, v[6:7]
	global_load_ushort v1, v[4:5], off
	v_bfe_i32 v4, v13, 0, 16
	v_ashrrev_i32_e32 v5, 31, v4
	s_waitcnt vmcnt(0)
	v_bfe_i32 v6, v1, 0, 16
	v_ashrrev_i32_e32 v7, 31, v6
	v_lshl_add_u64 v[6:7], v[6:7], 1, s[66:67]
	v_lshl_add_u64 v[4:5], v[4:5], 1, v[6:7]
	global_load_ushort v1, v[4:5], off
	v_bfe_i32 v4, v14, 0, 16
	v_ashrrev_i32_e32 v5, 31, v4
	s_waitcnt vmcnt(0)
	v_bfe_i32 v6, v1, 0, 16
	v_ashrrev_i32_e32 v7, 31, v6
	v_lshl_add_u64 v[6:7], v[6:7], 1, s[66:67]
	v_lshl_add_u64 v[4:5], v[4:5], 1, v[6:7]
	global_load_ushort v1, v[4:5], off
	global_load_ushort v8, v[2:3], off offset:2304
	v_bfe_i32 v4, v15, 0, 16
	v_ashrrev_i32_e32 v5, 31, v4
	s_waitcnt vmcnt(1)
	v_bfe_i32 v6, v1, 0, 16
	v_ashrrev_i32_e32 v7, 31, v6
	v_lshl_add_u64 v[6:7], v[6:7], 1, s[66:67]
	v_lshl_add_u64 v[4:5], v[4:5], 1, v[6:7]
	global_load_ushort v1, v[4:5], off
	global_load_ushort v6, v[2:3], off offset:2560
	global_load_ushort v7, v[2:3], off offset:2816
	global_load_ushort v9, v[2:3], off offset:3072
	global_load_ushort v10, v[2:3], off offset:3328
	global_load_ushort v11, v[2:3], off offset:3584
	global_load_ushort v12, v[2:3], off offset:3840
	s_waitcnt vmcnt(7)
	v_bfe_i32 v2, v8, 0, 16
	v_ashrrev_i32_e32 v3, 31, v2
	s_waitcnt vmcnt(6)
	v_bfe_i32 v4, v1, 0, 16
	v_ashrrev_i32_e32 v5, 31, v4
	v_lshl_add_u64 v[4:5], v[4:5], 1, s[66:67]
	v_lshl_add_u64 v[2:3], v[2:3], 1, v[4:5]
	global_load_ushort v1, v[2:3], off
	s_waitcnt vmcnt(6)
	v_bfe_i32 v2, v6, 0, 16
	v_ashrrev_i32_e32 v3, 31, v2
	s_waitcnt vmcnt(0)
	v_bfe_i32 v4, v1, 0, 16
	v_ashrrev_i32_e32 v5, 31, v4
	v_lshl_add_u64 v[4:5], v[4:5], 1, s[66:67]
	v_lshl_add_u64 v[2:3], v[2:3], 1, v[4:5]
	global_load_ushort v1, v[2:3], off
	v_bfe_i32 v2, v7, 0, 16
	v_ashrrev_i32_e32 v3, 31, v2
	s_waitcnt vmcnt(0)
	v_bfe_i32 v4, v1, 0, 16
	v_ashrrev_i32_e32 v5, 31, v4
	v_lshl_add_u64 v[4:5], v[4:5], 1, s[66:67]
	v_lshl_add_u64 v[2:3], v[2:3], 1, v[4:5]
	global_load_ushort v1, v[2:3], off
	;; [unrolled: 8-line block ×6, first 2 shown]
	s_waitcnt vmcnt(0)
	v_and_b32_e32 v3, 0xffff, v1
	v_bfe_i32 v2, v1, 0, 16
	s_nop 0
	v_mov_b32_dpp v1, v3 quad_perm:[1,0,3,2] row_mask:0xf bank_mask:0xf bound_ctrl:1
	v_lshlrev_b32_e32 v4, 16, v1
	v_bfe_i32 v5, v1, 15, 1
	v_ashrrev_i32_e32 v4, 15, v4
	v_ashrrev_i32_e32 v3, 31, v2
	v_lshl_add_u64 v[4:5], s[66:67], 0, v[4:5]
	v_lshl_add_u64 v[2:3], v[2:3], 1, v[4:5]
	global_load_ushort v1, v[2:3], off
	s_waitcnt vmcnt(0)
	v_and_b32_e32 v3, 0xffff, v1
	v_bfe_i32 v2, v1, 0, 16
	s_nop 0
	v_mov_b32_dpp v1, v3 quad_perm:[2,3,0,1] row_mask:0xf bank_mask:0xf bound_ctrl:1
	v_lshlrev_b32_e32 v4, 16, v1
	v_bfe_i32 v5, v1, 15, 1
	v_ashrrev_i32_e32 v4, 15, v4
	v_ashrrev_i32_e32 v3, 31, v2
	v_lshl_add_u64 v[4:5], s[66:67], 0, v[4:5]
	v_lshl_add_u64 v[2:3], v[2:3], 1, v[4:5]
	global_load_ushort v1, v[2:3], off
	s_waitcnt vmcnt(0)
	v_and_b32_e32 v3, 0xffff, v1
	v_bfe_i32 v2, v1, 0, 16
	s_nop 0
	v_mov_b32_dpp v1, v3 row_ror:4 row_mask:0xf bank_mask:0xf bound_ctrl:1
	v_lshlrev_b32_e32 v4, 16, v1
	v_bfe_i32 v5, v1, 15, 1
	v_ashrrev_i32_e32 v4, 15, v4
	v_ashrrev_i32_e32 v3, 31, v2
	v_lshl_add_u64 v[4:5], s[66:67], 0, v[4:5]
	v_lshl_add_u64 v[2:3], v[2:3], 1, v[4:5]
	global_load_ushort v1, v[2:3], off
	s_waitcnt vmcnt(0)
	v_and_b32_e32 v3, 0xffff, v1
	v_bfe_i32 v2, v1, 0, 16
	s_nop 0
	v_mov_b32_dpp v1, v3 row_ror:8 row_mask:0xf bank_mask:0xf bound_ctrl:1
	v_lshlrev_b32_e32 v4, 16, v1
	v_bfe_i32 v5, v1, 15, 1
	v_ashrrev_i32_e32 v4, 15, v4
	v_ashrrev_i32_e32 v3, 31, v2
	v_lshl_add_u64 v[4:5], s[66:67], 0, v[4:5]
	v_lshl_add_u64 v[2:3], v[2:3], 1, v[4:5]
	global_load_ushort v1, v[2:3], off
	s_waitcnt vmcnt(0)
	v_and_b32_e32 v3, 0xffff, v1
	v_bfe_i32 v2, v1, 0, 16
	s_nop 0
	v_mov_b32_dpp v1, v3 row_bcast:15 row_mask:0xf bank_mask:0xf bound_ctrl:1
	v_lshlrev_b32_e32 v4, 16, v1
	v_bfe_i32 v5, v1, 15, 1
	v_ashrrev_i32_e32 v4, 15, v4
	v_ashrrev_i32_e32 v3, 31, v2
	v_lshl_add_u64 v[4:5], s[66:67], 0, v[4:5]
	v_lshl_add_u64 v[2:3], v[2:3], 1, v[4:5]
	global_load_ushort v1, v[2:3], off
	s_waitcnt vmcnt(0)
	v_and_b32_e32 v3, 0xffff, v1
	v_bfe_i32 v2, v1, 0, 16
	s_nop 0
	v_mov_b32_dpp v1, v3 row_bcast:31 row_mask:0xf bank_mask:0xf bound_ctrl:1
	v_lshlrev_b32_e32 v4, 16, v1
	v_ashrrev_i32_e32 v4, 15, v4
	v_bfe_i32 v5, v1, 15, 1
	v_ashrrev_i32_e32 v3, 31, v2
	v_lshl_add_u64 v[4:5], s[66:67], 0, v[4:5]
	v_lshl_add_u64 v[2:3], v[2:3], 1, v[4:5]
	global_load_ushort v2, v[2:3], off
	v_mbcnt_lo_u32_b32 v1, -1, 0
	v_mbcnt_hi_u32_b32 v5, -1, v1
	v_lshlrev_b32_e32 v1, 2, v5
	v_or_b32_e32 v3, 0xfc, v1
	v_cmp_eq_u32_e32 vcc, 0, v5
	s_waitcnt vmcnt(0)
	ds_bpermute_b32 v2, v3, v2
	s_and_saveexec_b64 s[6:7], vcc
	s_cbranch_execz .LBB956_7
; %bb.6:
	v_lshrrev_b32_e32 v3, 5, v0
	v_and_b32_e32 v3, 2, v3
	s_waitcnt lgkmcnt(0)
	ds_write_b16 v3, v2 offset:24
.LBB956_7:
	s_or_b64 exec, exec, s[6:7]
	s_mov_b64 s[8:9], 0
	v_cmp_gt_u32_e32 vcc, 64, v0
	s_mov_b64 s[6:7], 0
	v_writelane_b32 v38, s8, 0
	s_waitcnt lgkmcnt(0)
	s_barrier
	v_writelane_b32 v38, s9, 1
                                        ; implicit-def: $vgpr3
                                        ; implicit-def: $vgpr4
	s_and_saveexec_b64 s[8:9], vcc
	s_xor_b64 s[8:9], exec, s[8:9]
	s_cbranch_execz .LBB956_9
; %bb.8:
	v_and_b32_e32 v3, 1, v5
	v_lshlrev_b32_e32 v3, 1, v3
	ds_read_u16 v3, v3 offset:24
	v_or_b32_e32 v1, 4, v1
	s_mov_b64 s[10:11], exec
	v_writelane_b32 v38, s10, 0
	s_waitcnt lgkmcnt(0)
	v_and_b32_e32 v4, 0xffff, v3
	ds_bpermute_b32 v4, v1, v4
	v_writelane_b32 v38, s11, 1
.LBB956_9:
	s_or_b64 exec, exec, s[8:9]
	s_branch .LBB956_23
.LBB956_10:
	s_mov_b64 s[74:75], 0
	s_mov_b64 s[72:73], 0
                                        ; implicit-def: $vgpr2
	s_cbranch_execz .LBB956_709
	s_branch .LBB956_556
.LBB956_11:
	s_mov_b64 s[74:75], 0
	s_mov_b64 s[72:73], 0
                                        ; implicit-def: $vgpr2
	s_cbranch_execnz .LBB956_451
	s_branch .LBB956_555
.LBB956_12:
	s_mov_b64 s[40:41], -1
.LBB956_13:
	s_mov_b64 s[74:75], 0
	s_mov_b64 s[72:73], 0
                                        ; implicit-def: $vgpr2
	s_and_b64 vcc, exec, s[40:41]
	s_cbranch_vccz .LBB956_260
.LBB956_14:
	s_cmp_eq_u32 s82, 32
	s_cbranch_scc0 .LBB956_21
; %bb.15:
	s_mov_b32 s3, 0
	s_lshl_b32 s4, s2, 12
	s_mov_b32 s5, s3
	s_lshr_b64 s[6:7], s[70:71], 12
	s_lshl_b64 s[8:9], s[4:5], 1
	s_add_u32 s78, s68, s8
	s_addc_u32 s79, s69, s9
	s_cmp_lg_u64 s[6:7], s[2:3]
	s_cbranch_scc0 .LBB956_261
; %bb.16:
	s_waitcnt vmcnt(0)
	v_lshlrev_b32_e32 v2, 1, v0
	global_load_ushort v1, v2, s[78:79]
	global_load_ushort v3, v2, s[78:79] offset:256
	global_load_ushort v8, v2, s[78:79] offset:512
	;; [unrolled: 1-line block ×7, first 2 shown]
	s_movk_i32 s5, 0x1000
	s_waitcnt vmcnt(7) lgkmcnt(0)
	v_bfe_i32 v4, v1, 0, 16
	s_waitcnt vmcnt(6)
	v_bfe_i32 v6, v3, 0, 16
	v_ashrrev_i32_e32 v5, 31, v4
	v_ashrrev_i32_e32 v7, 31, v6
	v_lshl_add_u64 v[4:5], v[4:5], 1, s[66:67]
	v_lshl_add_u64 v[4:5], v[6:7], 1, v[4:5]
	global_load_ushort v1, v[4:5], off
	s_waitcnt vmcnt(6)
	v_bfe_i32 v4, v8, 0, 16
	v_ashrrev_i32_e32 v5, 31, v4
	s_waitcnt vmcnt(0)
	v_bfe_i32 v6, v1, 0, 16
	v_ashrrev_i32_e32 v7, 31, v6
	v_lshl_add_u64 v[6:7], v[6:7], 1, s[66:67]
	v_lshl_add_u64 v[4:5], v[4:5], 1, v[6:7]
	global_load_ushort v1, v[4:5], off
	v_bfe_i32 v4, v9, 0, 16
	v_ashrrev_i32_e32 v5, 31, v4
	s_waitcnt vmcnt(0)
	v_bfe_i32 v6, v1, 0, 16
	v_ashrrev_i32_e32 v7, 31, v6
	v_lshl_add_u64 v[6:7], v[6:7], 1, s[66:67]
	v_lshl_add_u64 v[4:5], v[4:5], 1, v[6:7]
	global_load_ushort v1, v[4:5], off
	;; [unrolled: 8-line block ×5, first 2 shown]
	global_load_ushort v3, v2, s[78:79] offset:2048
	v_bfe_i32 v4, v13, 0, 16
	v_ashrrev_i32_e32 v5, 31, v4
	s_waitcnt vmcnt(1)
	v_bfe_i32 v6, v1, 0, 16
	v_ashrrev_i32_e32 v7, 31, v6
	v_lshl_add_u64 v[6:7], v[6:7], 1, s[66:67]
	v_lshl_add_u64 v[4:5], v[4:5], 1, v[6:7]
	global_load_ushort v1, v[4:5], off
	global_load_ushort v8, v2, s[78:79] offset:2304
	global_load_ushort v9, v2, s[78:79] offset:2560
	;; [unrolled: 1-line block ×7, first 2 shown]
	s_waitcnt vmcnt(8)
	v_bfe_i32 v4, v3, 0, 16
	v_ashrrev_i32_e32 v5, 31, v4
	v_mov_b32_e32 v3, 0
	v_lshl_add_u64 v[2:3], s[78:79], 0, v[2:3]
	v_add_co_u32_e32 v2, vcc, s5, v2
	s_waitcnt vmcnt(7)
	v_bfe_i32 v6, v1, 0, 16
	v_ashrrev_i32_e32 v7, 31, v6
	v_lshl_add_u64 v[6:7], v[6:7], 1, s[66:67]
	v_lshl_add_u64 v[4:5], v[4:5], 1, v[6:7]
	global_load_ushort v1, v[4:5], off
	s_waitcnt vmcnt(7)
	v_bfe_i32 v4, v8, 0, 16
	v_ashrrev_i32_e32 v5, 31, v4
	v_addc_co_u32_e32 v3, vcc, 0, v3, vcc
	global_load_ushort v8, v[2:3], off
	s_waitcnt vmcnt(1)
	v_bfe_i32 v6, v1, 0, 16
	v_ashrrev_i32_e32 v7, 31, v6
	v_lshl_add_u64 v[6:7], v[6:7], 1, s[66:67]
	v_lshl_add_u64 v[4:5], v[4:5], 1, v[6:7]
	global_load_ushort v1, v[4:5], off
	v_bfe_i32 v4, v9, 0, 16
	v_ashrrev_i32_e32 v5, 31, v4
	s_waitcnt vmcnt(0)
	v_bfe_i32 v6, v1, 0, 16
	v_ashrrev_i32_e32 v7, 31, v6
	v_lshl_add_u64 v[6:7], v[6:7], 1, s[66:67]
	v_lshl_add_u64 v[4:5], v[4:5], 1, v[6:7]
	global_load_ushort v1, v[4:5], off
	v_bfe_i32 v4, v10, 0, 16
	v_ashrrev_i32_e32 v5, 31, v4
	;; [unrolled: 8-line block ×6, first 2 shown]
	s_waitcnt vmcnt(0)
	v_bfe_i32 v6, v1, 0, 16
	v_ashrrev_i32_e32 v7, 31, v6
	v_lshl_add_u64 v[6:7], v[6:7], 1, s[66:67]
	v_lshl_add_u64 v[4:5], v[4:5], 1, v[6:7]
	global_load_ushort v1, v[4:5], off
	global_load_ushort v9, v[2:3], off offset:256
	global_load_ushort v10, v[2:3], off offset:512
	;; [unrolled: 1-line block ×7, first 2 shown]
	v_bfe_i32 v4, v8, 0, 16
	v_ashrrev_i32_e32 v5, 31, v4
	s_waitcnt vmcnt(7)
	v_bfe_i32 v6, v1, 0, 16
	v_ashrrev_i32_e32 v7, 31, v6
	v_lshl_add_u64 v[6:7], v[6:7], 1, s[66:67]
	v_lshl_add_u64 v[4:5], v[4:5], 1, v[6:7]
	global_load_ushort v1, v[4:5], off
	s_waitcnt vmcnt(7)
	v_bfe_i32 v4, v9, 0, 16
	v_ashrrev_i32_e32 v5, 31, v4
	s_waitcnt vmcnt(0)
	v_bfe_i32 v6, v1, 0, 16
	v_ashrrev_i32_e32 v7, 31, v6
	v_lshl_add_u64 v[6:7], v[6:7], 1, s[66:67]
	v_lshl_add_u64 v[4:5], v[4:5], 1, v[6:7]
	global_load_ushort v1, v[4:5], off
	v_bfe_i32 v4, v10, 0, 16
	v_ashrrev_i32_e32 v5, 31, v4
	s_waitcnt vmcnt(0)
	v_bfe_i32 v6, v1, 0, 16
	v_ashrrev_i32_e32 v7, 31, v6
	v_lshl_add_u64 v[6:7], v[6:7], 1, s[66:67]
	v_lshl_add_u64 v[4:5], v[4:5], 1, v[6:7]
	global_load_ushort v1, v[4:5], off
	;; [unrolled: 8-line block ×6, first 2 shown]
	global_load_ushort v8, v[2:3], off offset:2048
	v_bfe_i32 v4, v15, 0, 16
	v_ashrrev_i32_e32 v5, 31, v4
	s_waitcnt vmcnt(1)
	v_bfe_i32 v6, v1, 0, 16
	v_ashrrev_i32_e32 v7, 31, v6
	v_lshl_add_u64 v[6:7], v[6:7], 1, s[66:67]
	v_lshl_add_u64 v[4:5], v[4:5], 1, v[6:7]
	global_load_ushort v1, v[4:5], off
	global_load_ushort v6, v[2:3], off offset:2304
	global_load_ushort v7, v[2:3], off offset:2560
	;; [unrolled: 1-line block ×7, first 2 shown]
	s_waitcnt vmcnt(8)
	v_bfe_i32 v2, v8, 0, 16
	v_ashrrev_i32_e32 v3, 31, v2
	s_waitcnt vmcnt(7)
	v_bfe_i32 v4, v1, 0, 16
	v_ashrrev_i32_e32 v5, 31, v4
	v_lshl_add_u64 v[4:5], v[4:5], 1, s[66:67]
	v_lshl_add_u64 v[2:3], v[2:3], 1, v[4:5]
	global_load_ushort v1, v[2:3], off
	s_waitcnt vmcnt(7)
	v_bfe_i32 v2, v6, 0, 16
	v_ashrrev_i32_e32 v3, 31, v2
	s_waitcnt vmcnt(0)
	v_bfe_i32 v4, v1, 0, 16
	v_ashrrev_i32_e32 v5, 31, v4
	v_lshl_add_u64 v[4:5], v[4:5], 1, s[66:67]
	v_lshl_add_u64 v[2:3], v[2:3], 1, v[4:5]
	global_load_ushort v1, v[2:3], off
	v_bfe_i32 v2, v7, 0, 16
	v_ashrrev_i32_e32 v3, 31, v2
	s_waitcnt vmcnt(0)
	v_bfe_i32 v4, v1, 0, 16
	v_ashrrev_i32_e32 v5, 31, v4
	v_lshl_add_u64 v[4:5], v[4:5], 1, s[66:67]
	v_lshl_add_u64 v[2:3], v[2:3], 1, v[4:5]
	global_load_ushort v1, v[2:3], off
	;; [unrolled: 8-line block ×7, first 2 shown]
	s_waitcnt vmcnt(0)
	v_and_b32_e32 v3, 0xffff, v1
	v_bfe_i32 v2, v1, 0, 16
	s_nop 0
	v_mov_b32_dpp v1, v3 quad_perm:[1,0,3,2] row_mask:0xf bank_mask:0xf bound_ctrl:1
	v_lshlrev_b32_e32 v4, 16, v1
	v_bfe_i32 v5, v1, 15, 1
	v_ashrrev_i32_e32 v4, 15, v4
	v_ashrrev_i32_e32 v3, 31, v2
	v_lshl_add_u64 v[4:5], s[66:67], 0, v[4:5]
	v_lshl_add_u64 v[2:3], v[2:3], 1, v[4:5]
	global_load_ushort v1, v[2:3], off
	s_waitcnt vmcnt(0)
	v_and_b32_e32 v3, 0xffff, v1
	v_bfe_i32 v2, v1, 0, 16
	s_nop 0
	v_mov_b32_dpp v1, v3 quad_perm:[2,3,0,1] row_mask:0xf bank_mask:0xf bound_ctrl:1
	v_lshlrev_b32_e32 v4, 16, v1
	v_bfe_i32 v5, v1, 15, 1
	v_ashrrev_i32_e32 v4, 15, v4
	v_ashrrev_i32_e32 v3, 31, v2
	v_lshl_add_u64 v[4:5], s[66:67], 0, v[4:5]
	v_lshl_add_u64 v[2:3], v[2:3], 1, v[4:5]
	global_load_ushort v1, v[2:3], off
	s_waitcnt vmcnt(0)
	v_and_b32_e32 v3, 0xffff, v1
	v_bfe_i32 v2, v1, 0, 16
	s_nop 0
	v_mov_b32_dpp v1, v3 row_ror:4 row_mask:0xf bank_mask:0xf bound_ctrl:1
	v_lshlrev_b32_e32 v4, 16, v1
	v_bfe_i32 v5, v1, 15, 1
	v_ashrrev_i32_e32 v4, 15, v4
	v_ashrrev_i32_e32 v3, 31, v2
	v_lshl_add_u64 v[4:5], s[66:67], 0, v[4:5]
	v_lshl_add_u64 v[2:3], v[2:3], 1, v[4:5]
	global_load_ushort v1, v[2:3], off
	s_waitcnt vmcnt(0)
	v_and_b32_e32 v3, 0xffff, v1
	v_bfe_i32 v2, v1, 0, 16
	s_nop 0
	v_mov_b32_dpp v1, v3 row_ror:8 row_mask:0xf bank_mask:0xf bound_ctrl:1
	v_lshlrev_b32_e32 v4, 16, v1
	v_bfe_i32 v5, v1, 15, 1
	v_ashrrev_i32_e32 v4, 15, v4
	v_ashrrev_i32_e32 v3, 31, v2
	v_lshl_add_u64 v[4:5], s[66:67], 0, v[4:5]
	v_lshl_add_u64 v[2:3], v[2:3], 1, v[4:5]
	global_load_ushort v1, v[2:3], off
	s_waitcnt vmcnt(0)
	v_and_b32_e32 v3, 0xffff, v1
	v_bfe_i32 v2, v1, 0, 16
	s_nop 0
	v_mov_b32_dpp v1, v3 row_bcast:15 row_mask:0xf bank_mask:0xf bound_ctrl:1
	v_lshlrev_b32_e32 v4, 16, v1
	v_bfe_i32 v5, v1, 15, 1
	v_ashrrev_i32_e32 v4, 15, v4
	v_ashrrev_i32_e32 v3, 31, v2
	v_lshl_add_u64 v[4:5], s[66:67], 0, v[4:5]
	v_lshl_add_u64 v[2:3], v[2:3], 1, v[4:5]
	global_load_ushort v1, v[2:3], off
	s_waitcnt vmcnt(0)
	v_and_b32_e32 v3, 0xffff, v1
	v_bfe_i32 v2, v1, 0, 16
	s_nop 0
	v_mov_b32_dpp v1, v3 row_bcast:31 row_mask:0xf bank_mask:0xf bound_ctrl:1
	v_lshlrev_b32_e32 v4, 16, v1
	v_ashrrev_i32_e32 v4, 15, v4
	v_bfe_i32 v5, v1, 15, 1
	v_ashrrev_i32_e32 v3, 31, v2
	v_lshl_add_u64 v[4:5], s[66:67], 0, v[4:5]
	v_lshl_add_u64 v[2:3], v[2:3], 1, v[4:5]
	global_load_ushort v2, v[2:3], off
	v_mbcnt_lo_u32_b32 v1, -1, 0
	v_mbcnt_hi_u32_b32 v5, -1, v1
	v_lshlrev_b32_e32 v1, 2, v5
	v_or_b32_e32 v3, 0xfc, v1
	v_cmp_eq_u32_e32 vcc, 0, v5
	s_waitcnt vmcnt(0)
	ds_bpermute_b32 v2, v3, v2
	s_and_saveexec_b64 s[6:7], vcc
	s_cbranch_execz .LBB956_18
; %bb.17:
	v_lshrrev_b32_e32 v3, 5, v0
	v_and_b32_e32 v3, 2, v3
	s_waitcnt lgkmcnt(0)
	ds_write_b16 v3, v2 offset:16
.LBB956_18:
	s_or_b64 exec, exec, s[6:7]
	v_cmp_gt_u32_e32 vcc, 64, v0
	s_mov_b64 s[6:7], 0
	s_mov_b64 s[76:77], 0
	s_waitcnt lgkmcnt(0)
	s_barrier
                                        ; implicit-def: $vgpr3
                                        ; implicit-def: $vgpr4
	s_and_saveexec_b64 s[8:9], vcc
	s_xor_b64 s[8:9], exec, s[8:9]
	s_cbranch_execz .LBB956_20
; %bb.19:
	v_and_b32_e32 v3, 1, v5
	v_lshlrev_b32_e32 v3, 1, v3
	ds_read_u16 v3, v3 offset:16
	v_or_b32_e32 v1, 4, v1
	s_mov_b64 s[76:77], exec
	s_waitcnt lgkmcnt(0)
	v_and_b32_e32 v4, 0xffff, v3
	ds_bpermute_b32 v4, v1, v4
.LBB956_20:
	s_or_b64 exec, exec, s[8:9]
	s_branch .LBB956_262
.LBB956_21:
                                        ; implicit-def: $vgpr2
	s_branch .LBB956_555
.LBB956_22:
	s_mov_b64 s[8:9], 0
	v_writelane_b32 v38, s8, 0
	s_mov_b64 s[6:7], -1
                                        ; implicit-def: $vgpr3
                                        ; implicit-def: $vgpr4
                                        ; implicit-def: $vgpr2
	s_nop 0
	v_writelane_b32 v38, s9, 1
.LBB956_23:
	s_and_b64 vcc, exec, s[6:7]
	s_cbranch_vccz .LBB956_255
; %bb.24:
	s_sub_i32 s83, s70, s4
	s_mov_b32 s4, 0
	s_mov_b32 s5, s4
	;; [unrolled: 1-line block ×16, first 2 shown]
	s_waitcnt lgkmcnt(0)
	v_mov_b64_e32 v[2:3], s[4:5]
	v_mov_b64_e32 v[16:17], s[18:19]
	;; [unrolled: 1-line block ×9, first 2 shown]
	v_cmp_gt_u32_e32 vcc, s83, v0
	v_mov_b64_e32 v[30:31], v[14:15]
	v_mov_b64_e32 v[28:29], v[12:13]
	;; [unrolled: 1-line block ×7, first 2 shown]
	s_and_saveexec_b64 s[4:5], vcc
	s_cbranch_execz .LBB956_26
; %bb.25:
	v_lshlrev_b32_e32 v1, 1, v0
	global_load_ushort v1, v1, s[42:43]
	v_mov_b32_e32 v3, 0
	v_mov_b32_e32 v4, v3
	;; [unrolled: 1-line block ×31, first 2 shown]
	s_waitcnt vmcnt(0)
	v_and_b32_e32 v2, 0xffff, v1
.LBB956_26:
	s_or_b64 exec, exec, s[4:5]
	v_or_b32_e32 v1, 0x80, v0
	v_cmp_gt_u32_e64 s[6:7], s83, v1
	s_mov_b64 s[4:5], exec
	s_nop 0
	v_writelane_b32 v38, s6, 2
	s_nop 1
	v_writelane_b32 v38, s7, 3
	s_and_b64 s[6:7], s[4:5], s[6:7]
	s_mov_b64 exec, s[6:7]
	s_cbranch_execz .LBB956_28
; %bb.27:
	v_lshlrev_b32_e32 v1, 1, v0
	global_load_ushort v1, v1, s[42:43] offset:256
	s_mov_b32 s6, 0x5040100
	s_waitcnt vmcnt(0)
	v_perm_b32 v2, v1, v2, s6
.LBB956_28:
	s_or_b64 exec, exec, s[4:5]
	v_or_b32_e32 v1, 0x100, v0
	v_cmp_gt_u32_e64 s[6:7], s83, v1
	s_mov_b64 s[4:5], exec
	s_nop 0
	v_writelane_b32 v38, s6, 4
	s_nop 1
	v_writelane_b32 v38, s7, 5
	s_and_b64 s[6:7], s[4:5], s[6:7]
	s_mov_b64 exec, s[6:7]
	s_cbranch_execz .LBB956_30
; %bb.29:
	v_lshlrev_b32_e32 v1, 1, v0
	global_load_ushort v1, v1, s[42:43] offset:512
	s_mov_b32 s6, 0xffff
	s_waitcnt vmcnt(0)
	v_bfi_b32 v3, s6, v1, v3
.LBB956_30:
	s_or_b64 exec, exec, s[4:5]
	v_or_b32_e32 v1, 0x180, v0
	v_cmp_gt_u32_e64 s[6:7], s83, v1
	s_mov_b64 s[4:5], exec
	s_nop 0
	v_writelane_b32 v38, s6, 6
	s_nop 1
	v_writelane_b32 v38, s7, 7
	s_and_b64 s[6:7], s[4:5], s[6:7]
	s_mov_b64 exec, s[6:7]
	s_cbranch_execz .LBB956_32
; %bb.31:
	v_lshlrev_b32_e32 v1, 1, v0
	global_load_ushort v1, v1, s[42:43] offset:768
	s_mov_b32 s6, 0x5040100
	s_waitcnt vmcnt(0)
	v_perm_b32 v3, v1, v3, s6
.LBB956_32:
	s_or_b64 exec, exec, s[4:5]
	v_or_b32_e32 v1, 0x200, v0
	v_cmp_gt_u32_e64 s[6:7], s83, v1
	s_mov_b64 s[4:5], exec
	s_nop 0
	v_writelane_b32 v38, s6, 8
	s_nop 1
	v_writelane_b32 v38, s7, 9
	s_and_b64 s[6:7], s[4:5], s[6:7]
	s_mov_b64 exec, s[6:7]
	s_cbranch_execz .LBB956_34
; %bb.33:
	v_lshlrev_b32_e32 v1, 1, v0
	global_load_ushort v1, v1, s[42:43] offset:1024
	s_mov_b32 s6, 0xffff
	s_waitcnt vmcnt(0)
	v_bfi_b32 v4, s6, v1, v4
.LBB956_34:
	;; [unrolled: 36-line block ×7, first 2 shown]
	s_or_b64 exec, exec, s[4:5]
	v_or_b32_e32 v1, 0x780, v0
	v_cmp_gt_u32_e64 s[6:7], s83, v1
	s_mov_b64 s[4:5], exec
	s_nop 0
	v_writelane_b32 v38, s6, 30
	s_nop 1
	v_writelane_b32 v38, s7, 31
	s_and_b64 s[6:7], s[4:5], s[6:7]
	s_mov_b64 exec, s[6:7]
	s_cbranch_execz .LBB956_56
; %bb.55:
	v_lshlrev_b32_e32 v1, 1, v0
	global_load_ushort v1, v1, s[42:43] offset:3840
	s_mov_b32 s6, 0x5040100
	s_waitcnt vmcnt(0)
	v_perm_b32 v9, v1, v9, s6
.LBB956_56:
	s_or_b64 exec, exec, s[4:5]
	v_or_b32_e32 v1, 0x800, v0
	v_cmp_gt_u32_e64 s[6:7], s83, v1
	s_mov_b64 s[4:5], exec
	s_nop 0
	v_writelane_b32 v38, s6, 32
	s_nop 1
	v_writelane_b32 v38, s7, 33
	s_and_b64 s[6:7], s[4:5], s[6:7]
	s_mov_b64 exec, s[6:7]
	s_cbranch_execz .LBB956_58
; %bb.57:
	v_lshlrev_b32_e32 v1, 1, v1
	global_load_ushort v1, v1, s[42:43]
	s_mov_b32 s6, 0xffff
	s_waitcnt vmcnt(0)
	v_bfi_b32 v10, s6, v1, v10
.LBB956_58:
	s_or_b64 exec, exec, s[4:5]
	v_or_b32_e32 v1, 0x880, v0
	v_cmp_gt_u32_e64 s[6:7], s83, v1
	s_mov_b64 s[4:5], exec
	s_nop 0
	v_writelane_b32 v38, s6, 34
	s_nop 1
	v_writelane_b32 v38, s7, 35
	s_and_b64 s[6:7], s[4:5], s[6:7]
	s_mov_b64 exec, s[6:7]
	s_cbranch_execz .LBB956_60
; %bb.59:
	v_lshlrev_b32_e32 v1, 1, v1
	global_load_ushort v1, v1, s[42:43]
	s_mov_b32 s6, 0x5040100
	s_waitcnt vmcnt(0)
	v_perm_b32 v10, v1, v10, s6
.LBB956_60:
	s_or_b64 exec, exec, s[4:5]
	v_or_b32_e32 v1, 0x900, v0
	v_cmp_gt_u32_e64 s[6:7], s83, v1
	s_mov_b64 s[4:5], exec
	s_nop 0
	v_writelane_b32 v38, s6, 36
	s_nop 1
	v_writelane_b32 v38, s7, 37
	s_and_b64 s[6:7], s[4:5], s[6:7]
	s_mov_b64 exec, s[6:7]
	s_cbranch_execz .LBB956_62
; %bb.61:
	v_lshlrev_b32_e32 v1, 1, v1
	global_load_ushort v1, v1, s[42:43]
	s_mov_b32 s6, 0xffff
	s_waitcnt vmcnt(0)
	v_bfi_b32 v11, s6, v1, v11
.LBB956_62:
	s_or_b64 exec, exec, s[4:5]
	v_or_b32_e32 v1, 0x980, v0
	v_cmp_gt_u32_e64 s[6:7], s83, v1
	s_mov_b64 s[4:5], exec
	s_nop 0
	v_writelane_b32 v38, s6, 38
	s_nop 1
	v_writelane_b32 v38, s7, 39
	s_and_b64 s[6:7], s[4:5], s[6:7]
	s_mov_b64 exec, s[6:7]
	s_cbranch_execz .LBB956_64
; %bb.63:
	v_lshlrev_b32_e32 v1, 1, v1
	global_load_ushort v1, v1, s[42:43]
	s_mov_b32 s6, 0x5040100
	s_waitcnt vmcnt(0)
	v_perm_b32 v11, v1, v11, s6
.LBB956_64:
	s_or_b64 exec, exec, s[4:5]
	v_or_b32_e32 v1, 0xa00, v0
	v_cmp_gt_u32_e64 s[6:7], s83, v1
	s_mov_b64 s[4:5], exec
	s_nop 0
	v_writelane_b32 v38, s6, 40
	s_nop 1
	v_writelane_b32 v38, s7, 41
	s_and_b64 s[6:7], s[4:5], s[6:7]
	s_mov_b64 exec, s[6:7]
	s_cbranch_execz .LBB956_66
; %bb.65:
	v_lshlrev_b32_e32 v1, 1, v1
	global_load_ushort v1, v1, s[42:43]
	s_mov_b32 s6, 0xffff
	s_waitcnt vmcnt(0)
	v_bfi_b32 v12, s6, v1, v12
.LBB956_66:
	s_or_b64 exec, exec, s[4:5]
	v_or_b32_e32 v1, 0xa80, v0
	v_cmp_gt_u32_e64 s[6:7], s83, v1
	s_mov_b64 s[4:5], exec
	s_nop 0
	v_writelane_b32 v38, s6, 42
	s_nop 1
	v_writelane_b32 v38, s7, 43
	s_and_b64 s[6:7], s[4:5], s[6:7]
	s_mov_b64 exec, s[6:7]
	s_cbranch_execz .LBB956_68
; %bb.67:
	v_lshlrev_b32_e32 v1, 1, v1
	global_load_ushort v1, v1, s[42:43]
	s_mov_b32 s6, 0x5040100
	s_waitcnt vmcnt(0)
	v_perm_b32 v12, v1, v12, s6
.LBB956_68:
	s_or_b64 exec, exec, s[4:5]
	v_or_b32_e32 v1, 0xb00, v0
	v_cmp_gt_u32_e64 s[6:7], s83, v1
	s_mov_b64 s[4:5], exec
	s_nop 0
	v_writelane_b32 v38, s6, 44
	s_nop 1
	v_writelane_b32 v38, s7, 45
	s_and_b64 s[6:7], s[4:5], s[6:7]
	s_mov_b64 exec, s[6:7]
	s_cbranch_execz .LBB956_70
; %bb.69:
	v_lshlrev_b32_e32 v1, 1, v1
	global_load_ushort v1, v1, s[42:43]
	s_mov_b32 s6, 0xffff
	s_waitcnt vmcnt(0)
	v_bfi_b32 v13, s6, v1, v13
.LBB956_70:
	s_or_b64 exec, exec, s[4:5]
	v_or_b32_e32 v1, 0xb80, v0
	v_cmp_gt_u32_e64 s[6:7], s83, v1
	s_mov_b64 s[4:5], exec
	s_nop 0
	v_writelane_b32 v38, s6, 46
	s_nop 1
	v_writelane_b32 v38, s7, 47
	s_and_b64 s[6:7], s[4:5], s[6:7]
	s_mov_b64 exec, s[6:7]
	s_cbranch_execz .LBB956_72
; %bb.71:
	v_lshlrev_b32_e32 v1, 1, v1
	global_load_ushort v1, v1, s[42:43]
	s_mov_b32 s6, 0x5040100
	s_waitcnt vmcnt(0)
	v_perm_b32 v13, v1, v13, s6
.LBB956_72:
	s_or_b64 exec, exec, s[4:5]
	v_or_b32_e32 v1, 0xc00, v0
	v_cmp_gt_u32_e64 s[50:51], s83, v1
	s_and_saveexec_b64 s[4:5], s[50:51]
	s_cbranch_execz .LBB956_74
; %bb.73:
	v_lshlrev_b32_e32 v1, 1, v1
	global_load_ushort v1, v1, s[42:43]
	s_mov_b32 s6, 0xffff
	s_waitcnt vmcnt(0)
	v_bfi_b32 v14, s6, v1, v14
.LBB956_74:
	s_or_b64 exec, exec, s[4:5]
	v_or_b32_e32 v1, 0xc80, v0
	v_cmp_gt_u32_e64 s[52:53], s83, v1
	s_and_saveexec_b64 s[4:5], s[52:53]
	s_cbranch_execz .LBB956_76
; %bb.75:
	v_lshlrev_b32_e32 v1, 1, v1
	global_load_ushort v1, v1, s[42:43]
	s_mov_b32 s6, 0x5040100
	s_waitcnt vmcnt(0)
	v_perm_b32 v14, v1, v14, s6
.LBB956_76:
	s_or_b64 exec, exec, s[4:5]
	v_or_b32_e32 v1, 0xd00, v0
	v_cmp_gt_u32_e64 s[54:55], s83, v1
	s_and_saveexec_b64 s[4:5], s[54:55]
	s_cbranch_execz .LBB956_78
; %bb.77:
	v_lshlrev_b32_e32 v1, 1, v1
	global_load_ushort v1, v1, s[42:43]
	s_mov_b32 s6, 0xffff
	s_waitcnt vmcnt(0)
	v_bfi_b32 v15, s6, v1, v15
.LBB956_78:
	s_or_b64 exec, exec, s[4:5]
	v_or_b32_e32 v1, 0xd80, v0
	v_cmp_gt_u32_e64 s[56:57], s83, v1
	s_and_saveexec_b64 s[4:5], s[56:57]
	s_cbranch_execz .LBB956_80
; %bb.79:
	v_lshlrev_b32_e32 v1, 1, v1
	global_load_ushort v1, v1, s[42:43]
	s_mov_b32 s6, 0x5040100
	s_waitcnt vmcnt(0)
	v_perm_b32 v15, v1, v15, s6
.LBB956_80:
	;; [unrolled: 24-line block ×19, first 2 shown]
	s_or_b64 exec, exec, s[30:31]
	v_or_b32_e32 v1, 0x1f00, v0
	v_cmp_gt_u32_e64 s[30:31], s83, v1
	s_and_saveexec_b64 vcc, s[30:31]
	s_cbranch_execz .LBB956_150
; %bb.149:
	v_lshlrev_b32_e32 v1, 1, v1
	global_load_ushort v1, v1, s[42:43]
	s_mov_b32 s44, 0xffff
	s_waitcnt vmcnt(0)
	v_bfi_b32 v33, s44, v1, v33
.LBB956_150:
	s_or_b64 exec, exec, vcc
	v_or_b32_e32 v1, 0x1f80, v0
	v_cmp_gt_u32_e32 vcc, s83, v1
	s_and_saveexec_b64 s[44:45], vcc
	s_cbranch_execz .LBB956_152
; %bb.151:
	v_lshlrev_b32_e32 v1, 1, v1
	global_load_ushort v1, v1, s[42:43]
	s_mov_b32 s42, 0x5040100
	s_waitcnt vmcnt(0)
	v_perm_b32 v33, v1, v33, s42
.LBB956_152:
	s_or_b64 exec, exec, s[44:45]
	s_mov_b64 s[42:43], exec
	v_readlane_b32 s44, v38, 2
	v_readlane_b32 s45, v38, 3
	s_and_b64 s[44:45], s[42:43], s[44:45]
	s_mov_b64 exec, s[44:45]
	s_cbranch_execz .LBB956_154
; %bb.153:
	v_bfe_i32 v34, v2, 0, 16
	v_lshrrev_b32_e32 v1, 16, v2
	v_ashrrev_i32_e32 v35, 31, v34
	v_bfe_i32 v36, v1, 0, 16
	v_lshl_add_u64 v[34:35], v[34:35], 1, s[66:67]
	v_ashrrev_i32_e32 v37, 31, v36
	v_lshl_add_u64 v[34:35], v[36:37], 1, v[34:35]
	global_load_ushort v2, v[34:35], off
.LBB956_154:
	s_or_b64 exec, exec, s[42:43]
	s_mov_b64 s[42:43], exec
	v_readlane_b32 s44, v38, 4
	v_readlane_b32 s45, v38, 5
	s_and_b64 s[44:45], s[42:43], s[44:45]
	s_mov_b64 exec, s[44:45]
	s_cbranch_execz .LBB956_156
; %bb.155:
	s_waitcnt vmcnt(0)
	v_bfe_i32 v34, v2, 0, 16
	v_ashrrev_i32_e32 v35, 31, v34
	v_bfe_i32 v36, v3, 0, 16
	v_lshl_add_u64 v[34:35], v[34:35], 1, s[66:67]
	v_ashrrev_i32_e32 v37, 31, v36
	v_lshl_add_u64 v[34:35], v[36:37], 1, v[34:35]
	global_load_ushort v2, v[34:35], off
.LBB956_156:
	s_or_b64 exec, exec, s[42:43]
	s_mov_b64 s[42:43], exec
	v_readlane_b32 s44, v38, 6
	v_readlane_b32 s45, v38, 7
	s_and_b64 s[44:45], s[42:43], s[44:45]
	s_mov_b64 exec, s[44:45]
	s_cbranch_execz .LBB956_158
; %bb.157:
	s_waitcnt vmcnt(0)
	v_bfe_i32 v34, v2, 0, 16
	v_lshrrev_b32_e32 v1, 16, v3
	v_ashrrev_i32_e32 v35, 31, v34
	v_bfe_i32 v2, v1, 0, 16
	v_lshl_add_u64 v[34:35], v[34:35], 1, s[66:67]
	v_ashrrev_i32_e32 v3, 31, v2
	v_lshl_add_u64 v[2:3], v[2:3], 1, v[34:35]
	global_load_ushort v2, v[2:3], off
.LBB956_158:
	s_or_b64 exec, exec, s[42:43]
	s_mov_b64 s[42:43], exec
	v_readlane_b32 s44, v38, 8
	v_readlane_b32 s45, v38, 9
	s_and_b64 s[44:45], s[42:43], s[44:45]
	s_mov_b64 exec, s[44:45]
	s_cbranch_execz .LBB956_160
; %bb.159:
	s_waitcnt vmcnt(0)
	v_bfe_i32 v2, v2, 0, 16
	v_ashrrev_i32_e32 v3, 31, v2
	v_bfe_i32 v34, v4, 0, 16
	v_lshl_add_u64 v[2:3], v[2:3], 1, s[66:67]
	v_ashrrev_i32_e32 v35, 31, v34
	v_lshl_add_u64 v[2:3], v[34:35], 1, v[2:3]
	global_load_ushort v2, v[2:3], off
.LBB956_160:
	s_or_b64 exec, exec, s[42:43]
	s_mov_b64 s[42:43], exec
	v_readlane_b32 s44, v38, 10
	v_readlane_b32 s45, v38, 11
	s_and_b64 s[44:45], s[42:43], s[44:45]
	s_mov_b64 exec, s[44:45]
	s_cbranch_execz .LBB956_162
; %bb.161:
	s_waitcnt vmcnt(0)
	v_bfe_i32 v2, v2, 0, 16
	v_lshrrev_b32_e32 v1, 16, v4
	v_ashrrev_i32_e32 v3, 31, v2
	v_bfe_i32 v34, v1, 0, 16
	v_lshl_add_u64 v[2:3], v[2:3], 1, s[66:67]
	v_ashrrev_i32_e32 v35, 31, v34
	v_lshl_add_u64 v[2:3], v[34:35], 1, v[2:3]
	global_load_ushort v2, v[2:3], off
.LBB956_162:
	;; [unrolled: 35-line block ×10, first 2 shown]
	s_or_b64 exec, exec, s[42:43]
	s_mov_b64 s[42:43], exec
	v_readlane_b32 s44, v38, 44
	v_readlane_b32 s45, v38, 45
	s_and_b64 s[44:45], s[42:43], s[44:45]
	s_mov_b64 exec, s[44:45]
	s_cbranch_execz .LBB956_196
; %bb.195:
	s_waitcnt vmcnt(0)
	v_bfe_i32 v2, v2, 0, 16
	v_ashrrev_i32_e32 v3, 31, v2
	v_bfe_i32 v4, v13, 0, 16
	v_lshl_add_u64 v[2:3], v[2:3], 1, s[66:67]
	v_ashrrev_i32_e32 v5, 31, v4
	v_lshl_add_u64 v[2:3], v[4:5], 1, v[2:3]
	global_load_ushort v2, v[2:3], off
.LBB956_196:
	s_or_b64 exec, exec, s[42:43]
	s_mov_b64 s[42:43], exec
	v_readlane_b32 s44, v38, 46
	v_readlane_b32 s45, v38, 47
	s_and_b64 s[44:45], s[42:43], s[44:45]
	s_mov_b64 exec, s[44:45]
	s_cbranch_execz .LBB956_357
; %bb.197:
	s_waitcnt vmcnt(0)
	v_bfe_i32 v2, v2, 0, 16
	v_lshrrev_b32_e32 v1, 16, v13
	v_ashrrev_i32_e32 v3, 31, v2
	v_bfe_i32 v4, v1, 0, 16
	v_lshl_add_u64 v[2:3], v[2:3], 1, s[66:67]
	v_ashrrev_i32_e32 v5, 31, v4
	v_lshl_add_u64 v[2:3], v[4:5], 1, v[2:3]
	global_load_ushort v2, v[2:3], off
	s_or_b64 exec, exec, s[42:43]
	s_and_saveexec_b64 s[42:43], s[50:51]
	s_cbranch_execnz .LBB956_358
.LBB956_198:
	s_or_b64 exec, exec, s[42:43]
	s_and_saveexec_b64 s[42:43], s[52:53]
	s_cbranch_execz .LBB956_359
.LBB956_199:
	s_waitcnt vmcnt(0)
	v_bfe_i32 v2, v2, 0, 16
	v_lshrrev_b32_e32 v1, 16, v14
	v_ashrrev_i32_e32 v3, 31, v2
	v_bfe_i32 v4, v1, 0, 16
	v_lshl_add_u64 v[2:3], v[2:3], 1, s[66:67]
	v_ashrrev_i32_e32 v5, 31, v4
	v_lshl_add_u64 v[2:3], v[4:5], 1, v[2:3]
	global_load_ushort v2, v[2:3], off
	s_or_b64 exec, exec, s[42:43]
	s_and_saveexec_b64 s[42:43], s[54:55]
	s_cbranch_execnz .LBB956_360
.LBB956_200:
	s_or_b64 exec, exec, s[42:43]
	s_and_saveexec_b64 s[42:43], s[56:57]
	s_cbranch_execz .LBB956_361
.LBB956_201:
	s_waitcnt vmcnt(0)
	v_bfe_i32 v2, v2, 0, 16
	v_lshrrev_b32_e32 v1, 16, v15
	v_ashrrev_i32_e32 v3, 31, v2
	v_bfe_i32 v4, v1, 0, 16
	v_lshl_add_u64 v[2:3], v[2:3], 1, s[66:67]
	v_ashrrev_i32_e32 v5, 31, v4
	v_lshl_add_u64 v[2:3], v[4:5], 1, v[2:3]
	global_load_ushort v2, v[2:3], off
	s_or_b64 exec, exec, s[42:43]
	s_and_saveexec_b64 s[42:43], s[58:59]
	s_cbranch_execnz .LBB956_362
.LBB956_202:
	s_or_b64 exec, exec, s[42:43]
	s_and_saveexec_b64 s[42:43], s[60:61]
	s_cbranch_execz .LBB956_363
.LBB956_203:
	s_waitcnt vmcnt(0)
	v_bfe_i32 v2, v2, 0, 16
	v_lshrrev_b32_e32 v1, 16, v16
	v_ashrrev_i32_e32 v3, 31, v2
	v_bfe_i32 v4, v1, 0, 16
	v_lshl_add_u64 v[2:3], v[2:3], 1, s[66:67]
	v_ashrrev_i32_e32 v5, 31, v4
	v_lshl_add_u64 v[2:3], v[4:5], 1, v[2:3]
	global_load_ushort v2, v[2:3], off
	s_or_b64 exec, exec, s[42:43]
	s_and_saveexec_b64 s[42:43], s[62:63]
	s_cbranch_execnz .LBB956_364
.LBB956_204:
	s_or_b64 exec, exec, s[42:43]
	s_and_saveexec_b64 s[42:43], s[64:65]
	s_cbranch_execz .LBB956_365
.LBB956_205:
	s_waitcnt vmcnt(0)
	v_bfe_i32 v2, v2, 0, 16
	v_lshrrev_b32_e32 v1, 16, v17
	v_ashrrev_i32_e32 v3, 31, v2
	v_bfe_i32 v4, v1, 0, 16
	v_lshl_add_u64 v[2:3], v[2:3], 1, s[66:67]
	v_ashrrev_i32_e32 v5, 31, v4
	v_lshl_add_u64 v[2:3], v[4:5], 1, v[2:3]
	global_load_ushort v2, v[2:3], off
	s_or_b64 exec, exec, s[42:43]
	s_and_saveexec_b64 s[42:43], s[38:39]
	s_cbranch_execnz .LBB956_366
.LBB956_206:
	s_or_b64 exec, exec, s[42:43]
	s_and_saveexec_b64 s[38:39], s[34:35]
	s_cbranch_execz .LBB956_367
.LBB956_207:
	s_waitcnt vmcnt(0)
	v_bfe_i32 v2, v2, 0, 16
	v_lshrrev_b32_e32 v1, 16, v18
	v_ashrrev_i32_e32 v3, 31, v2
	v_bfe_i32 v4, v1, 0, 16
	v_lshl_add_u64 v[2:3], v[2:3], 1, s[66:67]
	v_ashrrev_i32_e32 v5, 31, v4
	v_lshl_add_u64 v[2:3], v[4:5], 1, v[2:3]
	global_load_ushort v2, v[2:3], off
	s_or_b64 exec, exec, s[38:39]
	s_and_saveexec_b64 s[34:35], s[36:37]
	s_cbranch_execnz .LBB956_368
.LBB956_208:
	s_or_b64 exec, exec, s[34:35]
	s_and_saveexec_b64 s[34:35], s[72:73]
	s_cbranch_execz .LBB956_369
.LBB956_209:
	s_waitcnt vmcnt(0)
	v_bfe_i32 v2, v2, 0, 16
	v_lshrrev_b32_e32 v1, 16, v19
	v_ashrrev_i32_e32 v3, 31, v2
	v_bfe_i32 v4, v1, 0, 16
	v_lshl_add_u64 v[2:3], v[2:3], 1, s[66:67]
	v_ashrrev_i32_e32 v5, 31, v4
	v_lshl_add_u64 v[2:3], v[4:5], 1, v[2:3]
	global_load_ushort v2, v[2:3], off
	s_or_b64 exec, exec, s[34:35]
	s_and_saveexec_b64 s[34:35], s[74:75]
	s_cbranch_execnz .LBB956_370
.LBB956_210:
	s_or_b64 exec, exec, s[34:35]
	s_and_saveexec_b64 s[34:35], s[76:77]
	s_cbranch_execz .LBB956_371
.LBB956_211:
	s_waitcnt vmcnt(0)
	v_bfe_i32 v2, v2, 0, 16
	v_lshrrev_b32_e32 v1, 16, v20
	v_ashrrev_i32_e32 v3, 31, v2
	v_bfe_i32 v4, v1, 0, 16
	v_lshl_add_u64 v[2:3], v[2:3], 1, s[66:67]
	v_ashrrev_i32_e32 v5, 31, v4
	v_lshl_add_u64 v[2:3], v[4:5], 1, v[2:3]
	global_load_ushort v2, v[2:3], off
	s_or_b64 exec, exec, s[34:35]
	s_and_saveexec_b64 s[34:35], s[78:79]
	s_cbranch_execnz .LBB956_372
.LBB956_212:
	s_or_b64 exec, exec, s[34:35]
	s_and_saveexec_b64 s[34:35], s[80:81]
	s_cbranch_execz .LBB956_373
.LBB956_213:
	s_waitcnt vmcnt(0)
	v_bfe_i32 v2, v2, 0, 16
	v_lshrrev_b32_e32 v1, 16, v21
	v_ashrrev_i32_e32 v3, 31, v2
	v_bfe_i32 v4, v1, 0, 16
	v_lshl_add_u64 v[2:3], v[2:3], 1, s[66:67]
	v_ashrrev_i32_e32 v5, 31, v4
	v_lshl_add_u64 v[2:3], v[4:5], 1, v[2:3]
	global_load_ushort v2, v[2:3], off
	s_or_b64 exec, exec, s[34:35]
	s_and_saveexec_b64 s[34:35], s[46:47]
	s_cbranch_execnz .LBB956_374
.LBB956_214:
	s_or_b64 exec, exec, s[34:35]
	s_and_saveexec_b64 s[34:35], s[84:85]
	s_cbranch_execz .LBB956_375
.LBB956_215:
	s_waitcnt vmcnt(0)
	v_bfe_i32 v2, v2, 0, 16
	v_lshrrev_b32_e32 v1, 16, v22
	v_ashrrev_i32_e32 v3, 31, v2
	v_bfe_i32 v4, v1, 0, 16
	v_lshl_add_u64 v[2:3], v[2:3], 1, s[66:67]
	v_ashrrev_i32_e32 v5, 31, v4
	v_lshl_add_u64 v[2:3], v[4:5], 1, v[2:3]
	global_load_ushort v2, v[2:3], off
	s_or_b64 exec, exec, s[34:35]
	s_and_saveexec_b64 s[34:35], s[86:87]
	s_cbranch_execnz .LBB956_376
.LBB956_216:
	s_or_b64 exec, exec, s[34:35]
	s_and_saveexec_b64 s[34:35], s[88:89]
	s_cbranch_execz .LBB956_377
.LBB956_217:
	s_waitcnt vmcnt(0)
	v_bfe_i32 v2, v2, 0, 16
	v_lshrrev_b32_e32 v1, 16, v23
	v_ashrrev_i32_e32 v3, 31, v2
	v_bfe_i32 v4, v1, 0, 16
	v_lshl_add_u64 v[2:3], v[2:3], 1, s[66:67]
	v_ashrrev_i32_e32 v5, 31, v4
	v_lshl_add_u64 v[2:3], v[4:5], 1, v[2:3]
	global_load_ushort v2, v[2:3], off
	s_or_b64 exec, exec, s[34:35]
	s_and_saveexec_b64 s[34:35], s[90:91]
	s_cbranch_execnz .LBB956_378
.LBB956_218:
	s_or_b64 exec, exec, s[34:35]
	s_and_saveexec_b64 s[34:35], s[92:93]
	s_cbranch_execz .LBB956_379
.LBB956_219:
	s_waitcnt vmcnt(0)
	v_bfe_i32 v2, v2, 0, 16
	v_lshrrev_b32_e32 v1, 16, v24
	v_ashrrev_i32_e32 v3, 31, v2
	v_bfe_i32 v4, v1, 0, 16
	v_lshl_add_u64 v[2:3], v[2:3], 1, s[66:67]
	v_ashrrev_i32_e32 v5, 31, v4
	v_lshl_add_u64 v[2:3], v[4:5], 1, v[2:3]
	global_load_ushort v2, v[2:3], off
	s_or_b64 exec, exec, s[34:35]
	s_and_saveexec_b64 s[34:35], s[94:95]
	s_cbranch_execnz .LBB956_380
.LBB956_220:
	s_or_b64 exec, exec, s[34:35]
	s_and_saveexec_b64 s[34:35], s[96:97]
	s_cbranch_execz .LBB956_381
.LBB956_221:
	s_waitcnt vmcnt(0)
	v_bfe_i32 v2, v2, 0, 16
	v_lshrrev_b32_e32 v1, 16, v25
	v_ashrrev_i32_e32 v3, 31, v2
	v_bfe_i32 v4, v1, 0, 16
	v_lshl_add_u64 v[2:3], v[2:3], 1, s[66:67]
	v_ashrrev_i32_e32 v5, 31, v4
	v_lshl_add_u64 v[2:3], v[4:5], 1, v[2:3]
	global_load_ushort v2, v[2:3], off
	s_or_b64 exec, exec, s[34:35]
	s_and_saveexec_b64 s[34:35], s[98:99]
	s_cbranch_execnz .LBB956_382
.LBB956_222:
	s_or_b64 exec, exec, s[34:35]
	s_and_saveexec_b64 s[34:35], s[4:5]
	s_cbranch_execz .LBB956_383
.LBB956_223:
	s_waitcnt vmcnt(0)
	v_bfe_i32 v2, v2, 0, 16
	v_lshrrev_b32_e32 v1, 16, v26
	v_ashrrev_i32_e32 v3, 31, v2
	v_bfe_i32 v4, v1, 0, 16
	v_lshl_add_u64 v[2:3], v[2:3], 1, s[66:67]
	v_ashrrev_i32_e32 v5, 31, v4
	v_lshl_add_u64 v[2:3], v[4:5], 1, v[2:3]
	global_load_ushort v2, v[2:3], off
	s_or_b64 exec, exec, s[34:35]
	s_and_saveexec_b64 s[4:5], s[6:7]
	s_cbranch_execnz .LBB956_384
.LBB956_224:
	s_or_b64 exec, exec, s[4:5]
	s_and_saveexec_b64 s[4:5], s[8:9]
	s_cbranch_execz .LBB956_385
.LBB956_225:
	s_waitcnt vmcnt(0)
	v_bfe_i32 v2, v2, 0, 16
	v_lshrrev_b32_e32 v1, 16, v27
	v_ashrrev_i32_e32 v3, 31, v2
	v_bfe_i32 v4, v1, 0, 16
	v_lshl_add_u64 v[2:3], v[2:3], 1, s[66:67]
	v_ashrrev_i32_e32 v5, 31, v4
	v_lshl_add_u64 v[2:3], v[4:5], 1, v[2:3]
	global_load_ushort v2, v[2:3], off
	s_or_b64 exec, exec, s[4:5]
	s_and_saveexec_b64 s[4:5], s[10:11]
	s_cbranch_execnz .LBB956_386
.LBB956_226:
	s_or_b64 exec, exec, s[4:5]
	s_and_saveexec_b64 s[4:5], s[12:13]
	s_cbranch_execz .LBB956_387
.LBB956_227:
	s_waitcnt vmcnt(0)
	v_bfe_i32 v2, v2, 0, 16
	v_lshrrev_b32_e32 v1, 16, v28
	v_ashrrev_i32_e32 v3, 31, v2
	v_bfe_i32 v4, v1, 0, 16
	v_lshl_add_u64 v[2:3], v[2:3], 1, s[66:67]
	v_ashrrev_i32_e32 v5, 31, v4
	v_lshl_add_u64 v[2:3], v[4:5], 1, v[2:3]
	global_load_ushort v2, v[2:3], off
	s_or_b64 exec, exec, s[4:5]
	s_and_saveexec_b64 s[4:5], s[14:15]
	s_cbranch_execnz .LBB956_388
.LBB956_228:
	s_or_b64 exec, exec, s[4:5]
	s_and_saveexec_b64 s[4:5], s[16:17]
	s_cbranch_execz .LBB956_389
.LBB956_229:
	s_waitcnt vmcnt(0)
	v_bfe_i32 v2, v2, 0, 16
	v_lshrrev_b32_e32 v1, 16, v29
	v_ashrrev_i32_e32 v3, 31, v2
	v_bfe_i32 v4, v1, 0, 16
	v_lshl_add_u64 v[2:3], v[2:3], 1, s[66:67]
	v_ashrrev_i32_e32 v5, 31, v4
	v_lshl_add_u64 v[2:3], v[4:5], 1, v[2:3]
	global_load_ushort v2, v[2:3], off
	s_or_b64 exec, exec, s[4:5]
	s_and_saveexec_b64 s[4:5], s[18:19]
	s_cbranch_execnz .LBB956_390
.LBB956_230:
	s_or_b64 exec, exec, s[4:5]
	s_and_saveexec_b64 s[4:5], s[20:21]
	s_cbranch_execz .LBB956_391
.LBB956_231:
	s_waitcnt vmcnt(0)
	v_bfe_i32 v2, v2, 0, 16
	v_lshrrev_b32_e32 v1, 16, v30
	v_ashrrev_i32_e32 v3, 31, v2
	v_bfe_i32 v4, v1, 0, 16
	v_lshl_add_u64 v[2:3], v[2:3], 1, s[66:67]
	v_ashrrev_i32_e32 v5, 31, v4
	v_lshl_add_u64 v[2:3], v[4:5], 1, v[2:3]
	global_load_ushort v2, v[2:3], off
	s_or_b64 exec, exec, s[4:5]
	s_and_saveexec_b64 s[4:5], s[22:23]
	s_cbranch_execnz .LBB956_392
.LBB956_232:
	s_or_b64 exec, exec, s[4:5]
	s_and_saveexec_b64 s[4:5], s[24:25]
	s_cbranch_execz .LBB956_393
.LBB956_233:
	s_waitcnt vmcnt(0)
	v_bfe_i32 v2, v2, 0, 16
	v_lshrrev_b32_e32 v1, 16, v31
	v_ashrrev_i32_e32 v3, 31, v2
	v_bfe_i32 v4, v1, 0, 16
	v_lshl_add_u64 v[2:3], v[2:3], 1, s[66:67]
	v_ashrrev_i32_e32 v5, 31, v4
	v_lshl_add_u64 v[2:3], v[4:5], 1, v[2:3]
	global_load_ushort v2, v[2:3], off
	s_or_b64 exec, exec, s[4:5]
	s_and_saveexec_b64 s[4:5], s[26:27]
	s_cbranch_execnz .LBB956_394
.LBB956_234:
	s_or_b64 exec, exec, s[4:5]
	s_and_saveexec_b64 s[4:5], s[28:29]
	s_cbranch_execz .LBB956_395
.LBB956_235:
	s_waitcnt vmcnt(0)
	v_bfe_i32 v2, v2, 0, 16
	v_lshrrev_b32_e32 v1, 16, v32
	v_ashrrev_i32_e32 v3, 31, v2
	v_bfe_i32 v4, v1, 0, 16
	v_lshl_add_u64 v[2:3], v[2:3], 1, s[66:67]
	v_ashrrev_i32_e32 v5, 31, v4
	v_lshl_add_u64 v[2:3], v[4:5], 1, v[2:3]
	global_load_ushort v2, v[2:3], off
	s_or_b64 exec, exec, s[4:5]
	s_and_saveexec_b64 s[4:5], s[30:31]
	s_cbranch_execnz .LBB956_396
.LBB956_236:
	s_or_b64 exec, exec, s[4:5]
	s_and_saveexec_b64 s[4:5], vcc
	s_cbranch_execz .LBB956_238
.LBB956_237:
	s_waitcnt vmcnt(0)
	v_bfe_i32 v2, v2, 0, 16
	v_lshrrev_b32_e32 v1, 16, v33
	v_ashrrev_i32_e32 v3, 31, v2
	v_bfe_i32 v4, v1, 0, 16
	v_lshl_add_u64 v[2:3], v[2:3], 1, s[66:67]
	v_ashrrev_i32_e32 v5, 31, v4
	v_lshl_add_u64 v[2:3], v[4:5], 1, v[2:3]
	global_load_ushort v2, v[2:3], off
.LBB956_238:
	s_or_b64 exec, exec, s[4:5]
	v_mbcnt_lo_u32_b32 v1, -1, 0
	v_mbcnt_hi_u32_b32 v1, -1, v1
	v_and_b32_e32 v3, 63, v1
	v_cmp_ne_u32_e32 vcc, 63, v3
	s_waitcnt vmcnt(0)
	v_and_b32_e32 v6, 0xffff, v2
	s_min_u32 s6, s83, 0x80
	v_addc_co_u32_e32 v4, vcc, 0, v1, vcc
	v_lshlrev_b32_e32 v4, 2, v4
	ds_bpermute_b32 v4, v4, v6
	v_and_b32_e32 v5, 64, v0
	v_sub_u32_e64 v5, s6, v5 clamp
	v_add_u32_e32 v7, 1, v3
	v_cmp_lt_u32_e32 vcc, v7, v5
	s_and_saveexec_b64 s[4:5], vcc
	s_xor_b64 s[4:5], exec, s[4:5]
	s_cbranch_execz .LBB956_240
; %bb.239:
	v_bfe_i32 v6, v2, 0, 16
	v_ashrrev_i32_e32 v7, 31, v6
	s_waitcnt lgkmcnt(0)
	v_lshlrev_b32_e32 v2, 16, v4
	v_lshl_add_u64 v[6:7], v[6:7], 1, s[66:67]
	v_ashrrev_i32_e32 v8, 15, v2
	v_bfe_i32 v9, v4, 15, 1
	v_lshl_add_u64 v[6:7], v[6:7], 0, v[8:9]
	global_load_ushort v2, v[6:7], off
	s_waitcnt vmcnt(0)
	v_and_b32_e32 v6, 0xffff, v2
.LBB956_240:
	s_or_b64 exec, exec, s[4:5]
	v_cmp_gt_u32_e32 vcc, 62, v3
	v_add_u32_e32 v7, 2, v3
	s_waitcnt lgkmcnt(0)
	v_cndmask_b32_e64 v4, 0, 2, vcc
	v_add_lshl_u32 v4, v4, v1, 2
	ds_bpermute_b32 v4, v4, v6
	v_cmp_lt_u32_e32 vcc, v7, v5
	s_and_saveexec_b64 s[4:5], vcc
	s_cbranch_execz .LBB956_242
; %bb.241:
	v_bfe_i32 v6, v2, 0, 16
	v_ashrrev_i32_e32 v7, 31, v6
	s_waitcnt lgkmcnt(0)
	v_lshlrev_b32_e32 v2, 16, v4
	v_lshl_add_u64 v[6:7], v[6:7], 1, s[66:67]
	v_ashrrev_i32_e32 v8, 15, v2
	v_bfe_i32 v9, v4, 15, 1
	v_lshl_add_u64 v[6:7], v[6:7], 0, v[8:9]
	global_load_ushort v2, v[6:7], off
	s_waitcnt vmcnt(0)
	v_and_b32_e32 v6, 0xffff, v2
.LBB956_242:
	s_or_b64 exec, exec, s[4:5]
	v_cmp_gt_u32_e32 vcc, 60, v3
	v_add_u32_e32 v7, 4, v3
	s_waitcnt lgkmcnt(0)
	v_cndmask_b32_e64 v4, 0, 4, vcc
	v_add_lshl_u32 v4, v4, v1, 2
	ds_bpermute_b32 v4, v4, v6
	v_cmp_lt_u32_e32 vcc, v7, v5
	s_and_saveexec_b64 s[4:5], vcc
	;; [unrolled: 23-line block ×4, first 2 shown]
	s_cbranch_execz .LBB956_248
; %bb.247:
	v_bfe_i32 v6, v2, 0, 16
	v_ashrrev_i32_e32 v7, 31, v6
	s_waitcnt lgkmcnt(0)
	v_lshlrev_b32_e32 v2, 16, v4
	v_lshl_add_u64 v[6:7], v[6:7], 1, s[66:67]
	v_ashrrev_i32_e32 v8, 15, v2
	v_bfe_i32 v9, v4, 15, 1
	v_lshl_add_u64 v[6:7], v[6:7], 0, v[8:9]
	global_load_ushort v2, v[6:7], off
	s_waitcnt vmcnt(0)
	v_and_b32_e32 v6, 0xffff, v2
.LBB956_248:
	s_or_b64 exec, exec, s[4:5]
	v_lshlrev_b32_e32 v7, 2, v1
	s_waitcnt lgkmcnt(0)
	v_or_b32_e32 v4, 0x80, v7
	ds_bpermute_b32 v4, v4, v6
	v_add_u32_e32 v3, 32, v3
	v_cmp_lt_u32_e32 vcc, v3, v5
	s_and_saveexec_b64 s[4:5], vcc
	s_cbranch_execz .LBB956_250
; %bb.249:
	v_bfe_i32 v2, v2, 0, 16
	v_ashrrev_i32_e32 v3, 31, v2
	s_waitcnt lgkmcnt(0)
	v_lshlrev_b32_e32 v5, 16, v4
	v_lshl_add_u64 v[2:3], v[2:3], 1, s[66:67]
	v_ashrrev_i32_e32 v8, 15, v5
	v_bfe_i32 v9, v4, 15, 1
	v_lshl_add_u64 v[2:3], v[2:3], 0, v[8:9]
	global_load_ushort v2, v[2:3], off
.LBB956_250:
	s_or_b64 exec, exec, s[4:5]
	v_cmp_eq_u32_e32 vcc, 0, v1
	s_and_saveexec_b64 s[4:5], vcc
	s_cbranch_execz .LBB956_252
; %bb.251:
	v_lshrrev_b32_e32 v3, 5, v0
	v_and_b32_e32 v3, 2, v3
	s_waitcnt vmcnt(0)
	ds_write_b16 v3, v2
.LBB956_252:
	s_or_b64 exec, exec, s[4:5]
	v_cmp_gt_u32_e32 vcc, 2, v0
	s_waitcnt lgkmcnt(0)
	s_barrier
                                        ; implicit-def: $vgpr3
                                        ; implicit-def: $vgpr4
	s_and_saveexec_b64 s[4:5], vcc
	s_cbranch_execz .LBB956_254
; %bb.253:
	s_waitcnt vmcnt(0)
	v_lshlrev_b32_e32 v2, 1, v1
	ds_read_u16 v3, v2
	s_add_i32 s6, s6, 63
	v_and_b32_e32 v1, 1, v1
	s_lshr_b32 s6, s6, 6
	v_add_u32_e32 v1, 1, v1
	v_or_b32_e32 v2, 4, v7
	v_cmp_gt_u32_e32 vcc, s6, v1
	s_waitcnt lgkmcnt(0)
	v_and_b32_e32 v1, 0xffff, v3
	ds_bpermute_b32 v4, v2, v1
	v_readlane_b32 s6, v38, 0
	v_readlane_b32 s7, v38, 1
	s_andn2_b64 s[6:7], s[6:7], exec
	s_and_b64 s[8:9], vcc, exec
	s_or_b64 s[6:7], s[6:7], s[8:9]
	v_writelane_b32 v38, s6, 0
	v_mov_b32_e32 v2, v3
	s_nop 0
	v_writelane_b32 v38, s7, 1
.LBB956_254:
	s_or_b64 exec, exec, s[4:5]
.LBB956_255:
	s_mov_b64 s[4:5], exec
	v_readlane_b32 s6, v38, 0
	v_readlane_b32 s7, v38, 1
	s_and_b64 s[6:7], s[4:5], s[6:7]
	s_mov_b64 exec, s[6:7]
	s_cbranch_execz .LBB956_257
; %bb.256:
	s_waitcnt vmcnt(0)
	v_bfe_i32 v2, v3, 0, 16
	v_ashrrev_i32_e32 v3, 31, v2
	s_waitcnt lgkmcnt(0)
	v_lshlrev_b32_e32 v1, 16, v4
	v_lshl_add_u64 v[2:3], v[2:3], 1, s[66:67]
	v_ashrrev_i32_e32 v6, 15, v1
	v_bfe_i32 v7, v4, 15, 1
	v_lshl_add_u64 v[2:3], v[2:3], 0, v[6:7]
	global_load_ushort v2, v[2:3], off
.LBB956_257:
	s_or_b64 exec, exec, s[4:5]
	v_cmp_eq_u32_e32 vcc, 0, v0
	s_mov_b64 s[74:75], 0
	s_mov_b64 s[72:73], 0
	s_and_saveexec_b64 s[4:5], vcc
	s_xor_b64 s[4:5], exec, s[4:5]
; %bb.258:
	s_cmp_eq_u64 s[70:71], 0
	s_cselect_b64 s[6:7], -1, 0
	s_cmp_lg_u64 s[70:71], 0
	s_cselect_b64 s[8:9], -1, 0
	s_and_b64 s[72:73], s[6:7], exec
	s_and_b64 s[74:75], s[8:9], exec
; %bb.259:
	s_or_b64 exec, exec, s[4:5]
	s_and_b64 vcc, exec, s[40:41]
	s_cbranch_vccnz .LBB956_14
.LBB956_260:
	s_branch .LBB956_555
.LBB956_261:
	s_mov_b64 s[6:7], -1
	s_mov_b64 s[76:77], 0
                                        ; implicit-def: $vgpr3
                                        ; implicit-def: $vgpr4
                                        ; implicit-def: $vgpr2
.LBB956_262:
	s_and_b64 vcc, exec, s[6:7]
	s_cbranch_vccz .LBB956_446
; %bb.263:
	s_sub_i32 s83, s70, s4
	s_waitcnt vmcnt(0)
	v_mov_b32_e32 v2, 0
	v_cmp_gt_u32_e32 vcc, s83, v0
	v_mov_b32_e32 v3, v2
	s_waitcnt lgkmcnt(0)
	v_mov_b32_e32 v4, v2
	v_mov_b32_e32 v5, v2
	;; [unrolled: 1-line block ×14, first 2 shown]
	s_and_saveexec_b64 s[4:5], vcc
	s_cbranch_execz .LBB956_265
; %bb.264:
	v_lshlrev_b32_e32 v1, 1, v0
	global_load_ushort v1, v1, s[78:79]
	v_mov_b32_e32 v5, v2
	v_mov_b32_e32 v6, v2
	;; [unrolled: 1-line block ×15, first 2 shown]
	s_waitcnt vmcnt(0)
	v_and_b32_e32 v4, 0xffff, v1
	v_mov_b64_e32 v[2:3], v[4:5]
	v_mov_b64_e32 v[4:5], v[6:7]
	;; [unrolled: 1-line block ×8, first 2 shown]
.LBB956_265:
	s_or_b64 exec, exec, s[4:5]
	v_or_b32_e32 v1, 0x80, v0
	v_cmp_gt_u32_e32 vcc, s83, v1
	s_and_saveexec_b64 s[4:5], vcc
	s_cbranch_execz .LBB956_267
; %bb.266:
	v_lshlrev_b32_e32 v1, 1, v0
	global_load_ushort v1, v1, s[78:79] offset:256
	s_mov_b32 s6, 0x5040100
	s_waitcnt vmcnt(0)
	v_perm_b32 v2, v1, v2, s6
.LBB956_267:
	s_or_b64 exec, exec, s[4:5]
	v_or_b32_e32 v1, 0x100, v0
	v_cmp_gt_u32_e64 s[4:5], s83, v1
	s_and_saveexec_b64 s[6:7], s[4:5]
	s_cbranch_execz .LBB956_269
; %bb.268:
	v_lshlrev_b32_e32 v1, 1, v0
	global_load_ushort v1, v1, s[78:79] offset:512
	s_mov_b32 s8, 0xffff
	s_waitcnt vmcnt(0)
	v_bfi_b32 v3, s8, v1, v3
.LBB956_269:
	s_or_b64 exec, exec, s[6:7]
	v_or_b32_e32 v1, 0x180, v0
	v_cmp_gt_u32_e64 s[6:7], s83, v1
	s_and_saveexec_b64 s[8:9], s[6:7]
	s_cbranch_execz .LBB956_271
; %bb.270:
	v_lshlrev_b32_e32 v1, 1, v0
	global_load_ushort v1, v1, s[78:79] offset:768
	s_mov_b32 s10, 0x5040100
	s_waitcnt vmcnt(0)
	v_perm_b32 v3, v1, v3, s10
.LBB956_271:
	s_or_b64 exec, exec, s[8:9]
	v_or_b32_e32 v1, 0x200, v0
	v_cmp_gt_u32_e64 s[8:9], s83, v1
	s_and_saveexec_b64 s[10:11], s[8:9]
	s_cbranch_execz .LBB956_273
; %bb.272:
	v_lshlrev_b32_e32 v1, 1, v0
	global_load_ushort v1, v1, s[78:79] offset:1024
	s_mov_b32 s12, 0xffff
	s_waitcnt vmcnt(0)
	v_bfi_b32 v4, s12, v1, v4
.LBB956_273:
	s_or_b64 exec, exec, s[10:11]
	v_or_b32_e32 v1, 0x280, v0
	v_cmp_gt_u32_e64 s[10:11], s83, v1
	s_and_saveexec_b64 s[12:13], s[10:11]
	;; [unrolled: 24-line block ×7, first 2 shown]
	s_cbranch_execz .LBB956_295
; %bb.294:
	v_lshlrev_b32_e32 v1, 1, v0
	global_load_ushort v1, v1, s[78:79] offset:3840
	s_mov_b32 s36, 0x5040100
	s_waitcnt vmcnt(0)
	v_perm_b32 v9, v1, v9, s36
.LBB956_295:
	s_or_b64 exec, exec, s[34:35]
	v_or_b32_e32 v1, 0x800, v0
	v_cmp_gt_u32_e64 s[34:35], s83, v1
	s_and_saveexec_b64 s[36:37], s[34:35]
	s_cbranch_execz .LBB956_297
; %bb.296:
	v_lshlrev_b32_e32 v1, 1, v1
	global_load_ushort v1, v1, s[78:79]
	s_mov_b32 s38, 0xffff
	s_waitcnt vmcnt(0)
	v_bfi_b32 v10, s38, v1, v10
.LBB956_297:
	s_or_b64 exec, exec, s[36:37]
	v_or_b32_e32 v1, 0x880, v0
	v_cmp_gt_u32_e64 s[36:37], s83, v1
	s_and_saveexec_b64 s[38:39], s[36:37]
	s_cbranch_execz .LBB956_299
; %bb.298:
	v_lshlrev_b32_e32 v1, 1, v1
	global_load_ushort v1, v1, s[78:79]
	s_mov_b32 s40, 0x5040100
	s_waitcnt vmcnt(0)
	v_perm_b32 v10, v1, v10, s40
.LBB956_299:
	s_or_b64 exec, exec, s[38:39]
	v_or_b32_e32 v1, 0x900, v0
	v_cmp_gt_u32_e64 s[38:39], s83, v1
	s_and_saveexec_b64 s[40:41], s[38:39]
	s_cbranch_execz .LBB956_301
; %bb.300:
	v_lshlrev_b32_e32 v1, 1, v1
	global_load_ushort v1, v1, s[78:79]
	s_mov_b32 s42, 0xffff
	s_waitcnt vmcnt(0)
	v_bfi_b32 v11, s42, v1, v11
.LBB956_301:
	s_or_b64 exec, exec, s[40:41]
	v_or_b32_e32 v1, 0x980, v0
	v_cmp_gt_u32_e64 s[40:41], s83, v1
	s_and_saveexec_b64 s[42:43], s[40:41]
	s_cbranch_execz .LBB956_303
; %bb.302:
	v_lshlrev_b32_e32 v1, 1, v1
	global_load_ushort v1, v1, s[78:79]
	s_mov_b32 s44, 0x5040100
	s_waitcnt vmcnt(0)
	v_perm_b32 v11, v1, v11, s44
.LBB956_303:
	;; [unrolled: 24-line block ×7, first 2 shown]
	s_or_b64 exec, exec, s[62:63]
	v_or_b32_e32 v1, 0xf00, v0
	v_cmp_gt_u32_e64 s[62:63], s83, v1
	s_and_saveexec_b64 s[64:65], s[62:63]
	s_cbranch_execz .LBB956_325
; %bb.324:
	v_lshlrev_b32_e32 v1, 1, v1
	global_load_ushort v1, v1, s[78:79]
	s_mov_b32 s80, 0xffff
	s_waitcnt vmcnt(0)
	v_bfi_b32 v17, s80, v1, v17
.LBB956_325:
	s_or_b64 exec, exec, s[64:65]
	v_or_b32_e32 v1, 0xf80, v0
	v_cmp_gt_u32_e64 s[64:65], s83, v1
	s_and_saveexec_b64 s[80:81], s[64:65]
	s_cbranch_execz .LBB956_397
; %bb.326:
	v_lshlrev_b32_e32 v1, 1, v1
	global_load_ushort v1, v1, s[78:79]
	s_mov_b32 s78, 0x5040100
	s_waitcnt vmcnt(0)
	v_perm_b32 v17, v1, v17, s78
	s_or_b64 exec, exec, s[80:81]
	s_and_saveexec_b64 s[78:79], vcc
	s_cbranch_execnz .LBB956_398
.LBB956_327:
	s_or_b64 exec, exec, s[78:79]
	s_and_saveexec_b64 s[78:79], s[4:5]
	s_cbranch_execz .LBB956_399
.LBB956_328:
	s_waitcnt vmcnt(0)
	v_bfe_i32 v18, v2, 0, 16
	v_ashrrev_i32_e32 v19, 31, v18
	v_bfe_i32 v20, v3, 0, 16
	v_lshl_add_u64 v[18:19], v[18:19], 1, s[66:67]
	v_ashrrev_i32_e32 v21, 31, v20
	v_lshl_add_u64 v[18:19], v[20:21], 1, v[18:19]
	global_load_ushort v2, v[18:19], off
	s_or_b64 exec, exec, s[78:79]
	s_and_saveexec_b64 s[4:5], s[6:7]
	s_cbranch_execnz .LBB956_400
.LBB956_329:
	s_or_b64 exec, exec, s[4:5]
	s_and_saveexec_b64 s[4:5], s[8:9]
	s_cbranch_execz .LBB956_401
.LBB956_330:
	s_waitcnt vmcnt(0)
	v_bfe_i32 v2, v2, 0, 16
	v_ashrrev_i32_e32 v3, 31, v2
	v_bfe_i32 v18, v4, 0, 16
	v_lshl_add_u64 v[2:3], v[2:3], 1, s[66:67]
	v_ashrrev_i32_e32 v19, 31, v18
	v_lshl_add_u64 v[2:3], v[18:19], 1, v[2:3]
	global_load_ushort v2, v[2:3], off
	s_or_b64 exec, exec, s[4:5]
	s_and_saveexec_b64 s[4:5], s[10:11]
	s_cbranch_execnz .LBB956_402
.LBB956_331:
	s_or_b64 exec, exec, s[4:5]
	s_and_saveexec_b64 s[4:5], s[12:13]
	s_cbranch_execz .LBB956_403
.LBB956_332:
	s_waitcnt vmcnt(0)
	v_bfe_i32 v2, v2, 0, 16
	v_ashrrev_i32_e32 v3, 31, v2
	v_bfe_i32 v18, v5, 0, 16
	v_lshl_add_u64 v[2:3], v[2:3], 1, s[66:67]
	v_ashrrev_i32_e32 v19, 31, v18
	v_lshl_add_u64 v[2:3], v[18:19], 1, v[2:3]
	global_load_ushort v2, v[2:3], off
	s_or_b64 exec, exec, s[4:5]
	s_and_saveexec_b64 s[4:5], s[14:15]
	s_cbranch_execnz .LBB956_404
.LBB956_333:
	s_or_b64 exec, exec, s[4:5]
	s_and_saveexec_b64 s[4:5], s[16:17]
	s_cbranch_execz .LBB956_405
.LBB956_334:
	s_waitcnt vmcnt(0)
	v_bfe_i32 v2, v2, 0, 16
	v_ashrrev_i32_e32 v3, 31, v2
	v_bfe_i32 v4, v6, 0, 16
	v_lshl_add_u64 v[2:3], v[2:3], 1, s[66:67]
	v_ashrrev_i32_e32 v5, 31, v4
	v_lshl_add_u64 v[2:3], v[4:5], 1, v[2:3]
	global_load_ushort v2, v[2:3], off
	s_or_b64 exec, exec, s[4:5]
	s_and_saveexec_b64 s[4:5], s[18:19]
	s_cbranch_execnz .LBB956_406
.LBB956_335:
	s_or_b64 exec, exec, s[4:5]
	s_and_saveexec_b64 s[4:5], s[20:21]
	s_cbranch_execz .LBB956_407
.LBB956_336:
	s_waitcnt vmcnt(0)
	v_bfe_i32 v2, v2, 0, 16
	v_ashrrev_i32_e32 v3, 31, v2
	v_bfe_i32 v4, v7, 0, 16
	v_lshl_add_u64 v[2:3], v[2:3], 1, s[66:67]
	v_ashrrev_i32_e32 v5, 31, v4
	v_lshl_add_u64 v[2:3], v[4:5], 1, v[2:3]
	global_load_ushort v2, v[2:3], off
	s_or_b64 exec, exec, s[4:5]
	s_and_saveexec_b64 s[4:5], s[22:23]
	s_cbranch_execnz .LBB956_408
.LBB956_337:
	s_or_b64 exec, exec, s[4:5]
	s_and_saveexec_b64 s[4:5], s[24:25]
	s_cbranch_execz .LBB956_409
.LBB956_338:
	s_waitcnt vmcnt(0)
	v_bfe_i32 v2, v2, 0, 16
	v_ashrrev_i32_e32 v3, 31, v2
	v_bfe_i32 v4, v8, 0, 16
	v_lshl_add_u64 v[2:3], v[2:3], 1, s[66:67]
	v_ashrrev_i32_e32 v5, 31, v4
	v_lshl_add_u64 v[2:3], v[4:5], 1, v[2:3]
	global_load_ushort v2, v[2:3], off
	s_or_b64 exec, exec, s[4:5]
	s_and_saveexec_b64 s[4:5], s[26:27]
	s_cbranch_execnz .LBB956_410
.LBB956_339:
	s_or_b64 exec, exec, s[4:5]
	s_and_saveexec_b64 s[4:5], s[28:29]
	s_cbranch_execz .LBB956_411
.LBB956_340:
	s_waitcnt vmcnt(0)
	v_bfe_i32 v2, v2, 0, 16
	v_ashrrev_i32_e32 v3, 31, v2
	v_bfe_i32 v4, v9, 0, 16
	v_lshl_add_u64 v[2:3], v[2:3], 1, s[66:67]
	v_ashrrev_i32_e32 v5, 31, v4
	v_lshl_add_u64 v[2:3], v[4:5], 1, v[2:3]
	global_load_ushort v2, v[2:3], off
	s_or_b64 exec, exec, s[4:5]
	s_and_saveexec_b64 s[4:5], s[30:31]
	s_cbranch_execnz .LBB956_412
.LBB956_341:
	s_or_b64 exec, exec, s[4:5]
	s_and_saveexec_b64 s[4:5], s[34:35]
	s_cbranch_execz .LBB956_413
.LBB956_342:
	s_waitcnt vmcnt(0)
	v_bfe_i32 v2, v2, 0, 16
	v_ashrrev_i32_e32 v3, 31, v2
	v_bfe_i32 v4, v10, 0, 16
	v_lshl_add_u64 v[2:3], v[2:3], 1, s[66:67]
	v_ashrrev_i32_e32 v5, 31, v4
	v_lshl_add_u64 v[2:3], v[4:5], 1, v[2:3]
	global_load_ushort v2, v[2:3], off
	s_or_b64 exec, exec, s[4:5]
	s_and_saveexec_b64 s[4:5], s[36:37]
	s_cbranch_execnz .LBB956_414
.LBB956_343:
	s_or_b64 exec, exec, s[4:5]
	s_and_saveexec_b64 s[4:5], s[38:39]
	s_cbranch_execz .LBB956_415
.LBB956_344:
	s_waitcnt vmcnt(0)
	v_bfe_i32 v2, v2, 0, 16
	v_ashrrev_i32_e32 v3, 31, v2
	v_bfe_i32 v4, v11, 0, 16
	v_lshl_add_u64 v[2:3], v[2:3], 1, s[66:67]
	v_ashrrev_i32_e32 v5, 31, v4
	v_lshl_add_u64 v[2:3], v[4:5], 1, v[2:3]
	global_load_ushort v2, v[2:3], off
	s_or_b64 exec, exec, s[4:5]
	s_and_saveexec_b64 s[4:5], s[40:41]
	s_cbranch_execnz .LBB956_416
.LBB956_345:
	s_or_b64 exec, exec, s[4:5]
	s_and_saveexec_b64 s[4:5], s[42:43]
	s_cbranch_execz .LBB956_417
.LBB956_346:
	s_waitcnt vmcnt(0)
	v_bfe_i32 v2, v2, 0, 16
	v_ashrrev_i32_e32 v3, 31, v2
	v_bfe_i32 v4, v12, 0, 16
	v_lshl_add_u64 v[2:3], v[2:3], 1, s[66:67]
	v_ashrrev_i32_e32 v5, 31, v4
	v_lshl_add_u64 v[2:3], v[4:5], 1, v[2:3]
	global_load_ushort v2, v[2:3], off
	s_or_b64 exec, exec, s[4:5]
	s_and_saveexec_b64 s[4:5], s[44:45]
	s_cbranch_execnz .LBB956_418
.LBB956_347:
	s_or_b64 exec, exec, s[4:5]
	s_and_saveexec_b64 s[4:5], s[46:47]
	s_cbranch_execz .LBB956_419
.LBB956_348:
	s_waitcnt vmcnt(0)
	v_bfe_i32 v2, v2, 0, 16
	v_ashrrev_i32_e32 v3, 31, v2
	v_bfe_i32 v4, v13, 0, 16
	v_lshl_add_u64 v[2:3], v[2:3], 1, s[66:67]
	v_ashrrev_i32_e32 v5, 31, v4
	v_lshl_add_u64 v[2:3], v[4:5], 1, v[2:3]
	global_load_ushort v2, v[2:3], off
	s_or_b64 exec, exec, s[4:5]
	s_and_saveexec_b64 s[4:5], s[48:49]
	s_cbranch_execnz .LBB956_420
.LBB956_349:
	s_or_b64 exec, exec, s[4:5]
	s_and_saveexec_b64 s[4:5], s[50:51]
	s_cbranch_execz .LBB956_421
.LBB956_350:
	s_waitcnt vmcnt(0)
	v_bfe_i32 v2, v2, 0, 16
	v_ashrrev_i32_e32 v3, 31, v2
	v_bfe_i32 v4, v14, 0, 16
	v_lshl_add_u64 v[2:3], v[2:3], 1, s[66:67]
	v_ashrrev_i32_e32 v5, 31, v4
	v_lshl_add_u64 v[2:3], v[4:5], 1, v[2:3]
	global_load_ushort v2, v[2:3], off
	s_or_b64 exec, exec, s[4:5]
	s_and_saveexec_b64 s[4:5], s[52:53]
	s_cbranch_execnz .LBB956_422
.LBB956_351:
	s_or_b64 exec, exec, s[4:5]
	s_and_saveexec_b64 s[4:5], s[54:55]
	s_cbranch_execz .LBB956_423
.LBB956_352:
	s_waitcnt vmcnt(0)
	v_bfe_i32 v2, v2, 0, 16
	v_ashrrev_i32_e32 v3, 31, v2
	v_bfe_i32 v4, v15, 0, 16
	v_lshl_add_u64 v[2:3], v[2:3], 1, s[66:67]
	v_ashrrev_i32_e32 v5, 31, v4
	v_lshl_add_u64 v[2:3], v[4:5], 1, v[2:3]
	global_load_ushort v2, v[2:3], off
	s_or_b64 exec, exec, s[4:5]
	s_and_saveexec_b64 s[4:5], s[56:57]
	s_cbranch_execnz .LBB956_424
.LBB956_353:
	s_or_b64 exec, exec, s[4:5]
	s_and_saveexec_b64 s[4:5], s[58:59]
	s_cbranch_execz .LBB956_425
.LBB956_354:
	s_waitcnt vmcnt(0)
	v_bfe_i32 v2, v2, 0, 16
	v_ashrrev_i32_e32 v3, 31, v2
	v_bfe_i32 v4, v16, 0, 16
	v_lshl_add_u64 v[2:3], v[2:3], 1, s[66:67]
	v_ashrrev_i32_e32 v5, 31, v4
	v_lshl_add_u64 v[2:3], v[4:5], 1, v[2:3]
	global_load_ushort v2, v[2:3], off
	s_or_b64 exec, exec, s[4:5]
	s_and_saveexec_b64 s[4:5], s[60:61]
	s_cbranch_execnz .LBB956_426
.LBB956_355:
	s_or_b64 exec, exec, s[4:5]
	s_and_saveexec_b64 s[4:5], s[62:63]
	s_cbranch_execz .LBB956_427
.LBB956_356:
	s_waitcnt vmcnt(0)
	v_bfe_i32 v2, v2, 0, 16
	v_ashrrev_i32_e32 v3, 31, v2
	v_bfe_i32 v4, v17, 0, 16
	v_lshl_add_u64 v[2:3], v[2:3], 1, s[66:67]
	v_ashrrev_i32_e32 v5, 31, v4
	v_lshl_add_u64 v[2:3], v[4:5], 1, v[2:3]
	global_load_ushort v2, v[2:3], off
	s_or_b64 exec, exec, s[4:5]
	s_and_saveexec_b64 s[4:5], s[64:65]
	s_cbranch_execnz .LBB956_428
	s_branch .LBB956_429
.LBB956_357:
	s_or_b64 exec, exec, s[42:43]
	s_and_saveexec_b64 s[42:43], s[50:51]
	s_cbranch_execz .LBB956_198
.LBB956_358:
	s_waitcnt vmcnt(0)
	v_bfe_i32 v2, v2, 0, 16
	v_ashrrev_i32_e32 v3, 31, v2
	v_bfe_i32 v4, v14, 0, 16
	v_lshl_add_u64 v[2:3], v[2:3], 1, s[66:67]
	v_ashrrev_i32_e32 v5, 31, v4
	v_lshl_add_u64 v[2:3], v[4:5], 1, v[2:3]
	global_load_ushort v2, v[2:3], off
	s_or_b64 exec, exec, s[42:43]
	s_and_saveexec_b64 s[42:43], s[52:53]
	s_cbranch_execnz .LBB956_199
.LBB956_359:
	s_or_b64 exec, exec, s[42:43]
	s_and_saveexec_b64 s[42:43], s[54:55]
	s_cbranch_execz .LBB956_200
.LBB956_360:
	s_waitcnt vmcnt(0)
	v_bfe_i32 v2, v2, 0, 16
	v_ashrrev_i32_e32 v3, 31, v2
	v_bfe_i32 v4, v15, 0, 16
	v_lshl_add_u64 v[2:3], v[2:3], 1, s[66:67]
	v_ashrrev_i32_e32 v5, 31, v4
	v_lshl_add_u64 v[2:3], v[4:5], 1, v[2:3]
	global_load_ushort v2, v[2:3], off
	s_or_b64 exec, exec, s[42:43]
	s_and_saveexec_b64 s[42:43], s[56:57]
	s_cbranch_execnz .LBB956_201
.LBB956_361:
	s_or_b64 exec, exec, s[42:43]
	s_and_saveexec_b64 s[42:43], s[58:59]
	s_cbranch_execz .LBB956_202
.LBB956_362:
	s_waitcnt vmcnt(0)
	v_bfe_i32 v2, v2, 0, 16
	v_ashrrev_i32_e32 v3, 31, v2
	v_bfe_i32 v4, v16, 0, 16
	v_lshl_add_u64 v[2:3], v[2:3], 1, s[66:67]
	v_ashrrev_i32_e32 v5, 31, v4
	v_lshl_add_u64 v[2:3], v[4:5], 1, v[2:3]
	global_load_ushort v2, v[2:3], off
	s_or_b64 exec, exec, s[42:43]
	s_and_saveexec_b64 s[42:43], s[60:61]
	s_cbranch_execnz .LBB956_203
.LBB956_363:
	s_or_b64 exec, exec, s[42:43]
	s_and_saveexec_b64 s[42:43], s[62:63]
	s_cbranch_execz .LBB956_204
.LBB956_364:
	s_waitcnt vmcnt(0)
	v_bfe_i32 v2, v2, 0, 16
	v_ashrrev_i32_e32 v3, 31, v2
	v_bfe_i32 v4, v17, 0, 16
	v_lshl_add_u64 v[2:3], v[2:3], 1, s[66:67]
	v_ashrrev_i32_e32 v5, 31, v4
	v_lshl_add_u64 v[2:3], v[4:5], 1, v[2:3]
	global_load_ushort v2, v[2:3], off
	s_or_b64 exec, exec, s[42:43]
	s_and_saveexec_b64 s[42:43], s[64:65]
	s_cbranch_execnz .LBB956_205
.LBB956_365:
	s_or_b64 exec, exec, s[42:43]
	s_and_saveexec_b64 s[42:43], s[38:39]
	s_cbranch_execz .LBB956_206
.LBB956_366:
	s_waitcnt vmcnt(0)
	v_bfe_i32 v2, v2, 0, 16
	v_ashrrev_i32_e32 v3, 31, v2
	v_bfe_i32 v4, v18, 0, 16
	v_lshl_add_u64 v[2:3], v[2:3], 1, s[66:67]
	v_ashrrev_i32_e32 v5, 31, v4
	v_lshl_add_u64 v[2:3], v[4:5], 1, v[2:3]
	global_load_ushort v2, v[2:3], off
	s_or_b64 exec, exec, s[42:43]
	s_and_saveexec_b64 s[38:39], s[34:35]
	s_cbranch_execnz .LBB956_207
.LBB956_367:
	s_or_b64 exec, exec, s[38:39]
	s_and_saveexec_b64 s[34:35], s[36:37]
	s_cbranch_execz .LBB956_208
.LBB956_368:
	s_waitcnt vmcnt(0)
	v_bfe_i32 v2, v2, 0, 16
	v_ashrrev_i32_e32 v3, 31, v2
	v_bfe_i32 v4, v19, 0, 16
	v_lshl_add_u64 v[2:3], v[2:3], 1, s[66:67]
	v_ashrrev_i32_e32 v5, 31, v4
	v_lshl_add_u64 v[2:3], v[4:5], 1, v[2:3]
	global_load_ushort v2, v[2:3], off
	s_or_b64 exec, exec, s[34:35]
	s_and_saveexec_b64 s[34:35], s[72:73]
	s_cbranch_execnz .LBB956_209
.LBB956_369:
	s_or_b64 exec, exec, s[34:35]
	s_and_saveexec_b64 s[34:35], s[74:75]
	s_cbranch_execz .LBB956_210
.LBB956_370:
	s_waitcnt vmcnt(0)
	v_bfe_i32 v2, v2, 0, 16
	v_ashrrev_i32_e32 v3, 31, v2
	v_bfe_i32 v4, v20, 0, 16
	v_lshl_add_u64 v[2:3], v[2:3], 1, s[66:67]
	v_ashrrev_i32_e32 v5, 31, v4
	v_lshl_add_u64 v[2:3], v[4:5], 1, v[2:3]
	global_load_ushort v2, v[2:3], off
	s_or_b64 exec, exec, s[34:35]
	s_and_saveexec_b64 s[34:35], s[76:77]
	s_cbranch_execnz .LBB956_211
.LBB956_371:
	s_or_b64 exec, exec, s[34:35]
	s_and_saveexec_b64 s[34:35], s[78:79]
	s_cbranch_execz .LBB956_212
.LBB956_372:
	s_waitcnt vmcnt(0)
	v_bfe_i32 v2, v2, 0, 16
	v_ashrrev_i32_e32 v3, 31, v2
	v_bfe_i32 v4, v21, 0, 16
	v_lshl_add_u64 v[2:3], v[2:3], 1, s[66:67]
	v_ashrrev_i32_e32 v5, 31, v4
	v_lshl_add_u64 v[2:3], v[4:5], 1, v[2:3]
	global_load_ushort v2, v[2:3], off
	s_or_b64 exec, exec, s[34:35]
	s_and_saveexec_b64 s[34:35], s[80:81]
	s_cbranch_execnz .LBB956_213
.LBB956_373:
	s_or_b64 exec, exec, s[34:35]
	s_and_saveexec_b64 s[34:35], s[46:47]
	s_cbranch_execz .LBB956_214
.LBB956_374:
	s_waitcnt vmcnt(0)
	v_bfe_i32 v2, v2, 0, 16
	v_ashrrev_i32_e32 v3, 31, v2
	v_bfe_i32 v4, v22, 0, 16
	v_lshl_add_u64 v[2:3], v[2:3], 1, s[66:67]
	v_ashrrev_i32_e32 v5, 31, v4
	v_lshl_add_u64 v[2:3], v[4:5], 1, v[2:3]
	global_load_ushort v2, v[2:3], off
	s_or_b64 exec, exec, s[34:35]
	s_and_saveexec_b64 s[34:35], s[84:85]
	s_cbranch_execnz .LBB956_215
.LBB956_375:
	s_or_b64 exec, exec, s[34:35]
	s_and_saveexec_b64 s[34:35], s[86:87]
	s_cbranch_execz .LBB956_216
.LBB956_376:
	s_waitcnt vmcnt(0)
	v_bfe_i32 v2, v2, 0, 16
	v_ashrrev_i32_e32 v3, 31, v2
	v_bfe_i32 v4, v23, 0, 16
	v_lshl_add_u64 v[2:3], v[2:3], 1, s[66:67]
	v_ashrrev_i32_e32 v5, 31, v4
	v_lshl_add_u64 v[2:3], v[4:5], 1, v[2:3]
	global_load_ushort v2, v[2:3], off
	s_or_b64 exec, exec, s[34:35]
	s_and_saveexec_b64 s[34:35], s[88:89]
	s_cbranch_execnz .LBB956_217
.LBB956_377:
	s_or_b64 exec, exec, s[34:35]
	s_and_saveexec_b64 s[34:35], s[90:91]
	s_cbranch_execz .LBB956_218
.LBB956_378:
	s_waitcnt vmcnt(0)
	v_bfe_i32 v2, v2, 0, 16
	v_ashrrev_i32_e32 v3, 31, v2
	v_bfe_i32 v4, v24, 0, 16
	v_lshl_add_u64 v[2:3], v[2:3], 1, s[66:67]
	v_ashrrev_i32_e32 v5, 31, v4
	v_lshl_add_u64 v[2:3], v[4:5], 1, v[2:3]
	global_load_ushort v2, v[2:3], off
	s_or_b64 exec, exec, s[34:35]
	s_and_saveexec_b64 s[34:35], s[92:93]
	s_cbranch_execnz .LBB956_219
.LBB956_379:
	s_or_b64 exec, exec, s[34:35]
	s_and_saveexec_b64 s[34:35], s[94:95]
	s_cbranch_execz .LBB956_220
.LBB956_380:
	s_waitcnt vmcnt(0)
	v_bfe_i32 v2, v2, 0, 16
	v_ashrrev_i32_e32 v3, 31, v2
	v_bfe_i32 v4, v25, 0, 16
	v_lshl_add_u64 v[2:3], v[2:3], 1, s[66:67]
	v_ashrrev_i32_e32 v5, 31, v4
	v_lshl_add_u64 v[2:3], v[4:5], 1, v[2:3]
	global_load_ushort v2, v[2:3], off
	s_or_b64 exec, exec, s[34:35]
	s_and_saveexec_b64 s[34:35], s[96:97]
	s_cbranch_execnz .LBB956_221
.LBB956_381:
	s_or_b64 exec, exec, s[34:35]
	s_and_saveexec_b64 s[34:35], s[98:99]
	s_cbranch_execz .LBB956_222
.LBB956_382:
	s_waitcnt vmcnt(0)
	v_bfe_i32 v2, v2, 0, 16
	v_ashrrev_i32_e32 v3, 31, v2
	v_bfe_i32 v4, v26, 0, 16
	v_lshl_add_u64 v[2:3], v[2:3], 1, s[66:67]
	v_ashrrev_i32_e32 v5, 31, v4
	v_lshl_add_u64 v[2:3], v[4:5], 1, v[2:3]
	global_load_ushort v2, v[2:3], off
	s_or_b64 exec, exec, s[34:35]
	s_and_saveexec_b64 s[34:35], s[4:5]
	s_cbranch_execnz .LBB956_223
.LBB956_383:
	s_or_b64 exec, exec, s[34:35]
	s_and_saveexec_b64 s[4:5], s[6:7]
	s_cbranch_execz .LBB956_224
.LBB956_384:
	s_waitcnt vmcnt(0)
	v_bfe_i32 v2, v2, 0, 16
	v_ashrrev_i32_e32 v3, 31, v2
	v_bfe_i32 v4, v27, 0, 16
	v_lshl_add_u64 v[2:3], v[2:3], 1, s[66:67]
	v_ashrrev_i32_e32 v5, 31, v4
	v_lshl_add_u64 v[2:3], v[4:5], 1, v[2:3]
	global_load_ushort v2, v[2:3], off
	s_or_b64 exec, exec, s[4:5]
	s_and_saveexec_b64 s[4:5], s[8:9]
	s_cbranch_execnz .LBB956_225
.LBB956_385:
	s_or_b64 exec, exec, s[4:5]
	s_and_saveexec_b64 s[4:5], s[10:11]
	s_cbranch_execz .LBB956_226
.LBB956_386:
	s_waitcnt vmcnt(0)
	v_bfe_i32 v2, v2, 0, 16
	v_ashrrev_i32_e32 v3, 31, v2
	v_bfe_i32 v4, v28, 0, 16
	v_lshl_add_u64 v[2:3], v[2:3], 1, s[66:67]
	v_ashrrev_i32_e32 v5, 31, v4
	v_lshl_add_u64 v[2:3], v[4:5], 1, v[2:3]
	global_load_ushort v2, v[2:3], off
	s_or_b64 exec, exec, s[4:5]
	s_and_saveexec_b64 s[4:5], s[12:13]
	s_cbranch_execnz .LBB956_227
.LBB956_387:
	s_or_b64 exec, exec, s[4:5]
	s_and_saveexec_b64 s[4:5], s[14:15]
	s_cbranch_execz .LBB956_228
.LBB956_388:
	s_waitcnt vmcnt(0)
	v_bfe_i32 v2, v2, 0, 16
	v_ashrrev_i32_e32 v3, 31, v2
	v_bfe_i32 v4, v29, 0, 16
	v_lshl_add_u64 v[2:3], v[2:3], 1, s[66:67]
	v_ashrrev_i32_e32 v5, 31, v4
	v_lshl_add_u64 v[2:3], v[4:5], 1, v[2:3]
	global_load_ushort v2, v[2:3], off
	s_or_b64 exec, exec, s[4:5]
	s_and_saveexec_b64 s[4:5], s[16:17]
	s_cbranch_execnz .LBB956_229
.LBB956_389:
	s_or_b64 exec, exec, s[4:5]
	s_and_saveexec_b64 s[4:5], s[18:19]
	s_cbranch_execz .LBB956_230
.LBB956_390:
	s_waitcnt vmcnt(0)
	v_bfe_i32 v2, v2, 0, 16
	v_ashrrev_i32_e32 v3, 31, v2
	v_bfe_i32 v4, v30, 0, 16
	v_lshl_add_u64 v[2:3], v[2:3], 1, s[66:67]
	v_ashrrev_i32_e32 v5, 31, v4
	v_lshl_add_u64 v[2:3], v[4:5], 1, v[2:3]
	global_load_ushort v2, v[2:3], off
	s_or_b64 exec, exec, s[4:5]
	s_and_saveexec_b64 s[4:5], s[20:21]
	s_cbranch_execnz .LBB956_231
.LBB956_391:
	s_or_b64 exec, exec, s[4:5]
	s_and_saveexec_b64 s[4:5], s[22:23]
	s_cbranch_execz .LBB956_232
.LBB956_392:
	s_waitcnt vmcnt(0)
	v_bfe_i32 v2, v2, 0, 16
	v_ashrrev_i32_e32 v3, 31, v2
	v_bfe_i32 v4, v31, 0, 16
	v_lshl_add_u64 v[2:3], v[2:3], 1, s[66:67]
	v_ashrrev_i32_e32 v5, 31, v4
	v_lshl_add_u64 v[2:3], v[4:5], 1, v[2:3]
	global_load_ushort v2, v[2:3], off
	s_or_b64 exec, exec, s[4:5]
	s_and_saveexec_b64 s[4:5], s[24:25]
	s_cbranch_execnz .LBB956_233
.LBB956_393:
	s_or_b64 exec, exec, s[4:5]
	s_and_saveexec_b64 s[4:5], s[26:27]
	s_cbranch_execz .LBB956_234
.LBB956_394:
	s_waitcnt vmcnt(0)
	v_bfe_i32 v2, v2, 0, 16
	v_ashrrev_i32_e32 v3, 31, v2
	v_bfe_i32 v4, v32, 0, 16
	v_lshl_add_u64 v[2:3], v[2:3], 1, s[66:67]
	v_ashrrev_i32_e32 v5, 31, v4
	v_lshl_add_u64 v[2:3], v[4:5], 1, v[2:3]
	global_load_ushort v2, v[2:3], off
	s_or_b64 exec, exec, s[4:5]
	s_and_saveexec_b64 s[4:5], s[28:29]
	s_cbranch_execnz .LBB956_235
.LBB956_395:
	s_or_b64 exec, exec, s[4:5]
	s_and_saveexec_b64 s[4:5], s[30:31]
	s_cbranch_execz .LBB956_236
.LBB956_396:
	s_waitcnt vmcnt(0)
	v_bfe_i32 v2, v2, 0, 16
	v_ashrrev_i32_e32 v3, 31, v2
	v_bfe_i32 v4, v33, 0, 16
	v_lshl_add_u64 v[2:3], v[2:3], 1, s[66:67]
	v_ashrrev_i32_e32 v5, 31, v4
	v_lshl_add_u64 v[2:3], v[4:5], 1, v[2:3]
	global_load_ushort v2, v[2:3], off
	s_or_b64 exec, exec, s[4:5]
	s_and_saveexec_b64 s[4:5], vcc
	s_cbranch_execnz .LBB956_237
	s_branch .LBB956_238
.LBB956_397:
	s_or_b64 exec, exec, s[80:81]
	s_and_saveexec_b64 s[78:79], vcc
	s_cbranch_execz .LBB956_327
.LBB956_398:
	v_bfe_i32 v18, v2, 0, 16
	v_lshrrev_b32_e32 v1, 16, v2
	v_ashrrev_i32_e32 v19, 31, v18
	v_bfe_i32 v20, v1, 0, 16
	v_lshl_add_u64 v[18:19], v[18:19], 1, s[66:67]
	v_ashrrev_i32_e32 v21, 31, v20
	v_lshl_add_u64 v[18:19], v[20:21], 1, v[18:19]
	global_load_ushort v2, v[18:19], off
	s_or_b64 exec, exec, s[78:79]
	s_and_saveexec_b64 s[78:79], s[4:5]
	s_cbranch_execnz .LBB956_328
.LBB956_399:
	s_or_b64 exec, exec, s[78:79]
	s_and_saveexec_b64 s[4:5], s[6:7]
	s_cbranch_execz .LBB956_329
.LBB956_400:
	s_waitcnt vmcnt(0)
	v_bfe_i32 v18, v2, 0, 16
	v_lshrrev_b32_e32 v1, 16, v3
	v_ashrrev_i32_e32 v19, 31, v18
	v_bfe_i32 v2, v1, 0, 16
	v_lshl_add_u64 v[18:19], v[18:19], 1, s[66:67]
	v_ashrrev_i32_e32 v3, 31, v2
	v_lshl_add_u64 v[2:3], v[2:3], 1, v[18:19]
	global_load_ushort v2, v[2:3], off
	s_or_b64 exec, exec, s[4:5]
	s_and_saveexec_b64 s[4:5], s[8:9]
	s_cbranch_execnz .LBB956_330
.LBB956_401:
	s_or_b64 exec, exec, s[4:5]
	s_and_saveexec_b64 s[4:5], s[10:11]
	s_cbranch_execz .LBB956_331
.LBB956_402:
	s_waitcnt vmcnt(0)
	v_bfe_i32 v2, v2, 0, 16
	v_lshrrev_b32_e32 v1, 16, v4
	v_ashrrev_i32_e32 v3, 31, v2
	v_bfe_i32 v18, v1, 0, 16
	v_lshl_add_u64 v[2:3], v[2:3], 1, s[66:67]
	v_ashrrev_i32_e32 v19, 31, v18
	v_lshl_add_u64 v[2:3], v[18:19], 1, v[2:3]
	global_load_ushort v2, v[2:3], off
	s_or_b64 exec, exec, s[4:5]
	s_and_saveexec_b64 s[4:5], s[12:13]
	s_cbranch_execnz .LBB956_332
.LBB956_403:
	s_or_b64 exec, exec, s[4:5]
	s_and_saveexec_b64 s[4:5], s[14:15]
	s_cbranch_execz .LBB956_333
.LBB956_404:
	s_waitcnt vmcnt(0)
	v_bfe_i32 v2, v2, 0, 16
	v_lshrrev_b32_e32 v1, 16, v5
	v_ashrrev_i32_e32 v3, 31, v2
	v_bfe_i32 v4, v1, 0, 16
	v_lshl_add_u64 v[2:3], v[2:3], 1, s[66:67]
	v_ashrrev_i32_e32 v5, 31, v4
	v_lshl_add_u64 v[2:3], v[4:5], 1, v[2:3]
	global_load_ushort v2, v[2:3], off
	s_or_b64 exec, exec, s[4:5]
	s_and_saveexec_b64 s[4:5], s[16:17]
	s_cbranch_execnz .LBB956_334
.LBB956_405:
	s_or_b64 exec, exec, s[4:5]
	s_and_saveexec_b64 s[4:5], s[18:19]
	s_cbranch_execz .LBB956_335
.LBB956_406:
	s_waitcnt vmcnt(0)
	v_bfe_i32 v2, v2, 0, 16
	v_lshrrev_b32_e32 v1, 16, v6
	v_ashrrev_i32_e32 v3, 31, v2
	v_bfe_i32 v4, v1, 0, 16
	v_lshl_add_u64 v[2:3], v[2:3], 1, s[66:67]
	v_ashrrev_i32_e32 v5, 31, v4
	v_lshl_add_u64 v[2:3], v[4:5], 1, v[2:3]
	global_load_ushort v2, v[2:3], off
	s_or_b64 exec, exec, s[4:5]
	s_and_saveexec_b64 s[4:5], s[20:21]
	s_cbranch_execnz .LBB956_336
.LBB956_407:
	s_or_b64 exec, exec, s[4:5]
	s_and_saveexec_b64 s[4:5], s[22:23]
	s_cbranch_execz .LBB956_337
.LBB956_408:
	s_waitcnt vmcnt(0)
	v_bfe_i32 v2, v2, 0, 16
	v_lshrrev_b32_e32 v1, 16, v7
	v_ashrrev_i32_e32 v3, 31, v2
	v_bfe_i32 v4, v1, 0, 16
	v_lshl_add_u64 v[2:3], v[2:3], 1, s[66:67]
	v_ashrrev_i32_e32 v5, 31, v4
	v_lshl_add_u64 v[2:3], v[4:5], 1, v[2:3]
	global_load_ushort v2, v[2:3], off
	s_or_b64 exec, exec, s[4:5]
	s_and_saveexec_b64 s[4:5], s[24:25]
	s_cbranch_execnz .LBB956_338
.LBB956_409:
	s_or_b64 exec, exec, s[4:5]
	s_and_saveexec_b64 s[4:5], s[26:27]
	s_cbranch_execz .LBB956_339
.LBB956_410:
	s_waitcnt vmcnt(0)
	v_bfe_i32 v2, v2, 0, 16
	v_lshrrev_b32_e32 v1, 16, v8
	v_ashrrev_i32_e32 v3, 31, v2
	v_bfe_i32 v4, v1, 0, 16
	v_lshl_add_u64 v[2:3], v[2:3], 1, s[66:67]
	v_ashrrev_i32_e32 v5, 31, v4
	v_lshl_add_u64 v[2:3], v[4:5], 1, v[2:3]
	global_load_ushort v2, v[2:3], off
	s_or_b64 exec, exec, s[4:5]
	s_and_saveexec_b64 s[4:5], s[28:29]
	s_cbranch_execnz .LBB956_340
.LBB956_411:
	s_or_b64 exec, exec, s[4:5]
	s_and_saveexec_b64 s[4:5], s[30:31]
	s_cbranch_execz .LBB956_341
.LBB956_412:
	s_waitcnt vmcnt(0)
	v_bfe_i32 v2, v2, 0, 16
	v_lshrrev_b32_e32 v1, 16, v9
	v_ashrrev_i32_e32 v3, 31, v2
	v_bfe_i32 v4, v1, 0, 16
	v_lshl_add_u64 v[2:3], v[2:3], 1, s[66:67]
	v_ashrrev_i32_e32 v5, 31, v4
	v_lshl_add_u64 v[2:3], v[4:5], 1, v[2:3]
	global_load_ushort v2, v[2:3], off
	s_or_b64 exec, exec, s[4:5]
	s_and_saveexec_b64 s[4:5], s[34:35]
	s_cbranch_execnz .LBB956_342
.LBB956_413:
	s_or_b64 exec, exec, s[4:5]
	s_and_saveexec_b64 s[4:5], s[36:37]
	s_cbranch_execz .LBB956_343
.LBB956_414:
	s_waitcnt vmcnt(0)
	v_bfe_i32 v2, v2, 0, 16
	v_lshrrev_b32_e32 v1, 16, v10
	v_ashrrev_i32_e32 v3, 31, v2
	v_bfe_i32 v4, v1, 0, 16
	v_lshl_add_u64 v[2:3], v[2:3], 1, s[66:67]
	v_ashrrev_i32_e32 v5, 31, v4
	v_lshl_add_u64 v[2:3], v[4:5], 1, v[2:3]
	global_load_ushort v2, v[2:3], off
	s_or_b64 exec, exec, s[4:5]
	s_and_saveexec_b64 s[4:5], s[38:39]
	s_cbranch_execnz .LBB956_344
.LBB956_415:
	s_or_b64 exec, exec, s[4:5]
	s_and_saveexec_b64 s[4:5], s[40:41]
	s_cbranch_execz .LBB956_345
.LBB956_416:
	s_waitcnt vmcnt(0)
	v_bfe_i32 v2, v2, 0, 16
	v_lshrrev_b32_e32 v1, 16, v11
	v_ashrrev_i32_e32 v3, 31, v2
	v_bfe_i32 v4, v1, 0, 16
	v_lshl_add_u64 v[2:3], v[2:3], 1, s[66:67]
	v_ashrrev_i32_e32 v5, 31, v4
	v_lshl_add_u64 v[2:3], v[4:5], 1, v[2:3]
	global_load_ushort v2, v[2:3], off
	s_or_b64 exec, exec, s[4:5]
	s_and_saveexec_b64 s[4:5], s[42:43]
	s_cbranch_execnz .LBB956_346
.LBB956_417:
	s_or_b64 exec, exec, s[4:5]
	s_and_saveexec_b64 s[4:5], s[44:45]
	s_cbranch_execz .LBB956_347
.LBB956_418:
	s_waitcnt vmcnt(0)
	v_bfe_i32 v2, v2, 0, 16
	v_lshrrev_b32_e32 v1, 16, v12
	v_ashrrev_i32_e32 v3, 31, v2
	v_bfe_i32 v4, v1, 0, 16
	v_lshl_add_u64 v[2:3], v[2:3], 1, s[66:67]
	v_ashrrev_i32_e32 v5, 31, v4
	v_lshl_add_u64 v[2:3], v[4:5], 1, v[2:3]
	global_load_ushort v2, v[2:3], off
	s_or_b64 exec, exec, s[4:5]
	s_and_saveexec_b64 s[4:5], s[46:47]
	s_cbranch_execnz .LBB956_348
.LBB956_419:
	s_or_b64 exec, exec, s[4:5]
	s_and_saveexec_b64 s[4:5], s[48:49]
	s_cbranch_execz .LBB956_349
.LBB956_420:
	s_waitcnt vmcnt(0)
	v_bfe_i32 v2, v2, 0, 16
	v_lshrrev_b32_e32 v1, 16, v13
	v_ashrrev_i32_e32 v3, 31, v2
	v_bfe_i32 v4, v1, 0, 16
	v_lshl_add_u64 v[2:3], v[2:3], 1, s[66:67]
	v_ashrrev_i32_e32 v5, 31, v4
	v_lshl_add_u64 v[2:3], v[4:5], 1, v[2:3]
	global_load_ushort v2, v[2:3], off
	s_or_b64 exec, exec, s[4:5]
	s_and_saveexec_b64 s[4:5], s[50:51]
	s_cbranch_execnz .LBB956_350
.LBB956_421:
	s_or_b64 exec, exec, s[4:5]
	s_and_saveexec_b64 s[4:5], s[52:53]
	s_cbranch_execz .LBB956_351
.LBB956_422:
	s_waitcnt vmcnt(0)
	v_bfe_i32 v2, v2, 0, 16
	v_lshrrev_b32_e32 v1, 16, v14
	v_ashrrev_i32_e32 v3, 31, v2
	v_bfe_i32 v4, v1, 0, 16
	v_lshl_add_u64 v[2:3], v[2:3], 1, s[66:67]
	v_ashrrev_i32_e32 v5, 31, v4
	v_lshl_add_u64 v[2:3], v[4:5], 1, v[2:3]
	global_load_ushort v2, v[2:3], off
	s_or_b64 exec, exec, s[4:5]
	s_and_saveexec_b64 s[4:5], s[54:55]
	s_cbranch_execnz .LBB956_352
.LBB956_423:
	s_or_b64 exec, exec, s[4:5]
	s_and_saveexec_b64 s[4:5], s[56:57]
	s_cbranch_execz .LBB956_353
.LBB956_424:
	s_waitcnt vmcnt(0)
	v_bfe_i32 v2, v2, 0, 16
	v_lshrrev_b32_e32 v1, 16, v15
	v_ashrrev_i32_e32 v3, 31, v2
	v_bfe_i32 v4, v1, 0, 16
	v_lshl_add_u64 v[2:3], v[2:3], 1, s[66:67]
	v_ashrrev_i32_e32 v5, 31, v4
	v_lshl_add_u64 v[2:3], v[4:5], 1, v[2:3]
	global_load_ushort v2, v[2:3], off
	s_or_b64 exec, exec, s[4:5]
	s_and_saveexec_b64 s[4:5], s[58:59]
	s_cbranch_execnz .LBB956_354
.LBB956_425:
	s_or_b64 exec, exec, s[4:5]
	s_and_saveexec_b64 s[4:5], s[60:61]
	s_cbranch_execz .LBB956_355
.LBB956_426:
	s_waitcnt vmcnt(0)
	v_bfe_i32 v2, v2, 0, 16
	v_lshrrev_b32_e32 v1, 16, v16
	v_ashrrev_i32_e32 v3, 31, v2
	v_bfe_i32 v4, v1, 0, 16
	v_lshl_add_u64 v[2:3], v[2:3], 1, s[66:67]
	v_ashrrev_i32_e32 v5, 31, v4
	v_lshl_add_u64 v[2:3], v[4:5], 1, v[2:3]
	global_load_ushort v2, v[2:3], off
	s_or_b64 exec, exec, s[4:5]
	s_and_saveexec_b64 s[4:5], s[62:63]
	s_cbranch_execnz .LBB956_356
.LBB956_427:
	s_or_b64 exec, exec, s[4:5]
	s_and_saveexec_b64 s[4:5], s[64:65]
	s_cbranch_execz .LBB956_429
.LBB956_428:
	s_waitcnt vmcnt(0)
	v_bfe_i32 v2, v2, 0, 16
	v_lshrrev_b32_e32 v1, 16, v17
	v_ashrrev_i32_e32 v3, 31, v2
	v_bfe_i32 v4, v1, 0, 16
	v_lshl_add_u64 v[2:3], v[2:3], 1, s[66:67]
	v_ashrrev_i32_e32 v5, 31, v4
	v_lshl_add_u64 v[2:3], v[4:5], 1, v[2:3]
	global_load_ushort v2, v[2:3], off
.LBB956_429:
	s_or_b64 exec, exec, s[4:5]
	v_mbcnt_lo_u32_b32 v1, -1, 0
	v_mbcnt_hi_u32_b32 v1, -1, v1
	v_and_b32_e32 v3, 63, v1
	v_cmp_ne_u32_e32 vcc, 63, v3
	s_waitcnt vmcnt(0)
	v_and_b32_e32 v6, 0xffff, v2
	s_min_u32 s6, s83, 0x80
	v_addc_co_u32_e32 v4, vcc, 0, v1, vcc
	v_lshlrev_b32_e32 v4, 2, v4
	ds_bpermute_b32 v4, v4, v6
	v_and_b32_e32 v5, 64, v0
	v_sub_u32_e64 v5, s6, v5 clamp
	v_add_u32_e32 v7, 1, v3
	v_cmp_lt_u32_e32 vcc, v7, v5
	s_and_saveexec_b64 s[4:5], vcc
	s_xor_b64 s[4:5], exec, s[4:5]
	s_cbranch_execz .LBB956_431
; %bb.430:
	v_bfe_i32 v6, v2, 0, 16
	v_ashrrev_i32_e32 v7, 31, v6
	s_waitcnt lgkmcnt(0)
	v_lshlrev_b32_e32 v2, 16, v4
	v_lshl_add_u64 v[6:7], v[6:7], 1, s[66:67]
	v_ashrrev_i32_e32 v8, 15, v2
	v_bfe_i32 v9, v4, 15, 1
	v_lshl_add_u64 v[6:7], v[6:7], 0, v[8:9]
	global_load_ushort v2, v[6:7], off
	s_waitcnt vmcnt(0)
	v_and_b32_e32 v6, 0xffff, v2
.LBB956_431:
	s_or_b64 exec, exec, s[4:5]
	v_cmp_gt_u32_e32 vcc, 62, v3
	v_add_u32_e32 v7, 2, v3
	s_waitcnt lgkmcnt(0)
	v_cndmask_b32_e64 v4, 0, 2, vcc
	v_add_lshl_u32 v4, v4, v1, 2
	ds_bpermute_b32 v4, v4, v6
	v_cmp_lt_u32_e32 vcc, v7, v5
	s_and_saveexec_b64 s[4:5], vcc
	s_cbranch_execz .LBB956_433
; %bb.432:
	v_bfe_i32 v6, v2, 0, 16
	v_ashrrev_i32_e32 v7, 31, v6
	s_waitcnt lgkmcnt(0)
	v_lshlrev_b32_e32 v2, 16, v4
	v_lshl_add_u64 v[6:7], v[6:7], 1, s[66:67]
	v_ashrrev_i32_e32 v8, 15, v2
	v_bfe_i32 v9, v4, 15, 1
	v_lshl_add_u64 v[6:7], v[6:7], 0, v[8:9]
	global_load_ushort v2, v[6:7], off
	s_waitcnt vmcnt(0)
	v_and_b32_e32 v6, 0xffff, v2
.LBB956_433:
	s_or_b64 exec, exec, s[4:5]
	v_cmp_gt_u32_e32 vcc, 60, v3
	v_add_u32_e32 v7, 4, v3
	s_waitcnt lgkmcnt(0)
	v_cndmask_b32_e64 v4, 0, 4, vcc
	v_add_lshl_u32 v4, v4, v1, 2
	ds_bpermute_b32 v4, v4, v6
	v_cmp_lt_u32_e32 vcc, v7, v5
	s_and_saveexec_b64 s[4:5], vcc
	;; [unrolled: 23-line block ×4, first 2 shown]
	s_cbranch_execz .LBB956_439
; %bb.438:
	v_bfe_i32 v6, v2, 0, 16
	v_ashrrev_i32_e32 v7, 31, v6
	s_waitcnt lgkmcnt(0)
	v_lshlrev_b32_e32 v2, 16, v4
	v_lshl_add_u64 v[6:7], v[6:7], 1, s[66:67]
	v_ashrrev_i32_e32 v8, 15, v2
	v_bfe_i32 v9, v4, 15, 1
	v_lshl_add_u64 v[6:7], v[6:7], 0, v[8:9]
	global_load_ushort v2, v[6:7], off
	s_waitcnt vmcnt(0)
	v_and_b32_e32 v6, 0xffff, v2
.LBB956_439:
	s_or_b64 exec, exec, s[4:5]
	v_lshlrev_b32_e32 v7, 2, v1
	s_waitcnt lgkmcnt(0)
	v_or_b32_e32 v4, 0x80, v7
	ds_bpermute_b32 v4, v4, v6
	v_add_u32_e32 v3, 32, v3
	v_cmp_lt_u32_e32 vcc, v3, v5
	s_and_saveexec_b64 s[4:5], vcc
	s_cbranch_execz .LBB956_441
; %bb.440:
	v_bfe_i32 v2, v2, 0, 16
	v_ashrrev_i32_e32 v3, 31, v2
	s_waitcnt lgkmcnt(0)
	v_lshlrev_b32_e32 v5, 16, v4
	v_lshl_add_u64 v[2:3], v[2:3], 1, s[66:67]
	v_ashrrev_i32_e32 v8, 15, v5
	v_bfe_i32 v9, v4, 15, 1
	v_lshl_add_u64 v[2:3], v[2:3], 0, v[8:9]
	global_load_ushort v2, v[2:3], off
.LBB956_441:
	s_or_b64 exec, exec, s[4:5]
	v_cmp_eq_u32_e32 vcc, 0, v1
	s_and_saveexec_b64 s[4:5], vcc
	s_cbranch_execz .LBB956_443
; %bb.442:
	v_lshrrev_b32_e32 v3, 5, v0
	v_and_b32_e32 v3, 2, v3
	s_waitcnt vmcnt(0)
	ds_write_b16 v3, v2
.LBB956_443:
	s_or_b64 exec, exec, s[4:5]
	v_cmp_gt_u32_e32 vcc, 2, v0
	s_waitcnt lgkmcnt(0)
	s_barrier
                                        ; implicit-def: $vgpr3
                                        ; implicit-def: $vgpr4
	s_and_saveexec_b64 s[4:5], vcc
	s_cbranch_execz .LBB956_445
; %bb.444:
	s_waitcnt vmcnt(0)
	v_lshlrev_b32_e32 v2, 1, v1
	ds_read_u16 v3, v2
	s_add_i32 s6, s6, 63
	v_and_b32_e32 v1, 1, v1
	s_lshr_b32 s6, s6, 6
	v_add_u32_e32 v1, 1, v1
	v_or_b32_e32 v2, 4, v7
	v_cmp_gt_u32_e32 vcc, s6, v1
	s_waitcnt lgkmcnt(0)
	v_and_b32_e32 v1, 0xffff, v3
	ds_bpermute_b32 v4, v2, v1
	s_andn2_b64 s[6:7], s[76:77], exec
	s_and_b64 s[8:9], vcc, exec
	s_or_b64 s[76:77], s[6:7], s[8:9]
	v_mov_b32_e32 v2, v3
.LBB956_445:
	s_or_b64 exec, exec, s[4:5]
.LBB956_446:
	s_and_saveexec_b64 s[4:5], s[76:77]
	s_cbranch_execz .LBB956_448
; %bb.447:
	s_waitcnt vmcnt(0)
	v_bfe_i32 v2, v3, 0, 16
	v_ashrrev_i32_e32 v3, 31, v2
	s_waitcnt lgkmcnt(0)
	v_lshlrev_b32_e32 v1, 16, v4
	v_lshl_add_u64 v[2:3], v[2:3], 1, s[66:67]
	v_ashrrev_i32_e32 v6, 15, v1
	v_bfe_i32 v7, v4, 15, 1
	v_lshl_add_u64 v[2:3], v[2:3], 0, v[6:7]
	global_load_ushort v2, v[2:3], off
.LBB956_448:
	s_or_b64 exec, exec, s[4:5]
	v_cmp_eq_u32_e32 vcc, 0, v0
	s_and_saveexec_b64 s[4:5], vcc
	s_xor_b64 s[4:5], exec, s[4:5]
	s_cbranch_execz .LBB956_450
; %bb.449:
	s_cmp_eq_u64 s[70:71], 0
	s_cselect_b64 s[6:7], -1, 0
	s_cmp_lg_u64 s[70:71], 0
	s_cselect_b64 s[8:9], -1, 0
	s_andn2_b64 s[10:11], s[72:73], exec
	s_and_b64 s[6:7], s[6:7], exec
	s_or_b64 s[72:73], s[10:11], s[6:7]
	s_andn2_b64 s[6:7], s[74:75], exec
	s_and_b64 s[8:9], s[8:9], exec
	s_or_b64 s[74:75], s[6:7], s[8:9]
.LBB956_450:
	s_or_b64 exec, exec, s[4:5]
	s_branch .LBB956_555
.LBB956_451:
	s_cmp_gt_i32 s82, 15
	s_cbranch_scc0 .LBB956_459
; %bb.452:
	s_cmp_eq_u32 s82, 16
	s_cbranch_scc0 .LBB956_460
; %bb.453:
	s_mov_b32 s3, 0
	s_lshl_b32 s4, s2, 11
	s_mov_b32 s5, s3
	s_lshr_b64 s[6:7], s[70:71], 11
	s_lshl_b64 s[8:9], s[4:5], 1
	s_add_u32 s36, s68, s8
	s_addc_u32 s37, s69, s9
	s_cmp_lg_u64 s[6:7], s[2:3]
	s_cbranch_scc0 .LBB956_461
; %bb.454:
	v_lshlrev_b32_e32 v1, 1, v0
	global_load_ushort v2, v1, s[36:37]
	global_load_ushort v3, v1, s[36:37] offset:256
	global_load_ushort v6, v1, s[36:37] offset:512
	;; [unrolled: 1-line block ×7, first 2 shown]
	s_waitcnt vmcnt(7)
	v_bfe_i32 v2, v2, 0, 16
	s_waitcnt vmcnt(6) lgkmcnt(0)
	v_bfe_i32 v4, v3, 0, 16
	v_ashrrev_i32_e32 v3, 31, v2
	v_ashrrev_i32_e32 v5, 31, v4
	v_lshl_add_u64 v[2:3], v[2:3], 1, s[66:67]
	v_lshl_add_u64 v[2:3], v[4:5], 1, v[2:3]
	global_load_ushort v4, v[2:3], off
	s_waitcnt vmcnt(6)
	v_bfe_i32 v2, v6, 0, 16
	v_ashrrev_i32_e32 v3, 31, v2
	s_waitcnt vmcnt(0)
	v_bfe_i32 v4, v4, 0, 16
	v_ashrrev_i32_e32 v5, 31, v4
	v_lshl_add_u64 v[4:5], v[4:5], 1, s[66:67]
	v_lshl_add_u64 v[2:3], v[2:3], 1, v[4:5]
	global_load_ushort v4, v[2:3], off
	v_bfe_i32 v2, v7, 0, 16
	v_ashrrev_i32_e32 v3, 31, v2
	s_waitcnt vmcnt(0)
	v_bfe_i32 v4, v4, 0, 16
	v_ashrrev_i32_e32 v5, 31, v4
	v_lshl_add_u64 v[4:5], v[4:5], 1, s[66:67]
	v_lshl_add_u64 v[2:3], v[2:3], 1, v[4:5]
	global_load_ushort v4, v[2:3], off
	;; [unrolled: 8-line block ×5, first 2 shown]
	global_load_ushort v6, v1, s[36:37] offset:2048
	v_bfe_i32 v2, v11, 0, 16
	v_ashrrev_i32_e32 v3, 31, v2
	s_waitcnt vmcnt(1)
	v_bfe_i32 v4, v4, 0, 16
	v_ashrrev_i32_e32 v5, 31, v4
	v_lshl_add_u64 v[4:5], v[4:5], 1, s[66:67]
	v_lshl_add_u64 v[2:3], v[2:3], 1, v[4:5]
	global_load_ushort v4, v[2:3], off
	global_load_ushort v7, v1, s[36:37] offset:2304
	global_load_ushort v8, v1, s[36:37] offset:2560
	;; [unrolled: 1-line block ×7, first 2 shown]
	s_waitcnt vmcnt(8)
	v_bfe_i32 v2, v6, 0, 16
	v_ashrrev_i32_e32 v3, 31, v2
	s_waitcnt vmcnt(7)
	v_bfe_i32 v4, v4, 0, 16
	v_ashrrev_i32_e32 v5, 31, v4
	v_lshl_add_u64 v[4:5], v[4:5], 1, s[66:67]
	v_lshl_add_u64 v[2:3], v[2:3], 1, v[4:5]
	global_load_ushort v1, v[2:3], off
	s_waitcnt vmcnt(7)
	v_bfe_i32 v2, v7, 0, 16
	v_ashrrev_i32_e32 v3, 31, v2
	s_waitcnt vmcnt(0)
	v_bfe_i32 v4, v1, 0, 16
	v_ashrrev_i32_e32 v5, 31, v4
	v_lshl_add_u64 v[4:5], v[4:5], 1, s[66:67]
	v_lshl_add_u64 v[2:3], v[2:3], 1, v[4:5]
	global_load_ushort v1, v[2:3], off
	v_bfe_i32 v2, v8, 0, 16
	v_ashrrev_i32_e32 v3, 31, v2
	s_waitcnt vmcnt(0)
	v_bfe_i32 v4, v1, 0, 16
	v_ashrrev_i32_e32 v5, 31, v4
	v_lshl_add_u64 v[4:5], v[4:5], 1, s[66:67]
	v_lshl_add_u64 v[2:3], v[2:3], 1, v[4:5]
	global_load_ushort v1, v[2:3], off
	;; [unrolled: 8-line block ×7, first 2 shown]
	s_waitcnt vmcnt(0)
	v_and_b32_e32 v3, 0xffff, v1
	v_bfe_i32 v2, v1, 0, 16
	s_nop 0
	v_mov_b32_dpp v1, v3 quad_perm:[1,0,3,2] row_mask:0xf bank_mask:0xf bound_ctrl:1
	v_lshlrev_b32_e32 v4, 16, v1
	v_bfe_i32 v5, v1, 15, 1
	v_ashrrev_i32_e32 v4, 15, v4
	v_ashrrev_i32_e32 v3, 31, v2
	v_lshl_add_u64 v[4:5], s[66:67], 0, v[4:5]
	v_lshl_add_u64 v[2:3], v[2:3], 1, v[4:5]
	global_load_ushort v1, v[2:3], off
	s_waitcnt vmcnt(0)
	v_and_b32_e32 v3, 0xffff, v1
	v_bfe_i32 v2, v1, 0, 16
	s_nop 0
	v_mov_b32_dpp v1, v3 quad_perm:[2,3,0,1] row_mask:0xf bank_mask:0xf bound_ctrl:1
	v_lshlrev_b32_e32 v4, 16, v1
	v_bfe_i32 v5, v1, 15, 1
	v_ashrrev_i32_e32 v4, 15, v4
	v_ashrrev_i32_e32 v3, 31, v2
	v_lshl_add_u64 v[4:5], s[66:67], 0, v[4:5]
	v_lshl_add_u64 v[2:3], v[2:3], 1, v[4:5]
	global_load_ushort v1, v[2:3], off
	s_waitcnt vmcnt(0)
	v_and_b32_e32 v3, 0xffff, v1
	v_bfe_i32 v2, v1, 0, 16
	s_nop 0
	v_mov_b32_dpp v1, v3 row_ror:4 row_mask:0xf bank_mask:0xf bound_ctrl:1
	v_lshlrev_b32_e32 v4, 16, v1
	v_bfe_i32 v5, v1, 15, 1
	v_ashrrev_i32_e32 v4, 15, v4
	v_ashrrev_i32_e32 v3, 31, v2
	v_lshl_add_u64 v[4:5], s[66:67], 0, v[4:5]
	v_lshl_add_u64 v[2:3], v[2:3], 1, v[4:5]
	global_load_ushort v1, v[2:3], off
	s_waitcnt vmcnt(0)
	v_and_b32_e32 v3, 0xffff, v1
	v_bfe_i32 v2, v1, 0, 16
	s_nop 0
	v_mov_b32_dpp v1, v3 row_ror:8 row_mask:0xf bank_mask:0xf bound_ctrl:1
	v_lshlrev_b32_e32 v4, 16, v1
	v_bfe_i32 v5, v1, 15, 1
	v_ashrrev_i32_e32 v4, 15, v4
	v_ashrrev_i32_e32 v3, 31, v2
	v_lshl_add_u64 v[4:5], s[66:67], 0, v[4:5]
	v_lshl_add_u64 v[2:3], v[2:3], 1, v[4:5]
	global_load_ushort v1, v[2:3], off
	s_waitcnt vmcnt(0)
	v_and_b32_e32 v3, 0xffff, v1
	v_bfe_i32 v2, v1, 0, 16
	s_nop 0
	v_mov_b32_dpp v1, v3 row_bcast:15 row_mask:0xf bank_mask:0xf bound_ctrl:1
	v_lshlrev_b32_e32 v4, 16, v1
	v_bfe_i32 v5, v1, 15, 1
	v_ashrrev_i32_e32 v4, 15, v4
	v_ashrrev_i32_e32 v3, 31, v2
	v_lshl_add_u64 v[4:5], s[66:67], 0, v[4:5]
	v_lshl_add_u64 v[2:3], v[2:3], 1, v[4:5]
	global_load_ushort v1, v[2:3], off
	s_waitcnt vmcnt(0)
	v_and_b32_e32 v3, 0xffff, v1
	v_bfe_i32 v2, v1, 0, 16
	s_nop 0
	v_mov_b32_dpp v1, v3 row_bcast:31 row_mask:0xf bank_mask:0xf bound_ctrl:1
	v_lshlrev_b32_e32 v4, 16, v1
	v_ashrrev_i32_e32 v4, 15, v4
	v_bfe_i32 v5, v1, 15, 1
	v_ashrrev_i32_e32 v3, 31, v2
	v_lshl_add_u64 v[4:5], s[66:67], 0, v[4:5]
	v_lshl_add_u64 v[2:3], v[2:3], 1, v[4:5]
	global_load_ushort v2, v[2:3], off
	v_mbcnt_lo_u32_b32 v1, -1, 0
	v_mbcnt_hi_u32_b32 v5, -1, v1
	v_lshlrev_b32_e32 v1, 2, v5
	v_or_b32_e32 v3, 0xfc, v1
	v_cmp_eq_u32_e32 vcc, 0, v5
	s_waitcnt vmcnt(0)
	ds_bpermute_b32 v2, v3, v2
	s_and_saveexec_b64 s[6:7], vcc
	s_cbranch_execz .LBB956_456
; %bb.455:
	v_lshrrev_b32_e32 v3, 5, v0
	v_and_b32_e32 v3, 2, v3
	s_waitcnt lgkmcnt(0)
	ds_write_b16 v3, v2 offset:4
.LBB956_456:
	s_or_b64 exec, exec, s[6:7]
	v_cmp_gt_u32_e32 vcc, 64, v0
	s_mov_b64 s[6:7], 0
	s_mov_b64 s[34:35], 0
	s_waitcnt lgkmcnt(0)
	s_barrier
                                        ; implicit-def: $vgpr3
                                        ; implicit-def: $vgpr4
	s_and_saveexec_b64 s[8:9], vcc
	s_xor_b64 s[8:9], exec, s[8:9]
	s_cbranch_execz .LBB956_458
; %bb.457:
	v_and_b32_e32 v3, 1, v5
	v_lshlrev_b32_e32 v3, 1, v3
	ds_read_u16 v3, v3 offset:4
	v_or_b32_e32 v1, 4, v1
	s_mov_b64 s[34:35], exec
	s_waitcnt lgkmcnt(0)
	v_and_b32_e32 v4, 0xffff, v3
	ds_bpermute_b32 v4, v1, v4
.LBB956_458:
	s_or_b64 exec, exec, s[8:9]
	s_branch .LBB956_462
.LBB956_459:
                                        ; implicit-def: $vgpr2
	s_cbranch_execz .LBB956_555
	s_branch .LBB956_547
.LBB956_460:
                                        ; implicit-def: $vgpr2
	s_branch .LBB956_555
.LBB956_461:
	s_mov_b64 s[6:7], -1
	s_mov_b64 s[34:35], 0
                                        ; implicit-def: $vgpr3
                                        ; implicit-def: $vgpr4
                                        ; implicit-def: $vgpr2
.LBB956_462:
	s_and_b64 vcc, exec, s[6:7]
	s_cbranch_vccz .LBB956_542
; %bb.463:
	s_sub_i32 s40, s70, s4
	s_waitcnt vmcnt(0)
	v_mov_b32_e32 v2, 0
	v_cmp_gt_u32_e32 vcc, s40, v0
	v_mov_b32_e32 v3, v2
	s_waitcnt lgkmcnt(0)
	v_mov_b32_e32 v4, v2
	v_mov_b32_e32 v5, v2
	;; [unrolled: 1-line block ×6, first 2 shown]
	s_and_saveexec_b64 s[4:5], vcc
	s_cbranch_execz .LBB956_465
; %bb.464:
	v_lshlrev_b32_e32 v1, 1, v0
	global_load_ushort v1, v1, s[36:37]
	v_mov_b32_e32 v5, v2
	v_mov_b32_e32 v6, v2
	v_mov_b32_e32 v7, v2
	v_mov_b32_e32 v8, v2
	v_mov_b32_e32 v9, v2
	v_mov_b32_e32 v10, v2
	v_mov_b32_e32 v11, v2
	s_waitcnt vmcnt(0)
	v_and_b32_e32 v4, 0xffff, v1
	v_mov_b64_e32 v[2:3], v[4:5]
	v_mov_b64_e32 v[4:5], v[6:7]
	;; [unrolled: 1-line block ×4, first 2 shown]
.LBB956_465:
	s_or_b64 exec, exec, s[4:5]
	v_or_b32_e32 v1, 0x80, v0
	v_cmp_gt_u32_e32 vcc, s40, v1
	s_and_saveexec_b64 s[4:5], vcc
	s_cbranch_execz .LBB956_467
; %bb.466:
	v_lshlrev_b32_e32 v1, 1, v0
	global_load_ushort v1, v1, s[36:37] offset:256
	s_mov_b32 s6, 0x5040100
	s_waitcnt vmcnt(0)
	v_perm_b32 v2, v1, v2, s6
.LBB956_467:
	s_or_b64 exec, exec, s[4:5]
	v_or_b32_e32 v1, 0x100, v0
	v_cmp_gt_u32_e64 s[4:5], s40, v1
	s_and_saveexec_b64 s[6:7], s[4:5]
	s_cbranch_execz .LBB956_469
; %bb.468:
	v_lshlrev_b32_e32 v1, 1, v0
	global_load_ushort v1, v1, s[36:37] offset:512
	s_mov_b32 s8, 0xffff
	s_waitcnt vmcnt(0)
	v_bfi_b32 v3, s8, v1, v3
.LBB956_469:
	s_or_b64 exec, exec, s[6:7]
	v_or_b32_e32 v1, 0x180, v0
	v_cmp_gt_u32_e64 s[6:7], s40, v1
	s_and_saveexec_b64 s[8:9], s[6:7]
	s_cbranch_execz .LBB956_471
; %bb.470:
	v_lshlrev_b32_e32 v1, 1, v0
	global_load_ushort v1, v1, s[36:37] offset:768
	s_mov_b32 s10, 0x5040100
	s_waitcnt vmcnt(0)
	v_perm_b32 v3, v1, v3, s10
.LBB956_471:
	s_or_b64 exec, exec, s[8:9]
	v_or_b32_e32 v1, 0x200, v0
	v_cmp_gt_u32_e64 s[8:9], s40, v1
	s_and_saveexec_b64 s[10:11], s[8:9]
	s_cbranch_execz .LBB956_473
; %bb.472:
	v_lshlrev_b32_e32 v1, 1, v0
	global_load_ushort v1, v1, s[36:37] offset:1024
	s_mov_b32 s12, 0xffff
	s_waitcnt vmcnt(0)
	v_bfi_b32 v4, s12, v1, v4
.LBB956_473:
	s_or_b64 exec, exec, s[10:11]
	v_or_b32_e32 v1, 0x280, v0
	v_cmp_gt_u32_e64 s[10:11], s40, v1
	s_and_saveexec_b64 s[12:13], s[10:11]
	;; [unrolled: 24-line block ×7, first 2 shown]
	s_cbranch_execz .LBB956_509
; %bb.494:
	v_lshlrev_b32_e32 v1, 1, v0
	global_load_ushort v1, v1, s[36:37] offset:3840
	s_mov_b32 s36, 0x5040100
	s_waitcnt vmcnt(0)
	v_perm_b32 v9, v1, v9, s36
	s_or_b64 exec, exec, s[38:39]
	s_and_saveexec_b64 s[36:37], vcc
	s_cbranch_execnz .LBB956_510
.LBB956_495:
	s_or_b64 exec, exec, s[36:37]
	s_and_saveexec_b64 s[36:37], s[4:5]
	s_cbranch_execz .LBB956_511
.LBB956_496:
	s_waitcnt vmcnt(0)
	v_bfe_i32 v10, v2, 0, 16
	v_ashrrev_i32_e32 v11, 31, v10
	v_bfe_i32 v12, v3, 0, 16
	v_lshl_add_u64 v[10:11], v[10:11], 1, s[66:67]
	v_ashrrev_i32_e32 v13, 31, v12
	v_lshl_add_u64 v[10:11], v[12:13], 1, v[10:11]
	global_load_ushort v2, v[10:11], off
	s_or_b64 exec, exec, s[36:37]
	s_and_saveexec_b64 s[4:5], s[6:7]
	s_cbranch_execnz .LBB956_512
.LBB956_497:
	s_or_b64 exec, exec, s[4:5]
	s_and_saveexec_b64 s[4:5], s[8:9]
	s_cbranch_execz .LBB956_513
.LBB956_498:
	s_waitcnt vmcnt(0)
	v_bfe_i32 v2, v2, 0, 16
	v_ashrrev_i32_e32 v3, 31, v2
	v_bfe_i32 v10, v4, 0, 16
	v_lshl_add_u64 v[2:3], v[2:3], 1, s[66:67]
	v_ashrrev_i32_e32 v11, 31, v10
	v_lshl_add_u64 v[2:3], v[10:11], 1, v[2:3]
	global_load_ushort v2, v[2:3], off
	s_or_b64 exec, exec, s[4:5]
	s_and_saveexec_b64 s[4:5], s[10:11]
	s_cbranch_execnz .LBB956_514
.LBB956_499:
	s_or_b64 exec, exec, s[4:5]
	s_and_saveexec_b64 s[4:5], s[12:13]
	s_cbranch_execz .LBB956_515
.LBB956_500:
	s_waitcnt vmcnt(0)
	v_bfe_i32 v2, v2, 0, 16
	v_ashrrev_i32_e32 v3, 31, v2
	v_bfe_i32 v10, v5, 0, 16
	v_lshl_add_u64 v[2:3], v[2:3], 1, s[66:67]
	v_ashrrev_i32_e32 v11, 31, v10
	v_lshl_add_u64 v[2:3], v[10:11], 1, v[2:3]
	global_load_ushort v2, v[2:3], off
	s_or_b64 exec, exec, s[4:5]
	s_and_saveexec_b64 s[4:5], s[14:15]
	s_cbranch_execnz .LBB956_516
.LBB956_501:
	s_or_b64 exec, exec, s[4:5]
	s_and_saveexec_b64 s[4:5], s[16:17]
	s_cbranch_execz .LBB956_517
.LBB956_502:
	s_waitcnt vmcnt(0)
	v_bfe_i32 v2, v2, 0, 16
	v_ashrrev_i32_e32 v3, 31, v2
	v_bfe_i32 v4, v6, 0, 16
	v_lshl_add_u64 v[2:3], v[2:3], 1, s[66:67]
	v_ashrrev_i32_e32 v5, 31, v4
	v_lshl_add_u64 v[2:3], v[4:5], 1, v[2:3]
	global_load_ushort v2, v[2:3], off
	s_or_b64 exec, exec, s[4:5]
	s_and_saveexec_b64 s[4:5], s[18:19]
	s_cbranch_execnz .LBB956_518
.LBB956_503:
	s_or_b64 exec, exec, s[4:5]
	s_and_saveexec_b64 s[4:5], s[20:21]
	s_cbranch_execz .LBB956_519
.LBB956_504:
	s_waitcnt vmcnt(0)
	v_bfe_i32 v2, v2, 0, 16
	v_ashrrev_i32_e32 v3, 31, v2
	v_bfe_i32 v4, v7, 0, 16
	v_lshl_add_u64 v[2:3], v[2:3], 1, s[66:67]
	v_ashrrev_i32_e32 v5, 31, v4
	v_lshl_add_u64 v[2:3], v[4:5], 1, v[2:3]
	global_load_ushort v2, v[2:3], off
	s_or_b64 exec, exec, s[4:5]
	s_and_saveexec_b64 s[4:5], s[22:23]
	s_cbranch_execnz .LBB956_520
.LBB956_505:
	s_or_b64 exec, exec, s[4:5]
	s_and_saveexec_b64 s[4:5], s[24:25]
	s_cbranch_execz .LBB956_521
.LBB956_506:
	s_waitcnt vmcnt(0)
	v_bfe_i32 v2, v2, 0, 16
	v_ashrrev_i32_e32 v3, 31, v2
	v_bfe_i32 v4, v8, 0, 16
	v_lshl_add_u64 v[2:3], v[2:3], 1, s[66:67]
	v_ashrrev_i32_e32 v5, 31, v4
	v_lshl_add_u64 v[2:3], v[4:5], 1, v[2:3]
	global_load_ushort v2, v[2:3], off
	s_or_b64 exec, exec, s[4:5]
	s_and_saveexec_b64 s[4:5], s[26:27]
	s_cbranch_execnz .LBB956_522
.LBB956_507:
	s_or_b64 exec, exec, s[4:5]
	s_and_saveexec_b64 s[4:5], s[28:29]
	s_cbranch_execz .LBB956_523
.LBB956_508:
	s_waitcnt vmcnt(0)
	v_bfe_i32 v2, v2, 0, 16
	v_ashrrev_i32_e32 v3, 31, v2
	v_bfe_i32 v4, v9, 0, 16
	v_lshl_add_u64 v[2:3], v[2:3], 1, s[66:67]
	v_ashrrev_i32_e32 v5, 31, v4
	v_lshl_add_u64 v[2:3], v[4:5], 1, v[2:3]
	global_load_ushort v2, v[2:3], off
	s_or_b64 exec, exec, s[4:5]
	s_and_saveexec_b64 s[4:5], s[30:31]
	s_cbranch_execnz .LBB956_524
	s_branch .LBB956_525
.LBB956_509:
	s_or_b64 exec, exec, s[38:39]
	s_and_saveexec_b64 s[36:37], vcc
	s_cbranch_execz .LBB956_495
.LBB956_510:
	v_bfe_i32 v10, v2, 0, 16
	v_lshrrev_b32_e32 v1, 16, v2
	v_ashrrev_i32_e32 v11, 31, v10
	v_bfe_i32 v12, v1, 0, 16
	v_lshl_add_u64 v[10:11], v[10:11], 1, s[66:67]
	v_ashrrev_i32_e32 v13, 31, v12
	v_lshl_add_u64 v[10:11], v[12:13], 1, v[10:11]
	global_load_ushort v2, v[10:11], off
	s_or_b64 exec, exec, s[36:37]
	s_and_saveexec_b64 s[36:37], s[4:5]
	s_cbranch_execnz .LBB956_496
.LBB956_511:
	s_or_b64 exec, exec, s[36:37]
	s_and_saveexec_b64 s[4:5], s[6:7]
	s_cbranch_execz .LBB956_497
.LBB956_512:
	s_waitcnt vmcnt(0)
	v_bfe_i32 v10, v2, 0, 16
	v_lshrrev_b32_e32 v1, 16, v3
	v_ashrrev_i32_e32 v11, 31, v10
	v_bfe_i32 v2, v1, 0, 16
	v_lshl_add_u64 v[10:11], v[10:11], 1, s[66:67]
	v_ashrrev_i32_e32 v3, 31, v2
	v_lshl_add_u64 v[2:3], v[2:3], 1, v[10:11]
	global_load_ushort v2, v[2:3], off
	s_or_b64 exec, exec, s[4:5]
	s_and_saveexec_b64 s[4:5], s[8:9]
	s_cbranch_execnz .LBB956_498
.LBB956_513:
	s_or_b64 exec, exec, s[4:5]
	s_and_saveexec_b64 s[4:5], s[10:11]
	s_cbranch_execz .LBB956_499
.LBB956_514:
	s_waitcnt vmcnt(0)
	v_bfe_i32 v2, v2, 0, 16
	v_lshrrev_b32_e32 v1, 16, v4
	v_ashrrev_i32_e32 v3, 31, v2
	v_bfe_i32 v10, v1, 0, 16
	v_lshl_add_u64 v[2:3], v[2:3], 1, s[66:67]
	v_ashrrev_i32_e32 v11, 31, v10
	v_lshl_add_u64 v[2:3], v[10:11], 1, v[2:3]
	global_load_ushort v2, v[2:3], off
	s_or_b64 exec, exec, s[4:5]
	s_and_saveexec_b64 s[4:5], s[12:13]
	s_cbranch_execnz .LBB956_500
.LBB956_515:
	s_or_b64 exec, exec, s[4:5]
	s_and_saveexec_b64 s[4:5], s[14:15]
	s_cbranch_execz .LBB956_501
.LBB956_516:
	s_waitcnt vmcnt(0)
	v_bfe_i32 v2, v2, 0, 16
	v_lshrrev_b32_e32 v1, 16, v5
	v_ashrrev_i32_e32 v3, 31, v2
	v_bfe_i32 v4, v1, 0, 16
	v_lshl_add_u64 v[2:3], v[2:3], 1, s[66:67]
	v_ashrrev_i32_e32 v5, 31, v4
	v_lshl_add_u64 v[2:3], v[4:5], 1, v[2:3]
	global_load_ushort v2, v[2:3], off
	s_or_b64 exec, exec, s[4:5]
	s_and_saveexec_b64 s[4:5], s[16:17]
	s_cbranch_execnz .LBB956_502
.LBB956_517:
	s_or_b64 exec, exec, s[4:5]
	s_and_saveexec_b64 s[4:5], s[18:19]
	s_cbranch_execz .LBB956_503
.LBB956_518:
	s_waitcnt vmcnt(0)
	v_bfe_i32 v2, v2, 0, 16
	v_lshrrev_b32_e32 v1, 16, v6
	v_ashrrev_i32_e32 v3, 31, v2
	v_bfe_i32 v4, v1, 0, 16
	v_lshl_add_u64 v[2:3], v[2:3], 1, s[66:67]
	v_ashrrev_i32_e32 v5, 31, v4
	v_lshl_add_u64 v[2:3], v[4:5], 1, v[2:3]
	global_load_ushort v2, v[2:3], off
	s_or_b64 exec, exec, s[4:5]
	s_and_saveexec_b64 s[4:5], s[20:21]
	s_cbranch_execnz .LBB956_504
.LBB956_519:
	s_or_b64 exec, exec, s[4:5]
	s_and_saveexec_b64 s[4:5], s[22:23]
	s_cbranch_execz .LBB956_505
.LBB956_520:
	s_waitcnt vmcnt(0)
	v_bfe_i32 v2, v2, 0, 16
	v_lshrrev_b32_e32 v1, 16, v7
	v_ashrrev_i32_e32 v3, 31, v2
	v_bfe_i32 v4, v1, 0, 16
	v_lshl_add_u64 v[2:3], v[2:3], 1, s[66:67]
	v_ashrrev_i32_e32 v5, 31, v4
	v_lshl_add_u64 v[2:3], v[4:5], 1, v[2:3]
	global_load_ushort v2, v[2:3], off
	s_or_b64 exec, exec, s[4:5]
	s_and_saveexec_b64 s[4:5], s[24:25]
	s_cbranch_execnz .LBB956_506
.LBB956_521:
	s_or_b64 exec, exec, s[4:5]
	s_and_saveexec_b64 s[4:5], s[26:27]
	s_cbranch_execz .LBB956_507
.LBB956_522:
	s_waitcnt vmcnt(0)
	v_bfe_i32 v2, v2, 0, 16
	v_lshrrev_b32_e32 v1, 16, v8
	v_ashrrev_i32_e32 v3, 31, v2
	v_bfe_i32 v4, v1, 0, 16
	v_lshl_add_u64 v[2:3], v[2:3], 1, s[66:67]
	v_ashrrev_i32_e32 v5, 31, v4
	v_lshl_add_u64 v[2:3], v[4:5], 1, v[2:3]
	global_load_ushort v2, v[2:3], off
	s_or_b64 exec, exec, s[4:5]
	s_and_saveexec_b64 s[4:5], s[28:29]
	s_cbranch_execnz .LBB956_508
.LBB956_523:
	s_or_b64 exec, exec, s[4:5]
	s_and_saveexec_b64 s[4:5], s[30:31]
	s_cbranch_execz .LBB956_525
.LBB956_524:
	s_waitcnt vmcnt(0)
	v_bfe_i32 v2, v2, 0, 16
	v_lshrrev_b32_e32 v1, 16, v9
	v_ashrrev_i32_e32 v3, 31, v2
	v_bfe_i32 v4, v1, 0, 16
	v_lshl_add_u64 v[2:3], v[2:3], 1, s[66:67]
	v_ashrrev_i32_e32 v5, 31, v4
	v_lshl_add_u64 v[2:3], v[4:5], 1, v[2:3]
	global_load_ushort v2, v[2:3], off
.LBB956_525:
	s_or_b64 exec, exec, s[4:5]
	v_mbcnt_lo_u32_b32 v1, -1, 0
	v_mbcnt_hi_u32_b32 v1, -1, v1
	v_and_b32_e32 v3, 63, v1
	v_cmp_ne_u32_e32 vcc, 63, v3
	s_waitcnt vmcnt(0)
	v_and_b32_e32 v6, 0xffff, v2
	s_min_u32 s6, s40, 0x80
	v_addc_co_u32_e32 v4, vcc, 0, v1, vcc
	v_lshlrev_b32_e32 v4, 2, v4
	ds_bpermute_b32 v4, v4, v6
	v_and_b32_e32 v5, 64, v0
	v_sub_u32_e64 v5, s6, v5 clamp
	v_add_u32_e32 v7, 1, v3
	v_cmp_lt_u32_e32 vcc, v7, v5
	s_and_saveexec_b64 s[4:5], vcc
	s_xor_b64 s[4:5], exec, s[4:5]
	s_cbranch_execz .LBB956_527
; %bb.526:
	v_bfe_i32 v6, v2, 0, 16
	v_ashrrev_i32_e32 v7, 31, v6
	s_waitcnt lgkmcnt(0)
	v_lshlrev_b32_e32 v2, 16, v4
	v_lshl_add_u64 v[6:7], v[6:7], 1, s[66:67]
	v_ashrrev_i32_e32 v8, 15, v2
	v_bfe_i32 v9, v4, 15, 1
	v_lshl_add_u64 v[6:7], v[6:7], 0, v[8:9]
	global_load_ushort v2, v[6:7], off
	s_waitcnt vmcnt(0)
	v_and_b32_e32 v6, 0xffff, v2
.LBB956_527:
	s_or_b64 exec, exec, s[4:5]
	v_cmp_gt_u32_e32 vcc, 62, v3
	v_add_u32_e32 v7, 2, v3
	s_waitcnt lgkmcnt(0)
	v_cndmask_b32_e64 v4, 0, 2, vcc
	v_add_lshl_u32 v4, v4, v1, 2
	ds_bpermute_b32 v4, v4, v6
	v_cmp_lt_u32_e32 vcc, v7, v5
	s_and_saveexec_b64 s[4:5], vcc
	s_cbranch_execz .LBB956_529
; %bb.528:
	v_bfe_i32 v6, v2, 0, 16
	v_ashrrev_i32_e32 v7, 31, v6
	s_waitcnt lgkmcnt(0)
	v_lshlrev_b32_e32 v2, 16, v4
	v_lshl_add_u64 v[6:7], v[6:7], 1, s[66:67]
	v_ashrrev_i32_e32 v8, 15, v2
	v_bfe_i32 v9, v4, 15, 1
	v_lshl_add_u64 v[6:7], v[6:7], 0, v[8:9]
	global_load_ushort v2, v[6:7], off
	s_waitcnt vmcnt(0)
	v_and_b32_e32 v6, 0xffff, v2
.LBB956_529:
	s_or_b64 exec, exec, s[4:5]
	v_cmp_gt_u32_e32 vcc, 60, v3
	v_add_u32_e32 v7, 4, v3
	s_waitcnt lgkmcnt(0)
	v_cndmask_b32_e64 v4, 0, 4, vcc
	v_add_lshl_u32 v4, v4, v1, 2
	ds_bpermute_b32 v4, v4, v6
	v_cmp_lt_u32_e32 vcc, v7, v5
	s_and_saveexec_b64 s[4:5], vcc
	;; [unrolled: 23-line block ×4, first 2 shown]
	s_cbranch_execz .LBB956_535
; %bb.534:
	v_bfe_i32 v6, v2, 0, 16
	v_ashrrev_i32_e32 v7, 31, v6
	s_waitcnt lgkmcnt(0)
	v_lshlrev_b32_e32 v2, 16, v4
	v_lshl_add_u64 v[6:7], v[6:7], 1, s[66:67]
	v_ashrrev_i32_e32 v8, 15, v2
	v_bfe_i32 v9, v4, 15, 1
	v_lshl_add_u64 v[6:7], v[6:7], 0, v[8:9]
	global_load_ushort v2, v[6:7], off
	s_waitcnt vmcnt(0)
	v_and_b32_e32 v6, 0xffff, v2
.LBB956_535:
	s_or_b64 exec, exec, s[4:5]
	v_lshlrev_b32_e32 v7, 2, v1
	s_waitcnt lgkmcnt(0)
	v_or_b32_e32 v4, 0x80, v7
	ds_bpermute_b32 v4, v4, v6
	v_add_u32_e32 v3, 32, v3
	v_cmp_lt_u32_e32 vcc, v3, v5
	s_and_saveexec_b64 s[4:5], vcc
	s_cbranch_execz .LBB956_537
; %bb.536:
	v_bfe_i32 v2, v2, 0, 16
	v_ashrrev_i32_e32 v3, 31, v2
	s_waitcnt lgkmcnt(0)
	v_lshlrev_b32_e32 v5, 16, v4
	v_lshl_add_u64 v[2:3], v[2:3], 1, s[66:67]
	v_ashrrev_i32_e32 v8, 15, v5
	v_bfe_i32 v9, v4, 15, 1
	v_lshl_add_u64 v[2:3], v[2:3], 0, v[8:9]
	global_load_ushort v2, v[2:3], off
.LBB956_537:
	s_or_b64 exec, exec, s[4:5]
	v_cmp_eq_u32_e32 vcc, 0, v1
	s_and_saveexec_b64 s[4:5], vcc
	s_cbranch_execz .LBB956_539
; %bb.538:
	v_lshrrev_b32_e32 v3, 5, v0
	v_and_b32_e32 v3, 2, v3
	s_waitcnt vmcnt(0)
	ds_write_b16 v3, v2
.LBB956_539:
	s_or_b64 exec, exec, s[4:5]
	v_cmp_gt_u32_e32 vcc, 2, v0
	s_waitcnt lgkmcnt(0)
	s_barrier
                                        ; implicit-def: $vgpr3
                                        ; implicit-def: $vgpr4
	s_and_saveexec_b64 s[4:5], vcc
	s_cbranch_execz .LBB956_541
; %bb.540:
	s_waitcnt vmcnt(0)
	v_lshlrev_b32_e32 v2, 1, v1
	ds_read_u16 v3, v2
	s_add_i32 s6, s6, 63
	v_and_b32_e32 v1, 1, v1
	s_lshr_b32 s6, s6, 6
	v_add_u32_e32 v1, 1, v1
	v_or_b32_e32 v2, 4, v7
	v_cmp_gt_u32_e32 vcc, s6, v1
	s_waitcnt lgkmcnt(0)
	v_and_b32_e32 v1, 0xffff, v3
	ds_bpermute_b32 v4, v2, v1
	s_andn2_b64 s[6:7], s[34:35], exec
	s_and_b64 s[8:9], vcc, exec
	s_or_b64 s[34:35], s[6:7], s[8:9]
	v_mov_b32_e32 v2, v3
.LBB956_541:
	s_or_b64 exec, exec, s[4:5]
.LBB956_542:
	s_and_saveexec_b64 s[4:5], s[34:35]
	s_cbranch_execz .LBB956_544
; %bb.543:
	s_waitcnt vmcnt(0)
	v_bfe_i32 v2, v3, 0, 16
	v_ashrrev_i32_e32 v3, 31, v2
	s_waitcnt lgkmcnt(0)
	v_lshlrev_b32_e32 v1, 16, v4
	v_lshl_add_u64 v[2:3], v[2:3], 1, s[66:67]
	v_ashrrev_i32_e32 v6, 15, v1
	v_bfe_i32 v7, v4, 15, 1
	v_lshl_add_u64 v[2:3], v[2:3], 0, v[6:7]
	global_load_ushort v2, v[2:3], off
.LBB956_544:
	s_or_b64 exec, exec, s[4:5]
	v_cmp_eq_u32_e32 vcc, 0, v0
	s_and_saveexec_b64 s[4:5], vcc
	s_xor_b64 s[4:5], exec, s[4:5]
	s_cbranch_execz .LBB956_546
; %bb.545:
	s_cmp_eq_u64 s[70:71], 0
	s_cselect_b64 s[6:7], -1, 0
	s_cmp_lg_u64 s[70:71], 0
	s_cselect_b64 s[8:9], -1, 0
	s_andn2_b64 s[10:11], s[72:73], exec
	s_and_b64 s[6:7], s[6:7], exec
	s_or_b64 s[72:73], s[10:11], s[6:7]
	s_andn2_b64 s[6:7], s[74:75], exec
	s_and_b64 s[8:9], s[8:9], exec
	s_or_b64 s[74:75], s[6:7], s[8:9]
.LBB956_546:
	s_or_b64 exec, exec, s[4:5]
	s_branch .LBB956_555
.LBB956_547:
	s_cmp_eq_u32 s82, 8
	s_cbranch_scc0 .LBB956_554
; %bb.548:
	s_mov_b32 s3, 0
	s_lshl_b32 s4, s2, 10
	s_mov_b32 s5, s3
	s_lshr_b64 s[6:7], s[70:71], 10
	s_lshl_b64 s[8:9], s[4:5], 1
	s_add_u32 s18, s68, s8
	s_addc_u32 s19, s69, s9
	s_cmp_lg_u64 s[6:7], s[2:3]
	s_cbranch_scc0 .LBB956_576
; %bb.549:
	v_lshlrev_b32_e32 v1, 1, v0
	global_load_ushort v2, v1, s[18:19]
	global_load_ushort v3, v1, s[18:19] offset:256
	global_load_ushort v6, v1, s[18:19] offset:512
	;; [unrolled: 1-line block ×7, first 2 shown]
	s_waitcnt vmcnt(7)
	v_bfe_i32 v2, v2, 0, 16
	s_waitcnt vmcnt(6) lgkmcnt(0)
	v_bfe_i32 v4, v3, 0, 16
	v_ashrrev_i32_e32 v3, 31, v2
	v_ashrrev_i32_e32 v5, 31, v4
	v_lshl_add_u64 v[2:3], v[2:3], 1, s[66:67]
	v_lshl_add_u64 v[2:3], v[4:5], 1, v[2:3]
	global_load_ushort v1, v[2:3], off
	s_waitcnt vmcnt(6)
	v_bfe_i32 v2, v6, 0, 16
	v_ashrrev_i32_e32 v3, 31, v2
	s_waitcnt vmcnt(0)
	v_bfe_i32 v4, v1, 0, 16
	v_ashrrev_i32_e32 v5, 31, v4
	v_lshl_add_u64 v[4:5], v[4:5], 1, s[66:67]
	v_lshl_add_u64 v[2:3], v[2:3], 1, v[4:5]
	global_load_ushort v1, v[2:3], off
	v_bfe_i32 v2, v7, 0, 16
	v_ashrrev_i32_e32 v3, 31, v2
	s_waitcnt vmcnt(0)
	v_bfe_i32 v4, v1, 0, 16
	v_ashrrev_i32_e32 v5, 31, v4
	v_lshl_add_u64 v[4:5], v[4:5], 1, s[66:67]
	v_lshl_add_u64 v[2:3], v[2:3], 1, v[4:5]
	global_load_ushort v1, v[2:3], off
	v_bfe_i32 v2, v8, 0, 16
	v_ashrrev_i32_e32 v3, 31, v2
	s_waitcnt vmcnt(0)
	v_bfe_i32 v4, v1, 0, 16
	v_ashrrev_i32_e32 v5, 31, v4
	v_lshl_add_u64 v[4:5], v[4:5], 1, s[66:67]
	v_lshl_add_u64 v[2:3], v[2:3], 1, v[4:5]
	global_load_ushort v1, v[2:3], off
	v_bfe_i32 v2, v9, 0, 16
	v_ashrrev_i32_e32 v3, 31, v2
	s_waitcnt vmcnt(0)
	v_bfe_i32 v4, v1, 0, 16
	v_ashrrev_i32_e32 v5, 31, v4
	v_lshl_add_u64 v[4:5], v[4:5], 1, s[66:67]
	v_lshl_add_u64 v[2:3], v[2:3], 1, v[4:5]
	global_load_ushort v1, v[2:3], off
	v_bfe_i32 v2, v10, 0, 16
	v_ashrrev_i32_e32 v3, 31, v2
	s_waitcnt vmcnt(0)
	v_bfe_i32 v4, v1, 0, 16
	v_ashrrev_i32_e32 v5, 31, v4
	v_lshl_add_u64 v[4:5], v[4:5], 1, s[66:67]
	v_lshl_add_u64 v[2:3], v[2:3], 1, v[4:5]
	global_load_ushort v1, v[2:3], off
	v_bfe_i32 v2, v11, 0, 16
	v_ashrrev_i32_e32 v3, 31, v2
	s_waitcnt vmcnt(0)
	v_bfe_i32 v4, v1, 0, 16
	v_ashrrev_i32_e32 v5, 31, v4
	v_lshl_add_u64 v[4:5], v[4:5], 1, s[66:67]
	v_lshl_add_u64 v[2:3], v[2:3], 1, v[4:5]
	global_load_ushort v1, v[2:3], off
	s_waitcnt vmcnt(0)
	v_and_b32_e32 v3, 0xffff, v1
	v_bfe_i32 v2, v1, 0, 16
	s_nop 0
	v_mov_b32_dpp v1, v3 quad_perm:[1,0,3,2] row_mask:0xf bank_mask:0xf bound_ctrl:1
	v_lshlrev_b32_e32 v4, 16, v1
	v_bfe_i32 v5, v1, 15, 1
	v_ashrrev_i32_e32 v4, 15, v4
	v_ashrrev_i32_e32 v3, 31, v2
	v_lshl_add_u64 v[4:5], s[66:67], 0, v[4:5]
	v_lshl_add_u64 v[2:3], v[2:3], 1, v[4:5]
	global_load_ushort v1, v[2:3], off
	s_waitcnt vmcnt(0)
	v_and_b32_e32 v3, 0xffff, v1
	v_bfe_i32 v2, v1, 0, 16
	s_nop 0
	v_mov_b32_dpp v1, v3 quad_perm:[2,3,0,1] row_mask:0xf bank_mask:0xf bound_ctrl:1
	v_lshlrev_b32_e32 v4, 16, v1
	v_bfe_i32 v5, v1, 15, 1
	v_ashrrev_i32_e32 v4, 15, v4
	v_ashrrev_i32_e32 v3, 31, v2
	v_lshl_add_u64 v[4:5], s[66:67], 0, v[4:5]
	v_lshl_add_u64 v[2:3], v[2:3], 1, v[4:5]
	global_load_ushort v1, v[2:3], off
	s_waitcnt vmcnt(0)
	v_and_b32_e32 v3, 0xffff, v1
	v_bfe_i32 v2, v1, 0, 16
	s_nop 0
	v_mov_b32_dpp v1, v3 row_ror:4 row_mask:0xf bank_mask:0xf bound_ctrl:1
	v_lshlrev_b32_e32 v4, 16, v1
	v_bfe_i32 v5, v1, 15, 1
	v_ashrrev_i32_e32 v4, 15, v4
	v_ashrrev_i32_e32 v3, 31, v2
	v_lshl_add_u64 v[4:5], s[66:67], 0, v[4:5]
	v_lshl_add_u64 v[2:3], v[2:3], 1, v[4:5]
	global_load_ushort v1, v[2:3], off
	s_waitcnt vmcnt(0)
	v_and_b32_e32 v3, 0xffff, v1
	v_bfe_i32 v2, v1, 0, 16
	s_nop 0
	v_mov_b32_dpp v1, v3 row_ror:8 row_mask:0xf bank_mask:0xf bound_ctrl:1
	v_lshlrev_b32_e32 v4, 16, v1
	v_bfe_i32 v5, v1, 15, 1
	v_ashrrev_i32_e32 v4, 15, v4
	v_ashrrev_i32_e32 v3, 31, v2
	v_lshl_add_u64 v[4:5], s[66:67], 0, v[4:5]
	v_lshl_add_u64 v[2:3], v[2:3], 1, v[4:5]
	global_load_ushort v1, v[2:3], off
	s_waitcnt vmcnt(0)
	v_and_b32_e32 v3, 0xffff, v1
	v_bfe_i32 v2, v1, 0, 16
	s_nop 0
	v_mov_b32_dpp v1, v3 row_bcast:15 row_mask:0xf bank_mask:0xf bound_ctrl:1
	v_lshlrev_b32_e32 v4, 16, v1
	v_bfe_i32 v5, v1, 15, 1
	v_ashrrev_i32_e32 v4, 15, v4
	v_ashrrev_i32_e32 v3, 31, v2
	v_lshl_add_u64 v[4:5], s[66:67], 0, v[4:5]
	v_lshl_add_u64 v[2:3], v[2:3], 1, v[4:5]
	global_load_ushort v1, v[2:3], off
	s_waitcnt vmcnt(0)
	v_and_b32_e32 v3, 0xffff, v1
	v_bfe_i32 v2, v1, 0, 16
	s_nop 0
	v_mov_b32_dpp v1, v3 row_bcast:31 row_mask:0xf bank_mask:0xf bound_ctrl:1
	v_lshlrev_b32_e32 v4, 16, v1
	v_ashrrev_i32_e32 v4, 15, v4
	v_bfe_i32 v5, v1, 15, 1
	v_ashrrev_i32_e32 v3, 31, v2
	v_lshl_add_u64 v[4:5], s[66:67], 0, v[4:5]
	v_lshl_add_u64 v[2:3], v[2:3], 1, v[4:5]
	global_load_ushort v2, v[2:3], off
	v_mbcnt_lo_u32_b32 v1, -1, 0
	v_mbcnt_hi_u32_b32 v5, -1, v1
	v_lshlrev_b32_e32 v1, 2, v5
	v_or_b32_e32 v3, 0xfc, v1
	v_cmp_eq_u32_e32 vcc, 0, v5
	s_waitcnt vmcnt(0)
	ds_bpermute_b32 v2, v3, v2
	s_and_saveexec_b64 s[6:7], vcc
	s_cbranch_execz .LBB956_551
; %bb.550:
	v_lshrrev_b32_e32 v3, 5, v0
	v_and_b32_e32 v3, 2, v3
	s_waitcnt lgkmcnt(0)
	ds_write_b16 v3, v2 offset:28
.LBB956_551:
	s_or_b64 exec, exec, s[6:7]
	v_cmp_gt_u32_e32 vcc, 64, v0
	s_mov_b64 s[6:7], 0
	s_mov_b64 s[16:17], 0
	s_waitcnt lgkmcnt(0)
	s_barrier
                                        ; implicit-def: $vgpr3
                                        ; implicit-def: $vgpr4
	s_and_saveexec_b64 s[8:9], vcc
	s_xor_b64 s[8:9], exec, s[8:9]
	s_cbranch_execz .LBB956_553
; %bb.552:
	v_and_b32_e32 v3, 1, v5
	v_lshlrev_b32_e32 v3, 1, v3
	ds_read_u16 v3, v3 offset:28
	v_or_b32_e32 v1, 4, v1
	s_mov_b64 s[16:17], exec
	s_waitcnt lgkmcnt(0)
	v_and_b32_e32 v4, 0xffff, v3
	ds_bpermute_b32 v4, v1, v4
.LBB956_553:
	s_or_b64 exec, exec, s[8:9]
	s_branch .LBB956_577
.LBB956_554:
                                        ; implicit-def: $vgpr2
.LBB956_555:
	s_branch .LBB956_709
.LBB956_556:
	s_cmp_gt_i32 s82, 1
	s_cbranch_scc0 .LBB956_565
; %bb.557:
	s_cmp_gt_i32 s82, 3
	s_cbranch_scc0 .LBB956_566
; %bb.558:
	s_cmp_eq_u32 s82, 4
	s_cbranch_scc0 .LBB956_574
; %bb.559:
	s_mov_b32 s3, 0
	s_lshl_b32 s4, s2, 9
	s_mov_b32 s5, s3
	s_lshr_b64 s[6:7], s[70:71], 9
	s_lshl_b64 s[8:9], s[4:5], 1
	s_add_u32 s10, s68, s8
	s_addc_u32 s11, s69, s9
	s_cmp_lg_u64 s[6:7], s[2:3]
	s_cbranch_scc0 .LBB956_600
; %bb.560:
	v_lshlrev_b32_e32 v1, 1, v0
	global_load_ushort v2, v1, s[10:11]
	global_load_ushort v3, v1, s[10:11] offset:256
	global_load_ushort v6, v1, s[10:11] offset:512
	;; [unrolled: 1-line block ×3, first 2 shown]
	s_waitcnt vmcnt(3)
	v_bfe_i32 v2, v2, 0, 16
	s_waitcnt vmcnt(2) lgkmcnt(0)
	v_bfe_i32 v4, v3, 0, 16
	v_ashrrev_i32_e32 v3, 31, v2
	v_ashrrev_i32_e32 v5, 31, v4
	v_lshl_add_u64 v[2:3], v[2:3], 1, s[66:67]
	v_lshl_add_u64 v[2:3], v[4:5], 1, v[2:3]
	global_load_ushort v1, v[2:3], off
	s_waitcnt vmcnt(2)
	v_bfe_i32 v2, v6, 0, 16
	v_ashrrev_i32_e32 v3, 31, v2
	s_waitcnt vmcnt(0)
	v_bfe_i32 v4, v1, 0, 16
	v_ashrrev_i32_e32 v5, 31, v4
	v_lshl_add_u64 v[4:5], v[4:5], 1, s[66:67]
	v_lshl_add_u64 v[2:3], v[2:3], 1, v[4:5]
	global_load_ushort v1, v[2:3], off
	v_bfe_i32 v2, v7, 0, 16
	v_ashrrev_i32_e32 v3, 31, v2
	s_waitcnt vmcnt(0)
	v_bfe_i32 v4, v1, 0, 16
	v_ashrrev_i32_e32 v5, 31, v4
	v_lshl_add_u64 v[4:5], v[4:5], 1, s[66:67]
	v_lshl_add_u64 v[2:3], v[2:3], 1, v[4:5]
	global_load_ushort v1, v[2:3], off
	s_waitcnt vmcnt(0)
	v_and_b32_e32 v3, 0xffff, v1
	v_bfe_i32 v2, v1, 0, 16
	s_nop 0
	v_mov_b32_dpp v1, v3 quad_perm:[1,0,3,2] row_mask:0xf bank_mask:0xf bound_ctrl:1
	v_lshlrev_b32_e32 v4, 16, v1
	v_bfe_i32 v5, v1, 15, 1
	v_ashrrev_i32_e32 v4, 15, v4
	v_ashrrev_i32_e32 v3, 31, v2
	v_lshl_add_u64 v[4:5], s[66:67], 0, v[4:5]
	v_lshl_add_u64 v[2:3], v[2:3], 1, v[4:5]
	global_load_ushort v1, v[2:3], off
	s_waitcnt vmcnt(0)
	v_and_b32_e32 v3, 0xffff, v1
	v_bfe_i32 v2, v1, 0, 16
	s_nop 0
	v_mov_b32_dpp v1, v3 quad_perm:[2,3,0,1] row_mask:0xf bank_mask:0xf bound_ctrl:1
	v_lshlrev_b32_e32 v4, 16, v1
	v_bfe_i32 v5, v1, 15, 1
	v_ashrrev_i32_e32 v4, 15, v4
	v_ashrrev_i32_e32 v3, 31, v2
	v_lshl_add_u64 v[4:5], s[66:67], 0, v[4:5]
	v_lshl_add_u64 v[2:3], v[2:3], 1, v[4:5]
	global_load_ushort v1, v[2:3], off
	s_waitcnt vmcnt(0)
	v_and_b32_e32 v3, 0xffff, v1
	v_bfe_i32 v2, v1, 0, 16
	s_nop 0
	v_mov_b32_dpp v1, v3 row_ror:4 row_mask:0xf bank_mask:0xf bound_ctrl:1
	v_lshlrev_b32_e32 v4, 16, v1
	v_bfe_i32 v5, v1, 15, 1
	v_ashrrev_i32_e32 v4, 15, v4
	v_ashrrev_i32_e32 v3, 31, v2
	v_lshl_add_u64 v[4:5], s[66:67], 0, v[4:5]
	v_lshl_add_u64 v[2:3], v[2:3], 1, v[4:5]
	global_load_ushort v1, v[2:3], off
	s_waitcnt vmcnt(0)
	v_and_b32_e32 v3, 0xffff, v1
	v_bfe_i32 v2, v1, 0, 16
	s_nop 0
	v_mov_b32_dpp v1, v3 row_ror:8 row_mask:0xf bank_mask:0xf bound_ctrl:1
	v_lshlrev_b32_e32 v4, 16, v1
	v_bfe_i32 v5, v1, 15, 1
	v_ashrrev_i32_e32 v4, 15, v4
	v_ashrrev_i32_e32 v3, 31, v2
	v_lshl_add_u64 v[4:5], s[66:67], 0, v[4:5]
	v_lshl_add_u64 v[2:3], v[2:3], 1, v[4:5]
	global_load_ushort v1, v[2:3], off
	s_waitcnt vmcnt(0)
	v_and_b32_e32 v3, 0xffff, v1
	v_bfe_i32 v2, v1, 0, 16
	s_nop 0
	v_mov_b32_dpp v1, v3 row_bcast:15 row_mask:0xf bank_mask:0xf bound_ctrl:1
	v_lshlrev_b32_e32 v4, 16, v1
	v_bfe_i32 v5, v1, 15, 1
	v_ashrrev_i32_e32 v4, 15, v4
	v_ashrrev_i32_e32 v3, 31, v2
	v_lshl_add_u64 v[4:5], s[66:67], 0, v[4:5]
	v_lshl_add_u64 v[2:3], v[2:3], 1, v[4:5]
	global_load_ushort v1, v[2:3], off
	s_waitcnt vmcnt(0)
	v_and_b32_e32 v3, 0xffff, v1
	v_bfe_i32 v2, v1, 0, 16
	s_nop 0
	v_mov_b32_dpp v1, v3 row_bcast:31 row_mask:0xf bank_mask:0xf bound_ctrl:1
	v_lshlrev_b32_e32 v4, 16, v1
	v_ashrrev_i32_e32 v4, 15, v4
	v_bfe_i32 v5, v1, 15, 1
	v_ashrrev_i32_e32 v3, 31, v2
	v_lshl_add_u64 v[4:5], s[66:67], 0, v[4:5]
	v_lshl_add_u64 v[2:3], v[2:3], 1, v[4:5]
	global_load_ushort v2, v[2:3], off
	v_mbcnt_lo_u32_b32 v1, -1, 0
	v_mbcnt_hi_u32_b32 v5, -1, v1
	v_lshlrev_b32_e32 v1, 2, v5
	v_or_b32_e32 v3, 0xfc, v1
	v_cmp_eq_u32_e32 vcc, 0, v5
	s_waitcnt vmcnt(0)
	ds_bpermute_b32 v2, v3, v2
	s_and_saveexec_b64 s[6:7], vcc
	s_cbranch_execz .LBB956_562
; %bb.561:
	v_lshrrev_b32_e32 v3, 5, v0
	v_and_b32_e32 v3, 2, v3
	s_waitcnt lgkmcnt(0)
	ds_write_b16 v3, v2 offset:20
.LBB956_562:
	s_or_b64 exec, exec, s[6:7]
	v_cmp_gt_u32_e32 vcc, 64, v0
	s_mov_b64 s[6:7], 0
	s_mov_b64 s[8:9], 0
	s_waitcnt lgkmcnt(0)
	s_barrier
                                        ; implicit-def: $vgpr3
                                        ; implicit-def: $vgpr4
	s_and_saveexec_b64 s[12:13], vcc
	s_xor_b64 s[12:13], exec, s[12:13]
	s_cbranch_execz .LBB956_564
; %bb.563:
	v_and_b32_e32 v3, 1, v5
	v_lshlrev_b32_e32 v3, 1, v3
	ds_read_u16 v3, v3 offset:20
	v_or_b32_e32 v1, 4, v1
	s_mov_b64 s[8:9], exec
	s_waitcnt lgkmcnt(0)
	v_and_b32_e32 v4, 0xffff, v3
	ds_bpermute_b32 v4, v1, v4
.LBB956_564:
	s_or_b64 exec, exec, s[12:13]
	s_branch .LBB956_601
.LBB956_565:
                                        ; implicit-def: $vgpr2
	s_cbranch_execnz .LBB956_699
	s_branch .LBB956_709
.LBB956_566:
                                        ; implicit-def: $vgpr2
	s_cbranch_execz .LBB956_698
; %bb.567:
	s_cmp_eq_u32 s82, 2
	s_cbranch_scc0 .LBB956_575
; %bb.568:
	s_mov_b32 s3, 0
	s_lshl_b32 s8, s2, 8
	s_mov_b32 s9, s3
	s_lshr_b64 s[4:5], s[70:71], 8
	s_lshl_b64 s[6:7], s[8:9], 1
	s_add_u32 s6, s68, s6
	s_addc_u32 s7, s69, s7
	s_cmp_lg_u64 s[4:5], s[2:3]
	s_cbranch_scc0 .LBB956_612
; %bb.569:
	v_lshlrev_b32_e32 v1, 1, v0
	global_load_ushort v2, v1, s[6:7]
	global_load_ushort v3, v1, s[6:7] offset:256
	s_waitcnt vmcnt(1)
	v_bfe_i32 v2, v2, 0, 16
	s_waitcnt vmcnt(0) lgkmcnt(0)
	v_bfe_i32 v4, v3, 0, 16
	v_ashrrev_i32_e32 v5, 31, v4
	v_ashrrev_i32_e32 v3, 31, v2
	v_lshl_add_u64 v[4:5], v[4:5], 1, s[66:67]
	v_lshl_add_u64 v[2:3], v[2:3], 1, v[4:5]
	global_load_ushort v1, v[2:3], off
	s_waitcnt vmcnt(0)
	v_and_b32_e32 v3, 0xffff, v1
	v_bfe_i32 v2, v1, 0, 16
	s_nop 0
	v_mov_b32_dpp v1, v3 quad_perm:[1,0,3,2] row_mask:0xf bank_mask:0xf bound_ctrl:1
	v_lshlrev_b32_e32 v4, 16, v1
	v_bfe_i32 v5, v1, 15, 1
	v_ashrrev_i32_e32 v4, 15, v4
	v_ashrrev_i32_e32 v3, 31, v2
	v_lshl_add_u64 v[4:5], s[66:67], 0, v[4:5]
	v_lshl_add_u64 v[2:3], v[2:3], 1, v[4:5]
	global_load_ushort v1, v[2:3], off
	s_waitcnt vmcnt(0)
	v_and_b32_e32 v3, 0xffff, v1
	v_bfe_i32 v2, v1, 0, 16
	s_nop 0
	v_mov_b32_dpp v1, v3 quad_perm:[2,3,0,1] row_mask:0xf bank_mask:0xf bound_ctrl:1
	v_lshlrev_b32_e32 v4, 16, v1
	v_bfe_i32 v5, v1, 15, 1
	v_ashrrev_i32_e32 v4, 15, v4
	v_ashrrev_i32_e32 v3, 31, v2
	v_lshl_add_u64 v[4:5], s[66:67], 0, v[4:5]
	v_lshl_add_u64 v[2:3], v[2:3], 1, v[4:5]
	global_load_ushort v1, v[2:3], off
	s_waitcnt vmcnt(0)
	v_and_b32_e32 v3, 0xffff, v1
	v_bfe_i32 v2, v1, 0, 16
	s_nop 0
	v_mov_b32_dpp v1, v3 row_ror:4 row_mask:0xf bank_mask:0xf bound_ctrl:1
	v_lshlrev_b32_e32 v4, 16, v1
	v_bfe_i32 v5, v1, 15, 1
	v_ashrrev_i32_e32 v4, 15, v4
	v_ashrrev_i32_e32 v3, 31, v2
	v_lshl_add_u64 v[4:5], s[66:67], 0, v[4:5]
	v_lshl_add_u64 v[2:3], v[2:3], 1, v[4:5]
	global_load_ushort v1, v[2:3], off
	s_waitcnt vmcnt(0)
	v_and_b32_e32 v3, 0xffff, v1
	v_bfe_i32 v2, v1, 0, 16
	s_nop 0
	v_mov_b32_dpp v1, v3 row_ror:8 row_mask:0xf bank_mask:0xf bound_ctrl:1
	v_lshlrev_b32_e32 v4, 16, v1
	v_bfe_i32 v5, v1, 15, 1
	v_ashrrev_i32_e32 v4, 15, v4
	v_ashrrev_i32_e32 v3, 31, v2
	v_lshl_add_u64 v[4:5], s[66:67], 0, v[4:5]
	v_lshl_add_u64 v[2:3], v[2:3], 1, v[4:5]
	global_load_ushort v1, v[2:3], off
	s_waitcnt vmcnt(0)
	v_and_b32_e32 v3, 0xffff, v1
	v_bfe_i32 v2, v1, 0, 16
	s_nop 0
	v_mov_b32_dpp v1, v3 row_bcast:15 row_mask:0xf bank_mask:0xf bound_ctrl:1
	v_lshlrev_b32_e32 v4, 16, v1
	v_bfe_i32 v5, v1, 15, 1
	v_ashrrev_i32_e32 v4, 15, v4
	v_ashrrev_i32_e32 v3, 31, v2
	v_lshl_add_u64 v[4:5], s[66:67], 0, v[4:5]
	v_lshl_add_u64 v[2:3], v[2:3], 1, v[4:5]
	global_load_ushort v1, v[2:3], off
	s_waitcnt vmcnt(0)
	v_and_b32_e32 v3, 0xffff, v1
	v_bfe_i32 v2, v1, 0, 16
	s_nop 0
	v_mov_b32_dpp v1, v3 row_bcast:31 row_mask:0xf bank_mask:0xf bound_ctrl:1
	v_lshlrev_b32_e32 v4, 16, v1
	v_ashrrev_i32_e32 v4, 15, v4
	v_bfe_i32 v5, v1, 15, 1
	v_ashrrev_i32_e32 v3, 31, v2
	v_lshl_add_u64 v[4:5], s[66:67], 0, v[4:5]
	v_lshl_add_u64 v[2:3], v[2:3], 1, v[4:5]
	global_load_ushort v2, v[2:3], off
	v_mbcnt_lo_u32_b32 v1, -1, 0
	v_mbcnt_hi_u32_b32 v5, -1, v1
	v_lshlrev_b32_e32 v1, 2, v5
	v_or_b32_e32 v3, 0xfc, v1
	v_cmp_eq_u32_e32 vcc, 0, v5
	s_waitcnt vmcnt(0)
	ds_bpermute_b32 v2, v3, v2
	s_and_saveexec_b64 s[4:5], vcc
	s_cbranch_execz .LBB956_571
; %bb.570:
	v_lshrrev_b32_e32 v3, 5, v0
	v_and_b32_e32 v3, 2, v3
	s_waitcnt lgkmcnt(0)
	ds_write_b16 v3, v2 offset:12
.LBB956_571:
	s_or_b64 exec, exec, s[4:5]
	v_cmp_gt_u32_e32 vcc, 64, v0
	s_mov_b64 s[10:11], 0
	s_mov_b64 s[4:5], 0
	s_waitcnt lgkmcnt(0)
	s_barrier
                                        ; implicit-def: $vgpr3
                                        ; implicit-def: $vgpr4
	s_and_saveexec_b64 s[12:13], vcc
	s_xor_b64 s[12:13], exec, s[12:13]
	s_cbranch_execz .LBB956_573
; %bb.572:
	v_and_b32_e32 v3, 1, v5
	v_lshlrev_b32_e32 v3, 1, v3
	ds_read_u16 v3, v3 offset:12
	v_or_b32_e32 v1, 4, v1
	s_mov_b64 s[4:5], exec
	s_waitcnt lgkmcnt(0)
	v_and_b32_e32 v4, 0xffff, v3
	ds_bpermute_b32 v4, v1, v4
.LBB956_573:
	s_or_b64 exec, exec, s[12:13]
	s_branch .LBB956_613
.LBB956_574:
                                        ; implicit-def: $vgpr2
	s_branch .LBB956_698
.LBB956_575:
                                        ; implicit-def: $vgpr2
	s_branch .LBB956_709
.LBB956_576:
	s_mov_b64 s[6:7], -1
	s_mov_b64 s[16:17], 0
                                        ; implicit-def: $vgpr3
                                        ; implicit-def: $vgpr4
                                        ; implicit-def: $vgpr2
.LBB956_577:
	s_and_b64 vcc, exec, s[6:7]
	s_cbranch_vccz .LBB956_667
; %bb.578:
	s_sub_i32 s22, s70, s4
	s_waitcnt vmcnt(0)
	v_mov_b32_e32 v2, 0
	v_cmp_gt_u32_e32 vcc, s22, v0
	v_mov_b32_e32 v3, v2
	s_waitcnt lgkmcnt(0)
	v_mov_b32_e32 v4, v2
	v_mov_b32_e32 v5, v2
	s_and_saveexec_b64 s[4:5], vcc
	s_cbranch_execz .LBB956_580
; %bb.579:
	v_lshlrev_b32_e32 v1, 1, v0
	global_load_ushort v1, v1, s[18:19]
	v_mov_b32_e32 v5, v2
	v_mov_b32_e32 v6, v2
	;; [unrolled: 1-line block ×3, first 2 shown]
	s_waitcnt vmcnt(0)
	v_and_b32_e32 v4, 0xffff, v1
	v_mov_b64_e32 v[2:3], v[4:5]
	v_mov_b64_e32 v[4:5], v[6:7]
.LBB956_580:
	s_or_b64 exec, exec, s[4:5]
	v_or_b32_e32 v1, 0x80, v0
	v_cmp_gt_u32_e64 s[14:15], s22, v1
	s_and_saveexec_b64 s[4:5], s[14:15]
	s_cbranch_execz .LBB956_582
; %bb.581:
	v_lshlrev_b32_e32 v1, 1, v0
	global_load_ushort v1, v1, s[18:19] offset:256
	s_mov_b32 s6, 0x5040100
	s_waitcnt vmcnt(0)
	v_perm_b32 v2, v1, v2, s6
.LBB956_582:
	s_or_b64 exec, exec, s[4:5]
	v_or_b32_e32 v1, 0x100, v0
	v_cmp_gt_u32_e64 s[10:11], s22, v1
	s_and_saveexec_b64 s[4:5], s[10:11]
	s_cbranch_execz .LBB956_584
; %bb.583:
	v_lshlrev_b32_e32 v1, 1, v0
	global_load_ushort v1, v1, s[18:19] offset:512
	s_mov_b32 s6, 0xffff
	s_waitcnt vmcnt(0)
	v_bfi_b32 v3, s6, v1, v3
.LBB956_584:
	s_or_b64 exec, exec, s[4:5]
	v_or_b32_e32 v1, 0x180, v0
	v_cmp_gt_u32_e64 s[12:13], s22, v1
	s_and_saveexec_b64 s[4:5], s[12:13]
	s_cbranch_execz .LBB956_586
; %bb.585:
	v_lshlrev_b32_e32 v1, 1, v0
	global_load_ushort v1, v1, s[18:19] offset:768
	s_mov_b32 s6, 0x5040100
	s_waitcnt vmcnt(0)
	v_perm_b32 v3, v1, v3, s6
.LBB956_586:
	s_or_b64 exec, exec, s[4:5]
	v_or_b32_e32 v1, 0x200, v0
	v_cmp_gt_u32_e64 s[6:7], s22, v1
	s_and_saveexec_b64 s[4:5], s[6:7]
	s_cbranch_execz .LBB956_588
; %bb.587:
	v_lshlrev_b32_e32 v1, 1, v0
	global_load_ushort v1, v1, s[18:19] offset:1024
	s_mov_b32 s8, 0xffff
	s_waitcnt vmcnt(0)
	v_bfi_b32 v4, s8, v1, v4
.LBB956_588:
	s_or_b64 exec, exec, s[4:5]
	v_or_b32_e32 v1, 0x280, v0
	v_cmp_gt_u32_e64 s[8:9], s22, v1
	s_and_saveexec_b64 s[4:5], s[8:9]
	s_cbranch_execz .LBB956_590
; %bb.589:
	v_lshlrev_b32_e32 v1, 1, v0
	global_load_ushort v1, v1, s[18:19] offset:1280
	s_mov_b32 s20, 0x5040100
	s_waitcnt vmcnt(0)
	v_perm_b32 v4, v1, v4, s20
.LBB956_590:
	s_or_b64 exec, exec, s[4:5]
	v_or_b32_e32 v1, 0x300, v0
	v_cmp_gt_u32_e32 vcc, s22, v1
	s_and_saveexec_b64 s[4:5], vcc
	s_cbranch_execz .LBB956_592
; %bb.591:
	v_lshlrev_b32_e32 v1, 1, v0
	global_load_ushort v1, v1, s[18:19] offset:1536
	s_mov_b32 s20, 0xffff
	s_waitcnt vmcnt(0)
	v_bfi_b32 v5, s20, v1, v5
.LBB956_592:
	s_or_b64 exec, exec, s[4:5]
	v_or_b32_e32 v1, 0x380, v0
	v_cmp_gt_u32_e64 s[4:5], s22, v1
	s_and_saveexec_b64 s[20:21], s[4:5]
	s_cbranch_execz .LBB956_642
; %bb.593:
	v_lshlrev_b32_e32 v1, 1, v0
	global_load_ushort v1, v1, s[18:19] offset:1792
	s_mov_b32 s18, 0x5040100
	s_waitcnt vmcnt(0)
	v_perm_b32 v5, v1, v5, s18
	s_or_b64 exec, exec, s[20:21]
	s_and_saveexec_b64 s[18:19], s[14:15]
	s_cbranch_execnz .LBB956_643
.LBB956_594:
	s_or_b64 exec, exec, s[18:19]
	s_and_saveexec_b64 s[14:15], s[10:11]
	s_cbranch_execz .LBB956_644
.LBB956_595:
	s_waitcnt vmcnt(0)
	v_bfe_i32 v6, v2, 0, 16
	v_ashrrev_i32_e32 v7, 31, v6
	v_bfe_i32 v8, v3, 0, 16
	v_lshl_add_u64 v[6:7], v[6:7], 1, s[66:67]
	v_ashrrev_i32_e32 v9, 31, v8
	v_lshl_add_u64 v[6:7], v[8:9], 1, v[6:7]
	global_load_ushort v2, v[6:7], off
	s_or_b64 exec, exec, s[14:15]
	s_and_saveexec_b64 s[10:11], s[12:13]
	s_cbranch_execnz .LBB956_645
.LBB956_596:
	s_or_b64 exec, exec, s[10:11]
	s_and_saveexec_b64 s[10:11], s[6:7]
	s_cbranch_execz .LBB956_646
.LBB956_597:
	s_waitcnt vmcnt(0)
	v_bfe_i32 v2, v2, 0, 16
	v_ashrrev_i32_e32 v3, 31, v2
	v_bfe_i32 v6, v4, 0, 16
	v_lshl_add_u64 v[2:3], v[2:3], 1, s[66:67]
	v_ashrrev_i32_e32 v7, 31, v6
	v_lshl_add_u64 v[2:3], v[6:7], 1, v[2:3]
	global_load_ushort v2, v[2:3], off
	s_or_b64 exec, exec, s[10:11]
	s_and_saveexec_b64 s[6:7], s[8:9]
	s_cbranch_execnz .LBB956_647
.LBB956_598:
	s_or_b64 exec, exec, s[6:7]
	s_and_saveexec_b64 s[6:7], vcc
	s_cbranch_execz .LBB956_648
.LBB956_599:
	s_waitcnt vmcnt(0)
	v_bfe_i32 v2, v2, 0, 16
	v_ashrrev_i32_e32 v3, 31, v2
	v_bfe_i32 v6, v5, 0, 16
	v_lshl_add_u64 v[2:3], v[2:3], 1, s[66:67]
	v_ashrrev_i32_e32 v7, 31, v6
	v_lshl_add_u64 v[2:3], v[6:7], 1, v[2:3]
	global_load_ushort v2, v[2:3], off
	s_or_b64 exec, exec, s[6:7]
	s_and_saveexec_b64 s[6:7], s[4:5]
	s_cbranch_execnz .LBB956_649
	s_branch .LBB956_650
.LBB956_600:
	s_mov_b64 s[6:7], -1
	s_mov_b64 s[8:9], 0
                                        ; implicit-def: $vgpr3
                                        ; implicit-def: $vgpr4
                                        ; implicit-def: $vgpr2
.LBB956_601:
	s_and_b64 vcc, exec, s[6:7]
	s_cbranch_vccz .LBB956_693
; %bb.602:
	s_sub_i32 s14, s70, s4
	s_waitcnt vmcnt(0)
	v_mov_b32_e32 v2, 0
	v_cmp_gt_u32_e32 vcc, s14, v0
	v_mov_b32_e32 v3, v2
	s_and_saveexec_b64 s[4:5], vcc
	s_cbranch_execz .LBB956_604
; %bb.603:
	v_lshlrev_b32_e32 v1, 1, v0
	global_load_ushort v1, v1, s[10:11]
	v_mov_b32_e32 v5, v2
	s_waitcnt vmcnt(0) lgkmcnt(0)
	v_and_b32_e32 v4, 0xffff, v1
	v_mov_b64_e32 v[2:3], v[4:5]
.LBB956_604:
	s_or_b64 exec, exec, s[4:5]
	v_or_b32_e32 v1, 0x80, v0
	v_cmp_gt_u32_e64 s[6:7], s14, v1
	s_and_saveexec_b64 s[4:5], s[6:7]
	s_cbranch_execz .LBB956_606
; %bb.605:
	v_lshlrev_b32_e32 v1, 1, v0
	global_load_ushort v1, v1, s[10:11] offset:256
	s_mov_b32 s12, 0x5040100
	s_waitcnt vmcnt(0)
	v_perm_b32 v2, v1, v2, s12
.LBB956_606:
	s_or_b64 exec, exec, s[4:5]
	v_or_b32_e32 v1, 0x100, v0
	v_cmp_gt_u32_e64 s[4:5], s14, v1
	s_and_saveexec_b64 s[12:13], s[4:5]
	s_cbranch_execz .LBB956_608
; %bb.607:
	v_lshlrev_b32_e32 v1, 1, v0
	global_load_ushort v1, v1, s[10:11] offset:512
	s_mov_b32 s15, 0xffff
	s_waitcnt vmcnt(0)
	v_bfi_b32 v3, s15, v1, v3
.LBB956_608:
	s_or_b64 exec, exec, s[12:13]
	v_or_b32_e32 v1, 0x180, v0
	v_cmp_gt_u32_e32 vcc, s14, v1
	s_and_saveexec_b64 s[12:13], vcc
	s_cbranch_execz .LBB956_672
; %bb.609:
	v_lshlrev_b32_e32 v1, 1, v0
	global_load_ushort v1, v1, s[10:11] offset:768
	s_mov_b32 s10, 0x5040100
	s_waitcnt vmcnt(0)
	v_perm_b32 v3, v1, v3, s10
	s_or_b64 exec, exec, s[12:13]
	s_and_saveexec_b64 s[10:11], s[6:7]
	s_cbranch_execnz .LBB956_673
.LBB956_610:
	s_or_b64 exec, exec, s[10:11]
	s_and_saveexec_b64 s[6:7], s[4:5]
	s_cbranch_execz .LBB956_674
.LBB956_611:
	s_waitcnt vmcnt(0) lgkmcnt(0)
	v_bfe_i32 v4, v2, 0, 16
	v_ashrrev_i32_e32 v5, 31, v4
	v_bfe_i32 v6, v3, 0, 16
	v_lshl_add_u64 v[4:5], v[4:5], 1, s[66:67]
	v_ashrrev_i32_e32 v7, 31, v6
	v_lshl_add_u64 v[4:5], v[6:7], 1, v[4:5]
	global_load_ushort v2, v[4:5], off
	s_or_b64 exec, exec, s[6:7]
	s_and_saveexec_b64 s[4:5], vcc
	s_cbranch_execnz .LBB956_675
	s_branch .LBB956_676
.LBB956_612:
	s_mov_b64 s[10:11], -1
	s_mov_b64 s[4:5], 0
                                        ; implicit-def: $vgpr3
                                        ; implicit-def: $vgpr4
                                        ; implicit-def: $vgpr2
.LBB956_613:
	s_and_b64 vcc, exec, s[10:11]
	s_cbranch_vccz .LBB956_637
; %bb.614:
	s_sub_i32 s10, s70, s8
	v_cmp_gt_u32_e32 vcc, s10, v0
	s_waitcnt vmcnt(0)
	v_mov_b32_e32 v2, 0
	s_and_saveexec_b64 s[8:9], vcc
	s_cbranch_execz .LBB956_616
; %bb.615:
	v_lshlrev_b32_e32 v1, 1, v0
	global_load_ushort v1, v1, s[6:7]
	s_waitcnt vmcnt(0)
	v_and_b32_e32 v2, 0xffff, v1
.LBB956_616:
	s_or_b64 exec, exec, s[8:9]
	v_or_b32_e32 v1, 0x80, v0
	v_cmp_gt_u32_e32 vcc, s10, v1
	s_and_saveexec_b64 s[8:9], vcc
	s_cbranch_execz .LBB956_618
; %bb.617:
	v_lshlrev_b32_e32 v1, 1, v0
	global_load_ushort v1, v1, s[6:7] offset:256
	s_mov_b32 s6, 0x5040100
	s_waitcnt vmcnt(0)
	v_perm_b32 v2, v1, v2, s6
.LBB956_618:
	s_or_b64 exec, exec, s[8:9]
	s_and_saveexec_b64 s[6:7], vcc
	s_cbranch_execz .LBB956_620
; %bb.619:
	v_lshrrev_b32_e32 v1, 16, v2
	s_waitcnt lgkmcnt(0)
	v_bfe_i32 v4, v1, 0, 16
	v_ashrrev_i32_e32 v5, 31, v4
	v_bfe_i32 v2, v2, 0, 16
	v_lshl_add_u64 v[4:5], v[4:5], 1, s[66:67]
	v_ashrrev_i32_e32 v3, 31, v2
	v_lshl_add_u64 v[2:3], v[2:3], 1, v[4:5]
	global_load_ushort v2, v[2:3], off
.LBB956_620:
	s_or_b64 exec, exec, s[6:7]
	v_mbcnt_lo_u32_b32 v1, -1, 0
	v_mbcnt_hi_u32_b32 v1, -1, v1
	v_and_b32_e32 v3, 63, v1
	v_cmp_ne_u32_e32 vcc, 63, v3
	s_waitcnt vmcnt(0)
	v_and_b32_e32 v6, 0xffff, v2
	s_min_u32 s8, s10, 0x80
	s_waitcnt lgkmcnt(0)
	v_addc_co_u32_e32 v4, vcc, 0, v1, vcc
	v_lshlrev_b32_e32 v4, 2, v4
	ds_bpermute_b32 v4, v4, v6
	v_and_b32_e32 v5, 64, v0
	v_sub_u32_e64 v5, s8, v5 clamp
	v_add_u32_e32 v7, 1, v3
	v_cmp_lt_u32_e32 vcc, v7, v5
	s_and_saveexec_b64 s[6:7], vcc
	s_xor_b64 s[6:7], exec, s[6:7]
	s_cbranch_execz .LBB956_622
; %bb.621:
	v_bfe_i32 v6, v2, 0, 16
	v_ashrrev_i32_e32 v7, 31, v6
	s_waitcnt lgkmcnt(0)
	v_lshlrev_b32_e32 v2, 16, v4
	v_lshl_add_u64 v[6:7], v[6:7], 1, s[66:67]
	v_ashrrev_i32_e32 v8, 15, v2
	v_bfe_i32 v9, v4, 15, 1
	v_lshl_add_u64 v[6:7], v[6:7], 0, v[8:9]
	global_load_ushort v2, v[6:7], off
	s_waitcnt vmcnt(0)
	v_and_b32_e32 v6, 0xffff, v2
.LBB956_622:
	s_or_b64 exec, exec, s[6:7]
	v_cmp_gt_u32_e32 vcc, 62, v3
	v_add_u32_e32 v7, 2, v3
	s_waitcnt lgkmcnt(0)
	v_cndmask_b32_e64 v4, 0, 2, vcc
	v_add_lshl_u32 v4, v4, v1, 2
	ds_bpermute_b32 v4, v4, v6
	v_cmp_lt_u32_e32 vcc, v7, v5
	s_and_saveexec_b64 s[6:7], vcc
	s_cbranch_execz .LBB956_624
; %bb.623:
	v_bfe_i32 v6, v2, 0, 16
	v_ashrrev_i32_e32 v7, 31, v6
	s_waitcnt lgkmcnt(0)
	v_lshlrev_b32_e32 v2, 16, v4
	v_lshl_add_u64 v[6:7], v[6:7], 1, s[66:67]
	v_ashrrev_i32_e32 v8, 15, v2
	v_bfe_i32 v9, v4, 15, 1
	v_lshl_add_u64 v[6:7], v[6:7], 0, v[8:9]
	global_load_ushort v2, v[6:7], off
	s_waitcnt vmcnt(0)
	v_and_b32_e32 v6, 0xffff, v2
.LBB956_624:
	s_or_b64 exec, exec, s[6:7]
	v_cmp_gt_u32_e32 vcc, 60, v3
	v_add_u32_e32 v7, 4, v3
	s_waitcnt lgkmcnt(0)
	v_cndmask_b32_e64 v4, 0, 4, vcc
	v_add_lshl_u32 v4, v4, v1, 2
	ds_bpermute_b32 v4, v4, v6
	v_cmp_lt_u32_e32 vcc, v7, v5
	s_and_saveexec_b64 s[6:7], vcc
	;; [unrolled: 23-line block ×4, first 2 shown]
	s_cbranch_execz .LBB956_630
; %bb.629:
	v_bfe_i32 v6, v2, 0, 16
	v_ashrrev_i32_e32 v7, 31, v6
	s_waitcnt lgkmcnt(0)
	v_lshlrev_b32_e32 v2, 16, v4
	v_lshl_add_u64 v[6:7], v[6:7], 1, s[66:67]
	v_ashrrev_i32_e32 v8, 15, v2
	v_bfe_i32 v9, v4, 15, 1
	v_lshl_add_u64 v[6:7], v[6:7], 0, v[8:9]
	global_load_ushort v2, v[6:7], off
	s_waitcnt vmcnt(0)
	v_and_b32_e32 v6, 0xffff, v2
.LBB956_630:
	s_or_b64 exec, exec, s[6:7]
	v_lshlrev_b32_e32 v7, 2, v1
	s_waitcnt lgkmcnt(0)
	v_or_b32_e32 v4, 0x80, v7
	ds_bpermute_b32 v4, v4, v6
	v_add_u32_e32 v3, 32, v3
	v_cmp_lt_u32_e32 vcc, v3, v5
	s_and_saveexec_b64 s[6:7], vcc
	s_cbranch_execz .LBB956_632
; %bb.631:
	v_bfe_i32 v2, v2, 0, 16
	v_ashrrev_i32_e32 v3, 31, v2
	s_waitcnt lgkmcnt(0)
	v_lshlrev_b32_e32 v5, 16, v4
	v_lshl_add_u64 v[2:3], v[2:3], 1, s[66:67]
	v_ashrrev_i32_e32 v8, 15, v5
	v_bfe_i32 v9, v4, 15, 1
	v_lshl_add_u64 v[2:3], v[2:3], 0, v[8:9]
	global_load_ushort v2, v[2:3], off
.LBB956_632:
	s_or_b64 exec, exec, s[6:7]
	v_cmp_eq_u32_e32 vcc, 0, v1
	s_and_saveexec_b64 s[6:7], vcc
	s_cbranch_execz .LBB956_634
; %bb.633:
	v_lshrrev_b32_e32 v3, 5, v0
	v_and_b32_e32 v3, 2, v3
	s_waitcnt vmcnt(0)
	ds_write_b16 v3, v2
.LBB956_634:
	s_or_b64 exec, exec, s[6:7]
	v_cmp_gt_u32_e32 vcc, 2, v0
	s_waitcnt lgkmcnt(0)
	s_barrier
                                        ; implicit-def: $vgpr3
                                        ; implicit-def: $vgpr4
	s_and_saveexec_b64 s[6:7], vcc
	s_cbranch_execz .LBB956_636
; %bb.635:
	s_waitcnt vmcnt(0)
	v_lshlrev_b32_e32 v2, 1, v1
	ds_read_u16 v3, v2
	s_add_i32 s8, s8, 63
	v_and_b32_e32 v1, 1, v1
	s_lshr_b32 s8, s8, 6
	v_add_u32_e32 v1, 1, v1
	v_or_b32_e32 v2, 4, v7
	v_cmp_gt_u32_e32 vcc, s8, v1
	s_waitcnt lgkmcnt(0)
	v_and_b32_e32 v1, 0xffff, v3
	ds_bpermute_b32 v4, v2, v1
	s_andn2_b64 s[4:5], s[4:5], exec
	s_and_b64 s[8:9], vcc, exec
	s_or_b64 s[4:5], s[4:5], s[8:9]
	v_mov_b32_e32 v2, v3
.LBB956_636:
	s_or_b64 exec, exec, s[6:7]
.LBB956_637:
	s_and_saveexec_b64 s[6:7], s[4:5]
	s_cbranch_execz .LBB956_639
; %bb.638:
	s_waitcnt vmcnt(0)
	v_bfe_i32 v2, v3, 0, 16
	v_ashrrev_i32_e32 v3, 31, v2
	s_waitcnt lgkmcnt(0)
	v_lshlrev_b32_e32 v1, 16, v4
	v_lshl_add_u64 v[2:3], v[2:3], 1, s[66:67]
	v_ashrrev_i32_e32 v6, 15, v1
	v_bfe_i32 v7, v4, 15, 1
	v_lshl_add_u64 v[2:3], v[2:3], 0, v[6:7]
	global_load_ushort v2, v[2:3], off
.LBB956_639:
	s_or_b64 exec, exec, s[6:7]
	v_cmp_eq_u32_e32 vcc, 0, v0
	s_and_saveexec_b64 s[4:5], vcc
	s_xor_b64 s[4:5], exec, s[4:5]
	s_cbranch_execz .LBB956_641
; %bb.640:
	s_cmp_eq_u64 s[70:71], 0
	s_cselect_b64 s[6:7], -1, 0
	s_cmp_lg_u64 s[70:71], 0
	s_cselect_b64 s[8:9], -1, 0
	s_andn2_b64 s[10:11], s[72:73], exec
	s_and_b64 s[6:7], s[6:7], exec
	s_or_b64 s[72:73], s[10:11], s[6:7]
	s_andn2_b64 s[6:7], s[74:75], exec
	s_and_b64 s[8:9], s[8:9], exec
	s_or_b64 s[74:75], s[6:7], s[8:9]
.LBB956_641:
	s_or_b64 exec, exec, s[4:5]
	s_branch .LBB956_709
.LBB956_642:
	s_or_b64 exec, exec, s[20:21]
	s_and_saveexec_b64 s[18:19], s[14:15]
	s_cbranch_execz .LBB956_594
.LBB956_643:
	v_bfe_i32 v6, v2, 0, 16
	v_lshrrev_b32_e32 v1, 16, v2
	v_ashrrev_i32_e32 v7, 31, v6
	v_bfe_i32 v8, v1, 0, 16
	v_lshl_add_u64 v[6:7], v[6:7], 1, s[66:67]
	v_ashrrev_i32_e32 v9, 31, v8
	v_lshl_add_u64 v[6:7], v[8:9], 1, v[6:7]
	global_load_ushort v2, v[6:7], off
	s_or_b64 exec, exec, s[18:19]
	s_and_saveexec_b64 s[14:15], s[10:11]
	s_cbranch_execnz .LBB956_595
.LBB956_644:
	s_or_b64 exec, exec, s[14:15]
	s_and_saveexec_b64 s[10:11], s[12:13]
	s_cbranch_execz .LBB956_596
.LBB956_645:
	s_waitcnt vmcnt(0)
	v_bfe_i32 v6, v2, 0, 16
	v_lshrrev_b32_e32 v1, 16, v3
	v_ashrrev_i32_e32 v7, 31, v6
	v_bfe_i32 v2, v1, 0, 16
	v_lshl_add_u64 v[6:7], v[6:7], 1, s[66:67]
	v_ashrrev_i32_e32 v3, 31, v2
	v_lshl_add_u64 v[2:3], v[2:3], 1, v[6:7]
	global_load_ushort v2, v[2:3], off
	s_or_b64 exec, exec, s[10:11]
	s_and_saveexec_b64 s[10:11], s[6:7]
	s_cbranch_execnz .LBB956_597
.LBB956_646:
	s_or_b64 exec, exec, s[10:11]
	s_and_saveexec_b64 s[6:7], s[8:9]
	s_cbranch_execz .LBB956_598
.LBB956_647:
	s_waitcnt vmcnt(0)
	v_bfe_i32 v2, v2, 0, 16
	v_lshrrev_b32_e32 v1, 16, v4
	v_ashrrev_i32_e32 v3, 31, v2
	v_bfe_i32 v6, v1, 0, 16
	v_lshl_add_u64 v[2:3], v[2:3], 1, s[66:67]
	v_ashrrev_i32_e32 v7, 31, v6
	v_lshl_add_u64 v[2:3], v[6:7], 1, v[2:3]
	global_load_ushort v2, v[2:3], off
	s_or_b64 exec, exec, s[6:7]
	s_and_saveexec_b64 s[6:7], vcc
	s_cbranch_execnz .LBB956_599
.LBB956_648:
	s_or_b64 exec, exec, s[6:7]
	s_and_saveexec_b64 s[6:7], s[4:5]
	s_cbranch_execz .LBB956_650
.LBB956_649:
	s_waitcnt vmcnt(0)
	v_bfe_i32 v2, v2, 0, 16
	v_lshrrev_b32_e32 v1, 16, v5
	v_ashrrev_i32_e32 v3, 31, v2
	v_bfe_i32 v4, v1, 0, 16
	v_lshl_add_u64 v[2:3], v[2:3], 1, s[66:67]
	v_ashrrev_i32_e32 v5, 31, v4
	v_lshl_add_u64 v[2:3], v[4:5], 1, v[2:3]
	global_load_ushort v2, v[2:3], off
.LBB956_650:
	s_or_b64 exec, exec, s[6:7]
	v_mbcnt_lo_u32_b32 v1, -1, 0
	v_mbcnt_hi_u32_b32 v1, -1, v1
	v_and_b32_e32 v3, 63, v1
	v_cmp_ne_u32_e32 vcc, 63, v3
	s_waitcnt vmcnt(0)
	v_and_b32_e32 v6, 0xffff, v2
	s_min_u32 s6, s22, 0x80
	v_addc_co_u32_e32 v4, vcc, 0, v1, vcc
	v_lshlrev_b32_e32 v4, 2, v4
	ds_bpermute_b32 v4, v4, v6
	v_and_b32_e32 v5, 64, v0
	v_sub_u32_e64 v5, s6, v5 clamp
	v_add_u32_e32 v7, 1, v3
	v_cmp_lt_u32_e32 vcc, v7, v5
	s_and_saveexec_b64 s[4:5], vcc
	s_xor_b64 s[4:5], exec, s[4:5]
	s_cbranch_execz .LBB956_652
; %bb.651:
	v_bfe_i32 v6, v2, 0, 16
	v_ashrrev_i32_e32 v7, 31, v6
	s_waitcnt lgkmcnt(0)
	v_lshlrev_b32_e32 v2, 16, v4
	v_lshl_add_u64 v[6:7], v[6:7], 1, s[66:67]
	v_ashrrev_i32_e32 v8, 15, v2
	v_bfe_i32 v9, v4, 15, 1
	v_lshl_add_u64 v[6:7], v[6:7], 0, v[8:9]
	global_load_ushort v2, v[6:7], off
	s_waitcnt vmcnt(0)
	v_and_b32_e32 v6, 0xffff, v2
.LBB956_652:
	s_or_b64 exec, exec, s[4:5]
	v_cmp_gt_u32_e32 vcc, 62, v3
	v_add_u32_e32 v7, 2, v3
	s_waitcnt lgkmcnt(0)
	v_cndmask_b32_e64 v4, 0, 2, vcc
	v_add_lshl_u32 v4, v4, v1, 2
	ds_bpermute_b32 v4, v4, v6
	v_cmp_lt_u32_e32 vcc, v7, v5
	s_and_saveexec_b64 s[4:5], vcc
	s_cbranch_execz .LBB956_654
; %bb.653:
	v_bfe_i32 v6, v2, 0, 16
	v_ashrrev_i32_e32 v7, 31, v6
	s_waitcnt lgkmcnt(0)
	v_lshlrev_b32_e32 v2, 16, v4
	v_lshl_add_u64 v[6:7], v[6:7], 1, s[66:67]
	v_ashrrev_i32_e32 v8, 15, v2
	v_bfe_i32 v9, v4, 15, 1
	v_lshl_add_u64 v[6:7], v[6:7], 0, v[8:9]
	global_load_ushort v2, v[6:7], off
	s_waitcnt vmcnt(0)
	v_and_b32_e32 v6, 0xffff, v2
.LBB956_654:
	s_or_b64 exec, exec, s[4:5]
	v_cmp_gt_u32_e32 vcc, 60, v3
	v_add_u32_e32 v7, 4, v3
	s_waitcnt lgkmcnt(0)
	v_cndmask_b32_e64 v4, 0, 4, vcc
	v_add_lshl_u32 v4, v4, v1, 2
	ds_bpermute_b32 v4, v4, v6
	v_cmp_lt_u32_e32 vcc, v7, v5
	s_and_saveexec_b64 s[4:5], vcc
	;; [unrolled: 23-line block ×4, first 2 shown]
	s_cbranch_execz .LBB956_660
; %bb.659:
	v_bfe_i32 v6, v2, 0, 16
	v_ashrrev_i32_e32 v7, 31, v6
	s_waitcnt lgkmcnt(0)
	v_lshlrev_b32_e32 v2, 16, v4
	v_lshl_add_u64 v[6:7], v[6:7], 1, s[66:67]
	v_ashrrev_i32_e32 v8, 15, v2
	v_bfe_i32 v9, v4, 15, 1
	v_lshl_add_u64 v[6:7], v[6:7], 0, v[8:9]
	global_load_ushort v2, v[6:7], off
	s_waitcnt vmcnt(0)
	v_and_b32_e32 v6, 0xffff, v2
.LBB956_660:
	s_or_b64 exec, exec, s[4:5]
	v_lshlrev_b32_e32 v7, 2, v1
	s_waitcnt lgkmcnt(0)
	v_or_b32_e32 v4, 0x80, v7
	ds_bpermute_b32 v4, v4, v6
	v_add_u32_e32 v3, 32, v3
	v_cmp_lt_u32_e32 vcc, v3, v5
	s_and_saveexec_b64 s[4:5], vcc
	s_cbranch_execz .LBB956_662
; %bb.661:
	v_bfe_i32 v2, v2, 0, 16
	v_ashrrev_i32_e32 v3, 31, v2
	s_waitcnt lgkmcnt(0)
	v_lshlrev_b32_e32 v5, 16, v4
	v_lshl_add_u64 v[2:3], v[2:3], 1, s[66:67]
	v_ashrrev_i32_e32 v8, 15, v5
	v_bfe_i32 v9, v4, 15, 1
	v_lshl_add_u64 v[2:3], v[2:3], 0, v[8:9]
	global_load_ushort v2, v[2:3], off
.LBB956_662:
	s_or_b64 exec, exec, s[4:5]
	v_cmp_eq_u32_e32 vcc, 0, v1
	s_and_saveexec_b64 s[4:5], vcc
	s_cbranch_execz .LBB956_664
; %bb.663:
	v_lshrrev_b32_e32 v3, 5, v0
	v_and_b32_e32 v3, 2, v3
	s_waitcnt vmcnt(0)
	ds_write_b16 v3, v2
.LBB956_664:
	s_or_b64 exec, exec, s[4:5]
	v_cmp_gt_u32_e32 vcc, 2, v0
	s_waitcnt lgkmcnt(0)
	s_barrier
                                        ; implicit-def: $vgpr3
                                        ; implicit-def: $vgpr4
	s_and_saveexec_b64 s[4:5], vcc
	s_cbranch_execz .LBB956_666
; %bb.665:
	s_waitcnt vmcnt(0)
	v_lshlrev_b32_e32 v2, 1, v1
	ds_read_u16 v3, v2
	s_add_i32 s6, s6, 63
	v_and_b32_e32 v1, 1, v1
	s_lshr_b32 s6, s6, 6
	v_add_u32_e32 v1, 1, v1
	v_or_b32_e32 v2, 4, v7
	v_cmp_gt_u32_e32 vcc, s6, v1
	s_waitcnt lgkmcnt(0)
	v_and_b32_e32 v1, 0xffff, v3
	ds_bpermute_b32 v4, v2, v1
	s_andn2_b64 s[6:7], s[16:17], exec
	s_and_b64 s[8:9], vcc, exec
	s_or_b64 s[16:17], s[6:7], s[8:9]
	v_mov_b32_e32 v2, v3
.LBB956_666:
	s_or_b64 exec, exec, s[4:5]
.LBB956_667:
	s_and_saveexec_b64 s[4:5], s[16:17]
	s_cbranch_execz .LBB956_669
; %bb.668:
	s_waitcnt vmcnt(0)
	v_bfe_i32 v2, v3, 0, 16
	v_ashrrev_i32_e32 v3, 31, v2
	s_waitcnt lgkmcnt(0)
	v_lshlrev_b32_e32 v1, 16, v4
	v_lshl_add_u64 v[2:3], v[2:3], 1, s[66:67]
	v_ashrrev_i32_e32 v6, 15, v1
	v_bfe_i32 v7, v4, 15, 1
	v_lshl_add_u64 v[2:3], v[2:3], 0, v[6:7]
	global_load_ushort v2, v[2:3], off
.LBB956_669:
	s_or_b64 exec, exec, s[4:5]
	v_cmp_eq_u32_e32 vcc, 0, v0
	s_and_saveexec_b64 s[4:5], vcc
	s_xor_b64 s[4:5], exec, s[4:5]
	s_cbranch_execz .LBB956_671
; %bb.670:
	s_cmp_eq_u64 s[70:71], 0
	s_cselect_b64 s[6:7], -1, 0
	s_cmp_lg_u64 s[70:71], 0
	s_cselect_b64 s[8:9], -1, 0
	s_andn2_b64 s[10:11], s[72:73], exec
	s_and_b64 s[6:7], s[6:7], exec
	s_or_b64 s[72:73], s[10:11], s[6:7]
	s_andn2_b64 s[6:7], s[74:75], exec
	s_and_b64 s[8:9], s[8:9], exec
	s_or_b64 s[74:75], s[6:7], s[8:9]
.LBB956_671:
	s_or_b64 exec, exec, s[4:5]
	s_branch .LBB956_709
.LBB956_672:
	s_or_b64 exec, exec, s[12:13]
	s_and_saveexec_b64 s[10:11], s[6:7]
	s_cbranch_execz .LBB956_610
.LBB956_673:
	s_waitcnt lgkmcnt(0)
	v_bfe_i32 v4, v2, 0, 16
	v_lshrrev_b32_e32 v1, 16, v2
	v_ashrrev_i32_e32 v5, 31, v4
	v_bfe_i32 v6, v1, 0, 16
	v_lshl_add_u64 v[4:5], v[4:5], 1, s[66:67]
	v_ashrrev_i32_e32 v7, 31, v6
	v_lshl_add_u64 v[4:5], v[6:7], 1, v[4:5]
	global_load_ushort v2, v[4:5], off
	s_or_b64 exec, exec, s[10:11]
	s_and_saveexec_b64 s[6:7], s[4:5]
	s_cbranch_execnz .LBB956_611
.LBB956_674:
	s_or_b64 exec, exec, s[6:7]
	s_and_saveexec_b64 s[4:5], vcc
	s_cbranch_execz .LBB956_676
.LBB956_675:
	s_waitcnt vmcnt(0) lgkmcnt(0)
	v_bfe_i32 v4, v2, 0, 16
	v_lshrrev_b32_e32 v1, 16, v3
	v_ashrrev_i32_e32 v5, 31, v4
	v_bfe_i32 v2, v1, 0, 16
	v_lshl_add_u64 v[4:5], v[4:5], 1, s[66:67]
	v_ashrrev_i32_e32 v3, 31, v2
	v_lshl_add_u64 v[2:3], v[2:3], 1, v[4:5]
	global_load_ushort v2, v[2:3], off
.LBB956_676:
	s_or_b64 exec, exec, s[4:5]
	v_mbcnt_lo_u32_b32 v1, -1, 0
	v_mbcnt_hi_u32_b32 v1, -1, v1
	v_and_b32_e32 v3, 63, v1
	v_cmp_ne_u32_e32 vcc, 63, v3
	s_waitcnt vmcnt(0)
	v_and_b32_e32 v6, 0xffff, v2
	s_min_u32 s6, s14, 0x80
	s_waitcnt lgkmcnt(0)
	v_addc_co_u32_e32 v4, vcc, 0, v1, vcc
	v_lshlrev_b32_e32 v4, 2, v4
	ds_bpermute_b32 v4, v4, v6
	v_and_b32_e32 v5, 64, v0
	v_sub_u32_e64 v5, s6, v5 clamp
	v_add_u32_e32 v7, 1, v3
	v_cmp_lt_u32_e32 vcc, v7, v5
	s_and_saveexec_b64 s[4:5], vcc
	s_xor_b64 s[4:5], exec, s[4:5]
	s_cbranch_execz .LBB956_678
; %bb.677:
	v_bfe_i32 v6, v2, 0, 16
	v_ashrrev_i32_e32 v7, 31, v6
	s_waitcnt lgkmcnt(0)
	v_lshlrev_b32_e32 v2, 16, v4
	v_lshl_add_u64 v[6:7], v[6:7], 1, s[66:67]
	v_ashrrev_i32_e32 v8, 15, v2
	v_bfe_i32 v9, v4, 15, 1
	v_lshl_add_u64 v[6:7], v[6:7], 0, v[8:9]
	global_load_ushort v2, v[6:7], off
	s_waitcnt vmcnt(0)
	v_and_b32_e32 v6, 0xffff, v2
.LBB956_678:
	s_or_b64 exec, exec, s[4:5]
	v_cmp_gt_u32_e32 vcc, 62, v3
	v_add_u32_e32 v7, 2, v3
	s_waitcnt lgkmcnt(0)
	v_cndmask_b32_e64 v4, 0, 2, vcc
	v_add_lshl_u32 v4, v4, v1, 2
	ds_bpermute_b32 v4, v4, v6
	v_cmp_lt_u32_e32 vcc, v7, v5
	s_and_saveexec_b64 s[4:5], vcc
	s_cbranch_execz .LBB956_680
; %bb.679:
	v_bfe_i32 v6, v2, 0, 16
	v_ashrrev_i32_e32 v7, 31, v6
	s_waitcnt lgkmcnt(0)
	v_lshlrev_b32_e32 v2, 16, v4
	v_lshl_add_u64 v[6:7], v[6:7], 1, s[66:67]
	v_ashrrev_i32_e32 v8, 15, v2
	v_bfe_i32 v9, v4, 15, 1
	v_lshl_add_u64 v[6:7], v[6:7], 0, v[8:9]
	global_load_ushort v2, v[6:7], off
	s_waitcnt vmcnt(0)
	v_and_b32_e32 v6, 0xffff, v2
.LBB956_680:
	s_or_b64 exec, exec, s[4:5]
	v_cmp_gt_u32_e32 vcc, 60, v3
	v_add_u32_e32 v7, 4, v3
	s_waitcnt lgkmcnt(0)
	v_cndmask_b32_e64 v4, 0, 4, vcc
	v_add_lshl_u32 v4, v4, v1, 2
	ds_bpermute_b32 v4, v4, v6
	v_cmp_lt_u32_e32 vcc, v7, v5
	s_and_saveexec_b64 s[4:5], vcc
	;; [unrolled: 23-line block ×4, first 2 shown]
	s_cbranch_execz .LBB956_686
; %bb.685:
	v_bfe_i32 v6, v2, 0, 16
	v_ashrrev_i32_e32 v7, 31, v6
	s_waitcnt lgkmcnt(0)
	v_lshlrev_b32_e32 v2, 16, v4
	v_lshl_add_u64 v[6:7], v[6:7], 1, s[66:67]
	v_ashrrev_i32_e32 v8, 15, v2
	v_bfe_i32 v9, v4, 15, 1
	v_lshl_add_u64 v[6:7], v[6:7], 0, v[8:9]
	global_load_ushort v2, v[6:7], off
	s_waitcnt vmcnt(0)
	v_and_b32_e32 v6, 0xffff, v2
.LBB956_686:
	s_or_b64 exec, exec, s[4:5]
	v_lshlrev_b32_e32 v7, 2, v1
	s_waitcnt lgkmcnt(0)
	v_or_b32_e32 v4, 0x80, v7
	ds_bpermute_b32 v4, v4, v6
	v_add_u32_e32 v3, 32, v3
	v_cmp_lt_u32_e32 vcc, v3, v5
	s_and_saveexec_b64 s[4:5], vcc
	s_cbranch_execz .LBB956_688
; %bb.687:
	v_bfe_i32 v2, v2, 0, 16
	v_ashrrev_i32_e32 v3, 31, v2
	s_waitcnt lgkmcnt(0)
	v_lshlrev_b32_e32 v5, 16, v4
	v_lshl_add_u64 v[2:3], v[2:3], 1, s[66:67]
	v_ashrrev_i32_e32 v8, 15, v5
	v_bfe_i32 v9, v4, 15, 1
	v_lshl_add_u64 v[2:3], v[2:3], 0, v[8:9]
	global_load_ushort v2, v[2:3], off
.LBB956_688:
	s_or_b64 exec, exec, s[4:5]
	v_cmp_eq_u32_e32 vcc, 0, v1
	s_and_saveexec_b64 s[4:5], vcc
	s_cbranch_execz .LBB956_690
; %bb.689:
	v_lshrrev_b32_e32 v3, 5, v0
	v_and_b32_e32 v3, 2, v3
	s_waitcnt vmcnt(0)
	ds_write_b16 v3, v2
.LBB956_690:
	s_or_b64 exec, exec, s[4:5]
	v_cmp_gt_u32_e32 vcc, 2, v0
	s_waitcnt lgkmcnt(0)
	s_barrier
                                        ; implicit-def: $vgpr3
                                        ; implicit-def: $vgpr4
	s_and_saveexec_b64 s[4:5], vcc
	s_cbranch_execz .LBB956_692
; %bb.691:
	s_waitcnt vmcnt(0)
	v_lshlrev_b32_e32 v2, 1, v1
	ds_read_u16 v3, v2
	s_add_i32 s6, s6, 63
	v_and_b32_e32 v1, 1, v1
	s_lshr_b32 s6, s6, 6
	v_add_u32_e32 v1, 1, v1
	v_or_b32_e32 v2, 4, v7
	v_cmp_gt_u32_e32 vcc, s6, v1
	s_waitcnt lgkmcnt(0)
	v_and_b32_e32 v1, 0xffff, v3
	ds_bpermute_b32 v4, v2, v1
	s_andn2_b64 s[6:7], s[8:9], exec
	s_and_b64 s[8:9], vcc, exec
	s_or_b64 s[8:9], s[6:7], s[8:9]
	v_mov_b32_e32 v2, v3
.LBB956_692:
	s_or_b64 exec, exec, s[4:5]
.LBB956_693:
	s_and_saveexec_b64 s[4:5], s[8:9]
	s_cbranch_execz .LBB956_695
; %bb.694:
	s_waitcnt vmcnt(0)
	v_bfe_i32 v2, v3, 0, 16
	v_ashrrev_i32_e32 v3, 31, v2
	s_waitcnt lgkmcnt(0)
	v_lshlrev_b32_e32 v1, 16, v4
	v_lshl_add_u64 v[2:3], v[2:3], 1, s[66:67]
	v_ashrrev_i32_e32 v6, 15, v1
	v_bfe_i32 v7, v4, 15, 1
	v_lshl_add_u64 v[2:3], v[2:3], 0, v[6:7]
	global_load_ushort v2, v[2:3], off
.LBB956_695:
	s_or_b64 exec, exec, s[4:5]
	v_cmp_eq_u32_e32 vcc, 0, v0
	s_and_saveexec_b64 s[4:5], vcc
	s_xor_b64 s[4:5], exec, s[4:5]
	s_cbranch_execz .LBB956_697
; %bb.696:
	s_cmp_eq_u64 s[70:71], 0
	s_cselect_b64 s[6:7], -1, 0
	s_cmp_lg_u64 s[70:71], 0
	s_cselect_b64 s[8:9], -1, 0
	s_andn2_b64 s[10:11], s[72:73], exec
	s_and_b64 s[6:7], s[6:7], exec
	s_or_b64 s[72:73], s[10:11], s[6:7]
	s_andn2_b64 s[6:7], s[74:75], exec
	s_and_b64 s[8:9], s[8:9], exec
	s_or_b64 s[74:75], s[6:7], s[8:9]
.LBB956_697:
	s_or_b64 exec, exec, s[4:5]
.LBB956_698:
	s_branch .LBB956_709
.LBB956_699:
	s_cmp_eq_u32 s82, 1
	s_cbranch_scc0 .LBB956_708
; %bb.700:
	s_mov_b32 s7, 0
	s_lshl_b32 s6, s2, 7
	s_mov_b32 s3, s7
	s_lshr_b64 s[4:5], s[70:71], 7
	s_cmp_lg_u64 s[4:5], s[2:3]
	v_mbcnt_lo_u32_b32 v1, -1, 0
	s_cbranch_scc0 .LBB956_712
; %bb.701:
	s_lshl_b64 s[4:5], s[6:7], 1
	s_add_u32 s4, s68, s4
	s_addc_u32 s5, s69, s5
	s_waitcnt vmcnt(0)
	v_lshlrev_b32_e32 v2, 1, v0
	global_load_ushort v2, v2, s[4:5]
	s_waitcnt vmcnt(0)
	v_and_b32_e32 v3, 0xffff, v2
	s_waitcnt lgkmcnt(0)
	s_nop 0
	v_mov_b32_dpp v4, v3 quad_perm:[1,0,3,2] row_mask:0xf bank_mask:0xf bound_ctrl:1
	v_lshlrev_b32_e32 v6, 16, v4
	v_bfe_i32 v2, v2, 0, 16
	v_bfe_i32 v5, v4, 15, 1
	v_ashrrev_i32_e32 v4, 15, v6
	v_ashrrev_i32_e32 v3, 31, v2
	v_lshl_add_u64 v[4:5], s[66:67], 0, v[4:5]
	v_lshl_add_u64 v[2:3], v[2:3], 1, v[4:5]
	global_load_ushort v2, v[2:3], off
	s_waitcnt vmcnt(0)
	v_and_b32_e32 v3, 0xffff, v2
	s_nop 1
	v_mov_b32_dpp v4, v3 quad_perm:[2,3,0,1] row_mask:0xf bank_mask:0xf bound_ctrl:1
	v_lshlrev_b32_e32 v6, 16, v4
	v_bfe_i32 v2, v2, 0, 16
	v_bfe_i32 v5, v4, 15, 1
	v_ashrrev_i32_e32 v4, 15, v6
	v_ashrrev_i32_e32 v3, 31, v2
	v_lshl_add_u64 v[4:5], s[66:67], 0, v[4:5]
	v_lshl_add_u64 v[2:3], v[2:3], 1, v[4:5]
	global_load_ushort v2, v[2:3], off
	s_waitcnt vmcnt(0)
	v_and_b32_e32 v3, 0xffff, v2
	s_nop 1
	v_mov_b32_dpp v4, v3 row_ror:4 row_mask:0xf bank_mask:0xf bound_ctrl:1
	v_lshlrev_b32_e32 v6, 16, v4
	v_bfe_i32 v2, v2, 0, 16
	v_bfe_i32 v5, v4, 15, 1
	v_ashrrev_i32_e32 v4, 15, v6
	v_ashrrev_i32_e32 v3, 31, v2
	v_lshl_add_u64 v[4:5], s[66:67], 0, v[4:5]
	v_lshl_add_u64 v[2:3], v[2:3], 1, v[4:5]
	global_load_ushort v2, v[2:3], off
	s_waitcnt vmcnt(0)
	v_and_b32_e32 v3, 0xffff, v2
	s_nop 1
	v_mov_b32_dpp v4, v3 row_ror:8 row_mask:0xf bank_mask:0xf bound_ctrl:1
	v_lshlrev_b32_e32 v6, 16, v4
	v_bfe_i32 v2, v2, 0, 16
	v_bfe_i32 v5, v4, 15, 1
	v_ashrrev_i32_e32 v4, 15, v6
	v_ashrrev_i32_e32 v3, 31, v2
	v_lshl_add_u64 v[4:5], s[66:67], 0, v[4:5]
	v_lshl_add_u64 v[2:3], v[2:3], 1, v[4:5]
	global_load_ushort v2, v[2:3], off
	s_waitcnt vmcnt(0)
	v_and_b32_e32 v3, 0xffff, v2
	s_nop 1
	v_mov_b32_dpp v4, v3 row_bcast:15 row_mask:0xf bank_mask:0xf bound_ctrl:1
	v_lshlrev_b32_e32 v6, 16, v4
	v_bfe_i32 v2, v2, 0, 16
	v_bfe_i32 v5, v4, 15, 1
	v_ashrrev_i32_e32 v4, 15, v6
	v_ashrrev_i32_e32 v3, 31, v2
	v_lshl_add_u64 v[4:5], s[66:67], 0, v[4:5]
	v_lshl_add_u64 v[2:3], v[2:3], 1, v[4:5]
	global_load_ushort v2, v[2:3], off
	v_mbcnt_hi_u32_b32 v6, -1, v1
	v_cmp_eq_u32_e32 vcc, 0, v6
	s_waitcnt vmcnt(0)
	v_and_b32_e32 v3, 0xffff, v2
	s_nop 1
	v_mov_b32_dpp v5, v3 row_bcast:31 row_mask:0xf bank_mask:0xf bound_ctrl:1
	v_lshlrev_b32_e32 v4, 16, v5
	v_bfe_i32 v2, v2, 0, 16
	v_ashrrev_i32_e32 v4, 15, v4
	v_bfe_i32 v5, v5, 15, 1
	v_ashrrev_i32_e32 v3, 31, v2
	v_lshl_add_u64 v[4:5], s[66:67], 0, v[4:5]
	v_lshl_add_u64 v[2:3], v[2:3], 1, v[4:5]
	global_load_ushort v2, v[2:3], off
	v_lshlrev_b32_e32 v5, 2, v6
	v_or_b32_e32 v3, 0xfc, v5
	s_waitcnt vmcnt(0)
	ds_bpermute_b32 v2, v3, v2
	s_and_saveexec_b64 s[4:5], vcc
	s_cbranch_execz .LBB956_703
; %bb.702:
	v_lshrrev_b32_e32 v3, 5, v0
	v_and_b32_e32 v3, 2, v3
	s_waitcnt lgkmcnt(0)
	ds_write_b16 v3, v2 offset:8
.LBB956_703:
	s_or_b64 exec, exec, s[4:5]
	v_cmp_gt_u32_e32 vcc, 64, v0
	s_mov_b64 s[8:9], 0
	s_mov_b64 s[4:5], 0
	s_waitcnt lgkmcnt(0)
	s_barrier
                                        ; implicit-def: $vgpr3
                                        ; implicit-def: $vgpr4
	s_and_saveexec_b64 s[10:11], vcc
	s_xor_b64 s[10:11], exec, s[10:11]
	s_cbranch_execz .LBB956_705
; %bb.704:
	v_and_b32_e32 v3, 1, v6
	v_lshlrev_b32_e32 v3, 1, v3
	ds_read_u16 v3, v3 offset:8
	v_or_b32_e32 v4, 4, v5
	s_mov_b64 s[4:5], exec
	s_waitcnt lgkmcnt(0)
	v_and_b32_e32 v5, 0xffff, v3
	ds_bpermute_b32 v4, v4, v5
.LBB956_705:
	s_or_b64 exec, exec, s[10:11]
	s_and_b64 vcc, exec, s[8:9]
	s_cbranch_vccnz .LBB956_713
.LBB956_706:
	s_and_saveexec_b64 s[6:7], s[4:5]
	s_cbranch_execz .LBB956_732
.LBB956_707:
	s_waitcnt vmcnt(0)
	v_bfe_i32 v2, v3, 0, 16
	v_ashrrev_i32_e32 v3, 31, v2
	s_waitcnt lgkmcnt(0)
	v_lshlrev_b32_e32 v1, 16, v4
	v_lshl_add_u64 v[2:3], v[2:3], 1, s[66:67]
	v_ashrrev_i32_e32 v6, 15, v1
	v_bfe_i32 v7, v4, 15, 1
	v_lshl_add_u64 v[2:3], v[2:3], 0, v[6:7]
	global_load_ushort v2, v[2:3], off
	s_or_b64 exec, exec, s[6:7]
	v_cmp_eq_u32_e32 vcc, 0, v0
	s_and_saveexec_b64 s[4:5], vcc
	s_cbranch_execnz .LBB956_733
	s_branch .LBB956_734
.LBB956_708:
                                        ; implicit-def: $sgpr2_sgpr3
                                        ; implicit-def: $vgpr2
.LBB956_709:
	v_mov_b32_e32 v0, s33
	s_and_saveexec_b64 s[4:5], s[74:75]
	s_cbranch_execz .LBB956_735
.LBB956_710:
	s_sext_i32_i16 s6, s33
	s_ashr_i32 s7, s6, 31
	s_lshl_b64 s[6:7], s[6:7], 1
	s_add_u32 s6, s66, s6
	s_waitcnt vmcnt(0)
	v_bfe_i32 v0, v2, 0, 16
	s_addc_u32 s7, s67, s7
	v_ashrrev_i32_e32 v1, 31, v0
	v_lshl_add_u64 v[0:1], v[0:1], 1, s[6:7]
	global_load_ushort v0, v[0:1], off
	s_or_b64 s[72:73], s[72:73], exec
	s_or_b64 exec, exec, s[4:5]
	s_and_saveexec_b64 s[4:5], s[72:73]
	s_cbranch_execnz .LBB956_736
.LBB956_711:
	s_endpgm
.LBB956_712:
	s_mov_b64 s[4:5], 0
                                        ; implicit-def: $vgpr3
                                        ; implicit-def: $vgpr4
                                        ; implicit-def: $vgpr2
	s_cbranch_execz .LBB956_706
.LBB956_713:
	s_sub_i32 s10, s70, s6
	v_cmp_gt_u32_e32 vcc, s10, v0
                                        ; implicit-def: $vgpr2
	s_and_saveexec_b64 s[8:9], vcc
	s_cbranch_execz .LBB956_715
; %bb.714:
	s_lshl_b64 s[6:7], s[6:7], 1
	s_add_u32 s6, s68, s6
	s_addc_u32 s7, s69, s7
	s_waitcnt vmcnt(0)
	v_lshlrev_b32_e32 v2, 1, v0
	global_load_ushort v2, v2, s[6:7]
.LBB956_715:
	s_or_b64 exec, exec, s[8:9]
	v_mbcnt_hi_u32_b32 v1, -1, v1
	v_and_b32_e32 v3, 63, v1
	v_cmp_ne_u32_e32 vcc, 63, v3
	s_waitcnt vmcnt(0)
	v_and_b32_e32 v6, 0xffff, v2
	s_min_u32 s8, s10, 0x80
	s_waitcnt lgkmcnt(0)
	v_addc_co_u32_e32 v4, vcc, 0, v1, vcc
	v_lshlrev_b32_e32 v4, 2, v4
	ds_bpermute_b32 v4, v4, v6
	v_and_b32_e32 v5, 64, v0
	v_sub_u32_e64 v5, s8, v5 clamp
	v_add_u32_e32 v7, 1, v3
	v_cmp_lt_u32_e32 vcc, v7, v5
	s_and_saveexec_b64 s[6:7], vcc
	s_cbranch_execz .LBB956_717
; %bb.716:
	v_bfe_i32 v6, v2, 0, 16
	v_ashrrev_i32_e32 v7, 31, v6
	s_waitcnt lgkmcnt(0)
	v_lshlrev_b32_e32 v2, 16, v4
	v_lshl_add_u64 v[6:7], v[6:7], 1, s[66:67]
	v_ashrrev_i32_e32 v8, 15, v2
	v_bfe_i32 v9, v4, 15, 1
	v_lshl_add_u64 v[6:7], v[6:7], 0, v[8:9]
	global_load_ushort v2, v[6:7], off
	s_waitcnt vmcnt(0)
	v_and_b32_e32 v6, 0xffff, v2
.LBB956_717:
	s_or_b64 exec, exec, s[6:7]
	v_cmp_gt_u32_e32 vcc, 62, v3
	v_add_u32_e32 v7, 2, v3
	s_waitcnt lgkmcnt(0)
	v_cndmask_b32_e64 v4, 0, 2, vcc
	v_add_lshl_u32 v4, v4, v1, 2
	ds_bpermute_b32 v4, v4, v6
	v_cmp_lt_u32_e32 vcc, v7, v5
	s_and_saveexec_b64 s[6:7], vcc
	s_cbranch_execz .LBB956_719
; %bb.718:
	v_bfe_i32 v6, v2, 0, 16
	v_ashrrev_i32_e32 v7, 31, v6
	s_waitcnt lgkmcnt(0)
	v_lshlrev_b32_e32 v2, 16, v4
	v_lshl_add_u64 v[6:7], v[6:7], 1, s[66:67]
	v_ashrrev_i32_e32 v8, 15, v2
	v_bfe_i32 v9, v4, 15, 1
	v_lshl_add_u64 v[6:7], v[6:7], 0, v[8:9]
	global_load_ushort v2, v[6:7], off
	s_waitcnt vmcnt(0)
	v_and_b32_e32 v6, 0xffff, v2
.LBB956_719:
	s_or_b64 exec, exec, s[6:7]
	v_cmp_gt_u32_e32 vcc, 60, v3
	v_add_u32_e32 v7, 4, v3
	s_waitcnt lgkmcnt(0)
	v_cndmask_b32_e64 v4, 0, 4, vcc
	v_add_lshl_u32 v4, v4, v1, 2
	ds_bpermute_b32 v4, v4, v6
	;; [unrolled: 23-line block ×4, first 2 shown]
	v_cmp_lt_u32_e32 vcc, v7, v5
	s_and_saveexec_b64 s[6:7], vcc
	s_cbranch_execz .LBB956_725
; %bb.724:
	v_bfe_i32 v6, v2, 0, 16
	v_ashrrev_i32_e32 v7, 31, v6
	s_waitcnt lgkmcnt(0)
	v_lshlrev_b32_e32 v2, 16, v4
	v_lshl_add_u64 v[6:7], v[6:7], 1, s[66:67]
	v_ashrrev_i32_e32 v8, 15, v2
	v_bfe_i32 v9, v4, 15, 1
	v_lshl_add_u64 v[6:7], v[6:7], 0, v[8:9]
	global_load_ushort v2, v[6:7], off
	s_waitcnt vmcnt(0)
	v_and_b32_e32 v6, 0xffff, v2
.LBB956_725:
	s_or_b64 exec, exec, s[6:7]
	v_lshlrev_b32_e32 v7, 2, v1
	s_waitcnt lgkmcnt(0)
	v_or_b32_e32 v4, 0x80, v7
	ds_bpermute_b32 v4, v4, v6
	v_add_u32_e32 v3, 32, v3
	v_cmp_lt_u32_e32 vcc, v3, v5
	s_and_saveexec_b64 s[6:7], vcc
	s_cbranch_execz .LBB956_727
; %bb.726:
	v_bfe_i32 v2, v2, 0, 16
	v_ashrrev_i32_e32 v3, 31, v2
	s_waitcnt lgkmcnt(0)
	v_lshlrev_b32_e32 v5, 16, v4
	v_lshl_add_u64 v[2:3], v[2:3], 1, s[66:67]
	v_ashrrev_i32_e32 v8, 15, v5
	v_bfe_i32 v9, v4, 15, 1
	v_lshl_add_u64 v[2:3], v[2:3], 0, v[8:9]
	global_load_ushort v2, v[2:3], off
.LBB956_727:
	s_or_b64 exec, exec, s[6:7]
	v_cmp_eq_u32_e32 vcc, 0, v1
	s_and_saveexec_b64 s[6:7], vcc
	s_cbranch_execz .LBB956_729
; %bb.728:
	v_lshrrev_b32_e32 v3, 5, v0
	v_and_b32_e32 v3, 2, v3
	s_waitcnt vmcnt(0)
	ds_write_b16 v3, v2
.LBB956_729:
	s_or_b64 exec, exec, s[6:7]
	v_cmp_gt_u32_e32 vcc, 2, v0
	s_waitcnt lgkmcnt(0)
	s_barrier
                                        ; implicit-def: $vgpr3
                                        ; implicit-def: $vgpr4
	s_and_saveexec_b64 s[6:7], vcc
	s_cbranch_execz .LBB956_731
; %bb.730:
	s_waitcnt vmcnt(0)
	v_lshlrev_b32_e32 v2, 1, v1
	ds_read_u16 v3, v2
	s_add_i32 s8, s8, 63
	v_and_b32_e32 v1, 1, v1
	s_lshr_b32 s8, s8, 6
	v_add_u32_e32 v1, 1, v1
	v_or_b32_e32 v2, 4, v7
	v_cmp_gt_u32_e32 vcc, s8, v1
	s_waitcnt lgkmcnt(0)
	v_and_b32_e32 v1, 0xffff, v3
	ds_bpermute_b32 v4, v2, v1
	s_andn2_b64 s[4:5], s[4:5], exec
	s_and_b64 s[8:9], vcc, exec
	s_or_b64 s[4:5], s[4:5], s[8:9]
	v_mov_b32_e32 v2, v3
.LBB956_731:
	s_or_b64 exec, exec, s[6:7]
	s_and_saveexec_b64 s[6:7], s[4:5]
	s_cbranch_execnz .LBB956_707
.LBB956_732:
	s_or_b64 exec, exec, s[6:7]
	v_cmp_eq_u32_e32 vcc, 0, v0
	s_and_saveexec_b64 s[4:5], vcc
	s_cbranch_execz .LBB956_734
.LBB956_733:
	s_cmp_eq_u64 s[70:71], 0
	s_cselect_b64 s[6:7], -1, 0
	s_cmp_lg_u64 s[70:71], 0
	s_cselect_b64 s[8:9], -1, 0
	s_andn2_b64 s[10:11], s[72:73], exec
	s_and_b64 s[6:7], s[6:7], exec
	s_or_b64 s[72:73], s[10:11], s[6:7]
	s_andn2_b64 s[6:7], s[74:75], exec
	s_and_b64 s[8:9], s[8:9], exec
	s_or_b64 s[74:75], s[6:7], s[8:9]
.LBB956_734:
	s_or_b64 exec, exec, s[4:5]
	v_mov_b32_e32 v0, s33
	s_and_saveexec_b64 s[4:5], s[74:75]
	s_cbranch_execnz .LBB956_710
.LBB956_735:
	s_or_b64 exec, exec, s[4:5]
	s_and_saveexec_b64 s[4:5], s[72:73]
	s_cbranch_execz .LBB956_711
.LBB956_736:
	s_load_dwordx2 s[0:1], s[0:1], 0x18
	s_lshl_b64 s[2:3], s[2:3], 1
	v_mov_b32_e32 v1, 0
	s_waitcnt lgkmcnt(0)
	s_add_u32 s0, s0, s2
	s_addc_u32 s1, s1, s3
	s_waitcnt vmcnt(0)
	global_store_short v1, v0, s[0:1]
	s_endpgm
	.section	.rodata,"a",@progbits
	.p2align	6, 0x0
	.amdhsa_kernel _ZN7rocprim17ROCPRIM_400000_NS6detail17trampoline_kernelINS0_14default_configENS1_22reduce_config_selectorIsEEZNS1_11reduce_implILb1ES3_PsS7_s9plus_mod3IsEEE10hipError_tPvRmT1_T2_T3_mT4_P12ihipStream_tbEUlT_E1_NS1_11comp_targetILNS1_3genE0ELNS1_11target_archE4294967295ELNS1_3gpuE0ELNS1_3repE0EEENS1_30default_config_static_selectorELNS0_4arch9wavefront6targetE1EEEvSD_
		.amdhsa_group_segment_fixed_size 32
		.amdhsa_private_segment_fixed_size 0
		.amdhsa_kernarg_size 48
		.amdhsa_user_sgpr_count 2
		.amdhsa_user_sgpr_dispatch_ptr 0
		.amdhsa_user_sgpr_queue_ptr 0
		.amdhsa_user_sgpr_kernarg_segment_ptr 1
		.amdhsa_user_sgpr_dispatch_id 0
		.amdhsa_user_sgpr_kernarg_preload_length 0
		.amdhsa_user_sgpr_kernarg_preload_offset 0
		.amdhsa_user_sgpr_private_segment_size 0
		.amdhsa_uses_dynamic_stack 0
		.amdhsa_enable_private_segment 0
		.amdhsa_system_sgpr_workgroup_id_x 1
		.amdhsa_system_sgpr_workgroup_id_y 0
		.amdhsa_system_sgpr_workgroup_id_z 0
		.amdhsa_system_sgpr_workgroup_info 0
		.amdhsa_system_vgpr_workitem_id 0
		.amdhsa_next_free_vgpr 39
		.amdhsa_next_free_sgpr 100
		.amdhsa_accum_offset 40
		.amdhsa_reserve_vcc 1
		.amdhsa_float_round_mode_32 0
		.amdhsa_float_round_mode_16_64 0
		.amdhsa_float_denorm_mode_32 3
		.amdhsa_float_denorm_mode_16_64 3
		.amdhsa_dx10_clamp 1
		.amdhsa_ieee_mode 1
		.amdhsa_fp16_overflow 0
		.amdhsa_tg_split 0
		.amdhsa_exception_fp_ieee_invalid_op 0
		.amdhsa_exception_fp_denorm_src 0
		.amdhsa_exception_fp_ieee_div_zero 0
		.amdhsa_exception_fp_ieee_overflow 0
		.amdhsa_exception_fp_ieee_underflow 0
		.amdhsa_exception_fp_ieee_inexact 0
		.amdhsa_exception_int_div_zero 0
	.end_amdhsa_kernel
	.section	.text._ZN7rocprim17ROCPRIM_400000_NS6detail17trampoline_kernelINS0_14default_configENS1_22reduce_config_selectorIsEEZNS1_11reduce_implILb1ES3_PsS7_s9plus_mod3IsEEE10hipError_tPvRmT1_T2_T3_mT4_P12ihipStream_tbEUlT_E1_NS1_11comp_targetILNS1_3genE0ELNS1_11target_archE4294967295ELNS1_3gpuE0ELNS1_3repE0EEENS1_30default_config_static_selectorELNS0_4arch9wavefront6targetE1EEEvSD_,"axG",@progbits,_ZN7rocprim17ROCPRIM_400000_NS6detail17trampoline_kernelINS0_14default_configENS1_22reduce_config_selectorIsEEZNS1_11reduce_implILb1ES3_PsS7_s9plus_mod3IsEEE10hipError_tPvRmT1_T2_T3_mT4_P12ihipStream_tbEUlT_E1_NS1_11comp_targetILNS1_3genE0ELNS1_11target_archE4294967295ELNS1_3gpuE0ELNS1_3repE0EEENS1_30default_config_static_selectorELNS0_4arch9wavefront6targetE1EEEvSD_,comdat
.Lfunc_end956:
	.size	_ZN7rocprim17ROCPRIM_400000_NS6detail17trampoline_kernelINS0_14default_configENS1_22reduce_config_selectorIsEEZNS1_11reduce_implILb1ES3_PsS7_s9plus_mod3IsEEE10hipError_tPvRmT1_T2_T3_mT4_P12ihipStream_tbEUlT_E1_NS1_11comp_targetILNS1_3genE0ELNS1_11target_archE4294967295ELNS1_3gpuE0ELNS1_3repE0EEENS1_30default_config_static_selectorELNS0_4arch9wavefront6targetE1EEEvSD_, .Lfunc_end956-_ZN7rocprim17ROCPRIM_400000_NS6detail17trampoline_kernelINS0_14default_configENS1_22reduce_config_selectorIsEEZNS1_11reduce_implILb1ES3_PsS7_s9plus_mod3IsEEE10hipError_tPvRmT1_T2_T3_mT4_P12ihipStream_tbEUlT_E1_NS1_11comp_targetILNS1_3genE0ELNS1_11target_archE4294967295ELNS1_3gpuE0ELNS1_3repE0EEENS1_30default_config_static_selectorELNS0_4arch9wavefront6targetE1EEEvSD_
                                        ; -- End function
	.set _ZN7rocprim17ROCPRIM_400000_NS6detail17trampoline_kernelINS0_14default_configENS1_22reduce_config_selectorIsEEZNS1_11reduce_implILb1ES3_PsS7_s9plus_mod3IsEEE10hipError_tPvRmT1_T2_T3_mT4_P12ihipStream_tbEUlT_E1_NS1_11comp_targetILNS1_3genE0ELNS1_11target_archE4294967295ELNS1_3gpuE0ELNS1_3repE0EEENS1_30default_config_static_selectorELNS0_4arch9wavefront6targetE1EEEvSD_.num_vgpr, 39
	.set _ZN7rocprim17ROCPRIM_400000_NS6detail17trampoline_kernelINS0_14default_configENS1_22reduce_config_selectorIsEEZNS1_11reduce_implILb1ES3_PsS7_s9plus_mod3IsEEE10hipError_tPvRmT1_T2_T3_mT4_P12ihipStream_tbEUlT_E1_NS1_11comp_targetILNS1_3genE0ELNS1_11target_archE4294967295ELNS1_3gpuE0ELNS1_3repE0EEENS1_30default_config_static_selectorELNS0_4arch9wavefront6targetE1EEEvSD_.num_agpr, 0
	.set _ZN7rocprim17ROCPRIM_400000_NS6detail17trampoline_kernelINS0_14default_configENS1_22reduce_config_selectorIsEEZNS1_11reduce_implILb1ES3_PsS7_s9plus_mod3IsEEE10hipError_tPvRmT1_T2_T3_mT4_P12ihipStream_tbEUlT_E1_NS1_11comp_targetILNS1_3genE0ELNS1_11target_archE4294967295ELNS1_3gpuE0ELNS1_3repE0EEENS1_30default_config_static_selectorELNS0_4arch9wavefront6targetE1EEEvSD_.numbered_sgpr, 100
	.set _ZN7rocprim17ROCPRIM_400000_NS6detail17trampoline_kernelINS0_14default_configENS1_22reduce_config_selectorIsEEZNS1_11reduce_implILb1ES3_PsS7_s9plus_mod3IsEEE10hipError_tPvRmT1_T2_T3_mT4_P12ihipStream_tbEUlT_E1_NS1_11comp_targetILNS1_3genE0ELNS1_11target_archE4294967295ELNS1_3gpuE0ELNS1_3repE0EEENS1_30default_config_static_selectorELNS0_4arch9wavefront6targetE1EEEvSD_.num_named_barrier, 0
	.set _ZN7rocprim17ROCPRIM_400000_NS6detail17trampoline_kernelINS0_14default_configENS1_22reduce_config_selectorIsEEZNS1_11reduce_implILb1ES3_PsS7_s9plus_mod3IsEEE10hipError_tPvRmT1_T2_T3_mT4_P12ihipStream_tbEUlT_E1_NS1_11comp_targetILNS1_3genE0ELNS1_11target_archE4294967295ELNS1_3gpuE0ELNS1_3repE0EEENS1_30default_config_static_selectorELNS0_4arch9wavefront6targetE1EEEvSD_.private_seg_size, 0
	.set _ZN7rocprim17ROCPRIM_400000_NS6detail17trampoline_kernelINS0_14default_configENS1_22reduce_config_selectorIsEEZNS1_11reduce_implILb1ES3_PsS7_s9plus_mod3IsEEE10hipError_tPvRmT1_T2_T3_mT4_P12ihipStream_tbEUlT_E1_NS1_11comp_targetILNS1_3genE0ELNS1_11target_archE4294967295ELNS1_3gpuE0ELNS1_3repE0EEENS1_30default_config_static_selectorELNS0_4arch9wavefront6targetE1EEEvSD_.uses_vcc, 1
	.set _ZN7rocprim17ROCPRIM_400000_NS6detail17trampoline_kernelINS0_14default_configENS1_22reduce_config_selectorIsEEZNS1_11reduce_implILb1ES3_PsS7_s9plus_mod3IsEEE10hipError_tPvRmT1_T2_T3_mT4_P12ihipStream_tbEUlT_E1_NS1_11comp_targetILNS1_3genE0ELNS1_11target_archE4294967295ELNS1_3gpuE0ELNS1_3repE0EEENS1_30default_config_static_selectorELNS0_4arch9wavefront6targetE1EEEvSD_.uses_flat_scratch, 0
	.set _ZN7rocprim17ROCPRIM_400000_NS6detail17trampoline_kernelINS0_14default_configENS1_22reduce_config_selectorIsEEZNS1_11reduce_implILb1ES3_PsS7_s9plus_mod3IsEEE10hipError_tPvRmT1_T2_T3_mT4_P12ihipStream_tbEUlT_E1_NS1_11comp_targetILNS1_3genE0ELNS1_11target_archE4294967295ELNS1_3gpuE0ELNS1_3repE0EEENS1_30default_config_static_selectorELNS0_4arch9wavefront6targetE1EEEvSD_.has_dyn_sized_stack, 0
	.set _ZN7rocprim17ROCPRIM_400000_NS6detail17trampoline_kernelINS0_14default_configENS1_22reduce_config_selectorIsEEZNS1_11reduce_implILb1ES3_PsS7_s9plus_mod3IsEEE10hipError_tPvRmT1_T2_T3_mT4_P12ihipStream_tbEUlT_E1_NS1_11comp_targetILNS1_3genE0ELNS1_11target_archE4294967295ELNS1_3gpuE0ELNS1_3repE0EEENS1_30default_config_static_selectorELNS0_4arch9wavefront6targetE1EEEvSD_.has_recursion, 0
	.set _ZN7rocprim17ROCPRIM_400000_NS6detail17trampoline_kernelINS0_14default_configENS1_22reduce_config_selectorIsEEZNS1_11reduce_implILb1ES3_PsS7_s9plus_mod3IsEEE10hipError_tPvRmT1_T2_T3_mT4_P12ihipStream_tbEUlT_E1_NS1_11comp_targetILNS1_3genE0ELNS1_11target_archE4294967295ELNS1_3gpuE0ELNS1_3repE0EEENS1_30default_config_static_selectorELNS0_4arch9wavefront6targetE1EEEvSD_.has_indirect_call, 0
	.section	.AMDGPU.csdata,"",@progbits
; Kernel info:
; codeLenInByte = 38240
; TotalNumSgprs: 106
; NumVgprs: 39
; NumAgprs: 0
; TotalNumVgprs: 39
; ScratchSize: 0
; MemoryBound: 0
; FloatMode: 240
; IeeeMode: 1
; LDSByteSize: 32 bytes/workgroup (compile time only)
; SGPRBlocks: 13
; VGPRBlocks: 4
; NumSGPRsForWavesPerEU: 106
; NumVGPRsForWavesPerEU: 39
; AccumOffset: 40
; Occupancy: 7
; WaveLimiterHint : 1
; COMPUTE_PGM_RSRC2:SCRATCH_EN: 0
; COMPUTE_PGM_RSRC2:USER_SGPR: 2
; COMPUTE_PGM_RSRC2:TRAP_HANDLER: 0
; COMPUTE_PGM_RSRC2:TGID_X_EN: 1
; COMPUTE_PGM_RSRC2:TGID_Y_EN: 0
; COMPUTE_PGM_RSRC2:TGID_Z_EN: 0
; COMPUTE_PGM_RSRC2:TIDIG_COMP_CNT: 0
; COMPUTE_PGM_RSRC3_GFX90A:ACCUM_OFFSET: 9
; COMPUTE_PGM_RSRC3_GFX90A:TG_SPLIT: 0
	.section	.text._ZN7rocprim17ROCPRIM_400000_NS6detail17trampoline_kernelINS0_14default_configENS1_22reduce_config_selectorIsEEZNS1_11reduce_implILb1ES3_PsS7_s9plus_mod3IsEEE10hipError_tPvRmT1_T2_T3_mT4_P12ihipStream_tbEUlT_E1_NS1_11comp_targetILNS1_3genE5ELNS1_11target_archE942ELNS1_3gpuE9ELNS1_3repE0EEENS1_30default_config_static_selectorELNS0_4arch9wavefront6targetE1EEEvSD_,"axG",@progbits,_ZN7rocprim17ROCPRIM_400000_NS6detail17trampoline_kernelINS0_14default_configENS1_22reduce_config_selectorIsEEZNS1_11reduce_implILb1ES3_PsS7_s9plus_mod3IsEEE10hipError_tPvRmT1_T2_T3_mT4_P12ihipStream_tbEUlT_E1_NS1_11comp_targetILNS1_3genE5ELNS1_11target_archE942ELNS1_3gpuE9ELNS1_3repE0EEENS1_30default_config_static_selectorELNS0_4arch9wavefront6targetE1EEEvSD_,comdat
	.protected	_ZN7rocprim17ROCPRIM_400000_NS6detail17trampoline_kernelINS0_14default_configENS1_22reduce_config_selectorIsEEZNS1_11reduce_implILb1ES3_PsS7_s9plus_mod3IsEEE10hipError_tPvRmT1_T2_T3_mT4_P12ihipStream_tbEUlT_E1_NS1_11comp_targetILNS1_3genE5ELNS1_11target_archE942ELNS1_3gpuE9ELNS1_3repE0EEENS1_30default_config_static_selectorELNS0_4arch9wavefront6targetE1EEEvSD_ ; -- Begin function _ZN7rocprim17ROCPRIM_400000_NS6detail17trampoline_kernelINS0_14default_configENS1_22reduce_config_selectorIsEEZNS1_11reduce_implILb1ES3_PsS7_s9plus_mod3IsEEE10hipError_tPvRmT1_T2_T3_mT4_P12ihipStream_tbEUlT_E1_NS1_11comp_targetILNS1_3genE5ELNS1_11target_archE942ELNS1_3gpuE9ELNS1_3repE0EEENS1_30default_config_static_selectorELNS0_4arch9wavefront6targetE1EEEvSD_
	.globl	_ZN7rocprim17ROCPRIM_400000_NS6detail17trampoline_kernelINS0_14default_configENS1_22reduce_config_selectorIsEEZNS1_11reduce_implILb1ES3_PsS7_s9plus_mod3IsEEE10hipError_tPvRmT1_T2_T3_mT4_P12ihipStream_tbEUlT_E1_NS1_11comp_targetILNS1_3genE5ELNS1_11target_archE942ELNS1_3gpuE9ELNS1_3repE0EEENS1_30default_config_static_selectorELNS0_4arch9wavefront6targetE1EEEvSD_
	.p2align	8
	.type	_ZN7rocprim17ROCPRIM_400000_NS6detail17trampoline_kernelINS0_14default_configENS1_22reduce_config_selectorIsEEZNS1_11reduce_implILb1ES3_PsS7_s9plus_mod3IsEEE10hipError_tPvRmT1_T2_T3_mT4_P12ihipStream_tbEUlT_E1_NS1_11comp_targetILNS1_3genE5ELNS1_11target_archE942ELNS1_3gpuE9ELNS1_3repE0EEENS1_30default_config_static_selectorELNS0_4arch9wavefront6targetE1EEEvSD_,@function
_ZN7rocprim17ROCPRIM_400000_NS6detail17trampoline_kernelINS0_14default_configENS1_22reduce_config_selectorIsEEZNS1_11reduce_implILb1ES3_PsS7_s9plus_mod3IsEEE10hipError_tPvRmT1_T2_T3_mT4_P12ihipStream_tbEUlT_E1_NS1_11comp_targetILNS1_3genE5ELNS1_11target_archE942ELNS1_3gpuE9ELNS1_3repE0EEENS1_30default_config_static_selectorELNS0_4arch9wavefront6targetE1EEEvSD_: ; @_ZN7rocprim17ROCPRIM_400000_NS6detail17trampoline_kernelINS0_14default_configENS1_22reduce_config_selectorIsEEZNS1_11reduce_implILb1ES3_PsS7_s9plus_mod3IsEEE10hipError_tPvRmT1_T2_T3_mT4_P12ihipStream_tbEUlT_E1_NS1_11comp_targetILNS1_3genE5ELNS1_11target_archE942ELNS1_3gpuE9ELNS1_3repE0EEENS1_30default_config_static_selectorELNS0_4arch9wavefront6targetE1EEEvSD_
; %bb.0:
	.section	.rodata,"a",@progbits
	.p2align	6, 0x0
	.amdhsa_kernel _ZN7rocprim17ROCPRIM_400000_NS6detail17trampoline_kernelINS0_14default_configENS1_22reduce_config_selectorIsEEZNS1_11reduce_implILb1ES3_PsS7_s9plus_mod3IsEEE10hipError_tPvRmT1_T2_T3_mT4_P12ihipStream_tbEUlT_E1_NS1_11comp_targetILNS1_3genE5ELNS1_11target_archE942ELNS1_3gpuE9ELNS1_3repE0EEENS1_30default_config_static_selectorELNS0_4arch9wavefront6targetE1EEEvSD_
		.amdhsa_group_segment_fixed_size 0
		.amdhsa_private_segment_fixed_size 0
		.amdhsa_kernarg_size 48
		.amdhsa_user_sgpr_count 2
		.amdhsa_user_sgpr_dispatch_ptr 0
		.amdhsa_user_sgpr_queue_ptr 0
		.amdhsa_user_sgpr_kernarg_segment_ptr 1
		.amdhsa_user_sgpr_dispatch_id 0
		.amdhsa_user_sgpr_kernarg_preload_length 0
		.amdhsa_user_sgpr_kernarg_preload_offset 0
		.amdhsa_user_sgpr_private_segment_size 0
		.amdhsa_uses_dynamic_stack 0
		.amdhsa_enable_private_segment 0
		.amdhsa_system_sgpr_workgroup_id_x 1
		.amdhsa_system_sgpr_workgroup_id_y 0
		.amdhsa_system_sgpr_workgroup_id_z 0
		.amdhsa_system_sgpr_workgroup_info 0
		.amdhsa_system_vgpr_workitem_id 0
		.amdhsa_next_free_vgpr 1
		.amdhsa_next_free_sgpr 0
		.amdhsa_accum_offset 4
		.amdhsa_reserve_vcc 0
		.amdhsa_float_round_mode_32 0
		.amdhsa_float_round_mode_16_64 0
		.amdhsa_float_denorm_mode_32 3
		.amdhsa_float_denorm_mode_16_64 3
		.amdhsa_dx10_clamp 1
		.amdhsa_ieee_mode 1
		.amdhsa_fp16_overflow 0
		.amdhsa_tg_split 0
		.amdhsa_exception_fp_ieee_invalid_op 0
		.amdhsa_exception_fp_denorm_src 0
		.amdhsa_exception_fp_ieee_div_zero 0
		.amdhsa_exception_fp_ieee_overflow 0
		.amdhsa_exception_fp_ieee_underflow 0
		.amdhsa_exception_fp_ieee_inexact 0
		.amdhsa_exception_int_div_zero 0
	.end_amdhsa_kernel
	.section	.text._ZN7rocprim17ROCPRIM_400000_NS6detail17trampoline_kernelINS0_14default_configENS1_22reduce_config_selectorIsEEZNS1_11reduce_implILb1ES3_PsS7_s9plus_mod3IsEEE10hipError_tPvRmT1_T2_T3_mT4_P12ihipStream_tbEUlT_E1_NS1_11comp_targetILNS1_3genE5ELNS1_11target_archE942ELNS1_3gpuE9ELNS1_3repE0EEENS1_30default_config_static_selectorELNS0_4arch9wavefront6targetE1EEEvSD_,"axG",@progbits,_ZN7rocprim17ROCPRIM_400000_NS6detail17trampoline_kernelINS0_14default_configENS1_22reduce_config_selectorIsEEZNS1_11reduce_implILb1ES3_PsS7_s9plus_mod3IsEEE10hipError_tPvRmT1_T2_T3_mT4_P12ihipStream_tbEUlT_E1_NS1_11comp_targetILNS1_3genE5ELNS1_11target_archE942ELNS1_3gpuE9ELNS1_3repE0EEENS1_30default_config_static_selectorELNS0_4arch9wavefront6targetE1EEEvSD_,comdat
.Lfunc_end957:
	.size	_ZN7rocprim17ROCPRIM_400000_NS6detail17trampoline_kernelINS0_14default_configENS1_22reduce_config_selectorIsEEZNS1_11reduce_implILb1ES3_PsS7_s9plus_mod3IsEEE10hipError_tPvRmT1_T2_T3_mT4_P12ihipStream_tbEUlT_E1_NS1_11comp_targetILNS1_3genE5ELNS1_11target_archE942ELNS1_3gpuE9ELNS1_3repE0EEENS1_30default_config_static_selectorELNS0_4arch9wavefront6targetE1EEEvSD_, .Lfunc_end957-_ZN7rocprim17ROCPRIM_400000_NS6detail17trampoline_kernelINS0_14default_configENS1_22reduce_config_selectorIsEEZNS1_11reduce_implILb1ES3_PsS7_s9plus_mod3IsEEE10hipError_tPvRmT1_T2_T3_mT4_P12ihipStream_tbEUlT_E1_NS1_11comp_targetILNS1_3genE5ELNS1_11target_archE942ELNS1_3gpuE9ELNS1_3repE0EEENS1_30default_config_static_selectorELNS0_4arch9wavefront6targetE1EEEvSD_
                                        ; -- End function
	.set _ZN7rocprim17ROCPRIM_400000_NS6detail17trampoline_kernelINS0_14default_configENS1_22reduce_config_selectorIsEEZNS1_11reduce_implILb1ES3_PsS7_s9plus_mod3IsEEE10hipError_tPvRmT1_T2_T3_mT4_P12ihipStream_tbEUlT_E1_NS1_11comp_targetILNS1_3genE5ELNS1_11target_archE942ELNS1_3gpuE9ELNS1_3repE0EEENS1_30default_config_static_selectorELNS0_4arch9wavefront6targetE1EEEvSD_.num_vgpr, 0
	.set _ZN7rocprim17ROCPRIM_400000_NS6detail17trampoline_kernelINS0_14default_configENS1_22reduce_config_selectorIsEEZNS1_11reduce_implILb1ES3_PsS7_s9plus_mod3IsEEE10hipError_tPvRmT1_T2_T3_mT4_P12ihipStream_tbEUlT_E1_NS1_11comp_targetILNS1_3genE5ELNS1_11target_archE942ELNS1_3gpuE9ELNS1_3repE0EEENS1_30default_config_static_selectorELNS0_4arch9wavefront6targetE1EEEvSD_.num_agpr, 0
	.set _ZN7rocprim17ROCPRIM_400000_NS6detail17trampoline_kernelINS0_14default_configENS1_22reduce_config_selectorIsEEZNS1_11reduce_implILb1ES3_PsS7_s9plus_mod3IsEEE10hipError_tPvRmT1_T2_T3_mT4_P12ihipStream_tbEUlT_E1_NS1_11comp_targetILNS1_3genE5ELNS1_11target_archE942ELNS1_3gpuE9ELNS1_3repE0EEENS1_30default_config_static_selectorELNS0_4arch9wavefront6targetE1EEEvSD_.numbered_sgpr, 0
	.set _ZN7rocprim17ROCPRIM_400000_NS6detail17trampoline_kernelINS0_14default_configENS1_22reduce_config_selectorIsEEZNS1_11reduce_implILb1ES3_PsS7_s9plus_mod3IsEEE10hipError_tPvRmT1_T2_T3_mT4_P12ihipStream_tbEUlT_E1_NS1_11comp_targetILNS1_3genE5ELNS1_11target_archE942ELNS1_3gpuE9ELNS1_3repE0EEENS1_30default_config_static_selectorELNS0_4arch9wavefront6targetE1EEEvSD_.num_named_barrier, 0
	.set _ZN7rocprim17ROCPRIM_400000_NS6detail17trampoline_kernelINS0_14default_configENS1_22reduce_config_selectorIsEEZNS1_11reduce_implILb1ES3_PsS7_s9plus_mod3IsEEE10hipError_tPvRmT1_T2_T3_mT4_P12ihipStream_tbEUlT_E1_NS1_11comp_targetILNS1_3genE5ELNS1_11target_archE942ELNS1_3gpuE9ELNS1_3repE0EEENS1_30default_config_static_selectorELNS0_4arch9wavefront6targetE1EEEvSD_.private_seg_size, 0
	.set _ZN7rocprim17ROCPRIM_400000_NS6detail17trampoline_kernelINS0_14default_configENS1_22reduce_config_selectorIsEEZNS1_11reduce_implILb1ES3_PsS7_s9plus_mod3IsEEE10hipError_tPvRmT1_T2_T3_mT4_P12ihipStream_tbEUlT_E1_NS1_11comp_targetILNS1_3genE5ELNS1_11target_archE942ELNS1_3gpuE9ELNS1_3repE0EEENS1_30default_config_static_selectorELNS0_4arch9wavefront6targetE1EEEvSD_.uses_vcc, 0
	.set _ZN7rocprim17ROCPRIM_400000_NS6detail17trampoline_kernelINS0_14default_configENS1_22reduce_config_selectorIsEEZNS1_11reduce_implILb1ES3_PsS7_s9plus_mod3IsEEE10hipError_tPvRmT1_T2_T3_mT4_P12ihipStream_tbEUlT_E1_NS1_11comp_targetILNS1_3genE5ELNS1_11target_archE942ELNS1_3gpuE9ELNS1_3repE0EEENS1_30default_config_static_selectorELNS0_4arch9wavefront6targetE1EEEvSD_.uses_flat_scratch, 0
	.set _ZN7rocprim17ROCPRIM_400000_NS6detail17trampoline_kernelINS0_14default_configENS1_22reduce_config_selectorIsEEZNS1_11reduce_implILb1ES3_PsS7_s9plus_mod3IsEEE10hipError_tPvRmT1_T2_T3_mT4_P12ihipStream_tbEUlT_E1_NS1_11comp_targetILNS1_3genE5ELNS1_11target_archE942ELNS1_3gpuE9ELNS1_3repE0EEENS1_30default_config_static_selectorELNS0_4arch9wavefront6targetE1EEEvSD_.has_dyn_sized_stack, 0
	.set _ZN7rocprim17ROCPRIM_400000_NS6detail17trampoline_kernelINS0_14default_configENS1_22reduce_config_selectorIsEEZNS1_11reduce_implILb1ES3_PsS7_s9plus_mod3IsEEE10hipError_tPvRmT1_T2_T3_mT4_P12ihipStream_tbEUlT_E1_NS1_11comp_targetILNS1_3genE5ELNS1_11target_archE942ELNS1_3gpuE9ELNS1_3repE0EEENS1_30default_config_static_selectorELNS0_4arch9wavefront6targetE1EEEvSD_.has_recursion, 0
	.set _ZN7rocprim17ROCPRIM_400000_NS6detail17trampoline_kernelINS0_14default_configENS1_22reduce_config_selectorIsEEZNS1_11reduce_implILb1ES3_PsS7_s9plus_mod3IsEEE10hipError_tPvRmT1_T2_T3_mT4_P12ihipStream_tbEUlT_E1_NS1_11comp_targetILNS1_3genE5ELNS1_11target_archE942ELNS1_3gpuE9ELNS1_3repE0EEENS1_30default_config_static_selectorELNS0_4arch9wavefront6targetE1EEEvSD_.has_indirect_call, 0
	.section	.AMDGPU.csdata,"",@progbits
; Kernel info:
; codeLenInByte = 0
; TotalNumSgprs: 6
; NumVgprs: 0
; NumAgprs: 0
; TotalNumVgprs: 0
; ScratchSize: 0
; MemoryBound: 0
; FloatMode: 240
; IeeeMode: 1
; LDSByteSize: 0 bytes/workgroup (compile time only)
; SGPRBlocks: 0
; VGPRBlocks: 0
; NumSGPRsForWavesPerEU: 6
; NumVGPRsForWavesPerEU: 1
; AccumOffset: 4
; Occupancy: 8
; WaveLimiterHint : 0
; COMPUTE_PGM_RSRC2:SCRATCH_EN: 0
; COMPUTE_PGM_RSRC2:USER_SGPR: 2
; COMPUTE_PGM_RSRC2:TRAP_HANDLER: 0
; COMPUTE_PGM_RSRC2:TGID_X_EN: 1
; COMPUTE_PGM_RSRC2:TGID_Y_EN: 0
; COMPUTE_PGM_RSRC2:TGID_Z_EN: 0
; COMPUTE_PGM_RSRC2:TIDIG_COMP_CNT: 0
; COMPUTE_PGM_RSRC3_GFX90A:ACCUM_OFFSET: 0
; COMPUTE_PGM_RSRC3_GFX90A:TG_SPLIT: 0
	.section	.text._ZN7rocprim17ROCPRIM_400000_NS6detail17trampoline_kernelINS0_14default_configENS1_22reduce_config_selectorIsEEZNS1_11reduce_implILb1ES3_PsS7_s9plus_mod3IsEEE10hipError_tPvRmT1_T2_T3_mT4_P12ihipStream_tbEUlT_E1_NS1_11comp_targetILNS1_3genE4ELNS1_11target_archE910ELNS1_3gpuE8ELNS1_3repE0EEENS1_30default_config_static_selectorELNS0_4arch9wavefront6targetE1EEEvSD_,"axG",@progbits,_ZN7rocprim17ROCPRIM_400000_NS6detail17trampoline_kernelINS0_14default_configENS1_22reduce_config_selectorIsEEZNS1_11reduce_implILb1ES3_PsS7_s9plus_mod3IsEEE10hipError_tPvRmT1_T2_T3_mT4_P12ihipStream_tbEUlT_E1_NS1_11comp_targetILNS1_3genE4ELNS1_11target_archE910ELNS1_3gpuE8ELNS1_3repE0EEENS1_30default_config_static_selectorELNS0_4arch9wavefront6targetE1EEEvSD_,comdat
	.protected	_ZN7rocprim17ROCPRIM_400000_NS6detail17trampoline_kernelINS0_14default_configENS1_22reduce_config_selectorIsEEZNS1_11reduce_implILb1ES3_PsS7_s9plus_mod3IsEEE10hipError_tPvRmT1_T2_T3_mT4_P12ihipStream_tbEUlT_E1_NS1_11comp_targetILNS1_3genE4ELNS1_11target_archE910ELNS1_3gpuE8ELNS1_3repE0EEENS1_30default_config_static_selectorELNS0_4arch9wavefront6targetE1EEEvSD_ ; -- Begin function _ZN7rocprim17ROCPRIM_400000_NS6detail17trampoline_kernelINS0_14default_configENS1_22reduce_config_selectorIsEEZNS1_11reduce_implILb1ES3_PsS7_s9plus_mod3IsEEE10hipError_tPvRmT1_T2_T3_mT4_P12ihipStream_tbEUlT_E1_NS1_11comp_targetILNS1_3genE4ELNS1_11target_archE910ELNS1_3gpuE8ELNS1_3repE0EEENS1_30default_config_static_selectorELNS0_4arch9wavefront6targetE1EEEvSD_
	.globl	_ZN7rocprim17ROCPRIM_400000_NS6detail17trampoline_kernelINS0_14default_configENS1_22reduce_config_selectorIsEEZNS1_11reduce_implILb1ES3_PsS7_s9plus_mod3IsEEE10hipError_tPvRmT1_T2_T3_mT4_P12ihipStream_tbEUlT_E1_NS1_11comp_targetILNS1_3genE4ELNS1_11target_archE910ELNS1_3gpuE8ELNS1_3repE0EEENS1_30default_config_static_selectorELNS0_4arch9wavefront6targetE1EEEvSD_
	.p2align	8
	.type	_ZN7rocprim17ROCPRIM_400000_NS6detail17trampoline_kernelINS0_14default_configENS1_22reduce_config_selectorIsEEZNS1_11reduce_implILb1ES3_PsS7_s9plus_mod3IsEEE10hipError_tPvRmT1_T2_T3_mT4_P12ihipStream_tbEUlT_E1_NS1_11comp_targetILNS1_3genE4ELNS1_11target_archE910ELNS1_3gpuE8ELNS1_3repE0EEENS1_30default_config_static_selectorELNS0_4arch9wavefront6targetE1EEEvSD_,@function
_ZN7rocprim17ROCPRIM_400000_NS6detail17trampoline_kernelINS0_14default_configENS1_22reduce_config_selectorIsEEZNS1_11reduce_implILb1ES3_PsS7_s9plus_mod3IsEEE10hipError_tPvRmT1_T2_T3_mT4_P12ihipStream_tbEUlT_E1_NS1_11comp_targetILNS1_3genE4ELNS1_11target_archE910ELNS1_3gpuE8ELNS1_3repE0EEENS1_30default_config_static_selectorELNS0_4arch9wavefront6targetE1EEEvSD_: ; @_ZN7rocprim17ROCPRIM_400000_NS6detail17trampoline_kernelINS0_14default_configENS1_22reduce_config_selectorIsEEZNS1_11reduce_implILb1ES3_PsS7_s9plus_mod3IsEEE10hipError_tPvRmT1_T2_T3_mT4_P12ihipStream_tbEUlT_E1_NS1_11comp_targetILNS1_3genE4ELNS1_11target_archE910ELNS1_3gpuE8ELNS1_3repE0EEENS1_30default_config_static_selectorELNS0_4arch9wavefront6targetE1EEEvSD_
; %bb.0:
	.section	.rodata,"a",@progbits
	.p2align	6, 0x0
	.amdhsa_kernel _ZN7rocprim17ROCPRIM_400000_NS6detail17trampoline_kernelINS0_14default_configENS1_22reduce_config_selectorIsEEZNS1_11reduce_implILb1ES3_PsS7_s9plus_mod3IsEEE10hipError_tPvRmT1_T2_T3_mT4_P12ihipStream_tbEUlT_E1_NS1_11comp_targetILNS1_3genE4ELNS1_11target_archE910ELNS1_3gpuE8ELNS1_3repE0EEENS1_30default_config_static_selectorELNS0_4arch9wavefront6targetE1EEEvSD_
		.amdhsa_group_segment_fixed_size 0
		.amdhsa_private_segment_fixed_size 0
		.amdhsa_kernarg_size 48
		.amdhsa_user_sgpr_count 2
		.amdhsa_user_sgpr_dispatch_ptr 0
		.amdhsa_user_sgpr_queue_ptr 0
		.amdhsa_user_sgpr_kernarg_segment_ptr 1
		.amdhsa_user_sgpr_dispatch_id 0
		.amdhsa_user_sgpr_kernarg_preload_length 0
		.amdhsa_user_sgpr_kernarg_preload_offset 0
		.amdhsa_user_sgpr_private_segment_size 0
		.amdhsa_uses_dynamic_stack 0
		.amdhsa_enable_private_segment 0
		.amdhsa_system_sgpr_workgroup_id_x 1
		.amdhsa_system_sgpr_workgroup_id_y 0
		.amdhsa_system_sgpr_workgroup_id_z 0
		.amdhsa_system_sgpr_workgroup_info 0
		.amdhsa_system_vgpr_workitem_id 0
		.amdhsa_next_free_vgpr 1
		.amdhsa_next_free_sgpr 0
		.amdhsa_accum_offset 4
		.amdhsa_reserve_vcc 0
		.amdhsa_float_round_mode_32 0
		.amdhsa_float_round_mode_16_64 0
		.amdhsa_float_denorm_mode_32 3
		.amdhsa_float_denorm_mode_16_64 3
		.amdhsa_dx10_clamp 1
		.amdhsa_ieee_mode 1
		.amdhsa_fp16_overflow 0
		.amdhsa_tg_split 0
		.amdhsa_exception_fp_ieee_invalid_op 0
		.amdhsa_exception_fp_denorm_src 0
		.amdhsa_exception_fp_ieee_div_zero 0
		.amdhsa_exception_fp_ieee_overflow 0
		.amdhsa_exception_fp_ieee_underflow 0
		.amdhsa_exception_fp_ieee_inexact 0
		.amdhsa_exception_int_div_zero 0
	.end_amdhsa_kernel
	.section	.text._ZN7rocprim17ROCPRIM_400000_NS6detail17trampoline_kernelINS0_14default_configENS1_22reduce_config_selectorIsEEZNS1_11reduce_implILb1ES3_PsS7_s9plus_mod3IsEEE10hipError_tPvRmT1_T2_T3_mT4_P12ihipStream_tbEUlT_E1_NS1_11comp_targetILNS1_3genE4ELNS1_11target_archE910ELNS1_3gpuE8ELNS1_3repE0EEENS1_30default_config_static_selectorELNS0_4arch9wavefront6targetE1EEEvSD_,"axG",@progbits,_ZN7rocprim17ROCPRIM_400000_NS6detail17trampoline_kernelINS0_14default_configENS1_22reduce_config_selectorIsEEZNS1_11reduce_implILb1ES3_PsS7_s9plus_mod3IsEEE10hipError_tPvRmT1_T2_T3_mT4_P12ihipStream_tbEUlT_E1_NS1_11comp_targetILNS1_3genE4ELNS1_11target_archE910ELNS1_3gpuE8ELNS1_3repE0EEENS1_30default_config_static_selectorELNS0_4arch9wavefront6targetE1EEEvSD_,comdat
.Lfunc_end958:
	.size	_ZN7rocprim17ROCPRIM_400000_NS6detail17trampoline_kernelINS0_14default_configENS1_22reduce_config_selectorIsEEZNS1_11reduce_implILb1ES3_PsS7_s9plus_mod3IsEEE10hipError_tPvRmT1_T2_T3_mT4_P12ihipStream_tbEUlT_E1_NS1_11comp_targetILNS1_3genE4ELNS1_11target_archE910ELNS1_3gpuE8ELNS1_3repE0EEENS1_30default_config_static_selectorELNS0_4arch9wavefront6targetE1EEEvSD_, .Lfunc_end958-_ZN7rocprim17ROCPRIM_400000_NS6detail17trampoline_kernelINS0_14default_configENS1_22reduce_config_selectorIsEEZNS1_11reduce_implILb1ES3_PsS7_s9plus_mod3IsEEE10hipError_tPvRmT1_T2_T3_mT4_P12ihipStream_tbEUlT_E1_NS1_11comp_targetILNS1_3genE4ELNS1_11target_archE910ELNS1_3gpuE8ELNS1_3repE0EEENS1_30default_config_static_selectorELNS0_4arch9wavefront6targetE1EEEvSD_
                                        ; -- End function
	.set _ZN7rocprim17ROCPRIM_400000_NS6detail17trampoline_kernelINS0_14default_configENS1_22reduce_config_selectorIsEEZNS1_11reduce_implILb1ES3_PsS7_s9plus_mod3IsEEE10hipError_tPvRmT1_T2_T3_mT4_P12ihipStream_tbEUlT_E1_NS1_11comp_targetILNS1_3genE4ELNS1_11target_archE910ELNS1_3gpuE8ELNS1_3repE0EEENS1_30default_config_static_selectorELNS0_4arch9wavefront6targetE1EEEvSD_.num_vgpr, 0
	.set _ZN7rocprim17ROCPRIM_400000_NS6detail17trampoline_kernelINS0_14default_configENS1_22reduce_config_selectorIsEEZNS1_11reduce_implILb1ES3_PsS7_s9plus_mod3IsEEE10hipError_tPvRmT1_T2_T3_mT4_P12ihipStream_tbEUlT_E1_NS1_11comp_targetILNS1_3genE4ELNS1_11target_archE910ELNS1_3gpuE8ELNS1_3repE0EEENS1_30default_config_static_selectorELNS0_4arch9wavefront6targetE1EEEvSD_.num_agpr, 0
	.set _ZN7rocprim17ROCPRIM_400000_NS6detail17trampoline_kernelINS0_14default_configENS1_22reduce_config_selectorIsEEZNS1_11reduce_implILb1ES3_PsS7_s9plus_mod3IsEEE10hipError_tPvRmT1_T2_T3_mT4_P12ihipStream_tbEUlT_E1_NS1_11comp_targetILNS1_3genE4ELNS1_11target_archE910ELNS1_3gpuE8ELNS1_3repE0EEENS1_30default_config_static_selectorELNS0_4arch9wavefront6targetE1EEEvSD_.numbered_sgpr, 0
	.set _ZN7rocprim17ROCPRIM_400000_NS6detail17trampoline_kernelINS0_14default_configENS1_22reduce_config_selectorIsEEZNS1_11reduce_implILb1ES3_PsS7_s9plus_mod3IsEEE10hipError_tPvRmT1_T2_T3_mT4_P12ihipStream_tbEUlT_E1_NS1_11comp_targetILNS1_3genE4ELNS1_11target_archE910ELNS1_3gpuE8ELNS1_3repE0EEENS1_30default_config_static_selectorELNS0_4arch9wavefront6targetE1EEEvSD_.num_named_barrier, 0
	.set _ZN7rocprim17ROCPRIM_400000_NS6detail17trampoline_kernelINS0_14default_configENS1_22reduce_config_selectorIsEEZNS1_11reduce_implILb1ES3_PsS7_s9plus_mod3IsEEE10hipError_tPvRmT1_T2_T3_mT4_P12ihipStream_tbEUlT_E1_NS1_11comp_targetILNS1_3genE4ELNS1_11target_archE910ELNS1_3gpuE8ELNS1_3repE0EEENS1_30default_config_static_selectorELNS0_4arch9wavefront6targetE1EEEvSD_.private_seg_size, 0
	.set _ZN7rocprim17ROCPRIM_400000_NS6detail17trampoline_kernelINS0_14default_configENS1_22reduce_config_selectorIsEEZNS1_11reduce_implILb1ES3_PsS7_s9plus_mod3IsEEE10hipError_tPvRmT1_T2_T3_mT4_P12ihipStream_tbEUlT_E1_NS1_11comp_targetILNS1_3genE4ELNS1_11target_archE910ELNS1_3gpuE8ELNS1_3repE0EEENS1_30default_config_static_selectorELNS0_4arch9wavefront6targetE1EEEvSD_.uses_vcc, 0
	.set _ZN7rocprim17ROCPRIM_400000_NS6detail17trampoline_kernelINS0_14default_configENS1_22reduce_config_selectorIsEEZNS1_11reduce_implILb1ES3_PsS7_s9plus_mod3IsEEE10hipError_tPvRmT1_T2_T3_mT4_P12ihipStream_tbEUlT_E1_NS1_11comp_targetILNS1_3genE4ELNS1_11target_archE910ELNS1_3gpuE8ELNS1_3repE0EEENS1_30default_config_static_selectorELNS0_4arch9wavefront6targetE1EEEvSD_.uses_flat_scratch, 0
	.set _ZN7rocprim17ROCPRIM_400000_NS6detail17trampoline_kernelINS0_14default_configENS1_22reduce_config_selectorIsEEZNS1_11reduce_implILb1ES3_PsS7_s9plus_mod3IsEEE10hipError_tPvRmT1_T2_T3_mT4_P12ihipStream_tbEUlT_E1_NS1_11comp_targetILNS1_3genE4ELNS1_11target_archE910ELNS1_3gpuE8ELNS1_3repE0EEENS1_30default_config_static_selectorELNS0_4arch9wavefront6targetE1EEEvSD_.has_dyn_sized_stack, 0
	.set _ZN7rocprim17ROCPRIM_400000_NS6detail17trampoline_kernelINS0_14default_configENS1_22reduce_config_selectorIsEEZNS1_11reduce_implILb1ES3_PsS7_s9plus_mod3IsEEE10hipError_tPvRmT1_T2_T3_mT4_P12ihipStream_tbEUlT_E1_NS1_11comp_targetILNS1_3genE4ELNS1_11target_archE910ELNS1_3gpuE8ELNS1_3repE0EEENS1_30default_config_static_selectorELNS0_4arch9wavefront6targetE1EEEvSD_.has_recursion, 0
	.set _ZN7rocprim17ROCPRIM_400000_NS6detail17trampoline_kernelINS0_14default_configENS1_22reduce_config_selectorIsEEZNS1_11reduce_implILb1ES3_PsS7_s9plus_mod3IsEEE10hipError_tPvRmT1_T2_T3_mT4_P12ihipStream_tbEUlT_E1_NS1_11comp_targetILNS1_3genE4ELNS1_11target_archE910ELNS1_3gpuE8ELNS1_3repE0EEENS1_30default_config_static_selectorELNS0_4arch9wavefront6targetE1EEEvSD_.has_indirect_call, 0
	.section	.AMDGPU.csdata,"",@progbits
; Kernel info:
; codeLenInByte = 0
; TotalNumSgprs: 6
; NumVgprs: 0
; NumAgprs: 0
; TotalNumVgprs: 0
; ScratchSize: 0
; MemoryBound: 0
; FloatMode: 240
; IeeeMode: 1
; LDSByteSize: 0 bytes/workgroup (compile time only)
; SGPRBlocks: 0
; VGPRBlocks: 0
; NumSGPRsForWavesPerEU: 6
; NumVGPRsForWavesPerEU: 1
; AccumOffset: 4
; Occupancy: 8
; WaveLimiterHint : 0
; COMPUTE_PGM_RSRC2:SCRATCH_EN: 0
; COMPUTE_PGM_RSRC2:USER_SGPR: 2
; COMPUTE_PGM_RSRC2:TRAP_HANDLER: 0
; COMPUTE_PGM_RSRC2:TGID_X_EN: 1
; COMPUTE_PGM_RSRC2:TGID_Y_EN: 0
; COMPUTE_PGM_RSRC2:TGID_Z_EN: 0
; COMPUTE_PGM_RSRC2:TIDIG_COMP_CNT: 0
; COMPUTE_PGM_RSRC3_GFX90A:ACCUM_OFFSET: 0
; COMPUTE_PGM_RSRC3_GFX90A:TG_SPLIT: 0
	.section	.text._ZN7rocprim17ROCPRIM_400000_NS6detail17trampoline_kernelINS0_14default_configENS1_22reduce_config_selectorIsEEZNS1_11reduce_implILb1ES3_PsS7_s9plus_mod3IsEEE10hipError_tPvRmT1_T2_T3_mT4_P12ihipStream_tbEUlT_E1_NS1_11comp_targetILNS1_3genE3ELNS1_11target_archE908ELNS1_3gpuE7ELNS1_3repE0EEENS1_30default_config_static_selectorELNS0_4arch9wavefront6targetE1EEEvSD_,"axG",@progbits,_ZN7rocprim17ROCPRIM_400000_NS6detail17trampoline_kernelINS0_14default_configENS1_22reduce_config_selectorIsEEZNS1_11reduce_implILb1ES3_PsS7_s9plus_mod3IsEEE10hipError_tPvRmT1_T2_T3_mT4_P12ihipStream_tbEUlT_E1_NS1_11comp_targetILNS1_3genE3ELNS1_11target_archE908ELNS1_3gpuE7ELNS1_3repE0EEENS1_30default_config_static_selectorELNS0_4arch9wavefront6targetE1EEEvSD_,comdat
	.protected	_ZN7rocprim17ROCPRIM_400000_NS6detail17trampoline_kernelINS0_14default_configENS1_22reduce_config_selectorIsEEZNS1_11reduce_implILb1ES3_PsS7_s9plus_mod3IsEEE10hipError_tPvRmT1_T2_T3_mT4_P12ihipStream_tbEUlT_E1_NS1_11comp_targetILNS1_3genE3ELNS1_11target_archE908ELNS1_3gpuE7ELNS1_3repE0EEENS1_30default_config_static_selectorELNS0_4arch9wavefront6targetE1EEEvSD_ ; -- Begin function _ZN7rocprim17ROCPRIM_400000_NS6detail17trampoline_kernelINS0_14default_configENS1_22reduce_config_selectorIsEEZNS1_11reduce_implILb1ES3_PsS7_s9plus_mod3IsEEE10hipError_tPvRmT1_T2_T3_mT4_P12ihipStream_tbEUlT_E1_NS1_11comp_targetILNS1_3genE3ELNS1_11target_archE908ELNS1_3gpuE7ELNS1_3repE0EEENS1_30default_config_static_selectorELNS0_4arch9wavefront6targetE1EEEvSD_
	.globl	_ZN7rocprim17ROCPRIM_400000_NS6detail17trampoline_kernelINS0_14default_configENS1_22reduce_config_selectorIsEEZNS1_11reduce_implILb1ES3_PsS7_s9plus_mod3IsEEE10hipError_tPvRmT1_T2_T3_mT4_P12ihipStream_tbEUlT_E1_NS1_11comp_targetILNS1_3genE3ELNS1_11target_archE908ELNS1_3gpuE7ELNS1_3repE0EEENS1_30default_config_static_selectorELNS0_4arch9wavefront6targetE1EEEvSD_
	.p2align	8
	.type	_ZN7rocprim17ROCPRIM_400000_NS6detail17trampoline_kernelINS0_14default_configENS1_22reduce_config_selectorIsEEZNS1_11reduce_implILb1ES3_PsS7_s9plus_mod3IsEEE10hipError_tPvRmT1_T2_T3_mT4_P12ihipStream_tbEUlT_E1_NS1_11comp_targetILNS1_3genE3ELNS1_11target_archE908ELNS1_3gpuE7ELNS1_3repE0EEENS1_30default_config_static_selectorELNS0_4arch9wavefront6targetE1EEEvSD_,@function
_ZN7rocprim17ROCPRIM_400000_NS6detail17trampoline_kernelINS0_14default_configENS1_22reduce_config_selectorIsEEZNS1_11reduce_implILb1ES3_PsS7_s9plus_mod3IsEEE10hipError_tPvRmT1_T2_T3_mT4_P12ihipStream_tbEUlT_E1_NS1_11comp_targetILNS1_3genE3ELNS1_11target_archE908ELNS1_3gpuE7ELNS1_3repE0EEENS1_30default_config_static_selectorELNS0_4arch9wavefront6targetE1EEEvSD_: ; @_ZN7rocprim17ROCPRIM_400000_NS6detail17trampoline_kernelINS0_14default_configENS1_22reduce_config_selectorIsEEZNS1_11reduce_implILb1ES3_PsS7_s9plus_mod3IsEEE10hipError_tPvRmT1_T2_T3_mT4_P12ihipStream_tbEUlT_E1_NS1_11comp_targetILNS1_3genE3ELNS1_11target_archE908ELNS1_3gpuE7ELNS1_3repE0EEENS1_30default_config_static_selectorELNS0_4arch9wavefront6targetE1EEEvSD_
; %bb.0:
	.section	.rodata,"a",@progbits
	.p2align	6, 0x0
	.amdhsa_kernel _ZN7rocprim17ROCPRIM_400000_NS6detail17trampoline_kernelINS0_14default_configENS1_22reduce_config_selectorIsEEZNS1_11reduce_implILb1ES3_PsS7_s9plus_mod3IsEEE10hipError_tPvRmT1_T2_T3_mT4_P12ihipStream_tbEUlT_E1_NS1_11comp_targetILNS1_3genE3ELNS1_11target_archE908ELNS1_3gpuE7ELNS1_3repE0EEENS1_30default_config_static_selectorELNS0_4arch9wavefront6targetE1EEEvSD_
		.amdhsa_group_segment_fixed_size 0
		.amdhsa_private_segment_fixed_size 0
		.amdhsa_kernarg_size 48
		.amdhsa_user_sgpr_count 2
		.amdhsa_user_sgpr_dispatch_ptr 0
		.amdhsa_user_sgpr_queue_ptr 0
		.amdhsa_user_sgpr_kernarg_segment_ptr 1
		.amdhsa_user_sgpr_dispatch_id 0
		.amdhsa_user_sgpr_kernarg_preload_length 0
		.amdhsa_user_sgpr_kernarg_preload_offset 0
		.amdhsa_user_sgpr_private_segment_size 0
		.amdhsa_uses_dynamic_stack 0
		.amdhsa_enable_private_segment 0
		.amdhsa_system_sgpr_workgroup_id_x 1
		.amdhsa_system_sgpr_workgroup_id_y 0
		.amdhsa_system_sgpr_workgroup_id_z 0
		.amdhsa_system_sgpr_workgroup_info 0
		.amdhsa_system_vgpr_workitem_id 0
		.amdhsa_next_free_vgpr 1
		.amdhsa_next_free_sgpr 0
		.amdhsa_accum_offset 4
		.amdhsa_reserve_vcc 0
		.amdhsa_float_round_mode_32 0
		.amdhsa_float_round_mode_16_64 0
		.amdhsa_float_denorm_mode_32 3
		.amdhsa_float_denorm_mode_16_64 3
		.amdhsa_dx10_clamp 1
		.amdhsa_ieee_mode 1
		.amdhsa_fp16_overflow 0
		.amdhsa_tg_split 0
		.amdhsa_exception_fp_ieee_invalid_op 0
		.amdhsa_exception_fp_denorm_src 0
		.amdhsa_exception_fp_ieee_div_zero 0
		.amdhsa_exception_fp_ieee_overflow 0
		.amdhsa_exception_fp_ieee_underflow 0
		.amdhsa_exception_fp_ieee_inexact 0
		.amdhsa_exception_int_div_zero 0
	.end_amdhsa_kernel
	.section	.text._ZN7rocprim17ROCPRIM_400000_NS6detail17trampoline_kernelINS0_14default_configENS1_22reduce_config_selectorIsEEZNS1_11reduce_implILb1ES3_PsS7_s9plus_mod3IsEEE10hipError_tPvRmT1_T2_T3_mT4_P12ihipStream_tbEUlT_E1_NS1_11comp_targetILNS1_3genE3ELNS1_11target_archE908ELNS1_3gpuE7ELNS1_3repE0EEENS1_30default_config_static_selectorELNS0_4arch9wavefront6targetE1EEEvSD_,"axG",@progbits,_ZN7rocprim17ROCPRIM_400000_NS6detail17trampoline_kernelINS0_14default_configENS1_22reduce_config_selectorIsEEZNS1_11reduce_implILb1ES3_PsS7_s9plus_mod3IsEEE10hipError_tPvRmT1_T2_T3_mT4_P12ihipStream_tbEUlT_E1_NS1_11comp_targetILNS1_3genE3ELNS1_11target_archE908ELNS1_3gpuE7ELNS1_3repE0EEENS1_30default_config_static_selectorELNS0_4arch9wavefront6targetE1EEEvSD_,comdat
.Lfunc_end959:
	.size	_ZN7rocprim17ROCPRIM_400000_NS6detail17trampoline_kernelINS0_14default_configENS1_22reduce_config_selectorIsEEZNS1_11reduce_implILb1ES3_PsS7_s9plus_mod3IsEEE10hipError_tPvRmT1_T2_T3_mT4_P12ihipStream_tbEUlT_E1_NS1_11comp_targetILNS1_3genE3ELNS1_11target_archE908ELNS1_3gpuE7ELNS1_3repE0EEENS1_30default_config_static_selectorELNS0_4arch9wavefront6targetE1EEEvSD_, .Lfunc_end959-_ZN7rocprim17ROCPRIM_400000_NS6detail17trampoline_kernelINS0_14default_configENS1_22reduce_config_selectorIsEEZNS1_11reduce_implILb1ES3_PsS7_s9plus_mod3IsEEE10hipError_tPvRmT1_T2_T3_mT4_P12ihipStream_tbEUlT_E1_NS1_11comp_targetILNS1_3genE3ELNS1_11target_archE908ELNS1_3gpuE7ELNS1_3repE0EEENS1_30default_config_static_selectorELNS0_4arch9wavefront6targetE1EEEvSD_
                                        ; -- End function
	.set _ZN7rocprim17ROCPRIM_400000_NS6detail17trampoline_kernelINS0_14default_configENS1_22reduce_config_selectorIsEEZNS1_11reduce_implILb1ES3_PsS7_s9plus_mod3IsEEE10hipError_tPvRmT1_T2_T3_mT4_P12ihipStream_tbEUlT_E1_NS1_11comp_targetILNS1_3genE3ELNS1_11target_archE908ELNS1_3gpuE7ELNS1_3repE0EEENS1_30default_config_static_selectorELNS0_4arch9wavefront6targetE1EEEvSD_.num_vgpr, 0
	.set _ZN7rocprim17ROCPRIM_400000_NS6detail17trampoline_kernelINS0_14default_configENS1_22reduce_config_selectorIsEEZNS1_11reduce_implILb1ES3_PsS7_s9plus_mod3IsEEE10hipError_tPvRmT1_T2_T3_mT4_P12ihipStream_tbEUlT_E1_NS1_11comp_targetILNS1_3genE3ELNS1_11target_archE908ELNS1_3gpuE7ELNS1_3repE0EEENS1_30default_config_static_selectorELNS0_4arch9wavefront6targetE1EEEvSD_.num_agpr, 0
	.set _ZN7rocprim17ROCPRIM_400000_NS6detail17trampoline_kernelINS0_14default_configENS1_22reduce_config_selectorIsEEZNS1_11reduce_implILb1ES3_PsS7_s9plus_mod3IsEEE10hipError_tPvRmT1_T2_T3_mT4_P12ihipStream_tbEUlT_E1_NS1_11comp_targetILNS1_3genE3ELNS1_11target_archE908ELNS1_3gpuE7ELNS1_3repE0EEENS1_30default_config_static_selectorELNS0_4arch9wavefront6targetE1EEEvSD_.numbered_sgpr, 0
	.set _ZN7rocprim17ROCPRIM_400000_NS6detail17trampoline_kernelINS0_14default_configENS1_22reduce_config_selectorIsEEZNS1_11reduce_implILb1ES3_PsS7_s9plus_mod3IsEEE10hipError_tPvRmT1_T2_T3_mT4_P12ihipStream_tbEUlT_E1_NS1_11comp_targetILNS1_3genE3ELNS1_11target_archE908ELNS1_3gpuE7ELNS1_3repE0EEENS1_30default_config_static_selectorELNS0_4arch9wavefront6targetE1EEEvSD_.num_named_barrier, 0
	.set _ZN7rocprim17ROCPRIM_400000_NS6detail17trampoline_kernelINS0_14default_configENS1_22reduce_config_selectorIsEEZNS1_11reduce_implILb1ES3_PsS7_s9plus_mod3IsEEE10hipError_tPvRmT1_T2_T3_mT4_P12ihipStream_tbEUlT_E1_NS1_11comp_targetILNS1_3genE3ELNS1_11target_archE908ELNS1_3gpuE7ELNS1_3repE0EEENS1_30default_config_static_selectorELNS0_4arch9wavefront6targetE1EEEvSD_.private_seg_size, 0
	.set _ZN7rocprim17ROCPRIM_400000_NS6detail17trampoline_kernelINS0_14default_configENS1_22reduce_config_selectorIsEEZNS1_11reduce_implILb1ES3_PsS7_s9plus_mod3IsEEE10hipError_tPvRmT1_T2_T3_mT4_P12ihipStream_tbEUlT_E1_NS1_11comp_targetILNS1_3genE3ELNS1_11target_archE908ELNS1_3gpuE7ELNS1_3repE0EEENS1_30default_config_static_selectorELNS0_4arch9wavefront6targetE1EEEvSD_.uses_vcc, 0
	.set _ZN7rocprim17ROCPRIM_400000_NS6detail17trampoline_kernelINS0_14default_configENS1_22reduce_config_selectorIsEEZNS1_11reduce_implILb1ES3_PsS7_s9plus_mod3IsEEE10hipError_tPvRmT1_T2_T3_mT4_P12ihipStream_tbEUlT_E1_NS1_11comp_targetILNS1_3genE3ELNS1_11target_archE908ELNS1_3gpuE7ELNS1_3repE0EEENS1_30default_config_static_selectorELNS0_4arch9wavefront6targetE1EEEvSD_.uses_flat_scratch, 0
	.set _ZN7rocprim17ROCPRIM_400000_NS6detail17trampoline_kernelINS0_14default_configENS1_22reduce_config_selectorIsEEZNS1_11reduce_implILb1ES3_PsS7_s9plus_mod3IsEEE10hipError_tPvRmT1_T2_T3_mT4_P12ihipStream_tbEUlT_E1_NS1_11comp_targetILNS1_3genE3ELNS1_11target_archE908ELNS1_3gpuE7ELNS1_3repE0EEENS1_30default_config_static_selectorELNS0_4arch9wavefront6targetE1EEEvSD_.has_dyn_sized_stack, 0
	.set _ZN7rocprim17ROCPRIM_400000_NS6detail17trampoline_kernelINS0_14default_configENS1_22reduce_config_selectorIsEEZNS1_11reduce_implILb1ES3_PsS7_s9plus_mod3IsEEE10hipError_tPvRmT1_T2_T3_mT4_P12ihipStream_tbEUlT_E1_NS1_11comp_targetILNS1_3genE3ELNS1_11target_archE908ELNS1_3gpuE7ELNS1_3repE0EEENS1_30default_config_static_selectorELNS0_4arch9wavefront6targetE1EEEvSD_.has_recursion, 0
	.set _ZN7rocprim17ROCPRIM_400000_NS6detail17trampoline_kernelINS0_14default_configENS1_22reduce_config_selectorIsEEZNS1_11reduce_implILb1ES3_PsS7_s9plus_mod3IsEEE10hipError_tPvRmT1_T2_T3_mT4_P12ihipStream_tbEUlT_E1_NS1_11comp_targetILNS1_3genE3ELNS1_11target_archE908ELNS1_3gpuE7ELNS1_3repE0EEENS1_30default_config_static_selectorELNS0_4arch9wavefront6targetE1EEEvSD_.has_indirect_call, 0
	.section	.AMDGPU.csdata,"",@progbits
; Kernel info:
; codeLenInByte = 0
; TotalNumSgprs: 6
; NumVgprs: 0
; NumAgprs: 0
; TotalNumVgprs: 0
; ScratchSize: 0
; MemoryBound: 0
; FloatMode: 240
; IeeeMode: 1
; LDSByteSize: 0 bytes/workgroup (compile time only)
; SGPRBlocks: 0
; VGPRBlocks: 0
; NumSGPRsForWavesPerEU: 6
; NumVGPRsForWavesPerEU: 1
; AccumOffset: 4
; Occupancy: 8
; WaveLimiterHint : 0
; COMPUTE_PGM_RSRC2:SCRATCH_EN: 0
; COMPUTE_PGM_RSRC2:USER_SGPR: 2
; COMPUTE_PGM_RSRC2:TRAP_HANDLER: 0
; COMPUTE_PGM_RSRC2:TGID_X_EN: 1
; COMPUTE_PGM_RSRC2:TGID_Y_EN: 0
; COMPUTE_PGM_RSRC2:TGID_Z_EN: 0
; COMPUTE_PGM_RSRC2:TIDIG_COMP_CNT: 0
; COMPUTE_PGM_RSRC3_GFX90A:ACCUM_OFFSET: 0
; COMPUTE_PGM_RSRC3_GFX90A:TG_SPLIT: 0
	.section	.text._ZN7rocprim17ROCPRIM_400000_NS6detail17trampoline_kernelINS0_14default_configENS1_22reduce_config_selectorIsEEZNS1_11reduce_implILb1ES3_PsS7_s9plus_mod3IsEEE10hipError_tPvRmT1_T2_T3_mT4_P12ihipStream_tbEUlT_E1_NS1_11comp_targetILNS1_3genE2ELNS1_11target_archE906ELNS1_3gpuE6ELNS1_3repE0EEENS1_30default_config_static_selectorELNS0_4arch9wavefront6targetE1EEEvSD_,"axG",@progbits,_ZN7rocprim17ROCPRIM_400000_NS6detail17trampoline_kernelINS0_14default_configENS1_22reduce_config_selectorIsEEZNS1_11reduce_implILb1ES3_PsS7_s9plus_mod3IsEEE10hipError_tPvRmT1_T2_T3_mT4_P12ihipStream_tbEUlT_E1_NS1_11comp_targetILNS1_3genE2ELNS1_11target_archE906ELNS1_3gpuE6ELNS1_3repE0EEENS1_30default_config_static_selectorELNS0_4arch9wavefront6targetE1EEEvSD_,comdat
	.protected	_ZN7rocprim17ROCPRIM_400000_NS6detail17trampoline_kernelINS0_14default_configENS1_22reduce_config_selectorIsEEZNS1_11reduce_implILb1ES3_PsS7_s9plus_mod3IsEEE10hipError_tPvRmT1_T2_T3_mT4_P12ihipStream_tbEUlT_E1_NS1_11comp_targetILNS1_3genE2ELNS1_11target_archE906ELNS1_3gpuE6ELNS1_3repE0EEENS1_30default_config_static_selectorELNS0_4arch9wavefront6targetE1EEEvSD_ ; -- Begin function _ZN7rocprim17ROCPRIM_400000_NS6detail17trampoline_kernelINS0_14default_configENS1_22reduce_config_selectorIsEEZNS1_11reduce_implILb1ES3_PsS7_s9plus_mod3IsEEE10hipError_tPvRmT1_T2_T3_mT4_P12ihipStream_tbEUlT_E1_NS1_11comp_targetILNS1_3genE2ELNS1_11target_archE906ELNS1_3gpuE6ELNS1_3repE0EEENS1_30default_config_static_selectorELNS0_4arch9wavefront6targetE1EEEvSD_
	.globl	_ZN7rocprim17ROCPRIM_400000_NS6detail17trampoline_kernelINS0_14default_configENS1_22reduce_config_selectorIsEEZNS1_11reduce_implILb1ES3_PsS7_s9plus_mod3IsEEE10hipError_tPvRmT1_T2_T3_mT4_P12ihipStream_tbEUlT_E1_NS1_11comp_targetILNS1_3genE2ELNS1_11target_archE906ELNS1_3gpuE6ELNS1_3repE0EEENS1_30default_config_static_selectorELNS0_4arch9wavefront6targetE1EEEvSD_
	.p2align	8
	.type	_ZN7rocprim17ROCPRIM_400000_NS6detail17trampoline_kernelINS0_14default_configENS1_22reduce_config_selectorIsEEZNS1_11reduce_implILb1ES3_PsS7_s9plus_mod3IsEEE10hipError_tPvRmT1_T2_T3_mT4_P12ihipStream_tbEUlT_E1_NS1_11comp_targetILNS1_3genE2ELNS1_11target_archE906ELNS1_3gpuE6ELNS1_3repE0EEENS1_30default_config_static_selectorELNS0_4arch9wavefront6targetE1EEEvSD_,@function
_ZN7rocprim17ROCPRIM_400000_NS6detail17trampoline_kernelINS0_14default_configENS1_22reduce_config_selectorIsEEZNS1_11reduce_implILb1ES3_PsS7_s9plus_mod3IsEEE10hipError_tPvRmT1_T2_T3_mT4_P12ihipStream_tbEUlT_E1_NS1_11comp_targetILNS1_3genE2ELNS1_11target_archE906ELNS1_3gpuE6ELNS1_3repE0EEENS1_30default_config_static_selectorELNS0_4arch9wavefront6targetE1EEEvSD_: ; @_ZN7rocprim17ROCPRIM_400000_NS6detail17trampoline_kernelINS0_14default_configENS1_22reduce_config_selectorIsEEZNS1_11reduce_implILb1ES3_PsS7_s9plus_mod3IsEEE10hipError_tPvRmT1_T2_T3_mT4_P12ihipStream_tbEUlT_E1_NS1_11comp_targetILNS1_3genE2ELNS1_11target_archE906ELNS1_3gpuE6ELNS1_3repE0EEENS1_30default_config_static_selectorELNS0_4arch9wavefront6targetE1EEEvSD_
; %bb.0:
	.section	.rodata,"a",@progbits
	.p2align	6, 0x0
	.amdhsa_kernel _ZN7rocprim17ROCPRIM_400000_NS6detail17trampoline_kernelINS0_14default_configENS1_22reduce_config_selectorIsEEZNS1_11reduce_implILb1ES3_PsS7_s9plus_mod3IsEEE10hipError_tPvRmT1_T2_T3_mT4_P12ihipStream_tbEUlT_E1_NS1_11comp_targetILNS1_3genE2ELNS1_11target_archE906ELNS1_3gpuE6ELNS1_3repE0EEENS1_30default_config_static_selectorELNS0_4arch9wavefront6targetE1EEEvSD_
		.amdhsa_group_segment_fixed_size 0
		.amdhsa_private_segment_fixed_size 0
		.amdhsa_kernarg_size 48
		.amdhsa_user_sgpr_count 2
		.amdhsa_user_sgpr_dispatch_ptr 0
		.amdhsa_user_sgpr_queue_ptr 0
		.amdhsa_user_sgpr_kernarg_segment_ptr 1
		.amdhsa_user_sgpr_dispatch_id 0
		.amdhsa_user_sgpr_kernarg_preload_length 0
		.amdhsa_user_sgpr_kernarg_preload_offset 0
		.amdhsa_user_sgpr_private_segment_size 0
		.amdhsa_uses_dynamic_stack 0
		.amdhsa_enable_private_segment 0
		.amdhsa_system_sgpr_workgroup_id_x 1
		.amdhsa_system_sgpr_workgroup_id_y 0
		.amdhsa_system_sgpr_workgroup_id_z 0
		.amdhsa_system_sgpr_workgroup_info 0
		.amdhsa_system_vgpr_workitem_id 0
		.amdhsa_next_free_vgpr 1
		.amdhsa_next_free_sgpr 0
		.amdhsa_accum_offset 4
		.amdhsa_reserve_vcc 0
		.amdhsa_float_round_mode_32 0
		.amdhsa_float_round_mode_16_64 0
		.amdhsa_float_denorm_mode_32 3
		.amdhsa_float_denorm_mode_16_64 3
		.amdhsa_dx10_clamp 1
		.amdhsa_ieee_mode 1
		.amdhsa_fp16_overflow 0
		.amdhsa_tg_split 0
		.amdhsa_exception_fp_ieee_invalid_op 0
		.amdhsa_exception_fp_denorm_src 0
		.amdhsa_exception_fp_ieee_div_zero 0
		.amdhsa_exception_fp_ieee_overflow 0
		.amdhsa_exception_fp_ieee_underflow 0
		.amdhsa_exception_fp_ieee_inexact 0
		.amdhsa_exception_int_div_zero 0
	.end_amdhsa_kernel
	.section	.text._ZN7rocprim17ROCPRIM_400000_NS6detail17trampoline_kernelINS0_14default_configENS1_22reduce_config_selectorIsEEZNS1_11reduce_implILb1ES3_PsS7_s9plus_mod3IsEEE10hipError_tPvRmT1_T2_T3_mT4_P12ihipStream_tbEUlT_E1_NS1_11comp_targetILNS1_3genE2ELNS1_11target_archE906ELNS1_3gpuE6ELNS1_3repE0EEENS1_30default_config_static_selectorELNS0_4arch9wavefront6targetE1EEEvSD_,"axG",@progbits,_ZN7rocprim17ROCPRIM_400000_NS6detail17trampoline_kernelINS0_14default_configENS1_22reduce_config_selectorIsEEZNS1_11reduce_implILb1ES3_PsS7_s9plus_mod3IsEEE10hipError_tPvRmT1_T2_T3_mT4_P12ihipStream_tbEUlT_E1_NS1_11comp_targetILNS1_3genE2ELNS1_11target_archE906ELNS1_3gpuE6ELNS1_3repE0EEENS1_30default_config_static_selectorELNS0_4arch9wavefront6targetE1EEEvSD_,comdat
.Lfunc_end960:
	.size	_ZN7rocprim17ROCPRIM_400000_NS6detail17trampoline_kernelINS0_14default_configENS1_22reduce_config_selectorIsEEZNS1_11reduce_implILb1ES3_PsS7_s9plus_mod3IsEEE10hipError_tPvRmT1_T2_T3_mT4_P12ihipStream_tbEUlT_E1_NS1_11comp_targetILNS1_3genE2ELNS1_11target_archE906ELNS1_3gpuE6ELNS1_3repE0EEENS1_30default_config_static_selectorELNS0_4arch9wavefront6targetE1EEEvSD_, .Lfunc_end960-_ZN7rocprim17ROCPRIM_400000_NS6detail17trampoline_kernelINS0_14default_configENS1_22reduce_config_selectorIsEEZNS1_11reduce_implILb1ES3_PsS7_s9plus_mod3IsEEE10hipError_tPvRmT1_T2_T3_mT4_P12ihipStream_tbEUlT_E1_NS1_11comp_targetILNS1_3genE2ELNS1_11target_archE906ELNS1_3gpuE6ELNS1_3repE0EEENS1_30default_config_static_selectorELNS0_4arch9wavefront6targetE1EEEvSD_
                                        ; -- End function
	.set _ZN7rocprim17ROCPRIM_400000_NS6detail17trampoline_kernelINS0_14default_configENS1_22reduce_config_selectorIsEEZNS1_11reduce_implILb1ES3_PsS7_s9plus_mod3IsEEE10hipError_tPvRmT1_T2_T3_mT4_P12ihipStream_tbEUlT_E1_NS1_11comp_targetILNS1_3genE2ELNS1_11target_archE906ELNS1_3gpuE6ELNS1_3repE0EEENS1_30default_config_static_selectorELNS0_4arch9wavefront6targetE1EEEvSD_.num_vgpr, 0
	.set _ZN7rocprim17ROCPRIM_400000_NS6detail17trampoline_kernelINS0_14default_configENS1_22reduce_config_selectorIsEEZNS1_11reduce_implILb1ES3_PsS7_s9plus_mod3IsEEE10hipError_tPvRmT1_T2_T3_mT4_P12ihipStream_tbEUlT_E1_NS1_11comp_targetILNS1_3genE2ELNS1_11target_archE906ELNS1_3gpuE6ELNS1_3repE0EEENS1_30default_config_static_selectorELNS0_4arch9wavefront6targetE1EEEvSD_.num_agpr, 0
	.set _ZN7rocprim17ROCPRIM_400000_NS6detail17trampoline_kernelINS0_14default_configENS1_22reduce_config_selectorIsEEZNS1_11reduce_implILb1ES3_PsS7_s9plus_mod3IsEEE10hipError_tPvRmT1_T2_T3_mT4_P12ihipStream_tbEUlT_E1_NS1_11comp_targetILNS1_3genE2ELNS1_11target_archE906ELNS1_3gpuE6ELNS1_3repE0EEENS1_30default_config_static_selectorELNS0_4arch9wavefront6targetE1EEEvSD_.numbered_sgpr, 0
	.set _ZN7rocprim17ROCPRIM_400000_NS6detail17trampoline_kernelINS0_14default_configENS1_22reduce_config_selectorIsEEZNS1_11reduce_implILb1ES3_PsS7_s9plus_mod3IsEEE10hipError_tPvRmT1_T2_T3_mT4_P12ihipStream_tbEUlT_E1_NS1_11comp_targetILNS1_3genE2ELNS1_11target_archE906ELNS1_3gpuE6ELNS1_3repE0EEENS1_30default_config_static_selectorELNS0_4arch9wavefront6targetE1EEEvSD_.num_named_barrier, 0
	.set _ZN7rocprim17ROCPRIM_400000_NS6detail17trampoline_kernelINS0_14default_configENS1_22reduce_config_selectorIsEEZNS1_11reduce_implILb1ES3_PsS7_s9plus_mod3IsEEE10hipError_tPvRmT1_T2_T3_mT4_P12ihipStream_tbEUlT_E1_NS1_11comp_targetILNS1_3genE2ELNS1_11target_archE906ELNS1_3gpuE6ELNS1_3repE0EEENS1_30default_config_static_selectorELNS0_4arch9wavefront6targetE1EEEvSD_.private_seg_size, 0
	.set _ZN7rocprim17ROCPRIM_400000_NS6detail17trampoline_kernelINS0_14default_configENS1_22reduce_config_selectorIsEEZNS1_11reduce_implILb1ES3_PsS7_s9plus_mod3IsEEE10hipError_tPvRmT1_T2_T3_mT4_P12ihipStream_tbEUlT_E1_NS1_11comp_targetILNS1_3genE2ELNS1_11target_archE906ELNS1_3gpuE6ELNS1_3repE0EEENS1_30default_config_static_selectorELNS0_4arch9wavefront6targetE1EEEvSD_.uses_vcc, 0
	.set _ZN7rocprim17ROCPRIM_400000_NS6detail17trampoline_kernelINS0_14default_configENS1_22reduce_config_selectorIsEEZNS1_11reduce_implILb1ES3_PsS7_s9plus_mod3IsEEE10hipError_tPvRmT1_T2_T3_mT4_P12ihipStream_tbEUlT_E1_NS1_11comp_targetILNS1_3genE2ELNS1_11target_archE906ELNS1_3gpuE6ELNS1_3repE0EEENS1_30default_config_static_selectorELNS0_4arch9wavefront6targetE1EEEvSD_.uses_flat_scratch, 0
	.set _ZN7rocprim17ROCPRIM_400000_NS6detail17trampoline_kernelINS0_14default_configENS1_22reduce_config_selectorIsEEZNS1_11reduce_implILb1ES3_PsS7_s9plus_mod3IsEEE10hipError_tPvRmT1_T2_T3_mT4_P12ihipStream_tbEUlT_E1_NS1_11comp_targetILNS1_3genE2ELNS1_11target_archE906ELNS1_3gpuE6ELNS1_3repE0EEENS1_30default_config_static_selectorELNS0_4arch9wavefront6targetE1EEEvSD_.has_dyn_sized_stack, 0
	.set _ZN7rocprim17ROCPRIM_400000_NS6detail17trampoline_kernelINS0_14default_configENS1_22reduce_config_selectorIsEEZNS1_11reduce_implILb1ES3_PsS7_s9plus_mod3IsEEE10hipError_tPvRmT1_T2_T3_mT4_P12ihipStream_tbEUlT_E1_NS1_11comp_targetILNS1_3genE2ELNS1_11target_archE906ELNS1_3gpuE6ELNS1_3repE0EEENS1_30default_config_static_selectorELNS0_4arch9wavefront6targetE1EEEvSD_.has_recursion, 0
	.set _ZN7rocprim17ROCPRIM_400000_NS6detail17trampoline_kernelINS0_14default_configENS1_22reduce_config_selectorIsEEZNS1_11reduce_implILb1ES3_PsS7_s9plus_mod3IsEEE10hipError_tPvRmT1_T2_T3_mT4_P12ihipStream_tbEUlT_E1_NS1_11comp_targetILNS1_3genE2ELNS1_11target_archE906ELNS1_3gpuE6ELNS1_3repE0EEENS1_30default_config_static_selectorELNS0_4arch9wavefront6targetE1EEEvSD_.has_indirect_call, 0
	.section	.AMDGPU.csdata,"",@progbits
; Kernel info:
; codeLenInByte = 0
; TotalNumSgprs: 6
; NumVgprs: 0
; NumAgprs: 0
; TotalNumVgprs: 0
; ScratchSize: 0
; MemoryBound: 0
; FloatMode: 240
; IeeeMode: 1
; LDSByteSize: 0 bytes/workgroup (compile time only)
; SGPRBlocks: 0
; VGPRBlocks: 0
; NumSGPRsForWavesPerEU: 6
; NumVGPRsForWavesPerEU: 1
; AccumOffset: 4
; Occupancy: 8
; WaveLimiterHint : 0
; COMPUTE_PGM_RSRC2:SCRATCH_EN: 0
; COMPUTE_PGM_RSRC2:USER_SGPR: 2
; COMPUTE_PGM_RSRC2:TRAP_HANDLER: 0
; COMPUTE_PGM_RSRC2:TGID_X_EN: 1
; COMPUTE_PGM_RSRC2:TGID_Y_EN: 0
; COMPUTE_PGM_RSRC2:TGID_Z_EN: 0
; COMPUTE_PGM_RSRC2:TIDIG_COMP_CNT: 0
; COMPUTE_PGM_RSRC3_GFX90A:ACCUM_OFFSET: 0
; COMPUTE_PGM_RSRC3_GFX90A:TG_SPLIT: 0
	.section	.text._ZN7rocprim17ROCPRIM_400000_NS6detail17trampoline_kernelINS0_14default_configENS1_22reduce_config_selectorIsEEZNS1_11reduce_implILb1ES3_PsS7_s9plus_mod3IsEEE10hipError_tPvRmT1_T2_T3_mT4_P12ihipStream_tbEUlT_E1_NS1_11comp_targetILNS1_3genE10ELNS1_11target_archE1201ELNS1_3gpuE5ELNS1_3repE0EEENS1_30default_config_static_selectorELNS0_4arch9wavefront6targetE1EEEvSD_,"axG",@progbits,_ZN7rocprim17ROCPRIM_400000_NS6detail17trampoline_kernelINS0_14default_configENS1_22reduce_config_selectorIsEEZNS1_11reduce_implILb1ES3_PsS7_s9plus_mod3IsEEE10hipError_tPvRmT1_T2_T3_mT4_P12ihipStream_tbEUlT_E1_NS1_11comp_targetILNS1_3genE10ELNS1_11target_archE1201ELNS1_3gpuE5ELNS1_3repE0EEENS1_30default_config_static_selectorELNS0_4arch9wavefront6targetE1EEEvSD_,comdat
	.protected	_ZN7rocprim17ROCPRIM_400000_NS6detail17trampoline_kernelINS0_14default_configENS1_22reduce_config_selectorIsEEZNS1_11reduce_implILb1ES3_PsS7_s9plus_mod3IsEEE10hipError_tPvRmT1_T2_T3_mT4_P12ihipStream_tbEUlT_E1_NS1_11comp_targetILNS1_3genE10ELNS1_11target_archE1201ELNS1_3gpuE5ELNS1_3repE0EEENS1_30default_config_static_selectorELNS0_4arch9wavefront6targetE1EEEvSD_ ; -- Begin function _ZN7rocprim17ROCPRIM_400000_NS6detail17trampoline_kernelINS0_14default_configENS1_22reduce_config_selectorIsEEZNS1_11reduce_implILb1ES3_PsS7_s9plus_mod3IsEEE10hipError_tPvRmT1_T2_T3_mT4_P12ihipStream_tbEUlT_E1_NS1_11comp_targetILNS1_3genE10ELNS1_11target_archE1201ELNS1_3gpuE5ELNS1_3repE0EEENS1_30default_config_static_selectorELNS0_4arch9wavefront6targetE1EEEvSD_
	.globl	_ZN7rocprim17ROCPRIM_400000_NS6detail17trampoline_kernelINS0_14default_configENS1_22reduce_config_selectorIsEEZNS1_11reduce_implILb1ES3_PsS7_s9plus_mod3IsEEE10hipError_tPvRmT1_T2_T3_mT4_P12ihipStream_tbEUlT_E1_NS1_11comp_targetILNS1_3genE10ELNS1_11target_archE1201ELNS1_3gpuE5ELNS1_3repE0EEENS1_30default_config_static_selectorELNS0_4arch9wavefront6targetE1EEEvSD_
	.p2align	8
	.type	_ZN7rocprim17ROCPRIM_400000_NS6detail17trampoline_kernelINS0_14default_configENS1_22reduce_config_selectorIsEEZNS1_11reduce_implILb1ES3_PsS7_s9plus_mod3IsEEE10hipError_tPvRmT1_T2_T3_mT4_P12ihipStream_tbEUlT_E1_NS1_11comp_targetILNS1_3genE10ELNS1_11target_archE1201ELNS1_3gpuE5ELNS1_3repE0EEENS1_30default_config_static_selectorELNS0_4arch9wavefront6targetE1EEEvSD_,@function
_ZN7rocprim17ROCPRIM_400000_NS6detail17trampoline_kernelINS0_14default_configENS1_22reduce_config_selectorIsEEZNS1_11reduce_implILb1ES3_PsS7_s9plus_mod3IsEEE10hipError_tPvRmT1_T2_T3_mT4_P12ihipStream_tbEUlT_E1_NS1_11comp_targetILNS1_3genE10ELNS1_11target_archE1201ELNS1_3gpuE5ELNS1_3repE0EEENS1_30default_config_static_selectorELNS0_4arch9wavefront6targetE1EEEvSD_: ; @_ZN7rocprim17ROCPRIM_400000_NS6detail17trampoline_kernelINS0_14default_configENS1_22reduce_config_selectorIsEEZNS1_11reduce_implILb1ES3_PsS7_s9plus_mod3IsEEE10hipError_tPvRmT1_T2_T3_mT4_P12ihipStream_tbEUlT_E1_NS1_11comp_targetILNS1_3genE10ELNS1_11target_archE1201ELNS1_3gpuE5ELNS1_3repE0EEENS1_30default_config_static_selectorELNS0_4arch9wavefront6targetE1EEEvSD_
; %bb.0:
	.section	.rodata,"a",@progbits
	.p2align	6, 0x0
	.amdhsa_kernel _ZN7rocprim17ROCPRIM_400000_NS6detail17trampoline_kernelINS0_14default_configENS1_22reduce_config_selectorIsEEZNS1_11reduce_implILb1ES3_PsS7_s9plus_mod3IsEEE10hipError_tPvRmT1_T2_T3_mT4_P12ihipStream_tbEUlT_E1_NS1_11comp_targetILNS1_3genE10ELNS1_11target_archE1201ELNS1_3gpuE5ELNS1_3repE0EEENS1_30default_config_static_selectorELNS0_4arch9wavefront6targetE1EEEvSD_
		.amdhsa_group_segment_fixed_size 0
		.amdhsa_private_segment_fixed_size 0
		.amdhsa_kernarg_size 48
		.amdhsa_user_sgpr_count 2
		.amdhsa_user_sgpr_dispatch_ptr 0
		.amdhsa_user_sgpr_queue_ptr 0
		.amdhsa_user_sgpr_kernarg_segment_ptr 1
		.amdhsa_user_sgpr_dispatch_id 0
		.amdhsa_user_sgpr_kernarg_preload_length 0
		.amdhsa_user_sgpr_kernarg_preload_offset 0
		.amdhsa_user_sgpr_private_segment_size 0
		.amdhsa_uses_dynamic_stack 0
		.amdhsa_enable_private_segment 0
		.amdhsa_system_sgpr_workgroup_id_x 1
		.amdhsa_system_sgpr_workgroup_id_y 0
		.amdhsa_system_sgpr_workgroup_id_z 0
		.amdhsa_system_sgpr_workgroup_info 0
		.amdhsa_system_vgpr_workitem_id 0
		.amdhsa_next_free_vgpr 1
		.amdhsa_next_free_sgpr 0
		.amdhsa_accum_offset 4
		.amdhsa_reserve_vcc 0
		.amdhsa_float_round_mode_32 0
		.amdhsa_float_round_mode_16_64 0
		.amdhsa_float_denorm_mode_32 3
		.amdhsa_float_denorm_mode_16_64 3
		.amdhsa_dx10_clamp 1
		.amdhsa_ieee_mode 1
		.amdhsa_fp16_overflow 0
		.amdhsa_tg_split 0
		.amdhsa_exception_fp_ieee_invalid_op 0
		.amdhsa_exception_fp_denorm_src 0
		.amdhsa_exception_fp_ieee_div_zero 0
		.amdhsa_exception_fp_ieee_overflow 0
		.amdhsa_exception_fp_ieee_underflow 0
		.amdhsa_exception_fp_ieee_inexact 0
		.amdhsa_exception_int_div_zero 0
	.end_amdhsa_kernel
	.section	.text._ZN7rocprim17ROCPRIM_400000_NS6detail17trampoline_kernelINS0_14default_configENS1_22reduce_config_selectorIsEEZNS1_11reduce_implILb1ES3_PsS7_s9plus_mod3IsEEE10hipError_tPvRmT1_T2_T3_mT4_P12ihipStream_tbEUlT_E1_NS1_11comp_targetILNS1_3genE10ELNS1_11target_archE1201ELNS1_3gpuE5ELNS1_3repE0EEENS1_30default_config_static_selectorELNS0_4arch9wavefront6targetE1EEEvSD_,"axG",@progbits,_ZN7rocprim17ROCPRIM_400000_NS6detail17trampoline_kernelINS0_14default_configENS1_22reduce_config_selectorIsEEZNS1_11reduce_implILb1ES3_PsS7_s9plus_mod3IsEEE10hipError_tPvRmT1_T2_T3_mT4_P12ihipStream_tbEUlT_E1_NS1_11comp_targetILNS1_3genE10ELNS1_11target_archE1201ELNS1_3gpuE5ELNS1_3repE0EEENS1_30default_config_static_selectorELNS0_4arch9wavefront6targetE1EEEvSD_,comdat
.Lfunc_end961:
	.size	_ZN7rocprim17ROCPRIM_400000_NS6detail17trampoline_kernelINS0_14default_configENS1_22reduce_config_selectorIsEEZNS1_11reduce_implILb1ES3_PsS7_s9plus_mod3IsEEE10hipError_tPvRmT1_T2_T3_mT4_P12ihipStream_tbEUlT_E1_NS1_11comp_targetILNS1_3genE10ELNS1_11target_archE1201ELNS1_3gpuE5ELNS1_3repE0EEENS1_30default_config_static_selectorELNS0_4arch9wavefront6targetE1EEEvSD_, .Lfunc_end961-_ZN7rocprim17ROCPRIM_400000_NS6detail17trampoline_kernelINS0_14default_configENS1_22reduce_config_selectorIsEEZNS1_11reduce_implILb1ES3_PsS7_s9plus_mod3IsEEE10hipError_tPvRmT1_T2_T3_mT4_P12ihipStream_tbEUlT_E1_NS1_11comp_targetILNS1_3genE10ELNS1_11target_archE1201ELNS1_3gpuE5ELNS1_3repE0EEENS1_30default_config_static_selectorELNS0_4arch9wavefront6targetE1EEEvSD_
                                        ; -- End function
	.set _ZN7rocprim17ROCPRIM_400000_NS6detail17trampoline_kernelINS0_14default_configENS1_22reduce_config_selectorIsEEZNS1_11reduce_implILb1ES3_PsS7_s9plus_mod3IsEEE10hipError_tPvRmT1_T2_T3_mT4_P12ihipStream_tbEUlT_E1_NS1_11comp_targetILNS1_3genE10ELNS1_11target_archE1201ELNS1_3gpuE5ELNS1_3repE0EEENS1_30default_config_static_selectorELNS0_4arch9wavefront6targetE1EEEvSD_.num_vgpr, 0
	.set _ZN7rocprim17ROCPRIM_400000_NS6detail17trampoline_kernelINS0_14default_configENS1_22reduce_config_selectorIsEEZNS1_11reduce_implILb1ES3_PsS7_s9plus_mod3IsEEE10hipError_tPvRmT1_T2_T3_mT4_P12ihipStream_tbEUlT_E1_NS1_11comp_targetILNS1_3genE10ELNS1_11target_archE1201ELNS1_3gpuE5ELNS1_3repE0EEENS1_30default_config_static_selectorELNS0_4arch9wavefront6targetE1EEEvSD_.num_agpr, 0
	.set _ZN7rocprim17ROCPRIM_400000_NS6detail17trampoline_kernelINS0_14default_configENS1_22reduce_config_selectorIsEEZNS1_11reduce_implILb1ES3_PsS7_s9plus_mod3IsEEE10hipError_tPvRmT1_T2_T3_mT4_P12ihipStream_tbEUlT_E1_NS1_11comp_targetILNS1_3genE10ELNS1_11target_archE1201ELNS1_3gpuE5ELNS1_3repE0EEENS1_30default_config_static_selectorELNS0_4arch9wavefront6targetE1EEEvSD_.numbered_sgpr, 0
	.set _ZN7rocprim17ROCPRIM_400000_NS6detail17trampoline_kernelINS0_14default_configENS1_22reduce_config_selectorIsEEZNS1_11reduce_implILb1ES3_PsS7_s9plus_mod3IsEEE10hipError_tPvRmT1_T2_T3_mT4_P12ihipStream_tbEUlT_E1_NS1_11comp_targetILNS1_3genE10ELNS1_11target_archE1201ELNS1_3gpuE5ELNS1_3repE0EEENS1_30default_config_static_selectorELNS0_4arch9wavefront6targetE1EEEvSD_.num_named_barrier, 0
	.set _ZN7rocprim17ROCPRIM_400000_NS6detail17trampoline_kernelINS0_14default_configENS1_22reduce_config_selectorIsEEZNS1_11reduce_implILb1ES3_PsS7_s9plus_mod3IsEEE10hipError_tPvRmT1_T2_T3_mT4_P12ihipStream_tbEUlT_E1_NS1_11comp_targetILNS1_3genE10ELNS1_11target_archE1201ELNS1_3gpuE5ELNS1_3repE0EEENS1_30default_config_static_selectorELNS0_4arch9wavefront6targetE1EEEvSD_.private_seg_size, 0
	.set _ZN7rocprim17ROCPRIM_400000_NS6detail17trampoline_kernelINS0_14default_configENS1_22reduce_config_selectorIsEEZNS1_11reduce_implILb1ES3_PsS7_s9plus_mod3IsEEE10hipError_tPvRmT1_T2_T3_mT4_P12ihipStream_tbEUlT_E1_NS1_11comp_targetILNS1_3genE10ELNS1_11target_archE1201ELNS1_3gpuE5ELNS1_3repE0EEENS1_30default_config_static_selectorELNS0_4arch9wavefront6targetE1EEEvSD_.uses_vcc, 0
	.set _ZN7rocprim17ROCPRIM_400000_NS6detail17trampoline_kernelINS0_14default_configENS1_22reduce_config_selectorIsEEZNS1_11reduce_implILb1ES3_PsS7_s9plus_mod3IsEEE10hipError_tPvRmT1_T2_T3_mT4_P12ihipStream_tbEUlT_E1_NS1_11comp_targetILNS1_3genE10ELNS1_11target_archE1201ELNS1_3gpuE5ELNS1_3repE0EEENS1_30default_config_static_selectorELNS0_4arch9wavefront6targetE1EEEvSD_.uses_flat_scratch, 0
	.set _ZN7rocprim17ROCPRIM_400000_NS6detail17trampoline_kernelINS0_14default_configENS1_22reduce_config_selectorIsEEZNS1_11reduce_implILb1ES3_PsS7_s9plus_mod3IsEEE10hipError_tPvRmT1_T2_T3_mT4_P12ihipStream_tbEUlT_E1_NS1_11comp_targetILNS1_3genE10ELNS1_11target_archE1201ELNS1_3gpuE5ELNS1_3repE0EEENS1_30default_config_static_selectorELNS0_4arch9wavefront6targetE1EEEvSD_.has_dyn_sized_stack, 0
	.set _ZN7rocprim17ROCPRIM_400000_NS6detail17trampoline_kernelINS0_14default_configENS1_22reduce_config_selectorIsEEZNS1_11reduce_implILb1ES3_PsS7_s9plus_mod3IsEEE10hipError_tPvRmT1_T2_T3_mT4_P12ihipStream_tbEUlT_E1_NS1_11comp_targetILNS1_3genE10ELNS1_11target_archE1201ELNS1_3gpuE5ELNS1_3repE0EEENS1_30default_config_static_selectorELNS0_4arch9wavefront6targetE1EEEvSD_.has_recursion, 0
	.set _ZN7rocprim17ROCPRIM_400000_NS6detail17trampoline_kernelINS0_14default_configENS1_22reduce_config_selectorIsEEZNS1_11reduce_implILb1ES3_PsS7_s9plus_mod3IsEEE10hipError_tPvRmT1_T2_T3_mT4_P12ihipStream_tbEUlT_E1_NS1_11comp_targetILNS1_3genE10ELNS1_11target_archE1201ELNS1_3gpuE5ELNS1_3repE0EEENS1_30default_config_static_selectorELNS0_4arch9wavefront6targetE1EEEvSD_.has_indirect_call, 0
	.section	.AMDGPU.csdata,"",@progbits
; Kernel info:
; codeLenInByte = 0
; TotalNumSgprs: 6
; NumVgprs: 0
; NumAgprs: 0
; TotalNumVgprs: 0
; ScratchSize: 0
; MemoryBound: 0
; FloatMode: 240
; IeeeMode: 1
; LDSByteSize: 0 bytes/workgroup (compile time only)
; SGPRBlocks: 0
; VGPRBlocks: 0
; NumSGPRsForWavesPerEU: 6
; NumVGPRsForWavesPerEU: 1
; AccumOffset: 4
; Occupancy: 8
; WaveLimiterHint : 0
; COMPUTE_PGM_RSRC2:SCRATCH_EN: 0
; COMPUTE_PGM_RSRC2:USER_SGPR: 2
; COMPUTE_PGM_RSRC2:TRAP_HANDLER: 0
; COMPUTE_PGM_RSRC2:TGID_X_EN: 1
; COMPUTE_PGM_RSRC2:TGID_Y_EN: 0
; COMPUTE_PGM_RSRC2:TGID_Z_EN: 0
; COMPUTE_PGM_RSRC2:TIDIG_COMP_CNT: 0
; COMPUTE_PGM_RSRC3_GFX90A:ACCUM_OFFSET: 0
; COMPUTE_PGM_RSRC3_GFX90A:TG_SPLIT: 0
	.section	.text._ZN7rocprim17ROCPRIM_400000_NS6detail17trampoline_kernelINS0_14default_configENS1_22reduce_config_selectorIsEEZNS1_11reduce_implILb1ES3_PsS7_s9plus_mod3IsEEE10hipError_tPvRmT1_T2_T3_mT4_P12ihipStream_tbEUlT_E1_NS1_11comp_targetILNS1_3genE10ELNS1_11target_archE1200ELNS1_3gpuE4ELNS1_3repE0EEENS1_30default_config_static_selectorELNS0_4arch9wavefront6targetE1EEEvSD_,"axG",@progbits,_ZN7rocprim17ROCPRIM_400000_NS6detail17trampoline_kernelINS0_14default_configENS1_22reduce_config_selectorIsEEZNS1_11reduce_implILb1ES3_PsS7_s9plus_mod3IsEEE10hipError_tPvRmT1_T2_T3_mT4_P12ihipStream_tbEUlT_E1_NS1_11comp_targetILNS1_3genE10ELNS1_11target_archE1200ELNS1_3gpuE4ELNS1_3repE0EEENS1_30default_config_static_selectorELNS0_4arch9wavefront6targetE1EEEvSD_,comdat
	.protected	_ZN7rocprim17ROCPRIM_400000_NS6detail17trampoline_kernelINS0_14default_configENS1_22reduce_config_selectorIsEEZNS1_11reduce_implILb1ES3_PsS7_s9plus_mod3IsEEE10hipError_tPvRmT1_T2_T3_mT4_P12ihipStream_tbEUlT_E1_NS1_11comp_targetILNS1_3genE10ELNS1_11target_archE1200ELNS1_3gpuE4ELNS1_3repE0EEENS1_30default_config_static_selectorELNS0_4arch9wavefront6targetE1EEEvSD_ ; -- Begin function _ZN7rocprim17ROCPRIM_400000_NS6detail17trampoline_kernelINS0_14default_configENS1_22reduce_config_selectorIsEEZNS1_11reduce_implILb1ES3_PsS7_s9plus_mod3IsEEE10hipError_tPvRmT1_T2_T3_mT4_P12ihipStream_tbEUlT_E1_NS1_11comp_targetILNS1_3genE10ELNS1_11target_archE1200ELNS1_3gpuE4ELNS1_3repE0EEENS1_30default_config_static_selectorELNS0_4arch9wavefront6targetE1EEEvSD_
	.globl	_ZN7rocprim17ROCPRIM_400000_NS6detail17trampoline_kernelINS0_14default_configENS1_22reduce_config_selectorIsEEZNS1_11reduce_implILb1ES3_PsS7_s9plus_mod3IsEEE10hipError_tPvRmT1_T2_T3_mT4_P12ihipStream_tbEUlT_E1_NS1_11comp_targetILNS1_3genE10ELNS1_11target_archE1200ELNS1_3gpuE4ELNS1_3repE0EEENS1_30default_config_static_selectorELNS0_4arch9wavefront6targetE1EEEvSD_
	.p2align	8
	.type	_ZN7rocprim17ROCPRIM_400000_NS6detail17trampoline_kernelINS0_14default_configENS1_22reduce_config_selectorIsEEZNS1_11reduce_implILb1ES3_PsS7_s9plus_mod3IsEEE10hipError_tPvRmT1_T2_T3_mT4_P12ihipStream_tbEUlT_E1_NS1_11comp_targetILNS1_3genE10ELNS1_11target_archE1200ELNS1_3gpuE4ELNS1_3repE0EEENS1_30default_config_static_selectorELNS0_4arch9wavefront6targetE1EEEvSD_,@function
_ZN7rocprim17ROCPRIM_400000_NS6detail17trampoline_kernelINS0_14default_configENS1_22reduce_config_selectorIsEEZNS1_11reduce_implILb1ES3_PsS7_s9plus_mod3IsEEE10hipError_tPvRmT1_T2_T3_mT4_P12ihipStream_tbEUlT_E1_NS1_11comp_targetILNS1_3genE10ELNS1_11target_archE1200ELNS1_3gpuE4ELNS1_3repE0EEENS1_30default_config_static_selectorELNS0_4arch9wavefront6targetE1EEEvSD_: ; @_ZN7rocprim17ROCPRIM_400000_NS6detail17trampoline_kernelINS0_14default_configENS1_22reduce_config_selectorIsEEZNS1_11reduce_implILb1ES3_PsS7_s9plus_mod3IsEEE10hipError_tPvRmT1_T2_T3_mT4_P12ihipStream_tbEUlT_E1_NS1_11comp_targetILNS1_3genE10ELNS1_11target_archE1200ELNS1_3gpuE4ELNS1_3repE0EEENS1_30default_config_static_selectorELNS0_4arch9wavefront6targetE1EEEvSD_
; %bb.0:
	.section	.rodata,"a",@progbits
	.p2align	6, 0x0
	.amdhsa_kernel _ZN7rocprim17ROCPRIM_400000_NS6detail17trampoline_kernelINS0_14default_configENS1_22reduce_config_selectorIsEEZNS1_11reduce_implILb1ES3_PsS7_s9plus_mod3IsEEE10hipError_tPvRmT1_T2_T3_mT4_P12ihipStream_tbEUlT_E1_NS1_11comp_targetILNS1_3genE10ELNS1_11target_archE1200ELNS1_3gpuE4ELNS1_3repE0EEENS1_30default_config_static_selectorELNS0_4arch9wavefront6targetE1EEEvSD_
		.amdhsa_group_segment_fixed_size 0
		.amdhsa_private_segment_fixed_size 0
		.amdhsa_kernarg_size 48
		.amdhsa_user_sgpr_count 2
		.amdhsa_user_sgpr_dispatch_ptr 0
		.amdhsa_user_sgpr_queue_ptr 0
		.amdhsa_user_sgpr_kernarg_segment_ptr 1
		.amdhsa_user_sgpr_dispatch_id 0
		.amdhsa_user_sgpr_kernarg_preload_length 0
		.amdhsa_user_sgpr_kernarg_preload_offset 0
		.amdhsa_user_sgpr_private_segment_size 0
		.amdhsa_uses_dynamic_stack 0
		.amdhsa_enable_private_segment 0
		.amdhsa_system_sgpr_workgroup_id_x 1
		.amdhsa_system_sgpr_workgroup_id_y 0
		.amdhsa_system_sgpr_workgroup_id_z 0
		.amdhsa_system_sgpr_workgroup_info 0
		.amdhsa_system_vgpr_workitem_id 0
		.amdhsa_next_free_vgpr 1
		.amdhsa_next_free_sgpr 0
		.amdhsa_accum_offset 4
		.amdhsa_reserve_vcc 0
		.amdhsa_float_round_mode_32 0
		.amdhsa_float_round_mode_16_64 0
		.amdhsa_float_denorm_mode_32 3
		.amdhsa_float_denorm_mode_16_64 3
		.amdhsa_dx10_clamp 1
		.amdhsa_ieee_mode 1
		.amdhsa_fp16_overflow 0
		.amdhsa_tg_split 0
		.amdhsa_exception_fp_ieee_invalid_op 0
		.amdhsa_exception_fp_denorm_src 0
		.amdhsa_exception_fp_ieee_div_zero 0
		.amdhsa_exception_fp_ieee_overflow 0
		.amdhsa_exception_fp_ieee_underflow 0
		.amdhsa_exception_fp_ieee_inexact 0
		.amdhsa_exception_int_div_zero 0
	.end_amdhsa_kernel
	.section	.text._ZN7rocprim17ROCPRIM_400000_NS6detail17trampoline_kernelINS0_14default_configENS1_22reduce_config_selectorIsEEZNS1_11reduce_implILb1ES3_PsS7_s9plus_mod3IsEEE10hipError_tPvRmT1_T2_T3_mT4_P12ihipStream_tbEUlT_E1_NS1_11comp_targetILNS1_3genE10ELNS1_11target_archE1200ELNS1_3gpuE4ELNS1_3repE0EEENS1_30default_config_static_selectorELNS0_4arch9wavefront6targetE1EEEvSD_,"axG",@progbits,_ZN7rocprim17ROCPRIM_400000_NS6detail17trampoline_kernelINS0_14default_configENS1_22reduce_config_selectorIsEEZNS1_11reduce_implILb1ES3_PsS7_s9plus_mod3IsEEE10hipError_tPvRmT1_T2_T3_mT4_P12ihipStream_tbEUlT_E1_NS1_11comp_targetILNS1_3genE10ELNS1_11target_archE1200ELNS1_3gpuE4ELNS1_3repE0EEENS1_30default_config_static_selectorELNS0_4arch9wavefront6targetE1EEEvSD_,comdat
.Lfunc_end962:
	.size	_ZN7rocprim17ROCPRIM_400000_NS6detail17trampoline_kernelINS0_14default_configENS1_22reduce_config_selectorIsEEZNS1_11reduce_implILb1ES3_PsS7_s9plus_mod3IsEEE10hipError_tPvRmT1_T2_T3_mT4_P12ihipStream_tbEUlT_E1_NS1_11comp_targetILNS1_3genE10ELNS1_11target_archE1200ELNS1_3gpuE4ELNS1_3repE0EEENS1_30default_config_static_selectorELNS0_4arch9wavefront6targetE1EEEvSD_, .Lfunc_end962-_ZN7rocprim17ROCPRIM_400000_NS6detail17trampoline_kernelINS0_14default_configENS1_22reduce_config_selectorIsEEZNS1_11reduce_implILb1ES3_PsS7_s9plus_mod3IsEEE10hipError_tPvRmT1_T2_T3_mT4_P12ihipStream_tbEUlT_E1_NS1_11comp_targetILNS1_3genE10ELNS1_11target_archE1200ELNS1_3gpuE4ELNS1_3repE0EEENS1_30default_config_static_selectorELNS0_4arch9wavefront6targetE1EEEvSD_
                                        ; -- End function
	.set _ZN7rocprim17ROCPRIM_400000_NS6detail17trampoline_kernelINS0_14default_configENS1_22reduce_config_selectorIsEEZNS1_11reduce_implILb1ES3_PsS7_s9plus_mod3IsEEE10hipError_tPvRmT1_T2_T3_mT4_P12ihipStream_tbEUlT_E1_NS1_11comp_targetILNS1_3genE10ELNS1_11target_archE1200ELNS1_3gpuE4ELNS1_3repE0EEENS1_30default_config_static_selectorELNS0_4arch9wavefront6targetE1EEEvSD_.num_vgpr, 0
	.set _ZN7rocprim17ROCPRIM_400000_NS6detail17trampoline_kernelINS0_14default_configENS1_22reduce_config_selectorIsEEZNS1_11reduce_implILb1ES3_PsS7_s9plus_mod3IsEEE10hipError_tPvRmT1_T2_T3_mT4_P12ihipStream_tbEUlT_E1_NS1_11comp_targetILNS1_3genE10ELNS1_11target_archE1200ELNS1_3gpuE4ELNS1_3repE0EEENS1_30default_config_static_selectorELNS0_4arch9wavefront6targetE1EEEvSD_.num_agpr, 0
	.set _ZN7rocprim17ROCPRIM_400000_NS6detail17trampoline_kernelINS0_14default_configENS1_22reduce_config_selectorIsEEZNS1_11reduce_implILb1ES3_PsS7_s9plus_mod3IsEEE10hipError_tPvRmT1_T2_T3_mT4_P12ihipStream_tbEUlT_E1_NS1_11comp_targetILNS1_3genE10ELNS1_11target_archE1200ELNS1_3gpuE4ELNS1_3repE0EEENS1_30default_config_static_selectorELNS0_4arch9wavefront6targetE1EEEvSD_.numbered_sgpr, 0
	.set _ZN7rocprim17ROCPRIM_400000_NS6detail17trampoline_kernelINS0_14default_configENS1_22reduce_config_selectorIsEEZNS1_11reduce_implILb1ES3_PsS7_s9plus_mod3IsEEE10hipError_tPvRmT1_T2_T3_mT4_P12ihipStream_tbEUlT_E1_NS1_11comp_targetILNS1_3genE10ELNS1_11target_archE1200ELNS1_3gpuE4ELNS1_3repE0EEENS1_30default_config_static_selectorELNS0_4arch9wavefront6targetE1EEEvSD_.num_named_barrier, 0
	.set _ZN7rocprim17ROCPRIM_400000_NS6detail17trampoline_kernelINS0_14default_configENS1_22reduce_config_selectorIsEEZNS1_11reduce_implILb1ES3_PsS7_s9plus_mod3IsEEE10hipError_tPvRmT1_T2_T3_mT4_P12ihipStream_tbEUlT_E1_NS1_11comp_targetILNS1_3genE10ELNS1_11target_archE1200ELNS1_3gpuE4ELNS1_3repE0EEENS1_30default_config_static_selectorELNS0_4arch9wavefront6targetE1EEEvSD_.private_seg_size, 0
	.set _ZN7rocprim17ROCPRIM_400000_NS6detail17trampoline_kernelINS0_14default_configENS1_22reduce_config_selectorIsEEZNS1_11reduce_implILb1ES3_PsS7_s9plus_mod3IsEEE10hipError_tPvRmT1_T2_T3_mT4_P12ihipStream_tbEUlT_E1_NS1_11comp_targetILNS1_3genE10ELNS1_11target_archE1200ELNS1_3gpuE4ELNS1_3repE0EEENS1_30default_config_static_selectorELNS0_4arch9wavefront6targetE1EEEvSD_.uses_vcc, 0
	.set _ZN7rocprim17ROCPRIM_400000_NS6detail17trampoline_kernelINS0_14default_configENS1_22reduce_config_selectorIsEEZNS1_11reduce_implILb1ES3_PsS7_s9plus_mod3IsEEE10hipError_tPvRmT1_T2_T3_mT4_P12ihipStream_tbEUlT_E1_NS1_11comp_targetILNS1_3genE10ELNS1_11target_archE1200ELNS1_3gpuE4ELNS1_3repE0EEENS1_30default_config_static_selectorELNS0_4arch9wavefront6targetE1EEEvSD_.uses_flat_scratch, 0
	.set _ZN7rocprim17ROCPRIM_400000_NS6detail17trampoline_kernelINS0_14default_configENS1_22reduce_config_selectorIsEEZNS1_11reduce_implILb1ES3_PsS7_s9plus_mod3IsEEE10hipError_tPvRmT1_T2_T3_mT4_P12ihipStream_tbEUlT_E1_NS1_11comp_targetILNS1_3genE10ELNS1_11target_archE1200ELNS1_3gpuE4ELNS1_3repE0EEENS1_30default_config_static_selectorELNS0_4arch9wavefront6targetE1EEEvSD_.has_dyn_sized_stack, 0
	.set _ZN7rocprim17ROCPRIM_400000_NS6detail17trampoline_kernelINS0_14default_configENS1_22reduce_config_selectorIsEEZNS1_11reduce_implILb1ES3_PsS7_s9plus_mod3IsEEE10hipError_tPvRmT1_T2_T3_mT4_P12ihipStream_tbEUlT_E1_NS1_11comp_targetILNS1_3genE10ELNS1_11target_archE1200ELNS1_3gpuE4ELNS1_3repE0EEENS1_30default_config_static_selectorELNS0_4arch9wavefront6targetE1EEEvSD_.has_recursion, 0
	.set _ZN7rocprim17ROCPRIM_400000_NS6detail17trampoline_kernelINS0_14default_configENS1_22reduce_config_selectorIsEEZNS1_11reduce_implILb1ES3_PsS7_s9plus_mod3IsEEE10hipError_tPvRmT1_T2_T3_mT4_P12ihipStream_tbEUlT_E1_NS1_11comp_targetILNS1_3genE10ELNS1_11target_archE1200ELNS1_3gpuE4ELNS1_3repE0EEENS1_30default_config_static_selectorELNS0_4arch9wavefront6targetE1EEEvSD_.has_indirect_call, 0
	.section	.AMDGPU.csdata,"",@progbits
; Kernel info:
; codeLenInByte = 0
; TotalNumSgprs: 6
; NumVgprs: 0
; NumAgprs: 0
; TotalNumVgprs: 0
; ScratchSize: 0
; MemoryBound: 0
; FloatMode: 240
; IeeeMode: 1
; LDSByteSize: 0 bytes/workgroup (compile time only)
; SGPRBlocks: 0
; VGPRBlocks: 0
; NumSGPRsForWavesPerEU: 6
; NumVGPRsForWavesPerEU: 1
; AccumOffset: 4
; Occupancy: 8
; WaveLimiterHint : 0
; COMPUTE_PGM_RSRC2:SCRATCH_EN: 0
; COMPUTE_PGM_RSRC2:USER_SGPR: 2
; COMPUTE_PGM_RSRC2:TRAP_HANDLER: 0
; COMPUTE_PGM_RSRC2:TGID_X_EN: 1
; COMPUTE_PGM_RSRC2:TGID_Y_EN: 0
; COMPUTE_PGM_RSRC2:TGID_Z_EN: 0
; COMPUTE_PGM_RSRC2:TIDIG_COMP_CNT: 0
; COMPUTE_PGM_RSRC3_GFX90A:ACCUM_OFFSET: 0
; COMPUTE_PGM_RSRC3_GFX90A:TG_SPLIT: 0
	.section	.text._ZN7rocprim17ROCPRIM_400000_NS6detail17trampoline_kernelINS0_14default_configENS1_22reduce_config_selectorIsEEZNS1_11reduce_implILb1ES3_PsS7_s9plus_mod3IsEEE10hipError_tPvRmT1_T2_T3_mT4_P12ihipStream_tbEUlT_E1_NS1_11comp_targetILNS1_3genE9ELNS1_11target_archE1100ELNS1_3gpuE3ELNS1_3repE0EEENS1_30default_config_static_selectorELNS0_4arch9wavefront6targetE1EEEvSD_,"axG",@progbits,_ZN7rocprim17ROCPRIM_400000_NS6detail17trampoline_kernelINS0_14default_configENS1_22reduce_config_selectorIsEEZNS1_11reduce_implILb1ES3_PsS7_s9plus_mod3IsEEE10hipError_tPvRmT1_T2_T3_mT4_P12ihipStream_tbEUlT_E1_NS1_11comp_targetILNS1_3genE9ELNS1_11target_archE1100ELNS1_3gpuE3ELNS1_3repE0EEENS1_30default_config_static_selectorELNS0_4arch9wavefront6targetE1EEEvSD_,comdat
	.protected	_ZN7rocprim17ROCPRIM_400000_NS6detail17trampoline_kernelINS0_14default_configENS1_22reduce_config_selectorIsEEZNS1_11reduce_implILb1ES3_PsS7_s9plus_mod3IsEEE10hipError_tPvRmT1_T2_T3_mT4_P12ihipStream_tbEUlT_E1_NS1_11comp_targetILNS1_3genE9ELNS1_11target_archE1100ELNS1_3gpuE3ELNS1_3repE0EEENS1_30default_config_static_selectorELNS0_4arch9wavefront6targetE1EEEvSD_ ; -- Begin function _ZN7rocprim17ROCPRIM_400000_NS6detail17trampoline_kernelINS0_14default_configENS1_22reduce_config_selectorIsEEZNS1_11reduce_implILb1ES3_PsS7_s9plus_mod3IsEEE10hipError_tPvRmT1_T2_T3_mT4_P12ihipStream_tbEUlT_E1_NS1_11comp_targetILNS1_3genE9ELNS1_11target_archE1100ELNS1_3gpuE3ELNS1_3repE0EEENS1_30default_config_static_selectorELNS0_4arch9wavefront6targetE1EEEvSD_
	.globl	_ZN7rocprim17ROCPRIM_400000_NS6detail17trampoline_kernelINS0_14default_configENS1_22reduce_config_selectorIsEEZNS1_11reduce_implILb1ES3_PsS7_s9plus_mod3IsEEE10hipError_tPvRmT1_T2_T3_mT4_P12ihipStream_tbEUlT_E1_NS1_11comp_targetILNS1_3genE9ELNS1_11target_archE1100ELNS1_3gpuE3ELNS1_3repE0EEENS1_30default_config_static_selectorELNS0_4arch9wavefront6targetE1EEEvSD_
	.p2align	8
	.type	_ZN7rocprim17ROCPRIM_400000_NS6detail17trampoline_kernelINS0_14default_configENS1_22reduce_config_selectorIsEEZNS1_11reduce_implILb1ES3_PsS7_s9plus_mod3IsEEE10hipError_tPvRmT1_T2_T3_mT4_P12ihipStream_tbEUlT_E1_NS1_11comp_targetILNS1_3genE9ELNS1_11target_archE1100ELNS1_3gpuE3ELNS1_3repE0EEENS1_30default_config_static_selectorELNS0_4arch9wavefront6targetE1EEEvSD_,@function
_ZN7rocprim17ROCPRIM_400000_NS6detail17trampoline_kernelINS0_14default_configENS1_22reduce_config_selectorIsEEZNS1_11reduce_implILb1ES3_PsS7_s9plus_mod3IsEEE10hipError_tPvRmT1_T2_T3_mT4_P12ihipStream_tbEUlT_E1_NS1_11comp_targetILNS1_3genE9ELNS1_11target_archE1100ELNS1_3gpuE3ELNS1_3repE0EEENS1_30default_config_static_selectorELNS0_4arch9wavefront6targetE1EEEvSD_: ; @_ZN7rocprim17ROCPRIM_400000_NS6detail17trampoline_kernelINS0_14default_configENS1_22reduce_config_selectorIsEEZNS1_11reduce_implILb1ES3_PsS7_s9plus_mod3IsEEE10hipError_tPvRmT1_T2_T3_mT4_P12ihipStream_tbEUlT_E1_NS1_11comp_targetILNS1_3genE9ELNS1_11target_archE1100ELNS1_3gpuE3ELNS1_3repE0EEENS1_30default_config_static_selectorELNS0_4arch9wavefront6targetE1EEEvSD_
; %bb.0:
	.section	.rodata,"a",@progbits
	.p2align	6, 0x0
	.amdhsa_kernel _ZN7rocprim17ROCPRIM_400000_NS6detail17trampoline_kernelINS0_14default_configENS1_22reduce_config_selectorIsEEZNS1_11reduce_implILb1ES3_PsS7_s9plus_mod3IsEEE10hipError_tPvRmT1_T2_T3_mT4_P12ihipStream_tbEUlT_E1_NS1_11comp_targetILNS1_3genE9ELNS1_11target_archE1100ELNS1_3gpuE3ELNS1_3repE0EEENS1_30default_config_static_selectorELNS0_4arch9wavefront6targetE1EEEvSD_
		.amdhsa_group_segment_fixed_size 0
		.amdhsa_private_segment_fixed_size 0
		.amdhsa_kernarg_size 48
		.amdhsa_user_sgpr_count 2
		.amdhsa_user_sgpr_dispatch_ptr 0
		.amdhsa_user_sgpr_queue_ptr 0
		.amdhsa_user_sgpr_kernarg_segment_ptr 1
		.amdhsa_user_sgpr_dispatch_id 0
		.amdhsa_user_sgpr_kernarg_preload_length 0
		.amdhsa_user_sgpr_kernarg_preload_offset 0
		.amdhsa_user_sgpr_private_segment_size 0
		.amdhsa_uses_dynamic_stack 0
		.amdhsa_enable_private_segment 0
		.amdhsa_system_sgpr_workgroup_id_x 1
		.amdhsa_system_sgpr_workgroup_id_y 0
		.amdhsa_system_sgpr_workgroup_id_z 0
		.amdhsa_system_sgpr_workgroup_info 0
		.amdhsa_system_vgpr_workitem_id 0
		.amdhsa_next_free_vgpr 1
		.amdhsa_next_free_sgpr 0
		.amdhsa_accum_offset 4
		.amdhsa_reserve_vcc 0
		.amdhsa_float_round_mode_32 0
		.amdhsa_float_round_mode_16_64 0
		.amdhsa_float_denorm_mode_32 3
		.amdhsa_float_denorm_mode_16_64 3
		.amdhsa_dx10_clamp 1
		.amdhsa_ieee_mode 1
		.amdhsa_fp16_overflow 0
		.amdhsa_tg_split 0
		.amdhsa_exception_fp_ieee_invalid_op 0
		.amdhsa_exception_fp_denorm_src 0
		.amdhsa_exception_fp_ieee_div_zero 0
		.amdhsa_exception_fp_ieee_overflow 0
		.amdhsa_exception_fp_ieee_underflow 0
		.amdhsa_exception_fp_ieee_inexact 0
		.amdhsa_exception_int_div_zero 0
	.end_amdhsa_kernel
	.section	.text._ZN7rocprim17ROCPRIM_400000_NS6detail17trampoline_kernelINS0_14default_configENS1_22reduce_config_selectorIsEEZNS1_11reduce_implILb1ES3_PsS7_s9plus_mod3IsEEE10hipError_tPvRmT1_T2_T3_mT4_P12ihipStream_tbEUlT_E1_NS1_11comp_targetILNS1_3genE9ELNS1_11target_archE1100ELNS1_3gpuE3ELNS1_3repE0EEENS1_30default_config_static_selectorELNS0_4arch9wavefront6targetE1EEEvSD_,"axG",@progbits,_ZN7rocprim17ROCPRIM_400000_NS6detail17trampoline_kernelINS0_14default_configENS1_22reduce_config_selectorIsEEZNS1_11reduce_implILb1ES3_PsS7_s9plus_mod3IsEEE10hipError_tPvRmT1_T2_T3_mT4_P12ihipStream_tbEUlT_E1_NS1_11comp_targetILNS1_3genE9ELNS1_11target_archE1100ELNS1_3gpuE3ELNS1_3repE0EEENS1_30default_config_static_selectorELNS0_4arch9wavefront6targetE1EEEvSD_,comdat
.Lfunc_end963:
	.size	_ZN7rocprim17ROCPRIM_400000_NS6detail17trampoline_kernelINS0_14default_configENS1_22reduce_config_selectorIsEEZNS1_11reduce_implILb1ES3_PsS7_s9plus_mod3IsEEE10hipError_tPvRmT1_T2_T3_mT4_P12ihipStream_tbEUlT_E1_NS1_11comp_targetILNS1_3genE9ELNS1_11target_archE1100ELNS1_3gpuE3ELNS1_3repE0EEENS1_30default_config_static_selectorELNS0_4arch9wavefront6targetE1EEEvSD_, .Lfunc_end963-_ZN7rocprim17ROCPRIM_400000_NS6detail17trampoline_kernelINS0_14default_configENS1_22reduce_config_selectorIsEEZNS1_11reduce_implILb1ES3_PsS7_s9plus_mod3IsEEE10hipError_tPvRmT1_T2_T3_mT4_P12ihipStream_tbEUlT_E1_NS1_11comp_targetILNS1_3genE9ELNS1_11target_archE1100ELNS1_3gpuE3ELNS1_3repE0EEENS1_30default_config_static_selectorELNS0_4arch9wavefront6targetE1EEEvSD_
                                        ; -- End function
	.set _ZN7rocprim17ROCPRIM_400000_NS6detail17trampoline_kernelINS0_14default_configENS1_22reduce_config_selectorIsEEZNS1_11reduce_implILb1ES3_PsS7_s9plus_mod3IsEEE10hipError_tPvRmT1_T2_T3_mT4_P12ihipStream_tbEUlT_E1_NS1_11comp_targetILNS1_3genE9ELNS1_11target_archE1100ELNS1_3gpuE3ELNS1_3repE0EEENS1_30default_config_static_selectorELNS0_4arch9wavefront6targetE1EEEvSD_.num_vgpr, 0
	.set _ZN7rocprim17ROCPRIM_400000_NS6detail17trampoline_kernelINS0_14default_configENS1_22reduce_config_selectorIsEEZNS1_11reduce_implILb1ES3_PsS7_s9plus_mod3IsEEE10hipError_tPvRmT1_T2_T3_mT4_P12ihipStream_tbEUlT_E1_NS1_11comp_targetILNS1_3genE9ELNS1_11target_archE1100ELNS1_3gpuE3ELNS1_3repE0EEENS1_30default_config_static_selectorELNS0_4arch9wavefront6targetE1EEEvSD_.num_agpr, 0
	.set _ZN7rocprim17ROCPRIM_400000_NS6detail17trampoline_kernelINS0_14default_configENS1_22reduce_config_selectorIsEEZNS1_11reduce_implILb1ES3_PsS7_s9plus_mod3IsEEE10hipError_tPvRmT1_T2_T3_mT4_P12ihipStream_tbEUlT_E1_NS1_11comp_targetILNS1_3genE9ELNS1_11target_archE1100ELNS1_3gpuE3ELNS1_3repE0EEENS1_30default_config_static_selectorELNS0_4arch9wavefront6targetE1EEEvSD_.numbered_sgpr, 0
	.set _ZN7rocprim17ROCPRIM_400000_NS6detail17trampoline_kernelINS0_14default_configENS1_22reduce_config_selectorIsEEZNS1_11reduce_implILb1ES3_PsS7_s9plus_mod3IsEEE10hipError_tPvRmT1_T2_T3_mT4_P12ihipStream_tbEUlT_E1_NS1_11comp_targetILNS1_3genE9ELNS1_11target_archE1100ELNS1_3gpuE3ELNS1_3repE0EEENS1_30default_config_static_selectorELNS0_4arch9wavefront6targetE1EEEvSD_.num_named_barrier, 0
	.set _ZN7rocprim17ROCPRIM_400000_NS6detail17trampoline_kernelINS0_14default_configENS1_22reduce_config_selectorIsEEZNS1_11reduce_implILb1ES3_PsS7_s9plus_mod3IsEEE10hipError_tPvRmT1_T2_T3_mT4_P12ihipStream_tbEUlT_E1_NS1_11comp_targetILNS1_3genE9ELNS1_11target_archE1100ELNS1_3gpuE3ELNS1_3repE0EEENS1_30default_config_static_selectorELNS0_4arch9wavefront6targetE1EEEvSD_.private_seg_size, 0
	.set _ZN7rocprim17ROCPRIM_400000_NS6detail17trampoline_kernelINS0_14default_configENS1_22reduce_config_selectorIsEEZNS1_11reduce_implILb1ES3_PsS7_s9plus_mod3IsEEE10hipError_tPvRmT1_T2_T3_mT4_P12ihipStream_tbEUlT_E1_NS1_11comp_targetILNS1_3genE9ELNS1_11target_archE1100ELNS1_3gpuE3ELNS1_3repE0EEENS1_30default_config_static_selectorELNS0_4arch9wavefront6targetE1EEEvSD_.uses_vcc, 0
	.set _ZN7rocprim17ROCPRIM_400000_NS6detail17trampoline_kernelINS0_14default_configENS1_22reduce_config_selectorIsEEZNS1_11reduce_implILb1ES3_PsS7_s9plus_mod3IsEEE10hipError_tPvRmT1_T2_T3_mT4_P12ihipStream_tbEUlT_E1_NS1_11comp_targetILNS1_3genE9ELNS1_11target_archE1100ELNS1_3gpuE3ELNS1_3repE0EEENS1_30default_config_static_selectorELNS0_4arch9wavefront6targetE1EEEvSD_.uses_flat_scratch, 0
	.set _ZN7rocprim17ROCPRIM_400000_NS6detail17trampoline_kernelINS0_14default_configENS1_22reduce_config_selectorIsEEZNS1_11reduce_implILb1ES3_PsS7_s9plus_mod3IsEEE10hipError_tPvRmT1_T2_T3_mT4_P12ihipStream_tbEUlT_E1_NS1_11comp_targetILNS1_3genE9ELNS1_11target_archE1100ELNS1_3gpuE3ELNS1_3repE0EEENS1_30default_config_static_selectorELNS0_4arch9wavefront6targetE1EEEvSD_.has_dyn_sized_stack, 0
	.set _ZN7rocprim17ROCPRIM_400000_NS6detail17trampoline_kernelINS0_14default_configENS1_22reduce_config_selectorIsEEZNS1_11reduce_implILb1ES3_PsS7_s9plus_mod3IsEEE10hipError_tPvRmT1_T2_T3_mT4_P12ihipStream_tbEUlT_E1_NS1_11comp_targetILNS1_3genE9ELNS1_11target_archE1100ELNS1_3gpuE3ELNS1_3repE0EEENS1_30default_config_static_selectorELNS0_4arch9wavefront6targetE1EEEvSD_.has_recursion, 0
	.set _ZN7rocprim17ROCPRIM_400000_NS6detail17trampoline_kernelINS0_14default_configENS1_22reduce_config_selectorIsEEZNS1_11reduce_implILb1ES3_PsS7_s9plus_mod3IsEEE10hipError_tPvRmT1_T2_T3_mT4_P12ihipStream_tbEUlT_E1_NS1_11comp_targetILNS1_3genE9ELNS1_11target_archE1100ELNS1_3gpuE3ELNS1_3repE0EEENS1_30default_config_static_selectorELNS0_4arch9wavefront6targetE1EEEvSD_.has_indirect_call, 0
	.section	.AMDGPU.csdata,"",@progbits
; Kernel info:
; codeLenInByte = 0
; TotalNumSgprs: 6
; NumVgprs: 0
; NumAgprs: 0
; TotalNumVgprs: 0
; ScratchSize: 0
; MemoryBound: 0
; FloatMode: 240
; IeeeMode: 1
; LDSByteSize: 0 bytes/workgroup (compile time only)
; SGPRBlocks: 0
; VGPRBlocks: 0
; NumSGPRsForWavesPerEU: 6
; NumVGPRsForWavesPerEU: 1
; AccumOffset: 4
; Occupancy: 8
; WaveLimiterHint : 0
; COMPUTE_PGM_RSRC2:SCRATCH_EN: 0
; COMPUTE_PGM_RSRC2:USER_SGPR: 2
; COMPUTE_PGM_RSRC2:TRAP_HANDLER: 0
; COMPUTE_PGM_RSRC2:TGID_X_EN: 1
; COMPUTE_PGM_RSRC2:TGID_Y_EN: 0
; COMPUTE_PGM_RSRC2:TGID_Z_EN: 0
; COMPUTE_PGM_RSRC2:TIDIG_COMP_CNT: 0
; COMPUTE_PGM_RSRC3_GFX90A:ACCUM_OFFSET: 0
; COMPUTE_PGM_RSRC3_GFX90A:TG_SPLIT: 0
	.section	.text._ZN7rocprim17ROCPRIM_400000_NS6detail17trampoline_kernelINS0_14default_configENS1_22reduce_config_selectorIsEEZNS1_11reduce_implILb1ES3_PsS7_s9plus_mod3IsEEE10hipError_tPvRmT1_T2_T3_mT4_P12ihipStream_tbEUlT_E1_NS1_11comp_targetILNS1_3genE8ELNS1_11target_archE1030ELNS1_3gpuE2ELNS1_3repE0EEENS1_30default_config_static_selectorELNS0_4arch9wavefront6targetE1EEEvSD_,"axG",@progbits,_ZN7rocprim17ROCPRIM_400000_NS6detail17trampoline_kernelINS0_14default_configENS1_22reduce_config_selectorIsEEZNS1_11reduce_implILb1ES3_PsS7_s9plus_mod3IsEEE10hipError_tPvRmT1_T2_T3_mT4_P12ihipStream_tbEUlT_E1_NS1_11comp_targetILNS1_3genE8ELNS1_11target_archE1030ELNS1_3gpuE2ELNS1_3repE0EEENS1_30default_config_static_selectorELNS0_4arch9wavefront6targetE1EEEvSD_,comdat
	.protected	_ZN7rocprim17ROCPRIM_400000_NS6detail17trampoline_kernelINS0_14default_configENS1_22reduce_config_selectorIsEEZNS1_11reduce_implILb1ES3_PsS7_s9plus_mod3IsEEE10hipError_tPvRmT1_T2_T3_mT4_P12ihipStream_tbEUlT_E1_NS1_11comp_targetILNS1_3genE8ELNS1_11target_archE1030ELNS1_3gpuE2ELNS1_3repE0EEENS1_30default_config_static_selectorELNS0_4arch9wavefront6targetE1EEEvSD_ ; -- Begin function _ZN7rocprim17ROCPRIM_400000_NS6detail17trampoline_kernelINS0_14default_configENS1_22reduce_config_selectorIsEEZNS1_11reduce_implILb1ES3_PsS7_s9plus_mod3IsEEE10hipError_tPvRmT1_T2_T3_mT4_P12ihipStream_tbEUlT_E1_NS1_11comp_targetILNS1_3genE8ELNS1_11target_archE1030ELNS1_3gpuE2ELNS1_3repE0EEENS1_30default_config_static_selectorELNS0_4arch9wavefront6targetE1EEEvSD_
	.globl	_ZN7rocprim17ROCPRIM_400000_NS6detail17trampoline_kernelINS0_14default_configENS1_22reduce_config_selectorIsEEZNS1_11reduce_implILb1ES3_PsS7_s9plus_mod3IsEEE10hipError_tPvRmT1_T2_T3_mT4_P12ihipStream_tbEUlT_E1_NS1_11comp_targetILNS1_3genE8ELNS1_11target_archE1030ELNS1_3gpuE2ELNS1_3repE0EEENS1_30default_config_static_selectorELNS0_4arch9wavefront6targetE1EEEvSD_
	.p2align	8
	.type	_ZN7rocprim17ROCPRIM_400000_NS6detail17trampoline_kernelINS0_14default_configENS1_22reduce_config_selectorIsEEZNS1_11reduce_implILb1ES3_PsS7_s9plus_mod3IsEEE10hipError_tPvRmT1_T2_T3_mT4_P12ihipStream_tbEUlT_E1_NS1_11comp_targetILNS1_3genE8ELNS1_11target_archE1030ELNS1_3gpuE2ELNS1_3repE0EEENS1_30default_config_static_selectorELNS0_4arch9wavefront6targetE1EEEvSD_,@function
_ZN7rocprim17ROCPRIM_400000_NS6detail17trampoline_kernelINS0_14default_configENS1_22reduce_config_selectorIsEEZNS1_11reduce_implILb1ES3_PsS7_s9plus_mod3IsEEE10hipError_tPvRmT1_T2_T3_mT4_P12ihipStream_tbEUlT_E1_NS1_11comp_targetILNS1_3genE8ELNS1_11target_archE1030ELNS1_3gpuE2ELNS1_3repE0EEENS1_30default_config_static_selectorELNS0_4arch9wavefront6targetE1EEEvSD_: ; @_ZN7rocprim17ROCPRIM_400000_NS6detail17trampoline_kernelINS0_14default_configENS1_22reduce_config_selectorIsEEZNS1_11reduce_implILb1ES3_PsS7_s9plus_mod3IsEEE10hipError_tPvRmT1_T2_T3_mT4_P12ihipStream_tbEUlT_E1_NS1_11comp_targetILNS1_3genE8ELNS1_11target_archE1030ELNS1_3gpuE2ELNS1_3repE0EEENS1_30default_config_static_selectorELNS0_4arch9wavefront6targetE1EEEvSD_
; %bb.0:
	.section	.rodata,"a",@progbits
	.p2align	6, 0x0
	.amdhsa_kernel _ZN7rocprim17ROCPRIM_400000_NS6detail17trampoline_kernelINS0_14default_configENS1_22reduce_config_selectorIsEEZNS1_11reduce_implILb1ES3_PsS7_s9plus_mod3IsEEE10hipError_tPvRmT1_T2_T3_mT4_P12ihipStream_tbEUlT_E1_NS1_11comp_targetILNS1_3genE8ELNS1_11target_archE1030ELNS1_3gpuE2ELNS1_3repE0EEENS1_30default_config_static_selectorELNS0_4arch9wavefront6targetE1EEEvSD_
		.amdhsa_group_segment_fixed_size 0
		.amdhsa_private_segment_fixed_size 0
		.amdhsa_kernarg_size 48
		.amdhsa_user_sgpr_count 2
		.amdhsa_user_sgpr_dispatch_ptr 0
		.amdhsa_user_sgpr_queue_ptr 0
		.amdhsa_user_sgpr_kernarg_segment_ptr 1
		.amdhsa_user_sgpr_dispatch_id 0
		.amdhsa_user_sgpr_kernarg_preload_length 0
		.amdhsa_user_sgpr_kernarg_preload_offset 0
		.amdhsa_user_sgpr_private_segment_size 0
		.amdhsa_uses_dynamic_stack 0
		.amdhsa_enable_private_segment 0
		.amdhsa_system_sgpr_workgroup_id_x 1
		.amdhsa_system_sgpr_workgroup_id_y 0
		.amdhsa_system_sgpr_workgroup_id_z 0
		.amdhsa_system_sgpr_workgroup_info 0
		.amdhsa_system_vgpr_workitem_id 0
		.amdhsa_next_free_vgpr 1
		.amdhsa_next_free_sgpr 0
		.amdhsa_accum_offset 4
		.amdhsa_reserve_vcc 0
		.amdhsa_float_round_mode_32 0
		.amdhsa_float_round_mode_16_64 0
		.amdhsa_float_denorm_mode_32 3
		.amdhsa_float_denorm_mode_16_64 3
		.amdhsa_dx10_clamp 1
		.amdhsa_ieee_mode 1
		.amdhsa_fp16_overflow 0
		.amdhsa_tg_split 0
		.amdhsa_exception_fp_ieee_invalid_op 0
		.amdhsa_exception_fp_denorm_src 0
		.amdhsa_exception_fp_ieee_div_zero 0
		.amdhsa_exception_fp_ieee_overflow 0
		.amdhsa_exception_fp_ieee_underflow 0
		.amdhsa_exception_fp_ieee_inexact 0
		.amdhsa_exception_int_div_zero 0
	.end_amdhsa_kernel
	.section	.text._ZN7rocprim17ROCPRIM_400000_NS6detail17trampoline_kernelINS0_14default_configENS1_22reduce_config_selectorIsEEZNS1_11reduce_implILb1ES3_PsS7_s9plus_mod3IsEEE10hipError_tPvRmT1_T2_T3_mT4_P12ihipStream_tbEUlT_E1_NS1_11comp_targetILNS1_3genE8ELNS1_11target_archE1030ELNS1_3gpuE2ELNS1_3repE0EEENS1_30default_config_static_selectorELNS0_4arch9wavefront6targetE1EEEvSD_,"axG",@progbits,_ZN7rocprim17ROCPRIM_400000_NS6detail17trampoline_kernelINS0_14default_configENS1_22reduce_config_selectorIsEEZNS1_11reduce_implILb1ES3_PsS7_s9plus_mod3IsEEE10hipError_tPvRmT1_T2_T3_mT4_P12ihipStream_tbEUlT_E1_NS1_11comp_targetILNS1_3genE8ELNS1_11target_archE1030ELNS1_3gpuE2ELNS1_3repE0EEENS1_30default_config_static_selectorELNS0_4arch9wavefront6targetE1EEEvSD_,comdat
.Lfunc_end964:
	.size	_ZN7rocprim17ROCPRIM_400000_NS6detail17trampoline_kernelINS0_14default_configENS1_22reduce_config_selectorIsEEZNS1_11reduce_implILb1ES3_PsS7_s9plus_mod3IsEEE10hipError_tPvRmT1_T2_T3_mT4_P12ihipStream_tbEUlT_E1_NS1_11comp_targetILNS1_3genE8ELNS1_11target_archE1030ELNS1_3gpuE2ELNS1_3repE0EEENS1_30default_config_static_selectorELNS0_4arch9wavefront6targetE1EEEvSD_, .Lfunc_end964-_ZN7rocprim17ROCPRIM_400000_NS6detail17trampoline_kernelINS0_14default_configENS1_22reduce_config_selectorIsEEZNS1_11reduce_implILb1ES3_PsS7_s9plus_mod3IsEEE10hipError_tPvRmT1_T2_T3_mT4_P12ihipStream_tbEUlT_E1_NS1_11comp_targetILNS1_3genE8ELNS1_11target_archE1030ELNS1_3gpuE2ELNS1_3repE0EEENS1_30default_config_static_selectorELNS0_4arch9wavefront6targetE1EEEvSD_
                                        ; -- End function
	.set _ZN7rocprim17ROCPRIM_400000_NS6detail17trampoline_kernelINS0_14default_configENS1_22reduce_config_selectorIsEEZNS1_11reduce_implILb1ES3_PsS7_s9plus_mod3IsEEE10hipError_tPvRmT1_T2_T3_mT4_P12ihipStream_tbEUlT_E1_NS1_11comp_targetILNS1_3genE8ELNS1_11target_archE1030ELNS1_3gpuE2ELNS1_3repE0EEENS1_30default_config_static_selectorELNS0_4arch9wavefront6targetE1EEEvSD_.num_vgpr, 0
	.set _ZN7rocprim17ROCPRIM_400000_NS6detail17trampoline_kernelINS0_14default_configENS1_22reduce_config_selectorIsEEZNS1_11reduce_implILb1ES3_PsS7_s9plus_mod3IsEEE10hipError_tPvRmT1_T2_T3_mT4_P12ihipStream_tbEUlT_E1_NS1_11comp_targetILNS1_3genE8ELNS1_11target_archE1030ELNS1_3gpuE2ELNS1_3repE0EEENS1_30default_config_static_selectorELNS0_4arch9wavefront6targetE1EEEvSD_.num_agpr, 0
	.set _ZN7rocprim17ROCPRIM_400000_NS6detail17trampoline_kernelINS0_14default_configENS1_22reduce_config_selectorIsEEZNS1_11reduce_implILb1ES3_PsS7_s9plus_mod3IsEEE10hipError_tPvRmT1_T2_T3_mT4_P12ihipStream_tbEUlT_E1_NS1_11comp_targetILNS1_3genE8ELNS1_11target_archE1030ELNS1_3gpuE2ELNS1_3repE0EEENS1_30default_config_static_selectorELNS0_4arch9wavefront6targetE1EEEvSD_.numbered_sgpr, 0
	.set _ZN7rocprim17ROCPRIM_400000_NS6detail17trampoline_kernelINS0_14default_configENS1_22reduce_config_selectorIsEEZNS1_11reduce_implILb1ES3_PsS7_s9plus_mod3IsEEE10hipError_tPvRmT1_T2_T3_mT4_P12ihipStream_tbEUlT_E1_NS1_11comp_targetILNS1_3genE8ELNS1_11target_archE1030ELNS1_3gpuE2ELNS1_3repE0EEENS1_30default_config_static_selectorELNS0_4arch9wavefront6targetE1EEEvSD_.num_named_barrier, 0
	.set _ZN7rocprim17ROCPRIM_400000_NS6detail17trampoline_kernelINS0_14default_configENS1_22reduce_config_selectorIsEEZNS1_11reduce_implILb1ES3_PsS7_s9plus_mod3IsEEE10hipError_tPvRmT1_T2_T3_mT4_P12ihipStream_tbEUlT_E1_NS1_11comp_targetILNS1_3genE8ELNS1_11target_archE1030ELNS1_3gpuE2ELNS1_3repE0EEENS1_30default_config_static_selectorELNS0_4arch9wavefront6targetE1EEEvSD_.private_seg_size, 0
	.set _ZN7rocprim17ROCPRIM_400000_NS6detail17trampoline_kernelINS0_14default_configENS1_22reduce_config_selectorIsEEZNS1_11reduce_implILb1ES3_PsS7_s9plus_mod3IsEEE10hipError_tPvRmT1_T2_T3_mT4_P12ihipStream_tbEUlT_E1_NS1_11comp_targetILNS1_3genE8ELNS1_11target_archE1030ELNS1_3gpuE2ELNS1_3repE0EEENS1_30default_config_static_selectorELNS0_4arch9wavefront6targetE1EEEvSD_.uses_vcc, 0
	.set _ZN7rocprim17ROCPRIM_400000_NS6detail17trampoline_kernelINS0_14default_configENS1_22reduce_config_selectorIsEEZNS1_11reduce_implILb1ES3_PsS7_s9plus_mod3IsEEE10hipError_tPvRmT1_T2_T3_mT4_P12ihipStream_tbEUlT_E1_NS1_11comp_targetILNS1_3genE8ELNS1_11target_archE1030ELNS1_3gpuE2ELNS1_3repE0EEENS1_30default_config_static_selectorELNS0_4arch9wavefront6targetE1EEEvSD_.uses_flat_scratch, 0
	.set _ZN7rocprim17ROCPRIM_400000_NS6detail17trampoline_kernelINS0_14default_configENS1_22reduce_config_selectorIsEEZNS1_11reduce_implILb1ES3_PsS7_s9plus_mod3IsEEE10hipError_tPvRmT1_T2_T3_mT4_P12ihipStream_tbEUlT_E1_NS1_11comp_targetILNS1_3genE8ELNS1_11target_archE1030ELNS1_3gpuE2ELNS1_3repE0EEENS1_30default_config_static_selectorELNS0_4arch9wavefront6targetE1EEEvSD_.has_dyn_sized_stack, 0
	.set _ZN7rocprim17ROCPRIM_400000_NS6detail17trampoline_kernelINS0_14default_configENS1_22reduce_config_selectorIsEEZNS1_11reduce_implILb1ES3_PsS7_s9plus_mod3IsEEE10hipError_tPvRmT1_T2_T3_mT4_P12ihipStream_tbEUlT_E1_NS1_11comp_targetILNS1_3genE8ELNS1_11target_archE1030ELNS1_3gpuE2ELNS1_3repE0EEENS1_30default_config_static_selectorELNS0_4arch9wavefront6targetE1EEEvSD_.has_recursion, 0
	.set _ZN7rocprim17ROCPRIM_400000_NS6detail17trampoline_kernelINS0_14default_configENS1_22reduce_config_selectorIsEEZNS1_11reduce_implILb1ES3_PsS7_s9plus_mod3IsEEE10hipError_tPvRmT1_T2_T3_mT4_P12ihipStream_tbEUlT_E1_NS1_11comp_targetILNS1_3genE8ELNS1_11target_archE1030ELNS1_3gpuE2ELNS1_3repE0EEENS1_30default_config_static_selectorELNS0_4arch9wavefront6targetE1EEEvSD_.has_indirect_call, 0
	.section	.AMDGPU.csdata,"",@progbits
; Kernel info:
; codeLenInByte = 0
; TotalNumSgprs: 6
; NumVgprs: 0
; NumAgprs: 0
; TotalNumVgprs: 0
; ScratchSize: 0
; MemoryBound: 0
; FloatMode: 240
; IeeeMode: 1
; LDSByteSize: 0 bytes/workgroup (compile time only)
; SGPRBlocks: 0
; VGPRBlocks: 0
; NumSGPRsForWavesPerEU: 6
; NumVGPRsForWavesPerEU: 1
; AccumOffset: 4
; Occupancy: 8
; WaveLimiterHint : 0
; COMPUTE_PGM_RSRC2:SCRATCH_EN: 0
; COMPUTE_PGM_RSRC2:USER_SGPR: 2
; COMPUTE_PGM_RSRC2:TRAP_HANDLER: 0
; COMPUTE_PGM_RSRC2:TGID_X_EN: 1
; COMPUTE_PGM_RSRC2:TGID_Y_EN: 0
; COMPUTE_PGM_RSRC2:TGID_Z_EN: 0
; COMPUTE_PGM_RSRC2:TIDIG_COMP_CNT: 0
; COMPUTE_PGM_RSRC3_GFX90A:ACCUM_OFFSET: 0
; COMPUTE_PGM_RSRC3_GFX90A:TG_SPLIT: 0
	.section	.text._ZN7rocprim17ROCPRIM_400000_NS6detail17trampoline_kernelINS0_14default_configENS1_22reduce_config_selectorIsEEZNS1_11reduce_implILb1ES3_N6thrust23THRUST_200600_302600_NS6detail15normal_iteratorINS8_10device_ptrIsEEEEPss9plus_mod3IsEEE10hipError_tPvRmT1_T2_T3_mT4_P12ihipStream_tbEUlT_E0_NS1_11comp_targetILNS1_3genE0ELNS1_11target_archE4294967295ELNS1_3gpuE0ELNS1_3repE0EEENS1_30default_config_static_selectorELNS0_4arch9wavefront6targetE1EEEvSK_,"axG",@progbits,_ZN7rocprim17ROCPRIM_400000_NS6detail17trampoline_kernelINS0_14default_configENS1_22reduce_config_selectorIsEEZNS1_11reduce_implILb1ES3_N6thrust23THRUST_200600_302600_NS6detail15normal_iteratorINS8_10device_ptrIsEEEEPss9plus_mod3IsEEE10hipError_tPvRmT1_T2_T3_mT4_P12ihipStream_tbEUlT_E0_NS1_11comp_targetILNS1_3genE0ELNS1_11target_archE4294967295ELNS1_3gpuE0ELNS1_3repE0EEENS1_30default_config_static_selectorELNS0_4arch9wavefront6targetE1EEEvSK_,comdat
	.protected	_ZN7rocprim17ROCPRIM_400000_NS6detail17trampoline_kernelINS0_14default_configENS1_22reduce_config_selectorIsEEZNS1_11reduce_implILb1ES3_N6thrust23THRUST_200600_302600_NS6detail15normal_iteratorINS8_10device_ptrIsEEEEPss9plus_mod3IsEEE10hipError_tPvRmT1_T2_T3_mT4_P12ihipStream_tbEUlT_E0_NS1_11comp_targetILNS1_3genE0ELNS1_11target_archE4294967295ELNS1_3gpuE0ELNS1_3repE0EEENS1_30default_config_static_selectorELNS0_4arch9wavefront6targetE1EEEvSK_ ; -- Begin function _ZN7rocprim17ROCPRIM_400000_NS6detail17trampoline_kernelINS0_14default_configENS1_22reduce_config_selectorIsEEZNS1_11reduce_implILb1ES3_N6thrust23THRUST_200600_302600_NS6detail15normal_iteratorINS8_10device_ptrIsEEEEPss9plus_mod3IsEEE10hipError_tPvRmT1_T2_T3_mT4_P12ihipStream_tbEUlT_E0_NS1_11comp_targetILNS1_3genE0ELNS1_11target_archE4294967295ELNS1_3gpuE0ELNS1_3repE0EEENS1_30default_config_static_selectorELNS0_4arch9wavefront6targetE1EEEvSK_
	.globl	_ZN7rocprim17ROCPRIM_400000_NS6detail17trampoline_kernelINS0_14default_configENS1_22reduce_config_selectorIsEEZNS1_11reduce_implILb1ES3_N6thrust23THRUST_200600_302600_NS6detail15normal_iteratorINS8_10device_ptrIsEEEEPss9plus_mod3IsEEE10hipError_tPvRmT1_T2_T3_mT4_P12ihipStream_tbEUlT_E0_NS1_11comp_targetILNS1_3genE0ELNS1_11target_archE4294967295ELNS1_3gpuE0ELNS1_3repE0EEENS1_30default_config_static_selectorELNS0_4arch9wavefront6targetE1EEEvSK_
	.p2align	8
	.type	_ZN7rocprim17ROCPRIM_400000_NS6detail17trampoline_kernelINS0_14default_configENS1_22reduce_config_selectorIsEEZNS1_11reduce_implILb1ES3_N6thrust23THRUST_200600_302600_NS6detail15normal_iteratorINS8_10device_ptrIsEEEEPss9plus_mod3IsEEE10hipError_tPvRmT1_T2_T3_mT4_P12ihipStream_tbEUlT_E0_NS1_11comp_targetILNS1_3genE0ELNS1_11target_archE4294967295ELNS1_3gpuE0ELNS1_3repE0EEENS1_30default_config_static_selectorELNS0_4arch9wavefront6targetE1EEEvSK_,@function
_ZN7rocprim17ROCPRIM_400000_NS6detail17trampoline_kernelINS0_14default_configENS1_22reduce_config_selectorIsEEZNS1_11reduce_implILb1ES3_N6thrust23THRUST_200600_302600_NS6detail15normal_iteratorINS8_10device_ptrIsEEEEPss9plus_mod3IsEEE10hipError_tPvRmT1_T2_T3_mT4_P12ihipStream_tbEUlT_E0_NS1_11comp_targetILNS1_3genE0ELNS1_11target_archE4294967295ELNS1_3gpuE0ELNS1_3repE0EEENS1_30default_config_static_selectorELNS0_4arch9wavefront6targetE1EEEvSK_: ; @_ZN7rocprim17ROCPRIM_400000_NS6detail17trampoline_kernelINS0_14default_configENS1_22reduce_config_selectorIsEEZNS1_11reduce_implILb1ES3_N6thrust23THRUST_200600_302600_NS6detail15normal_iteratorINS8_10device_ptrIsEEEEPss9plus_mod3IsEEE10hipError_tPvRmT1_T2_T3_mT4_P12ihipStream_tbEUlT_E0_NS1_11comp_targetILNS1_3genE0ELNS1_11target_archE4294967295ELNS1_3gpuE0ELNS1_3repE0EEENS1_30default_config_static_selectorELNS0_4arch9wavefront6targetE1EEEvSK_
; %bb.0:
	s_load_dwordx8 s[12:19], s[0:1], 0x0
	s_load_dwordx2 s[20:21], s[0:1], 0x38
	v_lshlrev_b32_e32 v6, 1, v0
	v_mbcnt_lo_u32_b32 v1, -1, 0
	s_waitcnt lgkmcnt(0)
	s_lshl_b64 s[4:5], s[14:15], 1
	s_add_u32 s10, s12, s4
	s_addc_u32 s11, s13, s5
	s_lshl_b32 s4, s2, 10
	s_mov_b32 s5, 0
	s_lshr_b64 s[6:7], s[16:17], 10
	s_lshl_b64 s[8:9], s[4:5], 1
	s_add_u32 s24, s10, s8
	s_mov_b32 s3, s5
	s_addc_u32 s25, s11, s9
	s_cmp_lg_u64 s[6:7], s[2:3]
	s_cbranch_scc0 .LBB965_6
; %bb.1:
	v_mov_b32_e32 v7, 0
	v_lshl_add_u64 v[2:3], s[24:25], 0, v[6:7]
	flat_load_ushort v4, v[2:3]
	flat_load_ushort v5, v[2:3] offset:256
	flat_load_ushort v7, v[2:3] offset:512
	;; [unrolled: 1-line block ×7, first 2 shown]
	s_waitcnt vmcnt(0) lgkmcnt(0)
	v_bfe_i32 v2, v4, 0, 16
	v_bfe_i32 v4, v5, 0, 16
	v_ashrrev_i32_e32 v3, 31, v2
	v_ashrrev_i32_e32 v5, 31, v4
	v_lshl_add_u64 v[2:3], v[2:3], 1, s[20:21]
	v_lshl_add_u64 v[2:3], v[4:5], 1, v[2:3]
	global_load_ushort v4, v[2:3], off
	v_bfe_i32 v2, v7, 0, 16
	v_ashrrev_i32_e32 v3, 31, v2
	s_waitcnt vmcnt(0)
	v_bfe_i32 v4, v4, 0, 16
	v_ashrrev_i32_e32 v5, 31, v4
	v_lshl_add_u64 v[4:5], v[4:5], 1, s[20:21]
	v_lshl_add_u64 v[2:3], v[2:3], 1, v[4:5]
	global_load_ushort v4, v[2:3], off
	v_bfe_i32 v2, v8, 0, 16
	v_ashrrev_i32_e32 v3, 31, v2
	s_waitcnt vmcnt(0)
	v_bfe_i32 v4, v4, 0, 16
	;; [unrolled: 8-line block ×6, first 2 shown]
	v_ashrrev_i32_e32 v5, 31, v4
	v_lshl_add_u64 v[4:5], v[4:5], 1, s[20:21]
	v_lshl_add_u64 v[2:3], v[2:3], 1, v[4:5]
	global_load_ushort v2, v[2:3], off
	s_waitcnt vmcnt(0)
	v_and_b32_e32 v3, 0xffff, v2
	s_nop 1
	v_mov_b32_dpp v4, v3 quad_perm:[1,0,3,2] row_mask:0xf bank_mask:0xf bound_ctrl:1
	v_lshlrev_b32_e32 v7, 16, v4
	v_bfe_i32 v2, v2, 0, 16
	v_bfe_i32 v5, v4, 15, 1
	v_ashrrev_i32_e32 v4, 15, v7
	v_ashrrev_i32_e32 v3, 31, v2
	v_lshl_add_u64 v[4:5], s[20:21], 0, v[4:5]
	v_lshl_add_u64 v[2:3], v[2:3], 1, v[4:5]
	global_load_ushort v2, v[2:3], off
	s_waitcnt vmcnt(0)
	v_and_b32_e32 v3, 0xffff, v2
	s_nop 1
	v_mov_b32_dpp v4, v3 quad_perm:[2,3,0,1] row_mask:0xf bank_mask:0xf bound_ctrl:1
	v_lshlrev_b32_e32 v7, 16, v4
	v_bfe_i32 v2, v2, 0, 16
	v_bfe_i32 v5, v4, 15, 1
	v_ashrrev_i32_e32 v4, 15, v7
	v_ashrrev_i32_e32 v3, 31, v2
	v_lshl_add_u64 v[4:5], s[20:21], 0, v[4:5]
	v_lshl_add_u64 v[2:3], v[2:3], 1, v[4:5]
	global_load_ushort v2, v[2:3], off
	s_waitcnt vmcnt(0)
	v_and_b32_e32 v3, 0xffff, v2
	s_nop 1
	v_mov_b32_dpp v4, v3 row_ror:4 row_mask:0xf bank_mask:0xf bound_ctrl:1
	v_lshlrev_b32_e32 v7, 16, v4
	v_bfe_i32 v2, v2, 0, 16
	v_bfe_i32 v5, v4, 15, 1
	v_ashrrev_i32_e32 v4, 15, v7
	v_ashrrev_i32_e32 v3, 31, v2
	v_lshl_add_u64 v[4:5], s[20:21], 0, v[4:5]
	v_lshl_add_u64 v[2:3], v[2:3], 1, v[4:5]
	global_load_ushort v2, v[2:3], off
	s_waitcnt vmcnt(0)
	v_and_b32_e32 v3, 0xffff, v2
	s_nop 1
	v_mov_b32_dpp v4, v3 row_ror:8 row_mask:0xf bank_mask:0xf bound_ctrl:1
	v_lshlrev_b32_e32 v7, 16, v4
	v_bfe_i32 v2, v2, 0, 16
	v_bfe_i32 v5, v4, 15, 1
	v_ashrrev_i32_e32 v4, 15, v7
	v_ashrrev_i32_e32 v3, 31, v2
	v_lshl_add_u64 v[4:5], s[20:21], 0, v[4:5]
	v_lshl_add_u64 v[2:3], v[2:3], 1, v[4:5]
	global_load_ushort v2, v[2:3], off
	s_waitcnt vmcnt(0)
	v_and_b32_e32 v3, 0xffff, v2
	s_nop 1
	v_mov_b32_dpp v4, v3 row_bcast:15 row_mask:0xf bank_mask:0xf bound_ctrl:1
	v_lshlrev_b32_e32 v7, 16, v4
	v_bfe_i32 v2, v2, 0, 16
	v_bfe_i32 v5, v4, 15, 1
	v_ashrrev_i32_e32 v4, 15, v7
	v_ashrrev_i32_e32 v3, 31, v2
	v_lshl_add_u64 v[4:5], s[20:21], 0, v[4:5]
	v_lshl_add_u64 v[2:3], v[2:3], 1, v[4:5]
	global_load_ushort v2, v[2:3], off
	v_mbcnt_hi_u32_b32 v7, -1, v1
	v_cmp_eq_u32_e32 vcc, 0, v7
	s_waitcnt vmcnt(0)
	v_and_b32_e32 v3, 0xffff, v2
	s_nop 1
	v_mov_b32_dpp v5, v3 row_bcast:31 row_mask:0xf bank_mask:0xf bound_ctrl:1
	v_lshlrev_b32_e32 v4, 16, v5
	v_bfe_i32 v2, v2, 0, 16
	v_ashrrev_i32_e32 v4, 15, v4
	v_bfe_i32 v5, v5, 15, 1
	v_ashrrev_i32_e32 v3, 31, v2
	v_lshl_add_u64 v[4:5], s[20:21], 0, v[4:5]
	v_lshl_add_u64 v[2:3], v[2:3], 1, v[4:5]
	global_load_ushort v2, v[2:3], off
	v_lshlrev_b32_e32 v5, 2, v7
	v_or_b32_e32 v3, 0xfc, v5
	s_waitcnt vmcnt(0)
	ds_bpermute_b32 v2, v3, v2
	s_and_saveexec_b64 s[6:7], vcc
	s_cbranch_execz .LBB965_3
; %bb.2:
	v_lshrrev_b32_e32 v3, 5, v0
	v_and_b32_e32 v3, 2, v3
	s_waitcnt lgkmcnt(0)
	ds_write_b16 v3, v2 offset:4
.LBB965_3:
	s_or_b64 exec, exec, s[6:7]
	v_cmp_gt_u32_e32 vcc, 64, v0
	s_mov_b64 s[6:7], 0
	s_mov_b64 s[22:23], 0
	s_waitcnt lgkmcnt(0)
	s_barrier
                                        ; implicit-def: $vgpr3
                                        ; implicit-def: $vgpr4
	s_and_saveexec_b64 s[8:9], vcc
	s_xor_b64 s[8:9], exec, s[8:9]
	s_cbranch_execz .LBB965_5
; %bb.4:
	v_and_b32_e32 v3, 1, v7
	v_lshlrev_b32_e32 v3, 1, v3
	ds_read_u16 v3, v3 offset:4
	v_or_b32_e32 v4, 4, v5
	s_mov_b64 s[22:23], exec
	s_waitcnt lgkmcnt(0)
	v_and_b32_e32 v5, 0xffff, v3
	ds_bpermute_b32 v4, v4, v5
.LBB965_5:
	s_or_b64 exec, exec, s[8:9]
	s_and_b64 vcc, exec, s[6:7]
	s_cbranch_vccnz .LBB965_7
	s_branch .LBB965_47
.LBB965_6:
	s_mov_b64 s[22:23], 0
                                        ; implicit-def: $vgpr3
                                        ; implicit-def: $vgpr4
                                        ; implicit-def: $vgpr2
	s_cbranch_execz .LBB965_47
.LBB965_7:
	s_sub_i32 s28, s16, s4
	v_mov_b32_e32 v2, 0
	v_cmp_gt_u32_e32 vcc, s28, v0
	v_mov_b32_e32 v3, v2
	s_waitcnt lgkmcnt(0)
	v_mov_b32_e32 v4, v2
	v_mov_b32_e32 v5, v2
	s_and_saveexec_b64 s[4:5], vcc
	s_cbranch_execz .LBB965_9
; %bb.8:
	v_mov_b32_e32 v7, v2
	v_lshl_add_u64 v[4:5], s[24:25], 0, v[6:7]
	flat_load_ushort v3, v[4:5]
	v_mov_b32_e32 v9, v2
	v_mov_b32_e32 v10, v2
	;; [unrolled: 1-line block ×3, first 2 shown]
	s_waitcnt vmcnt(0) lgkmcnt(0)
	v_and_b32_e32 v8, 0xffff, v3
	v_mov_b64_e32 v[2:3], v[8:9]
	v_mov_b64_e32 v[4:5], v[10:11]
.LBB965_9:
	s_or_b64 exec, exec, s[4:5]
	v_or_b32_e32 v7, 0x80, v0
	v_cmp_gt_u32_e32 vcc, s28, v7
	s_and_saveexec_b64 s[4:5], vcc
	s_cbranch_execz .LBB965_11
; %bb.10:
	v_mov_b32_e32 v7, 0
	v_lshl_add_u64 v[8:9], s[24:25], 0, v[6:7]
	flat_load_ushort v7, v[8:9] offset:256
	s_mov_b32 s6, 0x5040100
	s_waitcnt vmcnt(0) lgkmcnt(0)
	v_perm_b32 v2, v7, v2, s6
.LBB965_11:
	s_or_b64 exec, exec, s[4:5]
	v_or_b32_e32 v7, 0x100, v0
	v_cmp_gt_u32_e64 s[4:5], s28, v7
	s_and_saveexec_b64 s[6:7], s[4:5]
	s_cbranch_execz .LBB965_13
; %bb.12:
	v_mov_b32_e32 v7, 0
	v_lshl_add_u64 v[8:9], s[24:25], 0, v[6:7]
	flat_load_ushort v7, v[8:9] offset:512
	s_mov_b32 s8, 0xffff
	s_waitcnt vmcnt(0) lgkmcnt(0)
	v_bfi_b32 v3, s8, v7, v3
.LBB965_13:
	s_or_b64 exec, exec, s[6:7]
	v_or_b32_e32 v7, 0x180, v0
	v_cmp_gt_u32_e64 s[6:7], s28, v7
	s_and_saveexec_b64 s[8:9], s[6:7]
	s_cbranch_execz .LBB965_15
; %bb.14:
	v_mov_b32_e32 v7, 0
	v_lshl_add_u64 v[8:9], s[24:25], 0, v[6:7]
	flat_load_ushort v7, v[8:9] offset:768
	s_mov_b32 s10, 0x5040100
	s_waitcnt vmcnt(0) lgkmcnt(0)
	v_perm_b32 v3, v7, v3, s10
.LBB965_15:
	s_or_b64 exec, exec, s[8:9]
	v_or_b32_e32 v7, 0x200, v0
	v_cmp_gt_u32_e64 s[8:9], s28, v7
	s_and_saveexec_b64 s[10:11], s[8:9]
	s_cbranch_execz .LBB965_17
; %bb.16:
	v_mov_b32_e32 v7, 0
	v_lshl_add_u64 v[8:9], s[24:25], 0, v[6:7]
	flat_load_ushort v7, v[8:9] offset:1024
	s_mov_b32 s12, 0xffff
	s_waitcnt vmcnt(0) lgkmcnt(0)
	v_bfi_b32 v4, s12, v7, v4
.LBB965_17:
	s_or_b64 exec, exec, s[10:11]
	v_or_b32_e32 v7, 0x280, v0
	v_cmp_gt_u32_e64 s[10:11], s28, v7
	s_and_saveexec_b64 s[12:13], s[10:11]
	s_cbranch_execz .LBB965_19
; %bb.18:
	v_mov_b32_e32 v7, 0
	v_lshl_add_u64 v[8:9], s[24:25], 0, v[6:7]
	flat_load_ushort v7, v[8:9] offset:1280
	s_mov_b32 s14, 0x5040100
	s_waitcnt vmcnt(0) lgkmcnt(0)
	v_perm_b32 v4, v7, v4, s14
.LBB965_19:
	s_or_b64 exec, exec, s[12:13]
	v_or_b32_e32 v7, 0x300, v0
	v_cmp_gt_u32_e64 s[12:13], s28, v7
	s_and_saveexec_b64 s[14:15], s[12:13]
	s_cbranch_execz .LBB965_21
; %bb.20:
	v_mov_b32_e32 v7, 0
	v_lshl_add_u64 v[8:9], s[24:25], 0, v[6:7]
	flat_load_ushort v7, v[8:9] offset:1536
	s_mov_b32 s26, 0xffff
	s_waitcnt vmcnt(0) lgkmcnt(0)
	v_bfi_b32 v5, s26, v7, v5
.LBB965_21:
	s_or_b64 exec, exec, s[14:15]
	v_or_b32_e32 v7, 0x380, v0
	v_cmp_gt_u32_e64 s[14:15], s28, v7
	s_and_saveexec_b64 s[26:27], s[14:15]
	s_cbranch_execnz .LBB965_52
; %bb.22:
	s_or_b64 exec, exec, s[26:27]
	s_and_saveexec_b64 s[24:25], vcc
	s_cbranch_execnz .LBB965_53
.LBB965_23:
	s_or_b64 exec, exec, s[24:25]
	s_and_saveexec_b64 s[24:25], s[4:5]
	s_cbranch_execnz .LBB965_54
.LBB965_24:
	s_or_b64 exec, exec, s[24:25]
	s_and_saveexec_b64 s[4:5], s[6:7]
	s_cbranch_execnz .LBB965_55
.LBB965_25:
	s_or_b64 exec, exec, s[4:5]
	s_and_saveexec_b64 s[4:5], s[8:9]
	s_cbranch_execnz .LBB965_56
.LBB965_26:
	s_or_b64 exec, exec, s[4:5]
	s_and_saveexec_b64 s[4:5], s[10:11]
	s_cbranch_execnz .LBB965_57
.LBB965_27:
	s_or_b64 exec, exec, s[4:5]
	s_and_saveexec_b64 s[4:5], s[12:13]
	s_cbranch_execnz .LBB965_58
.LBB965_28:
	s_or_b64 exec, exec, s[4:5]
	s_and_saveexec_b64 s[4:5], s[14:15]
	s_cbranch_execz .LBB965_30
.LBB965_29:
	s_waitcnt vmcnt(0)
	v_bfe_i32 v2, v2, 0, 16
	v_lshrrev_b32_e32 v4, 16, v5
	v_ashrrev_i32_e32 v3, 31, v2
	v_bfe_i32 v4, v4, 0, 16
	v_lshl_add_u64 v[2:3], v[2:3], 1, s[20:21]
	v_ashrrev_i32_e32 v5, 31, v4
	v_lshl_add_u64 v[2:3], v[4:5], 1, v[2:3]
	global_load_ushort v2, v[2:3], off
.LBB965_30:
	s_or_b64 exec, exec, s[4:5]
	v_mbcnt_hi_u32_b32 v1, -1, v1
	v_and_b32_e32 v3, 63, v1
	v_cmp_ne_u32_e32 vcc, 63, v3
	s_waitcnt vmcnt(0)
	v_and_b32_e32 v6, 0xffff, v2
	s_min_u32 s6, s28, 0x80
	v_addc_co_u32_e32 v4, vcc, 0, v1, vcc
	v_lshlrev_b32_e32 v4, 2, v4
	ds_bpermute_b32 v4, v4, v6
	v_and_b32_e32 v5, 64, v0
	v_sub_u32_e64 v5, s6, v5 clamp
	v_add_u32_e32 v7, 1, v3
	v_cmp_lt_u32_e32 vcc, v7, v5
	s_and_saveexec_b64 s[4:5], vcc
	s_xor_b64 s[4:5], exec, s[4:5]
	s_cbranch_execz .LBB965_32
; %bb.31:
	v_bfe_i32 v6, v2, 0, 16
	v_ashrrev_i32_e32 v7, 31, v6
	s_waitcnt lgkmcnt(0)
	v_lshlrev_b32_e32 v2, 16, v4
	v_lshl_add_u64 v[6:7], v[6:7], 1, s[20:21]
	v_ashrrev_i32_e32 v8, 15, v2
	v_bfe_i32 v9, v4, 15, 1
	v_lshl_add_u64 v[6:7], v[6:7], 0, v[8:9]
	global_load_ushort v2, v[6:7], off
	s_waitcnt vmcnt(0)
	v_and_b32_e32 v6, 0xffff, v2
.LBB965_32:
	s_or_b64 exec, exec, s[4:5]
	v_cmp_gt_u32_e32 vcc, 62, v3
	v_add_u32_e32 v7, 2, v3
	s_waitcnt lgkmcnt(0)
	v_cndmask_b32_e64 v4, 0, 2, vcc
	v_add_lshl_u32 v4, v4, v1, 2
	ds_bpermute_b32 v4, v4, v6
	v_cmp_lt_u32_e32 vcc, v7, v5
	s_and_saveexec_b64 s[4:5], vcc
	s_cbranch_execz .LBB965_34
; %bb.33:
	v_bfe_i32 v6, v2, 0, 16
	v_ashrrev_i32_e32 v7, 31, v6
	s_waitcnt lgkmcnt(0)
	v_lshlrev_b32_e32 v2, 16, v4
	v_lshl_add_u64 v[6:7], v[6:7], 1, s[20:21]
	v_ashrrev_i32_e32 v8, 15, v2
	v_bfe_i32 v9, v4, 15, 1
	v_lshl_add_u64 v[6:7], v[6:7], 0, v[8:9]
	global_load_ushort v2, v[6:7], off
	s_waitcnt vmcnt(0)
	v_and_b32_e32 v6, 0xffff, v2
.LBB965_34:
	s_or_b64 exec, exec, s[4:5]
	v_cmp_gt_u32_e32 vcc, 60, v3
	v_add_u32_e32 v7, 4, v3
	s_waitcnt lgkmcnt(0)
	v_cndmask_b32_e64 v4, 0, 4, vcc
	v_add_lshl_u32 v4, v4, v1, 2
	ds_bpermute_b32 v4, v4, v6
	v_cmp_lt_u32_e32 vcc, v7, v5
	s_and_saveexec_b64 s[4:5], vcc
	;; [unrolled: 23-line block ×4, first 2 shown]
	s_cbranch_execz .LBB965_40
; %bb.39:
	v_bfe_i32 v6, v2, 0, 16
	v_ashrrev_i32_e32 v7, 31, v6
	s_waitcnt lgkmcnt(0)
	v_lshlrev_b32_e32 v2, 16, v4
	v_lshl_add_u64 v[6:7], v[6:7], 1, s[20:21]
	v_ashrrev_i32_e32 v8, 15, v2
	v_bfe_i32 v9, v4, 15, 1
	v_lshl_add_u64 v[6:7], v[6:7], 0, v[8:9]
	global_load_ushort v2, v[6:7], off
	s_waitcnt vmcnt(0)
	v_and_b32_e32 v6, 0xffff, v2
.LBB965_40:
	s_or_b64 exec, exec, s[4:5]
	v_lshlrev_b32_e32 v7, 2, v1
	s_waitcnt lgkmcnt(0)
	v_or_b32_e32 v4, 0x80, v7
	ds_bpermute_b32 v4, v4, v6
	v_add_u32_e32 v3, 32, v3
	v_cmp_lt_u32_e32 vcc, v3, v5
	s_and_saveexec_b64 s[4:5], vcc
	s_cbranch_execz .LBB965_42
; %bb.41:
	v_bfe_i32 v2, v2, 0, 16
	v_ashrrev_i32_e32 v3, 31, v2
	s_waitcnt lgkmcnt(0)
	v_lshlrev_b32_e32 v5, 16, v4
	v_lshl_add_u64 v[2:3], v[2:3], 1, s[20:21]
	v_ashrrev_i32_e32 v8, 15, v5
	v_bfe_i32 v9, v4, 15, 1
	v_lshl_add_u64 v[2:3], v[2:3], 0, v[8:9]
	global_load_ushort v2, v[2:3], off
.LBB965_42:
	s_or_b64 exec, exec, s[4:5]
	v_cmp_eq_u32_e32 vcc, 0, v1
	s_and_saveexec_b64 s[4:5], vcc
	s_cbranch_execz .LBB965_44
; %bb.43:
	v_lshrrev_b32_e32 v3, 5, v0
	v_and_b32_e32 v3, 2, v3
	s_waitcnt vmcnt(0)
	ds_write_b16 v3, v2
.LBB965_44:
	s_or_b64 exec, exec, s[4:5]
	v_cmp_gt_u32_e32 vcc, 2, v0
	s_waitcnt lgkmcnt(0)
	s_barrier
                                        ; implicit-def: $vgpr3
                                        ; implicit-def: $vgpr4
	s_and_saveexec_b64 s[4:5], vcc
	s_cbranch_execz .LBB965_46
; %bb.45:
	s_waitcnt vmcnt(0)
	v_lshlrev_b32_e32 v2, 1, v1
	ds_read_u16 v3, v2
	s_add_i32 s6, s6, 63
	v_and_b32_e32 v1, 1, v1
	s_lshr_b32 s6, s6, 6
	v_add_u32_e32 v1, 1, v1
	v_or_b32_e32 v2, 4, v7
	v_cmp_gt_u32_e32 vcc, s6, v1
	s_waitcnt lgkmcnt(0)
	v_and_b32_e32 v1, 0xffff, v3
	ds_bpermute_b32 v4, v2, v1
	s_andn2_b64 s[6:7], s[22:23], exec
	s_and_b64 s[8:9], vcc, exec
	s_or_b64 s[22:23], s[6:7], s[8:9]
	v_mov_b32_e32 v2, v3
.LBB965_46:
	s_or_b64 exec, exec, s[4:5]
.LBB965_47:
	s_and_saveexec_b64 s[4:5], s[22:23]
	s_cbranch_execnz .LBB965_50
; %bb.48:
	s_or_b64 exec, exec, s[4:5]
	v_cmp_eq_u32_e32 vcc, 0, v0
	s_and_saveexec_b64 s[4:5], vcc
	s_cbranch_execnz .LBB965_51
.LBB965_49:
	s_endpgm
.LBB965_50:
	s_waitcnt vmcnt(0)
	v_bfe_i32 v2, v3, 0, 16
	v_ashrrev_i32_e32 v3, 31, v2
	s_waitcnt lgkmcnt(0)
	v_lshlrev_b32_e32 v1, 16, v4
	v_lshl_add_u64 v[2:3], v[2:3], 1, s[20:21]
	v_ashrrev_i32_e32 v6, 15, v1
	v_bfe_i32 v7, v4, 15, 1
	v_lshl_add_u64 v[2:3], v[2:3], 0, v[6:7]
	global_load_ushort v2, v[2:3], off
	s_or_b64 exec, exec, s[4:5]
	v_cmp_eq_u32_e32 vcc, 0, v0
	s_and_saveexec_b64 s[4:5], vcc
	s_cbranch_execz .LBB965_49
.LBB965_51:
	s_load_dwordx4 s[4:7], s[0:1], 0x20
	s_load_dword s8, s[0:1], 0x30
	v_mov_b32_e32 v1, 0
	s_waitcnt lgkmcnt(0)
	s_mul_i32 s1, s6, s5
	s_mul_hi_u32 s5, s6, s4
	s_mul_i32 s7, s7, s4
	s_add_i32 s1, s5, s1
	s_mul_i32 s0, s6, s4
	s_add_i32 s1, s1, s7
	s_lshl_b64 s[0:1], s[0:1], 1
	s_add_u32 s4, s18, s0
	s_addc_u32 s5, s19, s1
	s_cmp_eq_u64 s[16:17], 0
	s_cselect_b64 vcc, -1, 0
	s_lshl_b64 s[0:1], s[2:3], 1
	v_mov_b32_e32 v0, s8
	s_add_u32 s0, s4, s0
	s_waitcnt vmcnt(0)
	v_cndmask_b32_e32 v0, v2, v0, vcc
	s_addc_u32 s1, s5, s1
	global_store_short v1, v0, s[0:1]
	s_endpgm
.LBB965_52:
	v_mov_b32_e32 v7, 0
	v_lshl_add_u64 v[6:7], s[24:25], 0, v[6:7]
	flat_load_ushort v6, v[6:7] offset:1792
	s_mov_b32 s24, 0x5040100
	s_waitcnt vmcnt(0) lgkmcnt(0)
	v_perm_b32 v5, v6, v5, s24
	s_or_b64 exec, exec, s[26:27]
	s_and_saveexec_b64 s[24:25], vcc
	s_cbranch_execz .LBB965_23
.LBB965_53:
	v_bfe_i32 v6, v2, 0, 16
	v_lshrrev_b32_e32 v2, 16, v2
	v_ashrrev_i32_e32 v7, 31, v6
	v_bfe_i32 v8, v2, 0, 16
	v_lshl_add_u64 v[6:7], v[6:7], 1, s[20:21]
	v_ashrrev_i32_e32 v9, 31, v8
	v_lshl_add_u64 v[6:7], v[8:9], 1, v[6:7]
	global_load_ushort v2, v[6:7], off
	s_or_b64 exec, exec, s[24:25]
	s_and_saveexec_b64 s[24:25], s[4:5]
	s_cbranch_execz .LBB965_24
.LBB965_54:
	s_waitcnt vmcnt(0)
	v_bfe_i32 v6, v2, 0, 16
	v_ashrrev_i32_e32 v7, 31, v6
	v_bfe_i32 v8, v3, 0, 16
	v_lshl_add_u64 v[6:7], v[6:7], 1, s[20:21]
	v_ashrrev_i32_e32 v9, 31, v8
	v_lshl_add_u64 v[6:7], v[8:9], 1, v[6:7]
	global_load_ushort v2, v[6:7], off
	s_or_b64 exec, exec, s[24:25]
	s_and_saveexec_b64 s[4:5], s[6:7]
	s_cbranch_execz .LBB965_25
.LBB965_55:
	s_waitcnt vmcnt(0)
	v_bfe_i32 v6, v2, 0, 16
	v_lshrrev_b32_e32 v2, 16, v3
	v_ashrrev_i32_e32 v7, 31, v6
	v_bfe_i32 v2, v2, 0, 16
	v_lshl_add_u64 v[6:7], v[6:7], 1, s[20:21]
	v_ashrrev_i32_e32 v3, 31, v2
	v_lshl_add_u64 v[2:3], v[2:3], 1, v[6:7]
	global_load_ushort v2, v[2:3], off
	s_or_b64 exec, exec, s[4:5]
	s_and_saveexec_b64 s[4:5], s[8:9]
	s_cbranch_execz .LBB965_26
.LBB965_56:
	s_waitcnt vmcnt(0)
	v_bfe_i32 v2, v2, 0, 16
	v_ashrrev_i32_e32 v3, 31, v2
	v_bfe_i32 v6, v4, 0, 16
	v_lshl_add_u64 v[2:3], v[2:3], 1, s[20:21]
	v_ashrrev_i32_e32 v7, 31, v6
	v_lshl_add_u64 v[2:3], v[6:7], 1, v[2:3]
	global_load_ushort v2, v[2:3], off
	s_or_b64 exec, exec, s[4:5]
	s_and_saveexec_b64 s[4:5], s[10:11]
	s_cbranch_execz .LBB965_27
.LBB965_57:
	s_waitcnt vmcnt(0)
	v_bfe_i32 v2, v2, 0, 16
	v_lshrrev_b32_e32 v4, 16, v4
	v_ashrrev_i32_e32 v3, 31, v2
	v_bfe_i32 v6, v4, 0, 16
	v_lshl_add_u64 v[2:3], v[2:3], 1, s[20:21]
	v_ashrrev_i32_e32 v7, 31, v6
	v_lshl_add_u64 v[2:3], v[6:7], 1, v[2:3]
	global_load_ushort v2, v[2:3], off
	s_or_b64 exec, exec, s[4:5]
	s_and_saveexec_b64 s[4:5], s[12:13]
	s_cbranch_execz .LBB965_28
.LBB965_58:
	s_waitcnt vmcnt(0)
	v_bfe_i32 v2, v2, 0, 16
	v_ashrrev_i32_e32 v3, 31, v2
	v_bfe_i32 v6, v5, 0, 16
	v_lshl_add_u64 v[2:3], v[2:3], 1, s[20:21]
	v_ashrrev_i32_e32 v7, 31, v6
	v_lshl_add_u64 v[2:3], v[6:7], 1, v[2:3]
	global_load_ushort v2, v[2:3], off
	s_or_b64 exec, exec, s[4:5]
	s_and_saveexec_b64 s[4:5], s[14:15]
	s_cbranch_execnz .LBB965_29
	s_branch .LBB965_30
	.section	.rodata,"a",@progbits
	.p2align	6, 0x0
	.amdhsa_kernel _ZN7rocprim17ROCPRIM_400000_NS6detail17trampoline_kernelINS0_14default_configENS1_22reduce_config_selectorIsEEZNS1_11reduce_implILb1ES3_N6thrust23THRUST_200600_302600_NS6detail15normal_iteratorINS8_10device_ptrIsEEEEPss9plus_mod3IsEEE10hipError_tPvRmT1_T2_T3_mT4_P12ihipStream_tbEUlT_E0_NS1_11comp_targetILNS1_3genE0ELNS1_11target_archE4294967295ELNS1_3gpuE0ELNS1_3repE0EEENS1_30default_config_static_selectorELNS0_4arch9wavefront6targetE1EEEvSK_
		.amdhsa_group_segment_fixed_size 8
		.amdhsa_private_segment_fixed_size 0
		.amdhsa_kernarg_size 64
		.amdhsa_user_sgpr_count 2
		.amdhsa_user_sgpr_dispatch_ptr 0
		.amdhsa_user_sgpr_queue_ptr 0
		.amdhsa_user_sgpr_kernarg_segment_ptr 1
		.amdhsa_user_sgpr_dispatch_id 0
		.amdhsa_user_sgpr_kernarg_preload_length 0
		.amdhsa_user_sgpr_kernarg_preload_offset 0
		.amdhsa_user_sgpr_private_segment_size 0
		.amdhsa_uses_dynamic_stack 0
		.amdhsa_enable_private_segment 0
		.amdhsa_system_sgpr_workgroup_id_x 1
		.amdhsa_system_sgpr_workgroup_id_y 0
		.amdhsa_system_sgpr_workgroup_id_z 0
		.amdhsa_system_sgpr_workgroup_info 0
		.amdhsa_system_vgpr_workitem_id 0
		.amdhsa_next_free_vgpr 13
		.amdhsa_next_free_sgpr 29
		.amdhsa_accum_offset 16
		.amdhsa_reserve_vcc 1
		.amdhsa_float_round_mode_32 0
		.amdhsa_float_round_mode_16_64 0
		.amdhsa_float_denorm_mode_32 3
		.amdhsa_float_denorm_mode_16_64 3
		.amdhsa_dx10_clamp 1
		.amdhsa_ieee_mode 1
		.amdhsa_fp16_overflow 0
		.amdhsa_tg_split 0
		.amdhsa_exception_fp_ieee_invalid_op 0
		.amdhsa_exception_fp_denorm_src 0
		.amdhsa_exception_fp_ieee_div_zero 0
		.amdhsa_exception_fp_ieee_overflow 0
		.amdhsa_exception_fp_ieee_underflow 0
		.amdhsa_exception_fp_ieee_inexact 0
		.amdhsa_exception_int_div_zero 0
	.end_amdhsa_kernel
	.section	.text._ZN7rocprim17ROCPRIM_400000_NS6detail17trampoline_kernelINS0_14default_configENS1_22reduce_config_selectorIsEEZNS1_11reduce_implILb1ES3_N6thrust23THRUST_200600_302600_NS6detail15normal_iteratorINS8_10device_ptrIsEEEEPss9plus_mod3IsEEE10hipError_tPvRmT1_T2_T3_mT4_P12ihipStream_tbEUlT_E0_NS1_11comp_targetILNS1_3genE0ELNS1_11target_archE4294967295ELNS1_3gpuE0ELNS1_3repE0EEENS1_30default_config_static_selectorELNS0_4arch9wavefront6targetE1EEEvSK_,"axG",@progbits,_ZN7rocprim17ROCPRIM_400000_NS6detail17trampoline_kernelINS0_14default_configENS1_22reduce_config_selectorIsEEZNS1_11reduce_implILb1ES3_N6thrust23THRUST_200600_302600_NS6detail15normal_iteratorINS8_10device_ptrIsEEEEPss9plus_mod3IsEEE10hipError_tPvRmT1_T2_T3_mT4_P12ihipStream_tbEUlT_E0_NS1_11comp_targetILNS1_3genE0ELNS1_11target_archE4294967295ELNS1_3gpuE0ELNS1_3repE0EEENS1_30default_config_static_selectorELNS0_4arch9wavefront6targetE1EEEvSK_,comdat
.Lfunc_end965:
	.size	_ZN7rocprim17ROCPRIM_400000_NS6detail17trampoline_kernelINS0_14default_configENS1_22reduce_config_selectorIsEEZNS1_11reduce_implILb1ES3_N6thrust23THRUST_200600_302600_NS6detail15normal_iteratorINS8_10device_ptrIsEEEEPss9plus_mod3IsEEE10hipError_tPvRmT1_T2_T3_mT4_P12ihipStream_tbEUlT_E0_NS1_11comp_targetILNS1_3genE0ELNS1_11target_archE4294967295ELNS1_3gpuE0ELNS1_3repE0EEENS1_30default_config_static_selectorELNS0_4arch9wavefront6targetE1EEEvSK_, .Lfunc_end965-_ZN7rocprim17ROCPRIM_400000_NS6detail17trampoline_kernelINS0_14default_configENS1_22reduce_config_selectorIsEEZNS1_11reduce_implILb1ES3_N6thrust23THRUST_200600_302600_NS6detail15normal_iteratorINS8_10device_ptrIsEEEEPss9plus_mod3IsEEE10hipError_tPvRmT1_T2_T3_mT4_P12ihipStream_tbEUlT_E0_NS1_11comp_targetILNS1_3genE0ELNS1_11target_archE4294967295ELNS1_3gpuE0ELNS1_3repE0EEENS1_30default_config_static_selectorELNS0_4arch9wavefront6targetE1EEEvSK_
                                        ; -- End function
	.set _ZN7rocprim17ROCPRIM_400000_NS6detail17trampoline_kernelINS0_14default_configENS1_22reduce_config_selectorIsEEZNS1_11reduce_implILb1ES3_N6thrust23THRUST_200600_302600_NS6detail15normal_iteratorINS8_10device_ptrIsEEEEPss9plus_mod3IsEEE10hipError_tPvRmT1_T2_T3_mT4_P12ihipStream_tbEUlT_E0_NS1_11comp_targetILNS1_3genE0ELNS1_11target_archE4294967295ELNS1_3gpuE0ELNS1_3repE0EEENS1_30default_config_static_selectorELNS0_4arch9wavefront6targetE1EEEvSK_.num_vgpr, 13
	.set _ZN7rocprim17ROCPRIM_400000_NS6detail17trampoline_kernelINS0_14default_configENS1_22reduce_config_selectorIsEEZNS1_11reduce_implILb1ES3_N6thrust23THRUST_200600_302600_NS6detail15normal_iteratorINS8_10device_ptrIsEEEEPss9plus_mod3IsEEE10hipError_tPvRmT1_T2_T3_mT4_P12ihipStream_tbEUlT_E0_NS1_11comp_targetILNS1_3genE0ELNS1_11target_archE4294967295ELNS1_3gpuE0ELNS1_3repE0EEENS1_30default_config_static_selectorELNS0_4arch9wavefront6targetE1EEEvSK_.num_agpr, 0
	.set _ZN7rocprim17ROCPRIM_400000_NS6detail17trampoline_kernelINS0_14default_configENS1_22reduce_config_selectorIsEEZNS1_11reduce_implILb1ES3_N6thrust23THRUST_200600_302600_NS6detail15normal_iteratorINS8_10device_ptrIsEEEEPss9plus_mod3IsEEE10hipError_tPvRmT1_T2_T3_mT4_P12ihipStream_tbEUlT_E0_NS1_11comp_targetILNS1_3genE0ELNS1_11target_archE4294967295ELNS1_3gpuE0ELNS1_3repE0EEENS1_30default_config_static_selectorELNS0_4arch9wavefront6targetE1EEEvSK_.numbered_sgpr, 29
	.set _ZN7rocprim17ROCPRIM_400000_NS6detail17trampoline_kernelINS0_14default_configENS1_22reduce_config_selectorIsEEZNS1_11reduce_implILb1ES3_N6thrust23THRUST_200600_302600_NS6detail15normal_iteratorINS8_10device_ptrIsEEEEPss9plus_mod3IsEEE10hipError_tPvRmT1_T2_T3_mT4_P12ihipStream_tbEUlT_E0_NS1_11comp_targetILNS1_3genE0ELNS1_11target_archE4294967295ELNS1_3gpuE0ELNS1_3repE0EEENS1_30default_config_static_selectorELNS0_4arch9wavefront6targetE1EEEvSK_.num_named_barrier, 0
	.set _ZN7rocprim17ROCPRIM_400000_NS6detail17trampoline_kernelINS0_14default_configENS1_22reduce_config_selectorIsEEZNS1_11reduce_implILb1ES3_N6thrust23THRUST_200600_302600_NS6detail15normal_iteratorINS8_10device_ptrIsEEEEPss9plus_mod3IsEEE10hipError_tPvRmT1_T2_T3_mT4_P12ihipStream_tbEUlT_E0_NS1_11comp_targetILNS1_3genE0ELNS1_11target_archE4294967295ELNS1_3gpuE0ELNS1_3repE0EEENS1_30default_config_static_selectorELNS0_4arch9wavefront6targetE1EEEvSK_.private_seg_size, 0
	.set _ZN7rocprim17ROCPRIM_400000_NS6detail17trampoline_kernelINS0_14default_configENS1_22reduce_config_selectorIsEEZNS1_11reduce_implILb1ES3_N6thrust23THRUST_200600_302600_NS6detail15normal_iteratorINS8_10device_ptrIsEEEEPss9plus_mod3IsEEE10hipError_tPvRmT1_T2_T3_mT4_P12ihipStream_tbEUlT_E0_NS1_11comp_targetILNS1_3genE0ELNS1_11target_archE4294967295ELNS1_3gpuE0ELNS1_3repE0EEENS1_30default_config_static_selectorELNS0_4arch9wavefront6targetE1EEEvSK_.uses_vcc, 1
	.set _ZN7rocprim17ROCPRIM_400000_NS6detail17trampoline_kernelINS0_14default_configENS1_22reduce_config_selectorIsEEZNS1_11reduce_implILb1ES3_N6thrust23THRUST_200600_302600_NS6detail15normal_iteratorINS8_10device_ptrIsEEEEPss9plus_mod3IsEEE10hipError_tPvRmT1_T2_T3_mT4_P12ihipStream_tbEUlT_E0_NS1_11comp_targetILNS1_3genE0ELNS1_11target_archE4294967295ELNS1_3gpuE0ELNS1_3repE0EEENS1_30default_config_static_selectorELNS0_4arch9wavefront6targetE1EEEvSK_.uses_flat_scratch, 0
	.set _ZN7rocprim17ROCPRIM_400000_NS6detail17trampoline_kernelINS0_14default_configENS1_22reduce_config_selectorIsEEZNS1_11reduce_implILb1ES3_N6thrust23THRUST_200600_302600_NS6detail15normal_iteratorINS8_10device_ptrIsEEEEPss9plus_mod3IsEEE10hipError_tPvRmT1_T2_T3_mT4_P12ihipStream_tbEUlT_E0_NS1_11comp_targetILNS1_3genE0ELNS1_11target_archE4294967295ELNS1_3gpuE0ELNS1_3repE0EEENS1_30default_config_static_selectorELNS0_4arch9wavefront6targetE1EEEvSK_.has_dyn_sized_stack, 0
	.set _ZN7rocprim17ROCPRIM_400000_NS6detail17trampoline_kernelINS0_14default_configENS1_22reduce_config_selectorIsEEZNS1_11reduce_implILb1ES3_N6thrust23THRUST_200600_302600_NS6detail15normal_iteratorINS8_10device_ptrIsEEEEPss9plus_mod3IsEEE10hipError_tPvRmT1_T2_T3_mT4_P12ihipStream_tbEUlT_E0_NS1_11comp_targetILNS1_3genE0ELNS1_11target_archE4294967295ELNS1_3gpuE0ELNS1_3repE0EEENS1_30default_config_static_selectorELNS0_4arch9wavefront6targetE1EEEvSK_.has_recursion, 0
	.set _ZN7rocprim17ROCPRIM_400000_NS6detail17trampoline_kernelINS0_14default_configENS1_22reduce_config_selectorIsEEZNS1_11reduce_implILb1ES3_N6thrust23THRUST_200600_302600_NS6detail15normal_iteratorINS8_10device_ptrIsEEEEPss9plus_mod3IsEEE10hipError_tPvRmT1_T2_T3_mT4_P12ihipStream_tbEUlT_E0_NS1_11comp_targetILNS1_3genE0ELNS1_11target_archE4294967295ELNS1_3gpuE0ELNS1_3repE0EEENS1_30default_config_static_selectorELNS0_4arch9wavefront6targetE1EEEvSK_.has_indirect_call, 0
	.section	.AMDGPU.csdata,"",@progbits
; Kernel info:
; codeLenInByte = 3336
; TotalNumSgprs: 35
; NumVgprs: 13
; NumAgprs: 0
; TotalNumVgprs: 13
; ScratchSize: 0
; MemoryBound: 0
; FloatMode: 240
; IeeeMode: 1
; LDSByteSize: 8 bytes/workgroup (compile time only)
; SGPRBlocks: 4
; VGPRBlocks: 1
; NumSGPRsForWavesPerEU: 35
; NumVGPRsForWavesPerEU: 13
; AccumOffset: 16
; Occupancy: 8
; WaveLimiterHint : 1
; COMPUTE_PGM_RSRC2:SCRATCH_EN: 0
; COMPUTE_PGM_RSRC2:USER_SGPR: 2
; COMPUTE_PGM_RSRC2:TRAP_HANDLER: 0
; COMPUTE_PGM_RSRC2:TGID_X_EN: 1
; COMPUTE_PGM_RSRC2:TGID_Y_EN: 0
; COMPUTE_PGM_RSRC2:TGID_Z_EN: 0
; COMPUTE_PGM_RSRC2:TIDIG_COMP_CNT: 0
; COMPUTE_PGM_RSRC3_GFX90A:ACCUM_OFFSET: 3
; COMPUTE_PGM_RSRC3_GFX90A:TG_SPLIT: 0
	.section	.text._ZN7rocprim17ROCPRIM_400000_NS6detail17trampoline_kernelINS0_14default_configENS1_22reduce_config_selectorIsEEZNS1_11reduce_implILb1ES3_N6thrust23THRUST_200600_302600_NS6detail15normal_iteratorINS8_10device_ptrIsEEEEPss9plus_mod3IsEEE10hipError_tPvRmT1_T2_T3_mT4_P12ihipStream_tbEUlT_E0_NS1_11comp_targetILNS1_3genE5ELNS1_11target_archE942ELNS1_3gpuE9ELNS1_3repE0EEENS1_30default_config_static_selectorELNS0_4arch9wavefront6targetE1EEEvSK_,"axG",@progbits,_ZN7rocprim17ROCPRIM_400000_NS6detail17trampoline_kernelINS0_14default_configENS1_22reduce_config_selectorIsEEZNS1_11reduce_implILb1ES3_N6thrust23THRUST_200600_302600_NS6detail15normal_iteratorINS8_10device_ptrIsEEEEPss9plus_mod3IsEEE10hipError_tPvRmT1_T2_T3_mT4_P12ihipStream_tbEUlT_E0_NS1_11comp_targetILNS1_3genE5ELNS1_11target_archE942ELNS1_3gpuE9ELNS1_3repE0EEENS1_30default_config_static_selectorELNS0_4arch9wavefront6targetE1EEEvSK_,comdat
	.protected	_ZN7rocprim17ROCPRIM_400000_NS6detail17trampoline_kernelINS0_14default_configENS1_22reduce_config_selectorIsEEZNS1_11reduce_implILb1ES3_N6thrust23THRUST_200600_302600_NS6detail15normal_iteratorINS8_10device_ptrIsEEEEPss9plus_mod3IsEEE10hipError_tPvRmT1_T2_T3_mT4_P12ihipStream_tbEUlT_E0_NS1_11comp_targetILNS1_3genE5ELNS1_11target_archE942ELNS1_3gpuE9ELNS1_3repE0EEENS1_30default_config_static_selectorELNS0_4arch9wavefront6targetE1EEEvSK_ ; -- Begin function _ZN7rocprim17ROCPRIM_400000_NS6detail17trampoline_kernelINS0_14default_configENS1_22reduce_config_selectorIsEEZNS1_11reduce_implILb1ES3_N6thrust23THRUST_200600_302600_NS6detail15normal_iteratorINS8_10device_ptrIsEEEEPss9plus_mod3IsEEE10hipError_tPvRmT1_T2_T3_mT4_P12ihipStream_tbEUlT_E0_NS1_11comp_targetILNS1_3genE5ELNS1_11target_archE942ELNS1_3gpuE9ELNS1_3repE0EEENS1_30default_config_static_selectorELNS0_4arch9wavefront6targetE1EEEvSK_
	.globl	_ZN7rocprim17ROCPRIM_400000_NS6detail17trampoline_kernelINS0_14default_configENS1_22reduce_config_selectorIsEEZNS1_11reduce_implILb1ES3_N6thrust23THRUST_200600_302600_NS6detail15normal_iteratorINS8_10device_ptrIsEEEEPss9plus_mod3IsEEE10hipError_tPvRmT1_T2_T3_mT4_P12ihipStream_tbEUlT_E0_NS1_11comp_targetILNS1_3genE5ELNS1_11target_archE942ELNS1_3gpuE9ELNS1_3repE0EEENS1_30default_config_static_selectorELNS0_4arch9wavefront6targetE1EEEvSK_
	.p2align	8
	.type	_ZN7rocprim17ROCPRIM_400000_NS6detail17trampoline_kernelINS0_14default_configENS1_22reduce_config_selectorIsEEZNS1_11reduce_implILb1ES3_N6thrust23THRUST_200600_302600_NS6detail15normal_iteratorINS8_10device_ptrIsEEEEPss9plus_mod3IsEEE10hipError_tPvRmT1_T2_T3_mT4_P12ihipStream_tbEUlT_E0_NS1_11comp_targetILNS1_3genE5ELNS1_11target_archE942ELNS1_3gpuE9ELNS1_3repE0EEENS1_30default_config_static_selectorELNS0_4arch9wavefront6targetE1EEEvSK_,@function
_ZN7rocprim17ROCPRIM_400000_NS6detail17trampoline_kernelINS0_14default_configENS1_22reduce_config_selectorIsEEZNS1_11reduce_implILb1ES3_N6thrust23THRUST_200600_302600_NS6detail15normal_iteratorINS8_10device_ptrIsEEEEPss9plus_mod3IsEEE10hipError_tPvRmT1_T2_T3_mT4_P12ihipStream_tbEUlT_E0_NS1_11comp_targetILNS1_3genE5ELNS1_11target_archE942ELNS1_3gpuE9ELNS1_3repE0EEENS1_30default_config_static_selectorELNS0_4arch9wavefront6targetE1EEEvSK_: ; @_ZN7rocprim17ROCPRIM_400000_NS6detail17trampoline_kernelINS0_14default_configENS1_22reduce_config_selectorIsEEZNS1_11reduce_implILb1ES3_N6thrust23THRUST_200600_302600_NS6detail15normal_iteratorINS8_10device_ptrIsEEEEPss9plus_mod3IsEEE10hipError_tPvRmT1_T2_T3_mT4_P12ihipStream_tbEUlT_E0_NS1_11comp_targetILNS1_3genE5ELNS1_11target_archE942ELNS1_3gpuE9ELNS1_3repE0EEENS1_30default_config_static_selectorELNS0_4arch9wavefront6targetE1EEEvSK_
; %bb.0:
	.section	.rodata,"a",@progbits
	.p2align	6, 0x0
	.amdhsa_kernel _ZN7rocprim17ROCPRIM_400000_NS6detail17trampoline_kernelINS0_14default_configENS1_22reduce_config_selectorIsEEZNS1_11reduce_implILb1ES3_N6thrust23THRUST_200600_302600_NS6detail15normal_iteratorINS8_10device_ptrIsEEEEPss9plus_mod3IsEEE10hipError_tPvRmT1_T2_T3_mT4_P12ihipStream_tbEUlT_E0_NS1_11comp_targetILNS1_3genE5ELNS1_11target_archE942ELNS1_3gpuE9ELNS1_3repE0EEENS1_30default_config_static_selectorELNS0_4arch9wavefront6targetE1EEEvSK_
		.amdhsa_group_segment_fixed_size 0
		.amdhsa_private_segment_fixed_size 0
		.amdhsa_kernarg_size 64
		.amdhsa_user_sgpr_count 2
		.amdhsa_user_sgpr_dispatch_ptr 0
		.amdhsa_user_sgpr_queue_ptr 0
		.amdhsa_user_sgpr_kernarg_segment_ptr 1
		.amdhsa_user_sgpr_dispatch_id 0
		.amdhsa_user_sgpr_kernarg_preload_length 0
		.amdhsa_user_sgpr_kernarg_preload_offset 0
		.amdhsa_user_sgpr_private_segment_size 0
		.amdhsa_uses_dynamic_stack 0
		.amdhsa_enable_private_segment 0
		.amdhsa_system_sgpr_workgroup_id_x 1
		.amdhsa_system_sgpr_workgroup_id_y 0
		.amdhsa_system_sgpr_workgroup_id_z 0
		.amdhsa_system_sgpr_workgroup_info 0
		.amdhsa_system_vgpr_workitem_id 0
		.amdhsa_next_free_vgpr 1
		.amdhsa_next_free_sgpr 0
		.amdhsa_accum_offset 4
		.amdhsa_reserve_vcc 0
		.amdhsa_float_round_mode_32 0
		.amdhsa_float_round_mode_16_64 0
		.amdhsa_float_denorm_mode_32 3
		.amdhsa_float_denorm_mode_16_64 3
		.amdhsa_dx10_clamp 1
		.amdhsa_ieee_mode 1
		.amdhsa_fp16_overflow 0
		.amdhsa_tg_split 0
		.amdhsa_exception_fp_ieee_invalid_op 0
		.amdhsa_exception_fp_denorm_src 0
		.amdhsa_exception_fp_ieee_div_zero 0
		.amdhsa_exception_fp_ieee_overflow 0
		.amdhsa_exception_fp_ieee_underflow 0
		.amdhsa_exception_fp_ieee_inexact 0
		.amdhsa_exception_int_div_zero 0
	.end_amdhsa_kernel
	.section	.text._ZN7rocprim17ROCPRIM_400000_NS6detail17trampoline_kernelINS0_14default_configENS1_22reduce_config_selectorIsEEZNS1_11reduce_implILb1ES3_N6thrust23THRUST_200600_302600_NS6detail15normal_iteratorINS8_10device_ptrIsEEEEPss9plus_mod3IsEEE10hipError_tPvRmT1_T2_T3_mT4_P12ihipStream_tbEUlT_E0_NS1_11comp_targetILNS1_3genE5ELNS1_11target_archE942ELNS1_3gpuE9ELNS1_3repE0EEENS1_30default_config_static_selectorELNS0_4arch9wavefront6targetE1EEEvSK_,"axG",@progbits,_ZN7rocprim17ROCPRIM_400000_NS6detail17trampoline_kernelINS0_14default_configENS1_22reduce_config_selectorIsEEZNS1_11reduce_implILb1ES3_N6thrust23THRUST_200600_302600_NS6detail15normal_iteratorINS8_10device_ptrIsEEEEPss9plus_mod3IsEEE10hipError_tPvRmT1_T2_T3_mT4_P12ihipStream_tbEUlT_E0_NS1_11comp_targetILNS1_3genE5ELNS1_11target_archE942ELNS1_3gpuE9ELNS1_3repE0EEENS1_30default_config_static_selectorELNS0_4arch9wavefront6targetE1EEEvSK_,comdat
.Lfunc_end966:
	.size	_ZN7rocprim17ROCPRIM_400000_NS6detail17trampoline_kernelINS0_14default_configENS1_22reduce_config_selectorIsEEZNS1_11reduce_implILb1ES3_N6thrust23THRUST_200600_302600_NS6detail15normal_iteratorINS8_10device_ptrIsEEEEPss9plus_mod3IsEEE10hipError_tPvRmT1_T2_T3_mT4_P12ihipStream_tbEUlT_E0_NS1_11comp_targetILNS1_3genE5ELNS1_11target_archE942ELNS1_3gpuE9ELNS1_3repE0EEENS1_30default_config_static_selectorELNS0_4arch9wavefront6targetE1EEEvSK_, .Lfunc_end966-_ZN7rocprim17ROCPRIM_400000_NS6detail17trampoline_kernelINS0_14default_configENS1_22reduce_config_selectorIsEEZNS1_11reduce_implILb1ES3_N6thrust23THRUST_200600_302600_NS6detail15normal_iteratorINS8_10device_ptrIsEEEEPss9plus_mod3IsEEE10hipError_tPvRmT1_T2_T3_mT4_P12ihipStream_tbEUlT_E0_NS1_11comp_targetILNS1_3genE5ELNS1_11target_archE942ELNS1_3gpuE9ELNS1_3repE0EEENS1_30default_config_static_selectorELNS0_4arch9wavefront6targetE1EEEvSK_
                                        ; -- End function
	.set _ZN7rocprim17ROCPRIM_400000_NS6detail17trampoline_kernelINS0_14default_configENS1_22reduce_config_selectorIsEEZNS1_11reduce_implILb1ES3_N6thrust23THRUST_200600_302600_NS6detail15normal_iteratorINS8_10device_ptrIsEEEEPss9plus_mod3IsEEE10hipError_tPvRmT1_T2_T3_mT4_P12ihipStream_tbEUlT_E0_NS1_11comp_targetILNS1_3genE5ELNS1_11target_archE942ELNS1_3gpuE9ELNS1_3repE0EEENS1_30default_config_static_selectorELNS0_4arch9wavefront6targetE1EEEvSK_.num_vgpr, 0
	.set _ZN7rocprim17ROCPRIM_400000_NS6detail17trampoline_kernelINS0_14default_configENS1_22reduce_config_selectorIsEEZNS1_11reduce_implILb1ES3_N6thrust23THRUST_200600_302600_NS6detail15normal_iteratorINS8_10device_ptrIsEEEEPss9plus_mod3IsEEE10hipError_tPvRmT1_T2_T3_mT4_P12ihipStream_tbEUlT_E0_NS1_11comp_targetILNS1_3genE5ELNS1_11target_archE942ELNS1_3gpuE9ELNS1_3repE0EEENS1_30default_config_static_selectorELNS0_4arch9wavefront6targetE1EEEvSK_.num_agpr, 0
	.set _ZN7rocprim17ROCPRIM_400000_NS6detail17trampoline_kernelINS0_14default_configENS1_22reduce_config_selectorIsEEZNS1_11reduce_implILb1ES3_N6thrust23THRUST_200600_302600_NS6detail15normal_iteratorINS8_10device_ptrIsEEEEPss9plus_mod3IsEEE10hipError_tPvRmT1_T2_T3_mT4_P12ihipStream_tbEUlT_E0_NS1_11comp_targetILNS1_3genE5ELNS1_11target_archE942ELNS1_3gpuE9ELNS1_3repE0EEENS1_30default_config_static_selectorELNS0_4arch9wavefront6targetE1EEEvSK_.numbered_sgpr, 0
	.set _ZN7rocprim17ROCPRIM_400000_NS6detail17trampoline_kernelINS0_14default_configENS1_22reduce_config_selectorIsEEZNS1_11reduce_implILb1ES3_N6thrust23THRUST_200600_302600_NS6detail15normal_iteratorINS8_10device_ptrIsEEEEPss9plus_mod3IsEEE10hipError_tPvRmT1_T2_T3_mT4_P12ihipStream_tbEUlT_E0_NS1_11comp_targetILNS1_3genE5ELNS1_11target_archE942ELNS1_3gpuE9ELNS1_3repE0EEENS1_30default_config_static_selectorELNS0_4arch9wavefront6targetE1EEEvSK_.num_named_barrier, 0
	.set _ZN7rocprim17ROCPRIM_400000_NS6detail17trampoline_kernelINS0_14default_configENS1_22reduce_config_selectorIsEEZNS1_11reduce_implILb1ES3_N6thrust23THRUST_200600_302600_NS6detail15normal_iteratorINS8_10device_ptrIsEEEEPss9plus_mod3IsEEE10hipError_tPvRmT1_T2_T3_mT4_P12ihipStream_tbEUlT_E0_NS1_11comp_targetILNS1_3genE5ELNS1_11target_archE942ELNS1_3gpuE9ELNS1_3repE0EEENS1_30default_config_static_selectorELNS0_4arch9wavefront6targetE1EEEvSK_.private_seg_size, 0
	.set _ZN7rocprim17ROCPRIM_400000_NS6detail17trampoline_kernelINS0_14default_configENS1_22reduce_config_selectorIsEEZNS1_11reduce_implILb1ES3_N6thrust23THRUST_200600_302600_NS6detail15normal_iteratorINS8_10device_ptrIsEEEEPss9plus_mod3IsEEE10hipError_tPvRmT1_T2_T3_mT4_P12ihipStream_tbEUlT_E0_NS1_11comp_targetILNS1_3genE5ELNS1_11target_archE942ELNS1_3gpuE9ELNS1_3repE0EEENS1_30default_config_static_selectorELNS0_4arch9wavefront6targetE1EEEvSK_.uses_vcc, 0
	.set _ZN7rocprim17ROCPRIM_400000_NS6detail17trampoline_kernelINS0_14default_configENS1_22reduce_config_selectorIsEEZNS1_11reduce_implILb1ES3_N6thrust23THRUST_200600_302600_NS6detail15normal_iteratorINS8_10device_ptrIsEEEEPss9plus_mod3IsEEE10hipError_tPvRmT1_T2_T3_mT4_P12ihipStream_tbEUlT_E0_NS1_11comp_targetILNS1_3genE5ELNS1_11target_archE942ELNS1_3gpuE9ELNS1_3repE0EEENS1_30default_config_static_selectorELNS0_4arch9wavefront6targetE1EEEvSK_.uses_flat_scratch, 0
	.set _ZN7rocprim17ROCPRIM_400000_NS6detail17trampoline_kernelINS0_14default_configENS1_22reduce_config_selectorIsEEZNS1_11reduce_implILb1ES3_N6thrust23THRUST_200600_302600_NS6detail15normal_iteratorINS8_10device_ptrIsEEEEPss9plus_mod3IsEEE10hipError_tPvRmT1_T2_T3_mT4_P12ihipStream_tbEUlT_E0_NS1_11comp_targetILNS1_3genE5ELNS1_11target_archE942ELNS1_3gpuE9ELNS1_3repE0EEENS1_30default_config_static_selectorELNS0_4arch9wavefront6targetE1EEEvSK_.has_dyn_sized_stack, 0
	.set _ZN7rocprim17ROCPRIM_400000_NS6detail17trampoline_kernelINS0_14default_configENS1_22reduce_config_selectorIsEEZNS1_11reduce_implILb1ES3_N6thrust23THRUST_200600_302600_NS6detail15normal_iteratorINS8_10device_ptrIsEEEEPss9plus_mod3IsEEE10hipError_tPvRmT1_T2_T3_mT4_P12ihipStream_tbEUlT_E0_NS1_11comp_targetILNS1_3genE5ELNS1_11target_archE942ELNS1_3gpuE9ELNS1_3repE0EEENS1_30default_config_static_selectorELNS0_4arch9wavefront6targetE1EEEvSK_.has_recursion, 0
	.set _ZN7rocprim17ROCPRIM_400000_NS6detail17trampoline_kernelINS0_14default_configENS1_22reduce_config_selectorIsEEZNS1_11reduce_implILb1ES3_N6thrust23THRUST_200600_302600_NS6detail15normal_iteratorINS8_10device_ptrIsEEEEPss9plus_mod3IsEEE10hipError_tPvRmT1_T2_T3_mT4_P12ihipStream_tbEUlT_E0_NS1_11comp_targetILNS1_3genE5ELNS1_11target_archE942ELNS1_3gpuE9ELNS1_3repE0EEENS1_30default_config_static_selectorELNS0_4arch9wavefront6targetE1EEEvSK_.has_indirect_call, 0
	.section	.AMDGPU.csdata,"",@progbits
; Kernel info:
; codeLenInByte = 0
; TotalNumSgprs: 6
; NumVgprs: 0
; NumAgprs: 0
; TotalNumVgprs: 0
; ScratchSize: 0
; MemoryBound: 0
; FloatMode: 240
; IeeeMode: 1
; LDSByteSize: 0 bytes/workgroup (compile time only)
; SGPRBlocks: 0
; VGPRBlocks: 0
; NumSGPRsForWavesPerEU: 6
; NumVGPRsForWavesPerEU: 1
; AccumOffset: 4
; Occupancy: 8
; WaveLimiterHint : 0
; COMPUTE_PGM_RSRC2:SCRATCH_EN: 0
; COMPUTE_PGM_RSRC2:USER_SGPR: 2
; COMPUTE_PGM_RSRC2:TRAP_HANDLER: 0
; COMPUTE_PGM_RSRC2:TGID_X_EN: 1
; COMPUTE_PGM_RSRC2:TGID_Y_EN: 0
; COMPUTE_PGM_RSRC2:TGID_Z_EN: 0
; COMPUTE_PGM_RSRC2:TIDIG_COMP_CNT: 0
; COMPUTE_PGM_RSRC3_GFX90A:ACCUM_OFFSET: 0
; COMPUTE_PGM_RSRC3_GFX90A:TG_SPLIT: 0
	.section	.text._ZN7rocprim17ROCPRIM_400000_NS6detail17trampoline_kernelINS0_14default_configENS1_22reduce_config_selectorIsEEZNS1_11reduce_implILb1ES3_N6thrust23THRUST_200600_302600_NS6detail15normal_iteratorINS8_10device_ptrIsEEEEPss9plus_mod3IsEEE10hipError_tPvRmT1_T2_T3_mT4_P12ihipStream_tbEUlT_E0_NS1_11comp_targetILNS1_3genE4ELNS1_11target_archE910ELNS1_3gpuE8ELNS1_3repE0EEENS1_30default_config_static_selectorELNS0_4arch9wavefront6targetE1EEEvSK_,"axG",@progbits,_ZN7rocprim17ROCPRIM_400000_NS6detail17trampoline_kernelINS0_14default_configENS1_22reduce_config_selectorIsEEZNS1_11reduce_implILb1ES3_N6thrust23THRUST_200600_302600_NS6detail15normal_iteratorINS8_10device_ptrIsEEEEPss9plus_mod3IsEEE10hipError_tPvRmT1_T2_T3_mT4_P12ihipStream_tbEUlT_E0_NS1_11comp_targetILNS1_3genE4ELNS1_11target_archE910ELNS1_3gpuE8ELNS1_3repE0EEENS1_30default_config_static_selectorELNS0_4arch9wavefront6targetE1EEEvSK_,comdat
	.protected	_ZN7rocprim17ROCPRIM_400000_NS6detail17trampoline_kernelINS0_14default_configENS1_22reduce_config_selectorIsEEZNS1_11reduce_implILb1ES3_N6thrust23THRUST_200600_302600_NS6detail15normal_iteratorINS8_10device_ptrIsEEEEPss9plus_mod3IsEEE10hipError_tPvRmT1_T2_T3_mT4_P12ihipStream_tbEUlT_E0_NS1_11comp_targetILNS1_3genE4ELNS1_11target_archE910ELNS1_3gpuE8ELNS1_3repE0EEENS1_30default_config_static_selectorELNS0_4arch9wavefront6targetE1EEEvSK_ ; -- Begin function _ZN7rocprim17ROCPRIM_400000_NS6detail17trampoline_kernelINS0_14default_configENS1_22reduce_config_selectorIsEEZNS1_11reduce_implILb1ES3_N6thrust23THRUST_200600_302600_NS6detail15normal_iteratorINS8_10device_ptrIsEEEEPss9plus_mod3IsEEE10hipError_tPvRmT1_T2_T3_mT4_P12ihipStream_tbEUlT_E0_NS1_11comp_targetILNS1_3genE4ELNS1_11target_archE910ELNS1_3gpuE8ELNS1_3repE0EEENS1_30default_config_static_selectorELNS0_4arch9wavefront6targetE1EEEvSK_
	.globl	_ZN7rocprim17ROCPRIM_400000_NS6detail17trampoline_kernelINS0_14default_configENS1_22reduce_config_selectorIsEEZNS1_11reduce_implILb1ES3_N6thrust23THRUST_200600_302600_NS6detail15normal_iteratorINS8_10device_ptrIsEEEEPss9plus_mod3IsEEE10hipError_tPvRmT1_T2_T3_mT4_P12ihipStream_tbEUlT_E0_NS1_11comp_targetILNS1_3genE4ELNS1_11target_archE910ELNS1_3gpuE8ELNS1_3repE0EEENS1_30default_config_static_selectorELNS0_4arch9wavefront6targetE1EEEvSK_
	.p2align	8
	.type	_ZN7rocprim17ROCPRIM_400000_NS6detail17trampoline_kernelINS0_14default_configENS1_22reduce_config_selectorIsEEZNS1_11reduce_implILb1ES3_N6thrust23THRUST_200600_302600_NS6detail15normal_iteratorINS8_10device_ptrIsEEEEPss9plus_mod3IsEEE10hipError_tPvRmT1_T2_T3_mT4_P12ihipStream_tbEUlT_E0_NS1_11comp_targetILNS1_3genE4ELNS1_11target_archE910ELNS1_3gpuE8ELNS1_3repE0EEENS1_30default_config_static_selectorELNS0_4arch9wavefront6targetE1EEEvSK_,@function
_ZN7rocprim17ROCPRIM_400000_NS6detail17trampoline_kernelINS0_14default_configENS1_22reduce_config_selectorIsEEZNS1_11reduce_implILb1ES3_N6thrust23THRUST_200600_302600_NS6detail15normal_iteratorINS8_10device_ptrIsEEEEPss9plus_mod3IsEEE10hipError_tPvRmT1_T2_T3_mT4_P12ihipStream_tbEUlT_E0_NS1_11comp_targetILNS1_3genE4ELNS1_11target_archE910ELNS1_3gpuE8ELNS1_3repE0EEENS1_30default_config_static_selectorELNS0_4arch9wavefront6targetE1EEEvSK_: ; @_ZN7rocprim17ROCPRIM_400000_NS6detail17trampoline_kernelINS0_14default_configENS1_22reduce_config_selectorIsEEZNS1_11reduce_implILb1ES3_N6thrust23THRUST_200600_302600_NS6detail15normal_iteratorINS8_10device_ptrIsEEEEPss9plus_mod3IsEEE10hipError_tPvRmT1_T2_T3_mT4_P12ihipStream_tbEUlT_E0_NS1_11comp_targetILNS1_3genE4ELNS1_11target_archE910ELNS1_3gpuE8ELNS1_3repE0EEENS1_30default_config_static_selectorELNS0_4arch9wavefront6targetE1EEEvSK_
; %bb.0:
	.section	.rodata,"a",@progbits
	.p2align	6, 0x0
	.amdhsa_kernel _ZN7rocprim17ROCPRIM_400000_NS6detail17trampoline_kernelINS0_14default_configENS1_22reduce_config_selectorIsEEZNS1_11reduce_implILb1ES3_N6thrust23THRUST_200600_302600_NS6detail15normal_iteratorINS8_10device_ptrIsEEEEPss9plus_mod3IsEEE10hipError_tPvRmT1_T2_T3_mT4_P12ihipStream_tbEUlT_E0_NS1_11comp_targetILNS1_3genE4ELNS1_11target_archE910ELNS1_3gpuE8ELNS1_3repE0EEENS1_30default_config_static_selectorELNS0_4arch9wavefront6targetE1EEEvSK_
		.amdhsa_group_segment_fixed_size 0
		.amdhsa_private_segment_fixed_size 0
		.amdhsa_kernarg_size 64
		.amdhsa_user_sgpr_count 2
		.amdhsa_user_sgpr_dispatch_ptr 0
		.amdhsa_user_sgpr_queue_ptr 0
		.amdhsa_user_sgpr_kernarg_segment_ptr 1
		.amdhsa_user_sgpr_dispatch_id 0
		.amdhsa_user_sgpr_kernarg_preload_length 0
		.amdhsa_user_sgpr_kernarg_preload_offset 0
		.amdhsa_user_sgpr_private_segment_size 0
		.amdhsa_uses_dynamic_stack 0
		.amdhsa_enable_private_segment 0
		.amdhsa_system_sgpr_workgroup_id_x 1
		.amdhsa_system_sgpr_workgroup_id_y 0
		.amdhsa_system_sgpr_workgroup_id_z 0
		.amdhsa_system_sgpr_workgroup_info 0
		.amdhsa_system_vgpr_workitem_id 0
		.amdhsa_next_free_vgpr 1
		.amdhsa_next_free_sgpr 0
		.amdhsa_accum_offset 4
		.amdhsa_reserve_vcc 0
		.amdhsa_float_round_mode_32 0
		.amdhsa_float_round_mode_16_64 0
		.amdhsa_float_denorm_mode_32 3
		.amdhsa_float_denorm_mode_16_64 3
		.amdhsa_dx10_clamp 1
		.amdhsa_ieee_mode 1
		.amdhsa_fp16_overflow 0
		.amdhsa_tg_split 0
		.amdhsa_exception_fp_ieee_invalid_op 0
		.amdhsa_exception_fp_denorm_src 0
		.amdhsa_exception_fp_ieee_div_zero 0
		.amdhsa_exception_fp_ieee_overflow 0
		.amdhsa_exception_fp_ieee_underflow 0
		.amdhsa_exception_fp_ieee_inexact 0
		.amdhsa_exception_int_div_zero 0
	.end_amdhsa_kernel
	.section	.text._ZN7rocprim17ROCPRIM_400000_NS6detail17trampoline_kernelINS0_14default_configENS1_22reduce_config_selectorIsEEZNS1_11reduce_implILb1ES3_N6thrust23THRUST_200600_302600_NS6detail15normal_iteratorINS8_10device_ptrIsEEEEPss9plus_mod3IsEEE10hipError_tPvRmT1_T2_T3_mT4_P12ihipStream_tbEUlT_E0_NS1_11comp_targetILNS1_3genE4ELNS1_11target_archE910ELNS1_3gpuE8ELNS1_3repE0EEENS1_30default_config_static_selectorELNS0_4arch9wavefront6targetE1EEEvSK_,"axG",@progbits,_ZN7rocprim17ROCPRIM_400000_NS6detail17trampoline_kernelINS0_14default_configENS1_22reduce_config_selectorIsEEZNS1_11reduce_implILb1ES3_N6thrust23THRUST_200600_302600_NS6detail15normal_iteratorINS8_10device_ptrIsEEEEPss9plus_mod3IsEEE10hipError_tPvRmT1_T2_T3_mT4_P12ihipStream_tbEUlT_E0_NS1_11comp_targetILNS1_3genE4ELNS1_11target_archE910ELNS1_3gpuE8ELNS1_3repE0EEENS1_30default_config_static_selectorELNS0_4arch9wavefront6targetE1EEEvSK_,comdat
.Lfunc_end967:
	.size	_ZN7rocprim17ROCPRIM_400000_NS6detail17trampoline_kernelINS0_14default_configENS1_22reduce_config_selectorIsEEZNS1_11reduce_implILb1ES3_N6thrust23THRUST_200600_302600_NS6detail15normal_iteratorINS8_10device_ptrIsEEEEPss9plus_mod3IsEEE10hipError_tPvRmT1_T2_T3_mT4_P12ihipStream_tbEUlT_E0_NS1_11comp_targetILNS1_3genE4ELNS1_11target_archE910ELNS1_3gpuE8ELNS1_3repE0EEENS1_30default_config_static_selectorELNS0_4arch9wavefront6targetE1EEEvSK_, .Lfunc_end967-_ZN7rocprim17ROCPRIM_400000_NS6detail17trampoline_kernelINS0_14default_configENS1_22reduce_config_selectorIsEEZNS1_11reduce_implILb1ES3_N6thrust23THRUST_200600_302600_NS6detail15normal_iteratorINS8_10device_ptrIsEEEEPss9plus_mod3IsEEE10hipError_tPvRmT1_T2_T3_mT4_P12ihipStream_tbEUlT_E0_NS1_11comp_targetILNS1_3genE4ELNS1_11target_archE910ELNS1_3gpuE8ELNS1_3repE0EEENS1_30default_config_static_selectorELNS0_4arch9wavefront6targetE1EEEvSK_
                                        ; -- End function
	.set _ZN7rocprim17ROCPRIM_400000_NS6detail17trampoline_kernelINS0_14default_configENS1_22reduce_config_selectorIsEEZNS1_11reduce_implILb1ES3_N6thrust23THRUST_200600_302600_NS6detail15normal_iteratorINS8_10device_ptrIsEEEEPss9plus_mod3IsEEE10hipError_tPvRmT1_T2_T3_mT4_P12ihipStream_tbEUlT_E0_NS1_11comp_targetILNS1_3genE4ELNS1_11target_archE910ELNS1_3gpuE8ELNS1_3repE0EEENS1_30default_config_static_selectorELNS0_4arch9wavefront6targetE1EEEvSK_.num_vgpr, 0
	.set _ZN7rocprim17ROCPRIM_400000_NS6detail17trampoline_kernelINS0_14default_configENS1_22reduce_config_selectorIsEEZNS1_11reduce_implILb1ES3_N6thrust23THRUST_200600_302600_NS6detail15normal_iteratorINS8_10device_ptrIsEEEEPss9plus_mod3IsEEE10hipError_tPvRmT1_T2_T3_mT4_P12ihipStream_tbEUlT_E0_NS1_11comp_targetILNS1_3genE4ELNS1_11target_archE910ELNS1_3gpuE8ELNS1_3repE0EEENS1_30default_config_static_selectorELNS0_4arch9wavefront6targetE1EEEvSK_.num_agpr, 0
	.set _ZN7rocprim17ROCPRIM_400000_NS6detail17trampoline_kernelINS0_14default_configENS1_22reduce_config_selectorIsEEZNS1_11reduce_implILb1ES3_N6thrust23THRUST_200600_302600_NS6detail15normal_iteratorINS8_10device_ptrIsEEEEPss9plus_mod3IsEEE10hipError_tPvRmT1_T2_T3_mT4_P12ihipStream_tbEUlT_E0_NS1_11comp_targetILNS1_3genE4ELNS1_11target_archE910ELNS1_3gpuE8ELNS1_3repE0EEENS1_30default_config_static_selectorELNS0_4arch9wavefront6targetE1EEEvSK_.numbered_sgpr, 0
	.set _ZN7rocprim17ROCPRIM_400000_NS6detail17trampoline_kernelINS0_14default_configENS1_22reduce_config_selectorIsEEZNS1_11reduce_implILb1ES3_N6thrust23THRUST_200600_302600_NS6detail15normal_iteratorINS8_10device_ptrIsEEEEPss9plus_mod3IsEEE10hipError_tPvRmT1_T2_T3_mT4_P12ihipStream_tbEUlT_E0_NS1_11comp_targetILNS1_3genE4ELNS1_11target_archE910ELNS1_3gpuE8ELNS1_3repE0EEENS1_30default_config_static_selectorELNS0_4arch9wavefront6targetE1EEEvSK_.num_named_barrier, 0
	.set _ZN7rocprim17ROCPRIM_400000_NS6detail17trampoline_kernelINS0_14default_configENS1_22reduce_config_selectorIsEEZNS1_11reduce_implILb1ES3_N6thrust23THRUST_200600_302600_NS6detail15normal_iteratorINS8_10device_ptrIsEEEEPss9plus_mod3IsEEE10hipError_tPvRmT1_T2_T3_mT4_P12ihipStream_tbEUlT_E0_NS1_11comp_targetILNS1_3genE4ELNS1_11target_archE910ELNS1_3gpuE8ELNS1_3repE0EEENS1_30default_config_static_selectorELNS0_4arch9wavefront6targetE1EEEvSK_.private_seg_size, 0
	.set _ZN7rocprim17ROCPRIM_400000_NS6detail17trampoline_kernelINS0_14default_configENS1_22reduce_config_selectorIsEEZNS1_11reduce_implILb1ES3_N6thrust23THRUST_200600_302600_NS6detail15normal_iteratorINS8_10device_ptrIsEEEEPss9plus_mod3IsEEE10hipError_tPvRmT1_T2_T3_mT4_P12ihipStream_tbEUlT_E0_NS1_11comp_targetILNS1_3genE4ELNS1_11target_archE910ELNS1_3gpuE8ELNS1_3repE0EEENS1_30default_config_static_selectorELNS0_4arch9wavefront6targetE1EEEvSK_.uses_vcc, 0
	.set _ZN7rocprim17ROCPRIM_400000_NS6detail17trampoline_kernelINS0_14default_configENS1_22reduce_config_selectorIsEEZNS1_11reduce_implILb1ES3_N6thrust23THRUST_200600_302600_NS6detail15normal_iteratorINS8_10device_ptrIsEEEEPss9plus_mod3IsEEE10hipError_tPvRmT1_T2_T3_mT4_P12ihipStream_tbEUlT_E0_NS1_11comp_targetILNS1_3genE4ELNS1_11target_archE910ELNS1_3gpuE8ELNS1_3repE0EEENS1_30default_config_static_selectorELNS0_4arch9wavefront6targetE1EEEvSK_.uses_flat_scratch, 0
	.set _ZN7rocprim17ROCPRIM_400000_NS6detail17trampoline_kernelINS0_14default_configENS1_22reduce_config_selectorIsEEZNS1_11reduce_implILb1ES3_N6thrust23THRUST_200600_302600_NS6detail15normal_iteratorINS8_10device_ptrIsEEEEPss9plus_mod3IsEEE10hipError_tPvRmT1_T2_T3_mT4_P12ihipStream_tbEUlT_E0_NS1_11comp_targetILNS1_3genE4ELNS1_11target_archE910ELNS1_3gpuE8ELNS1_3repE0EEENS1_30default_config_static_selectorELNS0_4arch9wavefront6targetE1EEEvSK_.has_dyn_sized_stack, 0
	.set _ZN7rocprim17ROCPRIM_400000_NS6detail17trampoline_kernelINS0_14default_configENS1_22reduce_config_selectorIsEEZNS1_11reduce_implILb1ES3_N6thrust23THRUST_200600_302600_NS6detail15normal_iteratorINS8_10device_ptrIsEEEEPss9plus_mod3IsEEE10hipError_tPvRmT1_T2_T3_mT4_P12ihipStream_tbEUlT_E0_NS1_11comp_targetILNS1_3genE4ELNS1_11target_archE910ELNS1_3gpuE8ELNS1_3repE0EEENS1_30default_config_static_selectorELNS0_4arch9wavefront6targetE1EEEvSK_.has_recursion, 0
	.set _ZN7rocprim17ROCPRIM_400000_NS6detail17trampoline_kernelINS0_14default_configENS1_22reduce_config_selectorIsEEZNS1_11reduce_implILb1ES3_N6thrust23THRUST_200600_302600_NS6detail15normal_iteratorINS8_10device_ptrIsEEEEPss9plus_mod3IsEEE10hipError_tPvRmT1_T2_T3_mT4_P12ihipStream_tbEUlT_E0_NS1_11comp_targetILNS1_3genE4ELNS1_11target_archE910ELNS1_3gpuE8ELNS1_3repE0EEENS1_30default_config_static_selectorELNS0_4arch9wavefront6targetE1EEEvSK_.has_indirect_call, 0
	.section	.AMDGPU.csdata,"",@progbits
; Kernel info:
; codeLenInByte = 0
; TotalNumSgprs: 6
; NumVgprs: 0
; NumAgprs: 0
; TotalNumVgprs: 0
; ScratchSize: 0
; MemoryBound: 0
; FloatMode: 240
; IeeeMode: 1
; LDSByteSize: 0 bytes/workgroup (compile time only)
; SGPRBlocks: 0
; VGPRBlocks: 0
; NumSGPRsForWavesPerEU: 6
; NumVGPRsForWavesPerEU: 1
; AccumOffset: 4
; Occupancy: 8
; WaveLimiterHint : 0
; COMPUTE_PGM_RSRC2:SCRATCH_EN: 0
; COMPUTE_PGM_RSRC2:USER_SGPR: 2
; COMPUTE_PGM_RSRC2:TRAP_HANDLER: 0
; COMPUTE_PGM_RSRC2:TGID_X_EN: 1
; COMPUTE_PGM_RSRC2:TGID_Y_EN: 0
; COMPUTE_PGM_RSRC2:TGID_Z_EN: 0
; COMPUTE_PGM_RSRC2:TIDIG_COMP_CNT: 0
; COMPUTE_PGM_RSRC3_GFX90A:ACCUM_OFFSET: 0
; COMPUTE_PGM_RSRC3_GFX90A:TG_SPLIT: 0
	.section	.text._ZN7rocprim17ROCPRIM_400000_NS6detail17trampoline_kernelINS0_14default_configENS1_22reduce_config_selectorIsEEZNS1_11reduce_implILb1ES3_N6thrust23THRUST_200600_302600_NS6detail15normal_iteratorINS8_10device_ptrIsEEEEPss9plus_mod3IsEEE10hipError_tPvRmT1_T2_T3_mT4_P12ihipStream_tbEUlT_E0_NS1_11comp_targetILNS1_3genE3ELNS1_11target_archE908ELNS1_3gpuE7ELNS1_3repE0EEENS1_30default_config_static_selectorELNS0_4arch9wavefront6targetE1EEEvSK_,"axG",@progbits,_ZN7rocprim17ROCPRIM_400000_NS6detail17trampoline_kernelINS0_14default_configENS1_22reduce_config_selectorIsEEZNS1_11reduce_implILb1ES3_N6thrust23THRUST_200600_302600_NS6detail15normal_iteratorINS8_10device_ptrIsEEEEPss9plus_mod3IsEEE10hipError_tPvRmT1_T2_T3_mT4_P12ihipStream_tbEUlT_E0_NS1_11comp_targetILNS1_3genE3ELNS1_11target_archE908ELNS1_3gpuE7ELNS1_3repE0EEENS1_30default_config_static_selectorELNS0_4arch9wavefront6targetE1EEEvSK_,comdat
	.protected	_ZN7rocprim17ROCPRIM_400000_NS6detail17trampoline_kernelINS0_14default_configENS1_22reduce_config_selectorIsEEZNS1_11reduce_implILb1ES3_N6thrust23THRUST_200600_302600_NS6detail15normal_iteratorINS8_10device_ptrIsEEEEPss9plus_mod3IsEEE10hipError_tPvRmT1_T2_T3_mT4_P12ihipStream_tbEUlT_E0_NS1_11comp_targetILNS1_3genE3ELNS1_11target_archE908ELNS1_3gpuE7ELNS1_3repE0EEENS1_30default_config_static_selectorELNS0_4arch9wavefront6targetE1EEEvSK_ ; -- Begin function _ZN7rocprim17ROCPRIM_400000_NS6detail17trampoline_kernelINS0_14default_configENS1_22reduce_config_selectorIsEEZNS1_11reduce_implILb1ES3_N6thrust23THRUST_200600_302600_NS6detail15normal_iteratorINS8_10device_ptrIsEEEEPss9plus_mod3IsEEE10hipError_tPvRmT1_T2_T3_mT4_P12ihipStream_tbEUlT_E0_NS1_11comp_targetILNS1_3genE3ELNS1_11target_archE908ELNS1_3gpuE7ELNS1_3repE0EEENS1_30default_config_static_selectorELNS0_4arch9wavefront6targetE1EEEvSK_
	.globl	_ZN7rocprim17ROCPRIM_400000_NS6detail17trampoline_kernelINS0_14default_configENS1_22reduce_config_selectorIsEEZNS1_11reduce_implILb1ES3_N6thrust23THRUST_200600_302600_NS6detail15normal_iteratorINS8_10device_ptrIsEEEEPss9plus_mod3IsEEE10hipError_tPvRmT1_T2_T3_mT4_P12ihipStream_tbEUlT_E0_NS1_11comp_targetILNS1_3genE3ELNS1_11target_archE908ELNS1_3gpuE7ELNS1_3repE0EEENS1_30default_config_static_selectorELNS0_4arch9wavefront6targetE1EEEvSK_
	.p2align	8
	.type	_ZN7rocprim17ROCPRIM_400000_NS6detail17trampoline_kernelINS0_14default_configENS1_22reduce_config_selectorIsEEZNS1_11reduce_implILb1ES3_N6thrust23THRUST_200600_302600_NS6detail15normal_iteratorINS8_10device_ptrIsEEEEPss9plus_mod3IsEEE10hipError_tPvRmT1_T2_T3_mT4_P12ihipStream_tbEUlT_E0_NS1_11comp_targetILNS1_3genE3ELNS1_11target_archE908ELNS1_3gpuE7ELNS1_3repE0EEENS1_30default_config_static_selectorELNS0_4arch9wavefront6targetE1EEEvSK_,@function
_ZN7rocprim17ROCPRIM_400000_NS6detail17trampoline_kernelINS0_14default_configENS1_22reduce_config_selectorIsEEZNS1_11reduce_implILb1ES3_N6thrust23THRUST_200600_302600_NS6detail15normal_iteratorINS8_10device_ptrIsEEEEPss9plus_mod3IsEEE10hipError_tPvRmT1_T2_T3_mT4_P12ihipStream_tbEUlT_E0_NS1_11comp_targetILNS1_3genE3ELNS1_11target_archE908ELNS1_3gpuE7ELNS1_3repE0EEENS1_30default_config_static_selectorELNS0_4arch9wavefront6targetE1EEEvSK_: ; @_ZN7rocprim17ROCPRIM_400000_NS6detail17trampoline_kernelINS0_14default_configENS1_22reduce_config_selectorIsEEZNS1_11reduce_implILb1ES3_N6thrust23THRUST_200600_302600_NS6detail15normal_iteratorINS8_10device_ptrIsEEEEPss9plus_mod3IsEEE10hipError_tPvRmT1_T2_T3_mT4_P12ihipStream_tbEUlT_E0_NS1_11comp_targetILNS1_3genE3ELNS1_11target_archE908ELNS1_3gpuE7ELNS1_3repE0EEENS1_30default_config_static_selectorELNS0_4arch9wavefront6targetE1EEEvSK_
; %bb.0:
	.section	.rodata,"a",@progbits
	.p2align	6, 0x0
	.amdhsa_kernel _ZN7rocprim17ROCPRIM_400000_NS6detail17trampoline_kernelINS0_14default_configENS1_22reduce_config_selectorIsEEZNS1_11reduce_implILb1ES3_N6thrust23THRUST_200600_302600_NS6detail15normal_iteratorINS8_10device_ptrIsEEEEPss9plus_mod3IsEEE10hipError_tPvRmT1_T2_T3_mT4_P12ihipStream_tbEUlT_E0_NS1_11comp_targetILNS1_3genE3ELNS1_11target_archE908ELNS1_3gpuE7ELNS1_3repE0EEENS1_30default_config_static_selectorELNS0_4arch9wavefront6targetE1EEEvSK_
		.amdhsa_group_segment_fixed_size 0
		.amdhsa_private_segment_fixed_size 0
		.amdhsa_kernarg_size 64
		.amdhsa_user_sgpr_count 2
		.amdhsa_user_sgpr_dispatch_ptr 0
		.amdhsa_user_sgpr_queue_ptr 0
		.amdhsa_user_sgpr_kernarg_segment_ptr 1
		.amdhsa_user_sgpr_dispatch_id 0
		.amdhsa_user_sgpr_kernarg_preload_length 0
		.amdhsa_user_sgpr_kernarg_preload_offset 0
		.amdhsa_user_sgpr_private_segment_size 0
		.amdhsa_uses_dynamic_stack 0
		.amdhsa_enable_private_segment 0
		.amdhsa_system_sgpr_workgroup_id_x 1
		.amdhsa_system_sgpr_workgroup_id_y 0
		.amdhsa_system_sgpr_workgroup_id_z 0
		.amdhsa_system_sgpr_workgroup_info 0
		.amdhsa_system_vgpr_workitem_id 0
		.amdhsa_next_free_vgpr 1
		.amdhsa_next_free_sgpr 0
		.amdhsa_accum_offset 4
		.amdhsa_reserve_vcc 0
		.amdhsa_float_round_mode_32 0
		.amdhsa_float_round_mode_16_64 0
		.amdhsa_float_denorm_mode_32 3
		.amdhsa_float_denorm_mode_16_64 3
		.amdhsa_dx10_clamp 1
		.amdhsa_ieee_mode 1
		.amdhsa_fp16_overflow 0
		.amdhsa_tg_split 0
		.amdhsa_exception_fp_ieee_invalid_op 0
		.amdhsa_exception_fp_denorm_src 0
		.amdhsa_exception_fp_ieee_div_zero 0
		.amdhsa_exception_fp_ieee_overflow 0
		.amdhsa_exception_fp_ieee_underflow 0
		.amdhsa_exception_fp_ieee_inexact 0
		.amdhsa_exception_int_div_zero 0
	.end_amdhsa_kernel
	.section	.text._ZN7rocprim17ROCPRIM_400000_NS6detail17trampoline_kernelINS0_14default_configENS1_22reduce_config_selectorIsEEZNS1_11reduce_implILb1ES3_N6thrust23THRUST_200600_302600_NS6detail15normal_iteratorINS8_10device_ptrIsEEEEPss9plus_mod3IsEEE10hipError_tPvRmT1_T2_T3_mT4_P12ihipStream_tbEUlT_E0_NS1_11comp_targetILNS1_3genE3ELNS1_11target_archE908ELNS1_3gpuE7ELNS1_3repE0EEENS1_30default_config_static_selectorELNS0_4arch9wavefront6targetE1EEEvSK_,"axG",@progbits,_ZN7rocprim17ROCPRIM_400000_NS6detail17trampoline_kernelINS0_14default_configENS1_22reduce_config_selectorIsEEZNS1_11reduce_implILb1ES3_N6thrust23THRUST_200600_302600_NS6detail15normal_iteratorINS8_10device_ptrIsEEEEPss9plus_mod3IsEEE10hipError_tPvRmT1_T2_T3_mT4_P12ihipStream_tbEUlT_E0_NS1_11comp_targetILNS1_3genE3ELNS1_11target_archE908ELNS1_3gpuE7ELNS1_3repE0EEENS1_30default_config_static_selectorELNS0_4arch9wavefront6targetE1EEEvSK_,comdat
.Lfunc_end968:
	.size	_ZN7rocprim17ROCPRIM_400000_NS6detail17trampoline_kernelINS0_14default_configENS1_22reduce_config_selectorIsEEZNS1_11reduce_implILb1ES3_N6thrust23THRUST_200600_302600_NS6detail15normal_iteratorINS8_10device_ptrIsEEEEPss9plus_mod3IsEEE10hipError_tPvRmT1_T2_T3_mT4_P12ihipStream_tbEUlT_E0_NS1_11comp_targetILNS1_3genE3ELNS1_11target_archE908ELNS1_3gpuE7ELNS1_3repE0EEENS1_30default_config_static_selectorELNS0_4arch9wavefront6targetE1EEEvSK_, .Lfunc_end968-_ZN7rocprim17ROCPRIM_400000_NS6detail17trampoline_kernelINS0_14default_configENS1_22reduce_config_selectorIsEEZNS1_11reduce_implILb1ES3_N6thrust23THRUST_200600_302600_NS6detail15normal_iteratorINS8_10device_ptrIsEEEEPss9plus_mod3IsEEE10hipError_tPvRmT1_T2_T3_mT4_P12ihipStream_tbEUlT_E0_NS1_11comp_targetILNS1_3genE3ELNS1_11target_archE908ELNS1_3gpuE7ELNS1_3repE0EEENS1_30default_config_static_selectorELNS0_4arch9wavefront6targetE1EEEvSK_
                                        ; -- End function
	.set _ZN7rocprim17ROCPRIM_400000_NS6detail17trampoline_kernelINS0_14default_configENS1_22reduce_config_selectorIsEEZNS1_11reduce_implILb1ES3_N6thrust23THRUST_200600_302600_NS6detail15normal_iteratorINS8_10device_ptrIsEEEEPss9plus_mod3IsEEE10hipError_tPvRmT1_T2_T3_mT4_P12ihipStream_tbEUlT_E0_NS1_11comp_targetILNS1_3genE3ELNS1_11target_archE908ELNS1_3gpuE7ELNS1_3repE0EEENS1_30default_config_static_selectorELNS0_4arch9wavefront6targetE1EEEvSK_.num_vgpr, 0
	.set _ZN7rocprim17ROCPRIM_400000_NS6detail17trampoline_kernelINS0_14default_configENS1_22reduce_config_selectorIsEEZNS1_11reduce_implILb1ES3_N6thrust23THRUST_200600_302600_NS6detail15normal_iteratorINS8_10device_ptrIsEEEEPss9plus_mod3IsEEE10hipError_tPvRmT1_T2_T3_mT4_P12ihipStream_tbEUlT_E0_NS1_11comp_targetILNS1_3genE3ELNS1_11target_archE908ELNS1_3gpuE7ELNS1_3repE0EEENS1_30default_config_static_selectorELNS0_4arch9wavefront6targetE1EEEvSK_.num_agpr, 0
	.set _ZN7rocprim17ROCPRIM_400000_NS6detail17trampoline_kernelINS0_14default_configENS1_22reduce_config_selectorIsEEZNS1_11reduce_implILb1ES3_N6thrust23THRUST_200600_302600_NS6detail15normal_iteratorINS8_10device_ptrIsEEEEPss9plus_mod3IsEEE10hipError_tPvRmT1_T2_T3_mT4_P12ihipStream_tbEUlT_E0_NS1_11comp_targetILNS1_3genE3ELNS1_11target_archE908ELNS1_3gpuE7ELNS1_3repE0EEENS1_30default_config_static_selectorELNS0_4arch9wavefront6targetE1EEEvSK_.numbered_sgpr, 0
	.set _ZN7rocprim17ROCPRIM_400000_NS6detail17trampoline_kernelINS0_14default_configENS1_22reduce_config_selectorIsEEZNS1_11reduce_implILb1ES3_N6thrust23THRUST_200600_302600_NS6detail15normal_iteratorINS8_10device_ptrIsEEEEPss9plus_mod3IsEEE10hipError_tPvRmT1_T2_T3_mT4_P12ihipStream_tbEUlT_E0_NS1_11comp_targetILNS1_3genE3ELNS1_11target_archE908ELNS1_3gpuE7ELNS1_3repE0EEENS1_30default_config_static_selectorELNS0_4arch9wavefront6targetE1EEEvSK_.num_named_barrier, 0
	.set _ZN7rocprim17ROCPRIM_400000_NS6detail17trampoline_kernelINS0_14default_configENS1_22reduce_config_selectorIsEEZNS1_11reduce_implILb1ES3_N6thrust23THRUST_200600_302600_NS6detail15normal_iteratorINS8_10device_ptrIsEEEEPss9plus_mod3IsEEE10hipError_tPvRmT1_T2_T3_mT4_P12ihipStream_tbEUlT_E0_NS1_11comp_targetILNS1_3genE3ELNS1_11target_archE908ELNS1_3gpuE7ELNS1_3repE0EEENS1_30default_config_static_selectorELNS0_4arch9wavefront6targetE1EEEvSK_.private_seg_size, 0
	.set _ZN7rocprim17ROCPRIM_400000_NS6detail17trampoline_kernelINS0_14default_configENS1_22reduce_config_selectorIsEEZNS1_11reduce_implILb1ES3_N6thrust23THRUST_200600_302600_NS6detail15normal_iteratorINS8_10device_ptrIsEEEEPss9plus_mod3IsEEE10hipError_tPvRmT1_T2_T3_mT4_P12ihipStream_tbEUlT_E0_NS1_11comp_targetILNS1_3genE3ELNS1_11target_archE908ELNS1_3gpuE7ELNS1_3repE0EEENS1_30default_config_static_selectorELNS0_4arch9wavefront6targetE1EEEvSK_.uses_vcc, 0
	.set _ZN7rocprim17ROCPRIM_400000_NS6detail17trampoline_kernelINS0_14default_configENS1_22reduce_config_selectorIsEEZNS1_11reduce_implILb1ES3_N6thrust23THRUST_200600_302600_NS6detail15normal_iteratorINS8_10device_ptrIsEEEEPss9plus_mod3IsEEE10hipError_tPvRmT1_T2_T3_mT4_P12ihipStream_tbEUlT_E0_NS1_11comp_targetILNS1_3genE3ELNS1_11target_archE908ELNS1_3gpuE7ELNS1_3repE0EEENS1_30default_config_static_selectorELNS0_4arch9wavefront6targetE1EEEvSK_.uses_flat_scratch, 0
	.set _ZN7rocprim17ROCPRIM_400000_NS6detail17trampoline_kernelINS0_14default_configENS1_22reduce_config_selectorIsEEZNS1_11reduce_implILb1ES3_N6thrust23THRUST_200600_302600_NS6detail15normal_iteratorINS8_10device_ptrIsEEEEPss9plus_mod3IsEEE10hipError_tPvRmT1_T2_T3_mT4_P12ihipStream_tbEUlT_E0_NS1_11comp_targetILNS1_3genE3ELNS1_11target_archE908ELNS1_3gpuE7ELNS1_3repE0EEENS1_30default_config_static_selectorELNS0_4arch9wavefront6targetE1EEEvSK_.has_dyn_sized_stack, 0
	.set _ZN7rocprim17ROCPRIM_400000_NS6detail17trampoline_kernelINS0_14default_configENS1_22reduce_config_selectorIsEEZNS1_11reduce_implILb1ES3_N6thrust23THRUST_200600_302600_NS6detail15normal_iteratorINS8_10device_ptrIsEEEEPss9plus_mod3IsEEE10hipError_tPvRmT1_T2_T3_mT4_P12ihipStream_tbEUlT_E0_NS1_11comp_targetILNS1_3genE3ELNS1_11target_archE908ELNS1_3gpuE7ELNS1_3repE0EEENS1_30default_config_static_selectorELNS0_4arch9wavefront6targetE1EEEvSK_.has_recursion, 0
	.set _ZN7rocprim17ROCPRIM_400000_NS6detail17trampoline_kernelINS0_14default_configENS1_22reduce_config_selectorIsEEZNS1_11reduce_implILb1ES3_N6thrust23THRUST_200600_302600_NS6detail15normal_iteratorINS8_10device_ptrIsEEEEPss9plus_mod3IsEEE10hipError_tPvRmT1_T2_T3_mT4_P12ihipStream_tbEUlT_E0_NS1_11comp_targetILNS1_3genE3ELNS1_11target_archE908ELNS1_3gpuE7ELNS1_3repE0EEENS1_30default_config_static_selectorELNS0_4arch9wavefront6targetE1EEEvSK_.has_indirect_call, 0
	.section	.AMDGPU.csdata,"",@progbits
; Kernel info:
; codeLenInByte = 0
; TotalNumSgprs: 6
; NumVgprs: 0
; NumAgprs: 0
; TotalNumVgprs: 0
; ScratchSize: 0
; MemoryBound: 0
; FloatMode: 240
; IeeeMode: 1
; LDSByteSize: 0 bytes/workgroup (compile time only)
; SGPRBlocks: 0
; VGPRBlocks: 0
; NumSGPRsForWavesPerEU: 6
; NumVGPRsForWavesPerEU: 1
; AccumOffset: 4
; Occupancy: 8
; WaveLimiterHint : 0
; COMPUTE_PGM_RSRC2:SCRATCH_EN: 0
; COMPUTE_PGM_RSRC2:USER_SGPR: 2
; COMPUTE_PGM_RSRC2:TRAP_HANDLER: 0
; COMPUTE_PGM_RSRC2:TGID_X_EN: 1
; COMPUTE_PGM_RSRC2:TGID_Y_EN: 0
; COMPUTE_PGM_RSRC2:TGID_Z_EN: 0
; COMPUTE_PGM_RSRC2:TIDIG_COMP_CNT: 0
; COMPUTE_PGM_RSRC3_GFX90A:ACCUM_OFFSET: 0
; COMPUTE_PGM_RSRC3_GFX90A:TG_SPLIT: 0
	.section	.text._ZN7rocprim17ROCPRIM_400000_NS6detail17trampoline_kernelINS0_14default_configENS1_22reduce_config_selectorIsEEZNS1_11reduce_implILb1ES3_N6thrust23THRUST_200600_302600_NS6detail15normal_iteratorINS8_10device_ptrIsEEEEPss9plus_mod3IsEEE10hipError_tPvRmT1_T2_T3_mT4_P12ihipStream_tbEUlT_E0_NS1_11comp_targetILNS1_3genE2ELNS1_11target_archE906ELNS1_3gpuE6ELNS1_3repE0EEENS1_30default_config_static_selectorELNS0_4arch9wavefront6targetE1EEEvSK_,"axG",@progbits,_ZN7rocprim17ROCPRIM_400000_NS6detail17trampoline_kernelINS0_14default_configENS1_22reduce_config_selectorIsEEZNS1_11reduce_implILb1ES3_N6thrust23THRUST_200600_302600_NS6detail15normal_iteratorINS8_10device_ptrIsEEEEPss9plus_mod3IsEEE10hipError_tPvRmT1_T2_T3_mT4_P12ihipStream_tbEUlT_E0_NS1_11comp_targetILNS1_3genE2ELNS1_11target_archE906ELNS1_3gpuE6ELNS1_3repE0EEENS1_30default_config_static_selectorELNS0_4arch9wavefront6targetE1EEEvSK_,comdat
	.protected	_ZN7rocprim17ROCPRIM_400000_NS6detail17trampoline_kernelINS0_14default_configENS1_22reduce_config_selectorIsEEZNS1_11reduce_implILb1ES3_N6thrust23THRUST_200600_302600_NS6detail15normal_iteratorINS8_10device_ptrIsEEEEPss9plus_mod3IsEEE10hipError_tPvRmT1_T2_T3_mT4_P12ihipStream_tbEUlT_E0_NS1_11comp_targetILNS1_3genE2ELNS1_11target_archE906ELNS1_3gpuE6ELNS1_3repE0EEENS1_30default_config_static_selectorELNS0_4arch9wavefront6targetE1EEEvSK_ ; -- Begin function _ZN7rocprim17ROCPRIM_400000_NS6detail17trampoline_kernelINS0_14default_configENS1_22reduce_config_selectorIsEEZNS1_11reduce_implILb1ES3_N6thrust23THRUST_200600_302600_NS6detail15normal_iteratorINS8_10device_ptrIsEEEEPss9plus_mod3IsEEE10hipError_tPvRmT1_T2_T3_mT4_P12ihipStream_tbEUlT_E0_NS1_11comp_targetILNS1_3genE2ELNS1_11target_archE906ELNS1_3gpuE6ELNS1_3repE0EEENS1_30default_config_static_selectorELNS0_4arch9wavefront6targetE1EEEvSK_
	.globl	_ZN7rocprim17ROCPRIM_400000_NS6detail17trampoline_kernelINS0_14default_configENS1_22reduce_config_selectorIsEEZNS1_11reduce_implILb1ES3_N6thrust23THRUST_200600_302600_NS6detail15normal_iteratorINS8_10device_ptrIsEEEEPss9plus_mod3IsEEE10hipError_tPvRmT1_T2_T3_mT4_P12ihipStream_tbEUlT_E0_NS1_11comp_targetILNS1_3genE2ELNS1_11target_archE906ELNS1_3gpuE6ELNS1_3repE0EEENS1_30default_config_static_selectorELNS0_4arch9wavefront6targetE1EEEvSK_
	.p2align	8
	.type	_ZN7rocprim17ROCPRIM_400000_NS6detail17trampoline_kernelINS0_14default_configENS1_22reduce_config_selectorIsEEZNS1_11reduce_implILb1ES3_N6thrust23THRUST_200600_302600_NS6detail15normal_iteratorINS8_10device_ptrIsEEEEPss9plus_mod3IsEEE10hipError_tPvRmT1_T2_T3_mT4_P12ihipStream_tbEUlT_E0_NS1_11comp_targetILNS1_3genE2ELNS1_11target_archE906ELNS1_3gpuE6ELNS1_3repE0EEENS1_30default_config_static_selectorELNS0_4arch9wavefront6targetE1EEEvSK_,@function
_ZN7rocprim17ROCPRIM_400000_NS6detail17trampoline_kernelINS0_14default_configENS1_22reduce_config_selectorIsEEZNS1_11reduce_implILb1ES3_N6thrust23THRUST_200600_302600_NS6detail15normal_iteratorINS8_10device_ptrIsEEEEPss9plus_mod3IsEEE10hipError_tPvRmT1_T2_T3_mT4_P12ihipStream_tbEUlT_E0_NS1_11comp_targetILNS1_3genE2ELNS1_11target_archE906ELNS1_3gpuE6ELNS1_3repE0EEENS1_30default_config_static_selectorELNS0_4arch9wavefront6targetE1EEEvSK_: ; @_ZN7rocprim17ROCPRIM_400000_NS6detail17trampoline_kernelINS0_14default_configENS1_22reduce_config_selectorIsEEZNS1_11reduce_implILb1ES3_N6thrust23THRUST_200600_302600_NS6detail15normal_iteratorINS8_10device_ptrIsEEEEPss9plus_mod3IsEEE10hipError_tPvRmT1_T2_T3_mT4_P12ihipStream_tbEUlT_E0_NS1_11comp_targetILNS1_3genE2ELNS1_11target_archE906ELNS1_3gpuE6ELNS1_3repE0EEENS1_30default_config_static_selectorELNS0_4arch9wavefront6targetE1EEEvSK_
; %bb.0:
	.section	.rodata,"a",@progbits
	.p2align	6, 0x0
	.amdhsa_kernel _ZN7rocprim17ROCPRIM_400000_NS6detail17trampoline_kernelINS0_14default_configENS1_22reduce_config_selectorIsEEZNS1_11reduce_implILb1ES3_N6thrust23THRUST_200600_302600_NS6detail15normal_iteratorINS8_10device_ptrIsEEEEPss9plus_mod3IsEEE10hipError_tPvRmT1_T2_T3_mT4_P12ihipStream_tbEUlT_E0_NS1_11comp_targetILNS1_3genE2ELNS1_11target_archE906ELNS1_3gpuE6ELNS1_3repE0EEENS1_30default_config_static_selectorELNS0_4arch9wavefront6targetE1EEEvSK_
		.amdhsa_group_segment_fixed_size 0
		.amdhsa_private_segment_fixed_size 0
		.amdhsa_kernarg_size 64
		.amdhsa_user_sgpr_count 2
		.amdhsa_user_sgpr_dispatch_ptr 0
		.amdhsa_user_sgpr_queue_ptr 0
		.amdhsa_user_sgpr_kernarg_segment_ptr 1
		.amdhsa_user_sgpr_dispatch_id 0
		.amdhsa_user_sgpr_kernarg_preload_length 0
		.amdhsa_user_sgpr_kernarg_preload_offset 0
		.amdhsa_user_sgpr_private_segment_size 0
		.amdhsa_uses_dynamic_stack 0
		.amdhsa_enable_private_segment 0
		.amdhsa_system_sgpr_workgroup_id_x 1
		.amdhsa_system_sgpr_workgroup_id_y 0
		.amdhsa_system_sgpr_workgroup_id_z 0
		.amdhsa_system_sgpr_workgroup_info 0
		.amdhsa_system_vgpr_workitem_id 0
		.amdhsa_next_free_vgpr 1
		.amdhsa_next_free_sgpr 0
		.amdhsa_accum_offset 4
		.amdhsa_reserve_vcc 0
		.amdhsa_float_round_mode_32 0
		.amdhsa_float_round_mode_16_64 0
		.amdhsa_float_denorm_mode_32 3
		.amdhsa_float_denorm_mode_16_64 3
		.amdhsa_dx10_clamp 1
		.amdhsa_ieee_mode 1
		.amdhsa_fp16_overflow 0
		.amdhsa_tg_split 0
		.amdhsa_exception_fp_ieee_invalid_op 0
		.amdhsa_exception_fp_denorm_src 0
		.amdhsa_exception_fp_ieee_div_zero 0
		.amdhsa_exception_fp_ieee_overflow 0
		.amdhsa_exception_fp_ieee_underflow 0
		.amdhsa_exception_fp_ieee_inexact 0
		.amdhsa_exception_int_div_zero 0
	.end_amdhsa_kernel
	.section	.text._ZN7rocprim17ROCPRIM_400000_NS6detail17trampoline_kernelINS0_14default_configENS1_22reduce_config_selectorIsEEZNS1_11reduce_implILb1ES3_N6thrust23THRUST_200600_302600_NS6detail15normal_iteratorINS8_10device_ptrIsEEEEPss9plus_mod3IsEEE10hipError_tPvRmT1_T2_T3_mT4_P12ihipStream_tbEUlT_E0_NS1_11comp_targetILNS1_3genE2ELNS1_11target_archE906ELNS1_3gpuE6ELNS1_3repE0EEENS1_30default_config_static_selectorELNS0_4arch9wavefront6targetE1EEEvSK_,"axG",@progbits,_ZN7rocprim17ROCPRIM_400000_NS6detail17trampoline_kernelINS0_14default_configENS1_22reduce_config_selectorIsEEZNS1_11reduce_implILb1ES3_N6thrust23THRUST_200600_302600_NS6detail15normal_iteratorINS8_10device_ptrIsEEEEPss9plus_mod3IsEEE10hipError_tPvRmT1_T2_T3_mT4_P12ihipStream_tbEUlT_E0_NS1_11comp_targetILNS1_3genE2ELNS1_11target_archE906ELNS1_3gpuE6ELNS1_3repE0EEENS1_30default_config_static_selectorELNS0_4arch9wavefront6targetE1EEEvSK_,comdat
.Lfunc_end969:
	.size	_ZN7rocprim17ROCPRIM_400000_NS6detail17trampoline_kernelINS0_14default_configENS1_22reduce_config_selectorIsEEZNS1_11reduce_implILb1ES3_N6thrust23THRUST_200600_302600_NS6detail15normal_iteratorINS8_10device_ptrIsEEEEPss9plus_mod3IsEEE10hipError_tPvRmT1_T2_T3_mT4_P12ihipStream_tbEUlT_E0_NS1_11comp_targetILNS1_3genE2ELNS1_11target_archE906ELNS1_3gpuE6ELNS1_3repE0EEENS1_30default_config_static_selectorELNS0_4arch9wavefront6targetE1EEEvSK_, .Lfunc_end969-_ZN7rocprim17ROCPRIM_400000_NS6detail17trampoline_kernelINS0_14default_configENS1_22reduce_config_selectorIsEEZNS1_11reduce_implILb1ES3_N6thrust23THRUST_200600_302600_NS6detail15normal_iteratorINS8_10device_ptrIsEEEEPss9plus_mod3IsEEE10hipError_tPvRmT1_T2_T3_mT4_P12ihipStream_tbEUlT_E0_NS1_11comp_targetILNS1_3genE2ELNS1_11target_archE906ELNS1_3gpuE6ELNS1_3repE0EEENS1_30default_config_static_selectorELNS0_4arch9wavefront6targetE1EEEvSK_
                                        ; -- End function
	.set _ZN7rocprim17ROCPRIM_400000_NS6detail17trampoline_kernelINS0_14default_configENS1_22reduce_config_selectorIsEEZNS1_11reduce_implILb1ES3_N6thrust23THRUST_200600_302600_NS6detail15normal_iteratorINS8_10device_ptrIsEEEEPss9plus_mod3IsEEE10hipError_tPvRmT1_T2_T3_mT4_P12ihipStream_tbEUlT_E0_NS1_11comp_targetILNS1_3genE2ELNS1_11target_archE906ELNS1_3gpuE6ELNS1_3repE0EEENS1_30default_config_static_selectorELNS0_4arch9wavefront6targetE1EEEvSK_.num_vgpr, 0
	.set _ZN7rocprim17ROCPRIM_400000_NS6detail17trampoline_kernelINS0_14default_configENS1_22reduce_config_selectorIsEEZNS1_11reduce_implILb1ES3_N6thrust23THRUST_200600_302600_NS6detail15normal_iteratorINS8_10device_ptrIsEEEEPss9plus_mod3IsEEE10hipError_tPvRmT1_T2_T3_mT4_P12ihipStream_tbEUlT_E0_NS1_11comp_targetILNS1_3genE2ELNS1_11target_archE906ELNS1_3gpuE6ELNS1_3repE0EEENS1_30default_config_static_selectorELNS0_4arch9wavefront6targetE1EEEvSK_.num_agpr, 0
	.set _ZN7rocprim17ROCPRIM_400000_NS6detail17trampoline_kernelINS0_14default_configENS1_22reduce_config_selectorIsEEZNS1_11reduce_implILb1ES3_N6thrust23THRUST_200600_302600_NS6detail15normal_iteratorINS8_10device_ptrIsEEEEPss9plus_mod3IsEEE10hipError_tPvRmT1_T2_T3_mT4_P12ihipStream_tbEUlT_E0_NS1_11comp_targetILNS1_3genE2ELNS1_11target_archE906ELNS1_3gpuE6ELNS1_3repE0EEENS1_30default_config_static_selectorELNS0_4arch9wavefront6targetE1EEEvSK_.numbered_sgpr, 0
	.set _ZN7rocprim17ROCPRIM_400000_NS6detail17trampoline_kernelINS0_14default_configENS1_22reduce_config_selectorIsEEZNS1_11reduce_implILb1ES3_N6thrust23THRUST_200600_302600_NS6detail15normal_iteratorINS8_10device_ptrIsEEEEPss9plus_mod3IsEEE10hipError_tPvRmT1_T2_T3_mT4_P12ihipStream_tbEUlT_E0_NS1_11comp_targetILNS1_3genE2ELNS1_11target_archE906ELNS1_3gpuE6ELNS1_3repE0EEENS1_30default_config_static_selectorELNS0_4arch9wavefront6targetE1EEEvSK_.num_named_barrier, 0
	.set _ZN7rocprim17ROCPRIM_400000_NS6detail17trampoline_kernelINS0_14default_configENS1_22reduce_config_selectorIsEEZNS1_11reduce_implILb1ES3_N6thrust23THRUST_200600_302600_NS6detail15normal_iteratorINS8_10device_ptrIsEEEEPss9plus_mod3IsEEE10hipError_tPvRmT1_T2_T3_mT4_P12ihipStream_tbEUlT_E0_NS1_11comp_targetILNS1_3genE2ELNS1_11target_archE906ELNS1_3gpuE6ELNS1_3repE0EEENS1_30default_config_static_selectorELNS0_4arch9wavefront6targetE1EEEvSK_.private_seg_size, 0
	.set _ZN7rocprim17ROCPRIM_400000_NS6detail17trampoline_kernelINS0_14default_configENS1_22reduce_config_selectorIsEEZNS1_11reduce_implILb1ES3_N6thrust23THRUST_200600_302600_NS6detail15normal_iteratorINS8_10device_ptrIsEEEEPss9plus_mod3IsEEE10hipError_tPvRmT1_T2_T3_mT4_P12ihipStream_tbEUlT_E0_NS1_11comp_targetILNS1_3genE2ELNS1_11target_archE906ELNS1_3gpuE6ELNS1_3repE0EEENS1_30default_config_static_selectorELNS0_4arch9wavefront6targetE1EEEvSK_.uses_vcc, 0
	.set _ZN7rocprim17ROCPRIM_400000_NS6detail17trampoline_kernelINS0_14default_configENS1_22reduce_config_selectorIsEEZNS1_11reduce_implILb1ES3_N6thrust23THRUST_200600_302600_NS6detail15normal_iteratorINS8_10device_ptrIsEEEEPss9plus_mod3IsEEE10hipError_tPvRmT1_T2_T3_mT4_P12ihipStream_tbEUlT_E0_NS1_11comp_targetILNS1_3genE2ELNS1_11target_archE906ELNS1_3gpuE6ELNS1_3repE0EEENS1_30default_config_static_selectorELNS0_4arch9wavefront6targetE1EEEvSK_.uses_flat_scratch, 0
	.set _ZN7rocprim17ROCPRIM_400000_NS6detail17trampoline_kernelINS0_14default_configENS1_22reduce_config_selectorIsEEZNS1_11reduce_implILb1ES3_N6thrust23THRUST_200600_302600_NS6detail15normal_iteratorINS8_10device_ptrIsEEEEPss9plus_mod3IsEEE10hipError_tPvRmT1_T2_T3_mT4_P12ihipStream_tbEUlT_E0_NS1_11comp_targetILNS1_3genE2ELNS1_11target_archE906ELNS1_3gpuE6ELNS1_3repE0EEENS1_30default_config_static_selectorELNS0_4arch9wavefront6targetE1EEEvSK_.has_dyn_sized_stack, 0
	.set _ZN7rocprim17ROCPRIM_400000_NS6detail17trampoline_kernelINS0_14default_configENS1_22reduce_config_selectorIsEEZNS1_11reduce_implILb1ES3_N6thrust23THRUST_200600_302600_NS6detail15normal_iteratorINS8_10device_ptrIsEEEEPss9plus_mod3IsEEE10hipError_tPvRmT1_T2_T3_mT4_P12ihipStream_tbEUlT_E0_NS1_11comp_targetILNS1_3genE2ELNS1_11target_archE906ELNS1_3gpuE6ELNS1_3repE0EEENS1_30default_config_static_selectorELNS0_4arch9wavefront6targetE1EEEvSK_.has_recursion, 0
	.set _ZN7rocprim17ROCPRIM_400000_NS6detail17trampoline_kernelINS0_14default_configENS1_22reduce_config_selectorIsEEZNS1_11reduce_implILb1ES3_N6thrust23THRUST_200600_302600_NS6detail15normal_iteratorINS8_10device_ptrIsEEEEPss9plus_mod3IsEEE10hipError_tPvRmT1_T2_T3_mT4_P12ihipStream_tbEUlT_E0_NS1_11comp_targetILNS1_3genE2ELNS1_11target_archE906ELNS1_3gpuE6ELNS1_3repE0EEENS1_30default_config_static_selectorELNS0_4arch9wavefront6targetE1EEEvSK_.has_indirect_call, 0
	.section	.AMDGPU.csdata,"",@progbits
; Kernel info:
; codeLenInByte = 0
; TotalNumSgprs: 6
; NumVgprs: 0
; NumAgprs: 0
; TotalNumVgprs: 0
; ScratchSize: 0
; MemoryBound: 0
; FloatMode: 240
; IeeeMode: 1
; LDSByteSize: 0 bytes/workgroup (compile time only)
; SGPRBlocks: 0
; VGPRBlocks: 0
; NumSGPRsForWavesPerEU: 6
; NumVGPRsForWavesPerEU: 1
; AccumOffset: 4
; Occupancy: 8
; WaveLimiterHint : 0
; COMPUTE_PGM_RSRC2:SCRATCH_EN: 0
; COMPUTE_PGM_RSRC2:USER_SGPR: 2
; COMPUTE_PGM_RSRC2:TRAP_HANDLER: 0
; COMPUTE_PGM_RSRC2:TGID_X_EN: 1
; COMPUTE_PGM_RSRC2:TGID_Y_EN: 0
; COMPUTE_PGM_RSRC2:TGID_Z_EN: 0
; COMPUTE_PGM_RSRC2:TIDIG_COMP_CNT: 0
; COMPUTE_PGM_RSRC3_GFX90A:ACCUM_OFFSET: 0
; COMPUTE_PGM_RSRC3_GFX90A:TG_SPLIT: 0
	.section	.text._ZN7rocprim17ROCPRIM_400000_NS6detail17trampoline_kernelINS0_14default_configENS1_22reduce_config_selectorIsEEZNS1_11reduce_implILb1ES3_N6thrust23THRUST_200600_302600_NS6detail15normal_iteratorINS8_10device_ptrIsEEEEPss9plus_mod3IsEEE10hipError_tPvRmT1_T2_T3_mT4_P12ihipStream_tbEUlT_E0_NS1_11comp_targetILNS1_3genE10ELNS1_11target_archE1201ELNS1_3gpuE5ELNS1_3repE0EEENS1_30default_config_static_selectorELNS0_4arch9wavefront6targetE1EEEvSK_,"axG",@progbits,_ZN7rocprim17ROCPRIM_400000_NS6detail17trampoline_kernelINS0_14default_configENS1_22reduce_config_selectorIsEEZNS1_11reduce_implILb1ES3_N6thrust23THRUST_200600_302600_NS6detail15normal_iteratorINS8_10device_ptrIsEEEEPss9plus_mod3IsEEE10hipError_tPvRmT1_T2_T3_mT4_P12ihipStream_tbEUlT_E0_NS1_11comp_targetILNS1_3genE10ELNS1_11target_archE1201ELNS1_3gpuE5ELNS1_3repE0EEENS1_30default_config_static_selectorELNS0_4arch9wavefront6targetE1EEEvSK_,comdat
	.protected	_ZN7rocprim17ROCPRIM_400000_NS6detail17trampoline_kernelINS0_14default_configENS1_22reduce_config_selectorIsEEZNS1_11reduce_implILb1ES3_N6thrust23THRUST_200600_302600_NS6detail15normal_iteratorINS8_10device_ptrIsEEEEPss9plus_mod3IsEEE10hipError_tPvRmT1_T2_T3_mT4_P12ihipStream_tbEUlT_E0_NS1_11comp_targetILNS1_3genE10ELNS1_11target_archE1201ELNS1_3gpuE5ELNS1_3repE0EEENS1_30default_config_static_selectorELNS0_4arch9wavefront6targetE1EEEvSK_ ; -- Begin function _ZN7rocprim17ROCPRIM_400000_NS6detail17trampoline_kernelINS0_14default_configENS1_22reduce_config_selectorIsEEZNS1_11reduce_implILb1ES3_N6thrust23THRUST_200600_302600_NS6detail15normal_iteratorINS8_10device_ptrIsEEEEPss9plus_mod3IsEEE10hipError_tPvRmT1_T2_T3_mT4_P12ihipStream_tbEUlT_E0_NS1_11comp_targetILNS1_3genE10ELNS1_11target_archE1201ELNS1_3gpuE5ELNS1_3repE0EEENS1_30default_config_static_selectorELNS0_4arch9wavefront6targetE1EEEvSK_
	.globl	_ZN7rocprim17ROCPRIM_400000_NS6detail17trampoline_kernelINS0_14default_configENS1_22reduce_config_selectorIsEEZNS1_11reduce_implILb1ES3_N6thrust23THRUST_200600_302600_NS6detail15normal_iteratorINS8_10device_ptrIsEEEEPss9plus_mod3IsEEE10hipError_tPvRmT1_T2_T3_mT4_P12ihipStream_tbEUlT_E0_NS1_11comp_targetILNS1_3genE10ELNS1_11target_archE1201ELNS1_3gpuE5ELNS1_3repE0EEENS1_30default_config_static_selectorELNS0_4arch9wavefront6targetE1EEEvSK_
	.p2align	8
	.type	_ZN7rocprim17ROCPRIM_400000_NS6detail17trampoline_kernelINS0_14default_configENS1_22reduce_config_selectorIsEEZNS1_11reduce_implILb1ES3_N6thrust23THRUST_200600_302600_NS6detail15normal_iteratorINS8_10device_ptrIsEEEEPss9plus_mod3IsEEE10hipError_tPvRmT1_T2_T3_mT4_P12ihipStream_tbEUlT_E0_NS1_11comp_targetILNS1_3genE10ELNS1_11target_archE1201ELNS1_3gpuE5ELNS1_3repE0EEENS1_30default_config_static_selectorELNS0_4arch9wavefront6targetE1EEEvSK_,@function
_ZN7rocprim17ROCPRIM_400000_NS6detail17trampoline_kernelINS0_14default_configENS1_22reduce_config_selectorIsEEZNS1_11reduce_implILb1ES3_N6thrust23THRUST_200600_302600_NS6detail15normal_iteratorINS8_10device_ptrIsEEEEPss9plus_mod3IsEEE10hipError_tPvRmT1_T2_T3_mT4_P12ihipStream_tbEUlT_E0_NS1_11comp_targetILNS1_3genE10ELNS1_11target_archE1201ELNS1_3gpuE5ELNS1_3repE0EEENS1_30default_config_static_selectorELNS0_4arch9wavefront6targetE1EEEvSK_: ; @_ZN7rocprim17ROCPRIM_400000_NS6detail17trampoline_kernelINS0_14default_configENS1_22reduce_config_selectorIsEEZNS1_11reduce_implILb1ES3_N6thrust23THRUST_200600_302600_NS6detail15normal_iteratorINS8_10device_ptrIsEEEEPss9plus_mod3IsEEE10hipError_tPvRmT1_T2_T3_mT4_P12ihipStream_tbEUlT_E0_NS1_11comp_targetILNS1_3genE10ELNS1_11target_archE1201ELNS1_3gpuE5ELNS1_3repE0EEENS1_30default_config_static_selectorELNS0_4arch9wavefront6targetE1EEEvSK_
; %bb.0:
	.section	.rodata,"a",@progbits
	.p2align	6, 0x0
	.amdhsa_kernel _ZN7rocprim17ROCPRIM_400000_NS6detail17trampoline_kernelINS0_14default_configENS1_22reduce_config_selectorIsEEZNS1_11reduce_implILb1ES3_N6thrust23THRUST_200600_302600_NS6detail15normal_iteratorINS8_10device_ptrIsEEEEPss9plus_mod3IsEEE10hipError_tPvRmT1_T2_T3_mT4_P12ihipStream_tbEUlT_E0_NS1_11comp_targetILNS1_3genE10ELNS1_11target_archE1201ELNS1_3gpuE5ELNS1_3repE0EEENS1_30default_config_static_selectorELNS0_4arch9wavefront6targetE1EEEvSK_
		.amdhsa_group_segment_fixed_size 0
		.amdhsa_private_segment_fixed_size 0
		.amdhsa_kernarg_size 64
		.amdhsa_user_sgpr_count 2
		.amdhsa_user_sgpr_dispatch_ptr 0
		.amdhsa_user_sgpr_queue_ptr 0
		.amdhsa_user_sgpr_kernarg_segment_ptr 1
		.amdhsa_user_sgpr_dispatch_id 0
		.amdhsa_user_sgpr_kernarg_preload_length 0
		.amdhsa_user_sgpr_kernarg_preload_offset 0
		.amdhsa_user_sgpr_private_segment_size 0
		.amdhsa_uses_dynamic_stack 0
		.amdhsa_enable_private_segment 0
		.amdhsa_system_sgpr_workgroup_id_x 1
		.amdhsa_system_sgpr_workgroup_id_y 0
		.amdhsa_system_sgpr_workgroup_id_z 0
		.amdhsa_system_sgpr_workgroup_info 0
		.amdhsa_system_vgpr_workitem_id 0
		.amdhsa_next_free_vgpr 1
		.amdhsa_next_free_sgpr 0
		.amdhsa_accum_offset 4
		.amdhsa_reserve_vcc 0
		.amdhsa_float_round_mode_32 0
		.amdhsa_float_round_mode_16_64 0
		.amdhsa_float_denorm_mode_32 3
		.amdhsa_float_denorm_mode_16_64 3
		.amdhsa_dx10_clamp 1
		.amdhsa_ieee_mode 1
		.amdhsa_fp16_overflow 0
		.amdhsa_tg_split 0
		.amdhsa_exception_fp_ieee_invalid_op 0
		.amdhsa_exception_fp_denorm_src 0
		.amdhsa_exception_fp_ieee_div_zero 0
		.amdhsa_exception_fp_ieee_overflow 0
		.amdhsa_exception_fp_ieee_underflow 0
		.amdhsa_exception_fp_ieee_inexact 0
		.amdhsa_exception_int_div_zero 0
	.end_amdhsa_kernel
	.section	.text._ZN7rocprim17ROCPRIM_400000_NS6detail17trampoline_kernelINS0_14default_configENS1_22reduce_config_selectorIsEEZNS1_11reduce_implILb1ES3_N6thrust23THRUST_200600_302600_NS6detail15normal_iteratorINS8_10device_ptrIsEEEEPss9plus_mod3IsEEE10hipError_tPvRmT1_T2_T3_mT4_P12ihipStream_tbEUlT_E0_NS1_11comp_targetILNS1_3genE10ELNS1_11target_archE1201ELNS1_3gpuE5ELNS1_3repE0EEENS1_30default_config_static_selectorELNS0_4arch9wavefront6targetE1EEEvSK_,"axG",@progbits,_ZN7rocprim17ROCPRIM_400000_NS6detail17trampoline_kernelINS0_14default_configENS1_22reduce_config_selectorIsEEZNS1_11reduce_implILb1ES3_N6thrust23THRUST_200600_302600_NS6detail15normal_iteratorINS8_10device_ptrIsEEEEPss9plus_mod3IsEEE10hipError_tPvRmT1_T2_T3_mT4_P12ihipStream_tbEUlT_E0_NS1_11comp_targetILNS1_3genE10ELNS1_11target_archE1201ELNS1_3gpuE5ELNS1_3repE0EEENS1_30default_config_static_selectorELNS0_4arch9wavefront6targetE1EEEvSK_,comdat
.Lfunc_end970:
	.size	_ZN7rocprim17ROCPRIM_400000_NS6detail17trampoline_kernelINS0_14default_configENS1_22reduce_config_selectorIsEEZNS1_11reduce_implILb1ES3_N6thrust23THRUST_200600_302600_NS6detail15normal_iteratorINS8_10device_ptrIsEEEEPss9plus_mod3IsEEE10hipError_tPvRmT1_T2_T3_mT4_P12ihipStream_tbEUlT_E0_NS1_11comp_targetILNS1_3genE10ELNS1_11target_archE1201ELNS1_3gpuE5ELNS1_3repE0EEENS1_30default_config_static_selectorELNS0_4arch9wavefront6targetE1EEEvSK_, .Lfunc_end970-_ZN7rocprim17ROCPRIM_400000_NS6detail17trampoline_kernelINS0_14default_configENS1_22reduce_config_selectorIsEEZNS1_11reduce_implILb1ES3_N6thrust23THRUST_200600_302600_NS6detail15normal_iteratorINS8_10device_ptrIsEEEEPss9plus_mod3IsEEE10hipError_tPvRmT1_T2_T3_mT4_P12ihipStream_tbEUlT_E0_NS1_11comp_targetILNS1_3genE10ELNS1_11target_archE1201ELNS1_3gpuE5ELNS1_3repE0EEENS1_30default_config_static_selectorELNS0_4arch9wavefront6targetE1EEEvSK_
                                        ; -- End function
	.set _ZN7rocprim17ROCPRIM_400000_NS6detail17trampoline_kernelINS0_14default_configENS1_22reduce_config_selectorIsEEZNS1_11reduce_implILb1ES3_N6thrust23THRUST_200600_302600_NS6detail15normal_iteratorINS8_10device_ptrIsEEEEPss9plus_mod3IsEEE10hipError_tPvRmT1_T2_T3_mT4_P12ihipStream_tbEUlT_E0_NS1_11comp_targetILNS1_3genE10ELNS1_11target_archE1201ELNS1_3gpuE5ELNS1_3repE0EEENS1_30default_config_static_selectorELNS0_4arch9wavefront6targetE1EEEvSK_.num_vgpr, 0
	.set _ZN7rocprim17ROCPRIM_400000_NS6detail17trampoline_kernelINS0_14default_configENS1_22reduce_config_selectorIsEEZNS1_11reduce_implILb1ES3_N6thrust23THRUST_200600_302600_NS6detail15normal_iteratorINS8_10device_ptrIsEEEEPss9plus_mod3IsEEE10hipError_tPvRmT1_T2_T3_mT4_P12ihipStream_tbEUlT_E0_NS1_11comp_targetILNS1_3genE10ELNS1_11target_archE1201ELNS1_3gpuE5ELNS1_3repE0EEENS1_30default_config_static_selectorELNS0_4arch9wavefront6targetE1EEEvSK_.num_agpr, 0
	.set _ZN7rocprim17ROCPRIM_400000_NS6detail17trampoline_kernelINS0_14default_configENS1_22reduce_config_selectorIsEEZNS1_11reduce_implILb1ES3_N6thrust23THRUST_200600_302600_NS6detail15normal_iteratorINS8_10device_ptrIsEEEEPss9plus_mod3IsEEE10hipError_tPvRmT1_T2_T3_mT4_P12ihipStream_tbEUlT_E0_NS1_11comp_targetILNS1_3genE10ELNS1_11target_archE1201ELNS1_3gpuE5ELNS1_3repE0EEENS1_30default_config_static_selectorELNS0_4arch9wavefront6targetE1EEEvSK_.numbered_sgpr, 0
	.set _ZN7rocprim17ROCPRIM_400000_NS6detail17trampoline_kernelINS0_14default_configENS1_22reduce_config_selectorIsEEZNS1_11reduce_implILb1ES3_N6thrust23THRUST_200600_302600_NS6detail15normal_iteratorINS8_10device_ptrIsEEEEPss9plus_mod3IsEEE10hipError_tPvRmT1_T2_T3_mT4_P12ihipStream_tbEUlT_E0_NS1_11comp_targetILNS1_3genE10ELNS1_11target_archE1201ELNS1_3gpuE5ELNS1_3repE0EEENS1_30default_config_static_selectorELNS0_4arch9wavefront6targetE1EEEvSK_.num_named_barrier, 0
	.set _ZN7rocprim17ROCPRIM_400000_NS6detail17trampoline_kernelINS0_14default_configENS1_22reduce_config_selectorIsEEZNS1_11reduce_implILb1ES3_N6thrust23THRUST_200600_302600_NS6detail15normal_iteratorINS8_10device_ptrIsEEEEPss9plus_mod3IsEEE10hipError_tPvRmT1_T2_T3_mT4_P12ihipStream_tbEUlT_E0_NS1_11comp_targetILNS1_3genE10ELNS1_11target_archE1201ELNS1_3gpuE5ELNS1_3repE0EEENS1_30default_config_static_selectorELNS0_4arch9wavefront6targetE1EEEvSK_.private_seg_size, 0
	.set _ZN7rocprim17ROCPRIM_400000_NS6detail17trampoline_kernelINS0_14default_configENS1_22reduce_config_selectorIsEEZNS1_11reduce_implILb1ES3_N6thrust23THRUST_200600_302600_NS6detail15normal_iteratorINS8_10device_ptrIsEEEEPss9plus_mod3IsEEE10hipError_tPvRmT1_T2_T3_mT4_P12ihipStream_tbEUlT_E0_NS1_11comp_targetILNS1_3genE10ELNS1_11target_archE1201ELNS1_3gpuE5ELNS1_3repE0EEENS1_30default_config_static_selectorELNS0_4arch9wavefront6targetE1EEEvSK_.uses_vcc, 0
	.set _ZN7rocprim17ROCPRIM_400000_NS6detail17trampoline_kernelINS0_14default_configENS1_22reduce_config_selectorIsEEZNS1_11reduce_implILb1ES3_N6thrust23THRUST_200600_302600_NS6detail15normal_iteratorINS8_10device_ptrIsEEEEPss9plus_mod3IsEEE10hipError_tPvRmT1_T2_T3_mT4_P12ihipStream_tbEUlT_E0_NS1_11comp_targetILNS1_3genE10ELNS1_11target_archE1201ELNS1_3gpuE5ELNS1_3repE0EEENS1_30default_config_static_selectorELNS0_4arch9wavefront6targetE1EEEvSK_.uses_flat_scratch, 0
	.set _ZN7rocprim17ROCPRIM_400000_NS6detail17trampoline_kernelINS0_14default_configENS1_22reduce_config_selectorIsEEZNS1_11reduce_implILb1ES3_N6thrust23THRUST_200600_302600_NS6detail15normal_iteratorINS8_10device_ptrIsEEEEPss9plus_mod3IsEEE10hipError_tPvRmT1_T2_T3_mT4_P12ihipStream_tbEUlT_E0_NS1_11comp_targetILNS1_3genE10ELNS1_11target_archE1201ELNS1_3gpuE5ELNS1_3repE0EEENS1_30default_config_static_selectorELNS0_4arch9wavefront6targetE1EEEvSK_.has_dyn_sized_stack, 0
	.set _ZN7rocprim17ROCPRIM_400000_NS6detail17trampoline_kernelINS0_14default_configENS1_22reduce_config_selectorIsEEZNS1_11reduce_implILb1ES3_N6thrust23THRUST_200600_302600_NS6detail15normal_iteratorINS8_10device_ptrIsEEEEPss9plus_mod3IsEEE10hipError_tPvRmT1_T2_T3_mT4_P12ihipStream_tbEUlT_E0_NS1_11comp_targetILNS1_3genE10ELNS1_11target_archE1201ELNS1_3gpuE5ELNS1_3repE0EEENS1_30default_config_static_selectorELNS0_4arch9wavefront6targetE1EEEvSK_.has_recursion, 0
	.set _ZN7rocprim17ROCPRIM_400000_NS6detail17trampoline_kernelINS0_14default_configENS1_22reduce_config_selectorIsEEZNS1_11reduce_implILb1ES3_N6thrust23THRUST_200600_302600_NS6detail15normal_iteratorINS8_10device_ptrIsEEEEPss9plus_mod3IsEEE10hipError_tPvRmT1_T2_T3_mT4_P12ihipStream_tbEUlT_E0_NS1_11comp_targetILNS1_3genE10ELNS1_11target_archE1201ELNS1_3gpuE5ELNS1_3repE0EEENS1_30default_config_static_selectorELNS0_4arch9wavefront6targetE1EEEvSK_.has_indirect_call, 0
	.section	.AMDGPU.csdata,"",@progbits
; Kernel info:
; codeLenInByte = 0
; TotalNumSgprs: 6
; NumVgprs: 0
; NumAgprs: 0
; TotalNumVgprs: 0
; ScratchSize: 0
; MemoryBound: 0
; FloatMode: 240
; IeeeMode: 1
; LDSByteSize: 0 bytes/workgroup (compile time only)
; SGPRBlocks: 0
; VGPRBlocks: 0
; NumSGPRsForWavesPerEU: 6
; NumVGPRsForWavesPerEU: 1
; AccumOffset: 4
; Occupancy: 8
; WaveLimiterHint : 0
; COMPUTE_PGM_RSRC2:SCRATCH_EN: 0
; COMPUTE_PGM_RSRC2:USER_SGPR: 2
; COMPUTE_PGM_RSRC2:TRAP_HANDLER: 0
; COMPUTE_PGM_RSRC2:TGID_X_EN: 1
; COMPUTE_PGM_RSRC2:TGID_Y_EN: 0
; COMPUTE_PGM_RSRC2:TGID_Z_EN: 0
; COMPUTE_PGM_RSRC2:TIDIG_COMP_CNT: 0
; COMPUTE_PGM_RSRC3_GFX90A:ACCUM_OFFSET: 0
; COMPUTE_PGM_RSRC3_GFX90A:TG_SPLIT: 0
	.section	.text._ZN7rocprim17ROCPRIM_400000_NS6detail17trampoline_kernelINS0_14default_configENS1_22reduce_config_selectorIsEEZNS1_11reduce_implILb1ES3_N6thrust23THRUST_200600_302600_NS6detail15normal_iteratorINS8_10device_ptrIsEEEEPss9plus_mod3IsEEE10hipError_tPvRmT1_T2_T3_mT4_P12ihipStream_tbEUlT_E0_NS1_11comp_targetILNS1_3genE10ELNS1_11target_archE1200ELNS1_3gpuE4ELNS1_3repE0EEENS1_30default_config_static_selectorELNS0_4arch9wavefront6targetE1EEEvSK_,"axG",@progbits,_ZN7rocprim17ROCPRIM_400000_NS6detail17trampoline_kernelINS0_14default_configENS1_22reduce_config_selectorIsEEZNS1_11reduce_implILb1ES3_N6thrust23THRUST_200600_302600_NS6detail15normal_iteratorINS8_10device_ptrIsEEEEPss9plus_mod3IsEEE10hipError_tPvRmT1_T2_T3_mT4_P12ihipStream_tbEUlT_E0_NS1_11comp_targetILNS1_3genE10ELNS1_11target_archE1200ELNS1_3gpuE4ELNS1_3repE0EEENS1_30default_config_static_selectorELNS0_4arch9wavefront6targetE1EEEvSK_,comdat
	.protected	_ZN7rocprim17ROCPRIM_400000_NS6detail17trampoline_kernelINS0_14default_configENS1_22reduce_config_selectorIsEEZNS1_11reduce_implILb1ES3_N6thrust23THRUST_200600_302600_NS6detail15normal_iteratorINS8_10device_ptrIsEEEEPss9plus_mod3IsEEE10hipError_tPvRmT1_T2_T3_mT4_P12ihipStream_tbEUlT_E0_NS1_11comp_targetILNS1_3genE10ELNS1_11target_archE1200ELNS1_3gpuE4ELNS1_3repE0EEENS1_30default_config_static_selectorELNS0_4arch9wavefront6targetE1EEEvSK_ ; -- Begin function _ZN7rocprim17ROCPRIM_400000_NS6detail17trampoline_kernelINS0_14default_configENS1_22reduce_config_selectorIsEEZNS1_11reduce_implILb1ES3_N6thrust23THRUST_200600_302600_NS6detail15normal_iteratorINS8_10device_ptrIsEEEEPss9plus_mod3IsEEE10hipError_tPvRmT1_T2_T3_mT4_P12ihipStream_tbEUlT_E0_NS1_11comp_targetILNS1_3genE10ELNS1_11target_archE1200ELNS1_3gpuE4ELNS1_3repE0EEENS1_30default_config_static_selectorELNS0_4arch9wavefront6targetE1EEEvSK_
	.globl	_ZN7rocprim17ROCPRIM_400000_NS6detail17trampoline_kernelINS0_14default_configENS1_22reduce_config_selectorIsEEZNS1_11reduce_implILb1ES3_N6thrust23THRUST_200600_302600_NS6detail15normal_iteratorINS8_10device_ptrIsEEEEPss9plus_mod3IsEEE10hipError_tPvRmT1_T2_T3_mT4_P12ihipStream_tbEUlT_E0_NS1_11comp_targetILNS1_3genE10ELNS1_11target_archE1200ELNS1_3gpuE4ELNS1_3repE0EEENS1_30default_config_static_selectorELNS0_4arch9wavefront6targetE1EEEvSK_
	.p2align	8
	.type	_ZN7rocprim17ROCPRIM_400000_NS6detail17trampoline_kernelINS0_14default_configENS1_22reduce_config_selectorIsEEZNS1_11reduce_implILb1ES3_N6thrust23THRUST_200600_302600_NS6detail15normal_iteratorINS8_10device_ptrIsEEEEPss9plus_mod3IsEEE10hipError_tPvRmT1_T2_T3_mT4_P12ihipStream_tbEUlT_E0_NS1_11comp_targetILNS1_3genE10ELNS1_11target_archE1200ELNS1_3gpuE4ELNS1_3repE0EEENS1_30default_config_static_selectorELNS0_4arch9wavefront6targetE1EEEvSK_,@function
_ZN7rocprim17ROCPRIM_400000_NS6detail17trampoline_kernelINS0_14default_configENS1_22reduce_config_selectorIsEEZNS1_11reduce_implILb1ES3_N6thrust23THRUST_200600_302600_NS6detail15normal_iteratorINS8_10device_ptrIsEEEEPss9plus_mod3IsEEE10hipError_tPvRmT1_T2_T3_mT4_P12ihipStream_tbEUlT_E0_NS1_11comp_targetILNS1_3genE10ELNS1_11target_archE1200ELNS1_3gpuE4ELNS1_3repE0EEENS1_30default_config_static_selectorELNS0_4arch9wavefront6targetE1EEEvSK_: ; @_ZN7rocprim17ROCPRIM_400000_NS6detail17trampoline_kernelINS0_14default_configENS1_22reduce_config_selectorIsEEZNS1_11reduce_implILb1ES3_N6thrust23THRUST_200600_302600_NS6detail15normal_iteratorINS8_10device_ptrIsEEEEPss9plus_mod3IsEEE10hipError_tPvRmT1_T2_T3_mT4_P12ihipStream_tbEUlT_E0_NS1_11comp_targetILNS1_3genE10ELNS1_11target_archE1200ELNS1_3gpuE4ELNS1_3repE0EEENS1_30default_config_static_selectorELNS0_4arch9wavefront6targetE1EEEvSK_
; %bb.0:
	.section	.rodata,"a",@progbits
	.p2align	6, 0x0
	.amdhsa_kernel _ZN7rocprim17ROCPRIM_400000_NS6detail17trampoline_kernelINS0_14default_configENS1_22reduce_config_selectorIsEEZNS1_11reduce_implILb1ES3_N6thrust23THRUST_200600_302600_NS6detail15normal_iteratorINS8_10device_ptrIsEEEEPss9plus_mod3IsEEE10hipError_tPvRmT1_T2_T3_mT4_P12ihipStream_tbEUlT_E0_NS1_11comp_targetILNS1_3genE10ELNS1_11target_archE1200ELNS1_3gpuE4ELNS1_3repE0EEENS1_30default_config_static_selectorELNS0_4arch9wavefront6targetE1EEEvSK_
		.amdhsa_group_segment_fixed_size 0
		.amdhsa_private_segment_fixed_size 0
		.amdhsa_kernarg_size 64
		.amdhsa_user_sgpr_count 2
		.amdhsa_user_sgpr_dispatch_ptr 0
		.amdhsa_user_sgpr_queue_ptr 0
		.amdhsa_user_sgpr_kernarg_segment_ptr 1
		.amdhsa_user_sgpr_dispatch_id 0
		.amdhsa_user_sgpr_kernarg_preload_length 0
		.amdhsa_user_sgpr_kernarg_preload_offset 0
		.amdhsa_user_sgpr_private_segment_size 0
		.amdhsa_uses_dynamic_stack 0
		.amdhsa_enable_private_segment 0
		.amdhsa_system_sgpr_workgroup_id_x 1
		.amdhsa_system_sgpr_workgroup_id_y 0
		.amdhsa_system_sgpr_workgroup_id_z 0
		.amdhsa_system_sgpr_workgroup_info 0
		.amdhsa_system_vgpr_workitem_id 0
		.amdhsa_next_free_vgpr 1
		.amdhsa_next_free_sgpr 0
		.amdhsa_accum_offset 4
		.amdhsa_reserve_vcc 0
		.amdhsa_float_round_mode_32 0
		.amdhsa_float_round_mode_16_64 0
		.amdhsa_float_denorm_mode_32 3
		.amdhsa_float_denorm_mode_16_64 3
		.amdhsa_dx10_clamp 1
		.amdhsa_ieee_mode 1
		.amdhsa_fp16_overflow 0
		.amdhsa_tg_split 0
		.amdhsa_exception_fp_ieee_invalid_op 0
		.amdhsa_exception_fp_denorm_src 0
		.amdhsa_exception_fp_ieee_div_zero 0
		.amdhsa_exception_fp_ieee_overflow 0
		.amdhsa_exception_fp_ieee_underflow 0
		.amdhsa_exception_fp_ieee_inexact 0
		.amdhsa_exception_int_div_zero 0
	.end_amdhsa_kernel
	.section	.text._ZN7rocprim17ROCPRIM_400000_NS6detail17trampoline_kernelINS0_14default_configENS1_22reduce_config_selectorIsEEZNS1_11reduce_implILb1ES3_N6thrust23THRUST_200600_302600_NS6detail15normal_iteratorINS8_10device_ptrIsEEEEPss9plus_mod3IsEEE10hipError_tPvRmT1_T2_T3_mT4_P12ihipStream_tbEUlT_E0_NS1_11comp_targetILNS1_3genE10ELNS1_11target_archE1200ELNS1_3gpuE4ELNS1_3repE0EEENS1_30default_config_static_selectorELNS0_4arch9wavefront6targetE1EEEvSK_,"axG",@progbits,_ZN7rocprim17ROCPRIM_400000_NS6detail17trampoline_kernelINS0_14default_configENS1_22reduce_config_selectorIsEEZNS1_11reduce_implILb1ES3_N6thrust23THRUST_200600_302600_NS6detail15normal_iteratorINS8_10device_ptrIsEEEEPss9plus_mod3IsEEE10hipError_tPvRmT1_T2_T3_mT4_P12ihipStream_tbEUlT_E0_NS1_11comp_targetILNS1_3genE10ELNS1_11target_archE1200ELNS1_3gpuE4ELNS1_3repE0EEENS1_30default_config_static_selectorELNS0_4arch9wavefront6targetE1EEEvSK_,comdat
.Lfunc_end971:
	.size	_ZN7rocprim17ROCPRIM_400000_NS6detail17trampoline_kernelINS0_14default_configENS1_22reduce_config_selectorIsEEZNS1_11reduce_implILb1ES3_N6thrust23THRUST_200600_302600_NS6detail15normal_iteratorINS8_10device_ptrIsEEEEPss9plus_mod3IsEEE10hipError_tPvRmT1_T2_T3_mT4_P12ihipStream_tbEUlT_E0_NS1_11comp_targetILNS1_3genE10ELNS1_11target_archE1200ELNS1_3gpuE4ELNS1_3repE0EEENS1_30default_config_static_selectorELNS0_4arch9wavefront6targetE1EEEvSK_, .Lfunc_end971-_ZN7rocprim17ROCPRIM_400000_NS6detail17trampoline_kernelINS0_14default_configENS1_22reduce_config_selectorIsEEZNS1_11reduce_implILb1ES3_N6thrust23THRUST_200600_302600_NS6detail15normal_iteratorINS8_10device_ptrIsEEEEPss9plus_mod3IsEEE10hipError_tPvRmT1_T2_T3_mT4_P12ihipStream_tbEUlT_E0_NS1_11comp_targetILNS1_3genE10ELNS1_11target_archE1200ELNS1_3gpuE4ELNS1_3repE0EEENS1_30default_config_static_selectorELNS0_4arch9wavefront6targetE1EEEvSK_
                                        ; -- End function
	.set _ZN7rocprim17ROCPRIM_400000_NS6detail17trampoline_kernelINS0_14default_configENS1_22reduce_config_selectorIsEEZNS1_11reduce_implILb1ES3_N6thrust23THRUST_200600_302600_NS6detail15normal_iteratorINS8_10device_ptrIsEEEEPss9plus_mod3IsEEE10hipError_tPvRmT1_T2_T3_mT4_P12ihipStream_tbEUlT_E0_NS1_11comp_targetILNS1_3genE10ELNS1_11target_archE1200ELNS1_3gpuE4ELNS1_3repE0EEENS1_30default_config_static_selectorELNS0_4arch9wavefront6targetE1EEEvSK_.num_vgpr, 0
	.set _ZN7rocprim17ROCPRIM_400000_NS6detail17trampoline_kernelINS0_14default_configENS1_22reduce_config_selectorIsEEZNS1_11reduce_implILb1ES3_N6thrust23THRUST_200600_302600_NS6detail15normal_iteratorINS8_10device_ptrIsEEEEPss9plus_mod3IsEEE10hipError_tPvRmT1_T2_T3_mT4_P12ihipStream_tbEUlT_E0_NS1_11comp_targetILNS1_3genE10ELNS1_11target_archE1200ELNS1_3gpuE4ELNS1_3repE0EEENS1_30default_config_static_selectorELNS0_4arch9wavefront6targetE1EEEvSK_.num_agpr, 0
	.set _ZN7rocprim17ROCPRIM_400000_NS6detail17trampoline_kernelINS0_14default_configENS1_22reduce_config_selectorIsEEZNS1_11reduce_implILb1ES3_N6thrust23THRUST_200600_302600_NS6detail15normal_iteratorINS8_10device_ptrIsEEEEPss9plus_mod3IsEEE10hipError_tPvRmT1_T2_T3_mT4_P12ihipStream_tbEUlT_E0_NS1_11comp_targetILNS1_3genE10ELNS1_11target_archE1200ELNS1_3gpuE4ELNS1_3repE0EEENS1_30default_config_static_selectorELNS0_4arch9wavefront6targetE1EEEvSK_.numbered_sgpr, 0
	.set _ZN7rocprim17ROCPRIM_400000_NS6detail17trampoline_kernelINS0_14default_configENS1_22reduce_config_selectorIsEEZNS1_11reduce_implILb1ES3_N6thrust23THRUST_200600_302600_NS6detail15normal_iteratorINS8_10device_ptrIsEEEEPss9plus_mod3IsEEE10hipError_tPvRmT1_T2_T3_mT4_P12ihipStream_tbEUlT_E0_NS1_11comp_targetILNS1_3genE10ELNS1_11target_archE1200ELNS1_3gpuE4ELNS1_3repE0EEENS1_30default_config_static_selectorELNS0_4arch9wavefront6targetE1EEEvSK_.num_named_barrier, 0
	.set _ZN7rocprim17ROCPRIM_400000_NS6detail17trampoline_kernelINS0_14default_configENS1_22reduce_config_selectorIsEEZNS1_11reduce_implILb1ES3_N6thrust23THRUST_200600_302600_NS6detail15normal_iteratorINS8_10device_ptrIsEEEEPss9plus_mod3IsEEE10hipError_tPvRmT1_T2_T3_mT4_P12ihipStream_tbEUlT_E0_NS1_11comp_targetILNS1_3genE10ELNS1_11target_archE1200ELNS1_3gpuE4ELNS1_3repE0EEENS1_30default_config_static_selectorELNS0_4arch9wavefront6targetE1EEEvSK_.private_seg_size, 0
	.set _ZN7rocprim17ROCPRIM_400000_NS6detail17trampoline_kernelINS0_14default_configENS1_22reduce_config_selectorIsEEZNS1_11reduce_implILb1ES3_N6thrust23THRUST_200600_302600_NS6detail15normal_iteratorINS8_10device_ptrIsEEEEPss9plus_mod3IsEEE10hipError_tPvRmT1_T2_T3_mT4_P12ihipStream_tbEUlT_E0_NS1_11comp_targetILNS1_3genE10ELNS1_11target_archE1200ELNS1_3gpuE4ELNS1_3repE0EEENS1_30default_config_static_selectorELNS0_4arch9wavefront6targetE1EEEvSK_.uses_vcc, 0
	.set _ZN7rocprim17ROCPRIM_400000_NS6detail17trampoline_kernelINS0_14default_configENS1_22reduce_config_selectorIsEEZNS1_11reduce_implILb1ES3_N6thrust23THRUST_200600_302600_NS6detail15normal_iteratorINS8_10device_ptrIsEEEEPss9plus_mod3IsEEE10hipError_tPvRmT1_T2_T3_mT4_P12ihipStream_tbEUlT_E0_NS1_11comp_targetILNS1_3genE10ELNS1_11target_archE1200ELNS1_3gpuE4ELNS1_3repE0EEENS1_30default_config_static_selectorELNS0_4arch9wavefront6targetE1EEEvSK_.uses_flat_scratch, 0
	.set _ZN7rocprim17ROCPRIM_400000_NS6detail17trampoline_kernelINS0_14default_configENS1_22reduce_config_selectorIsEEZNS1_11reduce_implILb1ES3_N6thrust23THRUST_200600_302600_NS6detail15normal_iteratorINS8_10device_ptrIsEEEEPss9plus_mod3IsEEE10hipError_tPvRmT1_T2_T3_mT4_P12ihipStream_tbEUlT_E0_NS1_11comp_targetILNS1_3genE10ELNS1_11target_archE1200ELNS1_3gpuE4ELNS1_3repE0EEENS1_30default_config_static_selectorELNS0_4arch9wavefront6targetE1EEEvSK_.has_dyn_sized_stack, 0
	.set _ZN7rocprim17ROCPRIM_400000_NS6detail17trampoline_kernelINS0_14default_configENS1_22reduce_config_selectorIsEEZNS1_11reduce_implILb1ES3_N6thrust23THRUST_200600_302600_NS6detail15normal_iteratorINS8_10device_ptrIsEEEEPss9plus_mod3IsEEE10hipError_tPvRmT1_T2_T3_mT4_P12ihipStream_tbEUlT_E0_NS1_11comp_targetILNS1_3genE10ELNS1_11target_archE1200ELNS1_3gpuE4ELNS1_3repE0EEENS1_30default_config_static_selectorELNS0_4arch9wavefront6targetE1EEEvSK_.has_recursion, 0
	.set _ZN7rocprim17ROCPRIM_400000_NS6detail17trampoline_kernelINS0_14default_configENS1_22reduce_config_selectorIsEEZNS1_11reduce_implILb1ES3_N6thrust23THRUST_200600_302600_NS6detail15normal_iteratorINS8_10device_ptrIsEEEEPss9plus_mod3IsEEE10hipError_tPvRmT1_T2_T3_mT4_P12ihipStream_tbEUlT_E0_NS1_11comp_targetILNS1_3genE10ELNS1_11target_archE1200ELNS1_3gpuE4ELNS1_3repE0EEENS1_30default_config_static_selectorELNS0_4arch9wavefront6targetE1EEEvSK_.has_indirect_call, 0
	.section	.AMDGPU.csdata,"",@progbits
; Kernel info:
; codeLenInByte = 0
; TotalNumSgprs: 6
; NumVgprs: 0
; NumAgprs: 0
; TotalNumVgprs: 0
; ScratchSize: 0
; MemoryBound: 0
; FloatMode: 240
; IeeeMode: 1
; LDSByteSize: 0 bytes/workgroup (compile time only)
; SGPRBlocks: 0
; VGPRBlocks: 0
; NumSGPRsForWavesPerEU: 6
; NumVGPRsForWavesPerEU: 1
; AccumOffset: 4
; Occupancy: 8
; WaveLimiterHint : 0
; COMPUTE_PGM_RSRC2:SCRATCH_EN: 0
; COMPUTE_PGM_RSRC2:USER_SGPR: 2
; COMPUTE_PGM_RSRC2:TRAP_HANDLER: 0
; COMPUTE_PGM_RSRC2:TGID_X_EN: 1
; COMPUTE_PGM_RSRC2:TGID_Y_EN: 0
; COMPUTE_PGM_RSRC2:TGID_Z_EN: 0
; COMPUTE_PGM_RSRC2:TIDIG_COMP_CNT: 0
; COMPUTE_PGM_RSRC3_GFX90A:ACCUM_OFFSET: 0
; COMPUTE_PGM_RSRC3_GFX90A:TG_SPLIT: 0
	.section	.text._ZN7rocprim17ROCPRIM_400000_NS6detail17trampoline_kernelINS0_14default_configENS1_22reduce_config_selectorIsEEZNS1_11reduce_implILb1ES3_N6thrust23THRUST_200600_302600_NS6detail15normal_iteratorINS8_10device_ptrIsEEEEPss9plus_mod3IsEEE10hipError_tPvRmT1_T2_T3_mT4_P12ihipStream_tbEUlT_E0_NS1_11comp_targetILNS1_3genE9ELNS1_11target_archE1100ELNS1_3gpuE3ELNS1_3repE0EEENS1_30default_config_static_selectorELNS0_4arch9wavefront6targetE1EEEvSK_,"axG",@progbits,_ZN7rocprim17ROCPRIM_400000_NS6detail17trampoline_kernelINS0_14default_configENS1_22reduce_config_selectorIsEEZNS1_11reduce_implILb1ES3_N6thrust23THRUST_200600_302600_NS6detail15normal_iteratorINS8_10device_ptrIsEEEEPss9plus_mod3IsEEE10hipError_tPvRmT1_T2_T3_mT4_P12ihipStream_tbEUlT_E0_NS1_11comp_targetILNS1_3genE9ELNS1_11target_archE1100ELNS1_3gpuE3ELNS1_3repE0EEENS1_30default_config_static_selectorELNS0_4arch9wavefront6targetE1EEEvSK_,comdat
	.protected	_ZN7rocprim17ROCPRIM_400000_NS6detail17trampoline_kernelINS0_14default_configENS1_22reduce_config_selectorIsEEZNS1_11reduce_implILb1ES3_N6thrust23THRUST_200600_302600_NS6detail15normal_iteratorINS8_10device_ptrIsEEEEPss9plus_mod3IsEEE10hipError_tPvRmT1_T2_T3_mT4_P12ihipStream_tbEUlT_E0_NS1_11comp_targetILNS1_3genE9ELNS1_11target_archE1100ELNS1_3gpuE3ELNS1_3repE0EEENS1_30default_config_static_selectorELNS0_4arch9wavefront6targetE1EEEvSK_ ; -- Begin function _ZN7rocprim17ROCPRIM_400000_NS6detail17trampoline_kernelINS0_14default_configENS1_22reduce_config_selectorIsEEZNS1_11reduce_implILb1ES3_N6thrust23THRUST_200600_302600_NS6detail15normal_iteratorINS8_10device_ptrIsEEEEPss9plus_mod3IsEEE10hipError_tPvRmT1_T2_T3_mT4_P12ihipStream_tbEUlT_E0_NS1_11comp_targetILNS1_3genE9ELNS1_11target_archE1100ELNS1_3gpuE3ELNS1_3repE0EEENS1_30default_config_static_selectorELNS0_4arch9wavefront6targetE1EEEvSK_
	.globl	_ZN7rocprim17ROCPRIM_400000_NS6detail17trampoline_kernelINS0_14default_configENS1_22reduce_config_selectorIsEEZNS1_11reduce_implILb1ES3_N6thrust23THRUST_200600_302600_NS6detail15normal_iteratorINS8_10device_ptrIsEEEEPss9plus_mod3IsEEE10hipError_tPvRmT1_T2_T3_mT4_P12ihipStream_tbEUlT_E0_NS1_11comp_targetILNS1_3genE9ELNS1_11target_archE1100ELNS1_3gpuE3ELNS1_3repE0EEENS1_30default_config_static_selectorELNS0_4arch9wavefront6targetE1EEEvSK_
	.p2align	8
	.type	_ZN7rocprim17ROCPRIM_400000_NS6detail17trampoline_kernelINS0_14default_configENS1_22reduce_config_selectorIsEEZNS1_11reduce_implILb1ES3_N6thrust23THRUST_200600_302600_NS6detail15normal_iteratorINS8_10device_ptrIsEEEEPss9plus_mod3IsEEE10hipError_tPvRmT1_T2_T3_mT4_P12ihipStream_tbEUlT_E0_NS1_11comp_targetILNS1_3genE9ELNS1_11target_archE1100ELNS1_3gpuE3ELNS1_3repE0EEENS1_30default_config_static_selectorELNS0_4arch9wavefront6targetE1EEEvSK_,@function
_ZN7rocprim17ROCPRIM_400000_NS6detail17trampoline_kernelINS0_14default_configENS1_22reduce_config_selectorIsEEZNS1_11reduce_implILb1ES3_N6thrust23THRUST_200600_302600_NS6detail15normal_iteratorINS8_10device_ptrIsEEEEPss9plus_mod3IsEEE10hipError_tPvRmT1_T2_T3_mT4_P12ihipStream_tbEUlT_E0_NS1_11comp_targetILNS1_3genE9ELNS1_11target_archE1100ELNS1_3gpuE3ELNS1_3repE0EEENS1_30default_config_static_selectorELNS0_4arch9wavefront6targetE1EEEvSK_: ; @_ZN7rocprim17ROCPRIM_400000_NS6detail17trampoline_kernelINS0_14default_configENS1_22reduce_config_selectorIsEEZNS1_11reduce_implILb1ES3_N6thrust23THRUST_200600_302600_NS6detail15normal_iteratorINS8_10device_ptrIsEEEEPss9plus_mod3IsEEE10hipError_tPvRmT1_T2_T3_mT4_P12ihipStream_tbEUlT_E0_NS1_11comp_targetILNS1_3genE9ELNS1_11target_archE1100ELNS1_3gpuE3ELNS1_3repE0EEENS1_30default_config_static_selectorELNS0_4arch9wavefront6targetE1EEEvSK_
; %bb.0:
	.section	.rodata,"a",@progbits
	.p2align	6, 0x0
	.amdhsa_kernel _ZN7rocprim17ROCPRIM_400000_NS6detail17trampoline_kernelINS0_14default_configENS1_22reduce_config_selectorIsEEZNS1_11reduce_implILb1ES3_N6thrust23THRUST_200600_302600_NS6detail15normal_iteratorINS8_10device_ptrIsEEEEPss9plus_mod3IsEEE10hipError_tPvRmT1_T2_T3_mT4_P12ihipStream_tbEUlT_E0_NS1_11comp_targetILNS1_3genE9ELNS1_11target_archE1100ELNS1_3gpuE3ELNS1_3repE0EEENS1_30default_config_static_selectorELNS0_4arch9wavefront6targetE1EEEvSK_
		.amdhsa_group_segment_fixed_size 0
		.amdhsa_private_segment_fixed_size 0
		.amdhsa_kernarg_size 64
		.amdhsa_user_sgpr_count 2
		.amdhsa_user_sgpr_dispatch_ptr 0
		.amdhsa_user_sgpr_queue_ptr 0
		.amdhsa_user_sgpr_kernarg_segment_ptr 1
		.amdhsa_user_sgpr_dispatch_id 0
		.amdhsa_user_sgpr_kernarg_preload_length 0
		.amdhsa_user_sgpr_kernarg_preload_offset 0
		.amdhsa_user_sgpr_private_segment_size 0
		.amdhsa_uses_dynamic_stack 0
		.amdhsa_enable_private_segment 0
		.amdhsa_system_sgpr_workgroup_id_x 1
		.amdhsa_system_sgpr_workgroup_id_y 0
		.amdhsa_system_sgpr_workgroup_id_z 0
		.amdhsa_system_sgpr_workgroup_info 0
		.amdhsa_system_vgpr_workitem_id 0
		.amdhsa_next_free_vgpr 1
		.amdhsa_next_free_sgpr 0
		.amdhsa_accum_offset 4
		.amdhsa_reserve_vcc 0
		.amdhsa_float_round_mode_32 0
		.amdhsa_float_round_mode_16_64 0
		.amdhsa_float_denorm_mode_32 3
		.amdhsa_float_denorm_mode_16_64 3
		.amdhsa_dx10_clamp 1
		.amdhsa_ieee_mode 1
		.amdhsa_fp16_overflow 0
		.amdhsa_tg_split 0
		.amdhsa_exception_fp_ieee_invalid_op 0
		.amdhsa_exception_fp_denorm_src 0
		.amdhsa_exception_fp_ieee_div_zero 0
		.amdhsa_exception_fp_ieee_overflow 0
		.amdhsa_exception_fp_ieee_underflow 0
		.amdhsa_exception_fp_ieee_inexact 0
		.amdhsa_exception_int_div_zero 0
	.end_amdhsa_kernel
	.section	.text._ZN7rocprim17ROCPRIM_400000_NS6detail17trampoline_kernelINS0_14default_configENS1_22reduce_config_selectorIsEEZNS1_11reduce_implILb1ES3_N6thrust23THRUST_200600_302600_NS6detail15normal_iteratorINS8_10device_ptrIsEEEEPss9plus_mod3IsEEE10hipError_tPvRmT1_T2_T3_mT4_P12ihipStream_tbEUlT_E0_NS1_11comp_targetILNS1_3genE9ELNS1_11target_archE1100ELNS1_3gpuE3ELNS1_3repE0EEENS1_30default_config_static_selectorELNS0_4arch9wavefront6targetE1EEEvSK_,"axG",@progbits,_ZN7rocprim17ROCPRIM_400000_NS6detail17trampoline_kernelINS0_14default_configENS1_22reduce_config_selectorIsEEZNS1_11reduce_implILb1ES3_N6thrust23THRUST_200600_302600_NS6detail15normal_iteratorINS8_10device_ptrIsEEEEPss9plus_mod3IsEEE10hipError_tPvRmT1_T2_T3_mT4_P12ihipStream_tbEUlT_E0_NS1_11comp_targetILNS1_3genE9ELNS1_11target_archE1100ELNS1_3gpuE3ELNS1_3repE0EEENS1_30default_config_static_selectorELNS0_4arch9wavefront6targetE1EEEvSK_,comdat
.Lfunc_end972:
	.size	_ZN7rocprim17ROCPRIM_400000_NS6detail17trampoline_kernelINS0_14default_configENS1_22reduce_config_selectorIsEEZNS1_11reduce_implILb1ES3_N6thrust23THRUST_200600_302600_NS6detail15normal_iteratorINS8_10device_ptrIsEEEEPss9plus_mod3IsEEE10hipError_tPvRmT1_T2_T3_mT4_P12ihipStream_tbEUlT_E0_NS1_11comp_targetILNS1_3genE9ELNS1_11target_archE1100ELNS1_3gpuE3ELNS1_3repE0EEENS1_30default_config_static_selectorELNS0_4arch9wavefront6targetE1EEEvSK_, .Lfunc_end972-_ZN7rocprim17ROCPRIM_400000_NS6detail17trampoline_kernelINS0_14default_configENS1_22reduce_config_selectorIsEEZNS1_11reduce_implILb1ES3_N6thrust23THRUST_200600_302600_NS6detail15normal_iteratorINS8_10device_ptrIsEEEEPss9plus_mod3IsEEE10hipError_tPvRmT1_T2_T3_mT4_P12ihipStream_tbEUlT_E0_NS1_11comp_targetILNS1_3genE9ELNS1_11target_archE1100ELNS1_3gpuE3ELNS1_3repE0EEENS1_30default_config_static_selectorELNS0_4arch9wavefront6targetE1EEEvSK_
                                        ; -- End function
	.set _ZN7rocprim17ROCPRIM_400000_NS6detail17trampoline_kernelINS0_14default_configENS1_22reduce_config_selectorIsEEZNS1_11reduce_implILb1ES3_N6thrust23THRUST_200600_302600_NS6detail15normal_iteratorINS8_10device_ptrIsEEEEPss9plus_mod3IsEEE10hipError_tPvRmT1_T2_T3_mT4_P12ihipStream_tbEUlT_E0_NS1_11comp_targetILNS1_3genE9ELNS1_11target_archE1100ELNS1_3gpuE3ELNS1_3repE0EEENS1_30default_config_static_selectorELNS0_4arch9wavefront6targetE1EEEvSK_.num_vgpr, 0
	.set _ZN7rocprim17ROCPRIM_400000_NS6detail17trampoline_kernelINS0_14default_configENS1_22reduce_config_selectorIsEEZNS1_11reduce_implILb1ES3_N6thrust23THRUST_200600_302600_NS6detail15normal_iteratorINS8_10device_ptrIsEEEEPss9plus_mod3IsEEE10hipError_tPvRmT1_T2_T3_mT4_P12ihipStream_tbEUlT_E0_NS1_11comp_targetILNS1_3genE9ELNS1_11target_archE1100ELNS1_3gpuE3ELNS1_3repE0EEENS1_30default_config_static_selectorELNS0_4arch9wavefront6targetE1EEEvSK_.num_agpr, 0
	.set _ZN7rocprim17ROCPRIM_400000_NS6detail17trampoline_kernelINS0_14default_configENS1_22reduce_config_selectorIsEEZNS1_11reduce_implILb1ES3_N6thrust23THRUST_200600_302600_NS6detail15normal_iteratorINS8_10device_ptrIsEEEEPss9plus_mod3IsEEE10hipError_tPvRmT1_T2_T3_mT4_P12ihipStream_tbEUlT_E0_NS1_11comp_targetILNS1_3genE9ELNS1_11target_archE1100ELNS1_3gpuE3ELNS1_3repE0EEENS1_30default_config_static_selectorELNS0_4arch9wavefront6targetE1EEEvSK_.numbered_sgpr, 0
	.set _ZN7rocprim17ROCPRIM_400000_NS6detail17trampoline_kernelINS0_14default_configENS1_22reduce_config_selectorIsEEZNS1_11reduce_implILb1ES3_N6thrust23THRUST_200600_302600_NS6detail15normal_iteratorINS8_10device_ptrIsEEEEPss9plus_mod3IsEEE10hipError_tPvRmT1_T2_T3_mT4_P12ihipStream_tbEUlT_E0_NS1_11comp_targetILNS1_3genE9ELNS1_11target_archE1100ELNS1_3gpuE3ELNS1_3repE0EEENS1_30default_config_static_selectorELNS0_4arch9wavefront6targetE1EEEvSK_.num_named_barrier, 0
	.set _ZN7rocprim17ROCPRIM_400000_NS6detail17trampoline_kernelINS0_14default_configENS1_22reduce_config_selectorIsEEZNS1_11reduce_implILb1ES3_N6thrust23THRUST_200600_302600_NS6detail15normal_iteratorINS8_10device_ptrIsEEEEPss9plus_mod3IsEEE10hipError_tPvRmT1_T2_T3_mT4_P12ihipStream_tbEUlT_E0_NS1_11comp_targetILNS1_3genE9ELNS1_11target_archE1100ELNS1_3gpuE3ELNS1_3repE0EEENS1_30default_config_static_selectorELNS0_4arch9wavefront6targetE1EEEvSK_.private_seg_size, 0
	.set _ZN7rocprim17ROCPRIM_400000_NS6detail17trampoline_kernelINS0_14default_configENS1_22reduce_config_selectorIsEEZNS1_11reduce_implILb1ES3_N6thrust23THRUST_200600_302600_NS6detail15normal_iteratorINS8_10device_ptrIsEEEEPss9plus_mod3IsEEE10hipError_tPvRmT1_T2_T3_mT4_P12ihipStream_tbEUlT_E0_NS1_11comp_targetILNS1_3genE9ELNS1_11target_archE1100ELNS1_3gpuE3ELNS1_3repE0EEENS1_30default_config_static_selectorELNS0_4arch9wavefront6targetE1EEEvSK_.uses_vcc, 0
	.set _ZN7rocprim17ROCPRIM_400000_NS6detail17trampoline_kernelINS0_14default_configENS1_22reduce_config_selectorIsEEZNS1_11reduce_implILb1ES3_N6thrust23THRUST_200600_302600_NS6detail15normal_iteratorINS8_10device_ptrIsEEEEPss9plus_mod3IsEEE10hipError_tPvRmT1_T2_T3_mT4_P12ihipStream_tbEUlT_E0_NS1_11comp_targetILNS1_3genE9ELNS1_11target_archE1100ELNS1_3gpuE3ELNS1_3repE0EEENS1_30default_config_static_selectorELNS0_4arch9wavefront6targetE1EEEvSK_.uses_flat_scratch, 0
	.set _ZN7rocprim17ROCPRIM_400000_NS6detail17trampoline_kernelINS0_14default_configENS1_22reduce_config_selectorIsEEZNS1_11reduce_implILb1ES3_N6thrust23THRUST_200600_302600_NS6detail15normal_iteratorINS8_10device_ptrIsEEEEPss9plus_mod3IsEEE10hipError_tPvRmT1_T2_T3_mT4_P12ihipStream_tbEUlT_E0_NS1_11comp_targetILNS1_3genE9ELNS1_11target_archE1100ELNS1_3gpuE3ELNS1_3repE0EEENS1_30default_config_static_selectorELNS0_4arch9wavefront6targetE1EEEvSK_.has_dyn_sized_stack, 0
	.set _ZN7rocprim17ROCPRIM_400000_NS6detail17trampoline_kernelINS0_14default_configENS1_22reduce_config_selectorIsEEZNS1_11reduce_implILb1ES3_N6thrust23THRUST_200600_302600_NS6detail15normal_iteratorINS8_10device_ptrIsEEEEPss9plus_mod3IsEEE10hipError_tPvRmT1_T2_T3_mT4_P12ihipStream_tbEUlT_E0_NS1_11comp_targetILNS1_3genE9ELNS1_11target_archE1100ELNS1_3gpuE3ELNS1_3repE0EEENS1_30default_config_static_selectorELNS0_4arch9wavefront6targetE1EEEvSK_.has_recursion, 0
	.set _ZN7rocprim17ROCPRIM_400000_NS6detail17trampoline_kernelINS0_14default_configENS1_22reduce_config_selectorIsEEZNS1_11reduce_implILb1ES3_N6thrust23THRUST_200600_302600_NS6detail15normal_iteratorINS8_10device_ptrIsEEEEPss9plus_mod3IsEEE10hipError_tPvRmT1_T2_T3_mT4_P12ihipStream_tbEUlT_E0_NS1_11comp_targetILNS1_3genE9ELNS1_11target_archE1100ELNS1_3gpuE3ELNS1_3repE0EEENS1_30default_config_static_selectorELNS0_4arch9wavefront6targetE1EEEvSK_.has_indirect_call, 0
	.section	.AMDGPU.csdata,"",@progbits
; Kernel info:
; codeLenInByte = 0
; TotalNumSgprs: 6
; NumVgprs: 0
; NumAgprs: 0
; TotalNumVgprs: 0
; ScratchSize: 0
; MemoryBound: 0
; FloatMode: 240
; IeeeMode: 1
; LDSByteSize: 0 bytes/workgroup (compile time only)
; SGPRBlocks: 0
; VGPRBlocks: 0
; NumSGPRsForWavesPerEU: 6
; NumVGPRsForWavesPerEU: 1
; AccumOffset: 4
; Occupancy: 8
; WaveLimiterHint : 0
; COMPUTE_PGM_RSRC2:SCRATCH_EN: 0
; COMPUTE_PGM_RSRC2:USER_SGPR: 2
; COMPUTE_PGM_RSRC2:TRAP_HANDLER: 0
; COMPUTE_PGM_RSRC2:TGID_X_EN: 1
; COMPUTE_PGM_RSRC2:TGID_Y_EN: 0
; COMPUTE_PGM_RSRC2:TGID_Z_EN: 0
; COMPUTE_PGM_RSRC2:TIDIG_COMP_CNT: 0
; COMPUTE_PGM_RSRC3_GFX90A:ACCUM_OFFSET: 0
; COMPUTE_PGM_RSRC3_GFX90A:TG_SPLIT: 0
	.section	.text._ZN7rocprim17ROCPRIM_400000_NS6detail17trampoline_kernelINS0_14default_configENS1_22reduce_config_selectorIsEEZNS1_11reduce_implILb1ES3_N6thrust23THRUST_200600_302600_NS6detail15normal_iteratorINS8_10device_ptrIsEEEEPss9plus_mod3IsEEE10hipError_tPvRmT1_T2_T3_mT4_P12ihipStream_tbEUlT_E0_NS1_11comp_targetILNS1_3genE8ELNS1_11target_archE1030ELNS1_3gpuE2ELNS1_3repE0EEENS1_30default_config_static_selectorELNS0_4arch9wavefront6targetE1EEEvSK_,"axG",@progbits,_ZN7rocprim17ROCPRIM_400000_NS6detail17trampoline_kernelINS0_14default_configENS1_22reduce_config_selectorIsEEZNS1_11reduce_implILb1ES3_N6thrust23THRUST_200600_302600_NS6detail15normal_iteratorINS8_10device_ptrIsEEEEPss9plus_mod3IsEEE10hipError_tPvRmT1_T2_T3_mT4_P12ihipStream_tbEUlT_E0_NS1_11comp_targetILNS1_3genE8ELNS1_11target_archE1030ELNS1_3gpuE2ELNS1_3repE0EEENS1_30default_config_static_selectorELNS0_4arch9wavefront6targetE1EEEvSK_,comdat
	.protected	_ZN7rocprim17ROCPRIM_400000_NS6detail17trampoline_kernelINS0_14default_configENS1_22reduce_config_selectorIsEEZNS1_11reduce_implILb1ES3_N6thrust23THRUST_200600_302600_NS6detail15normal_iteratorINS8_10device_ptrIsEEEEPss9plus_mod3IsEEE10hipError_tPvRmT1_T2_T3_mT4_P12ihipStream_tbEUlT_E0_NS1_11comp_targetILNS1_3genE8ELNS1_11target_archE1030ELNS1_3gpuE2ELNS1_3repE0EEENS1_30default_config_static_selectorELNS0_4arch9wavefront6targetE1EEEvSK_ ; -- Begin function _ZN7rocprim17ROCPRIM_400000_NS6detail17trampoline_kernelINS0_14default_configENS1_22reduce_config_selectorIsEEZNS1_11reduce_implILb1ES3_N6thrust23THRUST_200600_302600_NS6detail15normal_iteratorINS8_10device_ptrIsEEEEPss9plus_mod3IsEEE10hipError_tPvRmT1_T2_T3_mT4_P12ihipStream_tbEUlT_E0_NS1_11comp_targetILNS1_3genE8ELNS1_11target_archE1030ELNS1_3gpuE2ELNS1_3repE0EEENS1_30default_config_static_selectorELNS0_4arch9wavefront6targetE1EEEvSK_
	.globl	_ZN7rocprim17ROCPRIM_400000_NS6detail17trampoline_kernelINS0_14default_configENS1_22reduce_config_selectorIsEEZNS1_11reduce_implILb1ES3_N6thrust23THRUST_200600_302600_NS6detail15normal_iteratorINS8_10device_ptrIsEEEEPss9plus_mod3IsEEE10hipError_tPvRmT1_T2_T3_mT4_P12ihipStream_tbEUlT_E0_NS1_11comp_targetILNS1_3genE8ELNS1_11target_archE1030ELNS1_3gpuE2ELNS1_3repE0EEENS1_30default_config_static_selectorELNS0_4arch9wavefront6targetE1EEEvSK_
	.p2align	8
	.type	_ZN7rocprim17ROCPRIM_400000_NS6detail17trampoline_kernelINS0_14default_configENS1_22reduce_config_selectorIsEEZNS1_11reduce_implILb1ES3_N6thrust23THRUST_200600_302600_NS6detail15normal_iteratorINS8_10device_ptrIsEEEEPss9plus_mod3IsEEE10hipError_tPvRmT1_T2_T3_mT4_P12ihipStream_tbEUlT_E0_NS1_11comp_targetILNS1_3genE8ELNS1_11target_archE1030ELNS1_3gpuE2ELNS1_3repE0EEENS1_30default_config_static_selectorELNS0_4arch9wavefront6targetE1EEEvSK_,@function
_ZN7rocprim17ROCPRIM_400000_NS6detail17trampoline_kernelINS0_14default_configENS1_22reduce_config_selectorIsEEZNS1_11reduce_implILb1ES3_N6thrust23THRUST_200600_302600_NS6detail15normal_iteratorINS8_10device_ptrIsEEEEPss9plus_mod3IsEEE10hipError_tPvRmT1_T2_T3_mT4_P12ihipStream_tbEUlT_E0_NS1_11comp_targetILNS1_3genE8ELNS1_11target_archE1030ELNS1_3gpuE2ELNS1_3repE0EEENS1_30default_config_static_selectorELNS0_4arch9wavefront6targetE1EEEvSK_: ; @_ZN7rocprim17ROCPRIM_400000_NS6detail17trampoline_kernelINS0_14default_configENS1_22reduce_config_selectorIsEEZNS1_11reduce_implILb1ES3_N6thrust23THRUST_200600_302600_NS6detail15normal_iteratorINS8_10device_ptrIsEEEEPss9plus_mod3IsEEE10hipError_tPvRmT1_T2_T3_mT4_P12ihipStream_tbEUlT_E0_NS1_11comp_targetILNS1_3genE8ELNS1_11target_archE1030ELNS1_3gpuE2ELNS1_3repE0EEENS1_30default_config_static_selectorELNS0_4arch9wavefront6targetE1EEEvSK_
; %bb.0:
	.section	.rodata,"a",@progbits
	.p2align	6, 0x0
	.amdhsa_kernel _ZN7rocprim17ROCPRIM_400000_NS6detail17trampoline_kernelINS0_14default_configENS1_22reduce_config_selectorIsEEZNS1_11reduce_implILb1ES3_N6thrust23THRUST_200600_302600_NS6detail15normal_iteratorINS8_10device_ptrIsEEEEPss9plus_mod3IsEEE10hipError_tPvRmT1_T2_T3_mT4_P12ihipStream_tbEUlT_E0_NS1_11comp_targetILNS1_3genE8ELNS1_11target_archE1030ELNS1_3gpuE2ELNS1_3repE0EEENS1_30default_config_static_selectorELNS0_4arch9wavefront6targetE1EEEvSK_
		.amdhsa_group_segment_fixed_size 0
		.amdhsa_private_segment_fixed_size 0
		.amdhsa_kernarg_size 64
		.amdhsa_user_sgpr_count 2
		.amdhsa_user_sgpr_dispatch_ptr 0
		.amdhsa_user_sgpr_queue_ptr 0
		.amdhsa_user_sgpr_kernarg_segment_ptr 1
		.amdhsa_user_sgpr_dispatch_id 0
		.amdhsa_user_sgpr_kernarg_preload_length 0
		.amdhsa_user_sgpr_kernarg_preload_offset 0
		.amdhsa_user_sgpr_private_segment_size 0
		.amdhsa_uses_dynamic_stack 0
		.amdhsa_enable_private_segment 0
		.amdhsa_system_sgpr_workgroup_id_x 1
		.amdhsa_system_sgpr_workgroup_id_y 0
		.amdhsa_system_sgpr_workgroup_id_z 0
		.amdhsa_system_sgpr_workgroup_info 0
		.amdhsa_system_vgpr_workitem_id 0
		.amdhsa_next_free_vgpr 1
		.amdhsa_next_free_sgpr 0
		.amdhsa_accum_offset 4
		.amdhsa_reserve_vcc 0
		.amdhsa_float_round_mode_32 0
		.amdhsa_float_round_mode_16_64 0
		.amdhsa_float_denorm_mode_32 3
		.amdhsa_float_denorm_mode_16_64 3
		.amdhsa_dx10_clamp 1
		.amdhsa_ieee_mode 1
		.amdhsa_fp16_overflow 0
		.amdhsa_tg_split 0
		.amdhsa_exception_fp_ieee_invalid_op 0
		.amdhsa_exception_fp_denorm_src 0
		.amdhsa_exception_fp_ieee_div_zero 0
		.amdhsa_exception_fp_ieee_overflow 0
		.amdhsa_exception_fp_ieee_underflow 0
		.amdhsa_exception_fp_ieee_inexact 0
		.amdhsa_exception_int_div_zero 0
	.end_amdhsa_kernel
	.section	.text._ZN7rocprim17ROCPRIM_400000_NS6detail17trampoline_kernelINS0_14default_configENS1_22reduce_config_selectorIsEEZNS1_11reduce_implILb1ES3_N6thrust23THRUST_200600_302600_NS6detail15normal_iteratorINS8_10device_ptrIsEEEEPss9plus_mod3IsEEE10hipError_tPvRmT1_T2_T3_mT4_P12ihipStream_tbEUlT_E0_NS1_11comp_targetILNS1_3genE8ELNS1_11target_archE1030ELNS1_3gpuE2ELNS1_3repE0EEENS1_30default_config_static_selectorELNS0_4arch9wavefront6targetE1EEEvSK_,"axG",@progbits,_ZN7rocprim17ROCPRIM_400000_NS6detail17trampoline_kernelINS0_14default_configENS1_22reduce_config_selectorIsEEZNS1_11reduce_implILb1ES3_N6thrust23THRUST_200600_302600_NS6detail15normal_iteratorINS8_10device_ptrIsEEEEPss9plus_mod3IsEEE10hipError_tPvRmT1_T2_T3_mT4_P12ihipStream_tbEUlT_E0_NS1_11comp_targetILNS1_3genE8ELNS1_11target_archE1030ELNS1_3gpuE2ELNS1_3repE0EEENS1_30default_config_static_selectorELNS0_4arch9wavefront6targetE1EEEvSK_,comdat
.Lfunc_end973:
	.size	_ZN7rocprim17ROCPRIM_400000_NS6detail17trampoline_kernelINS0_14default_configENS1_22reduce_config_selectorIsEEZNS1_11reduce_implILb1ES3_N6thrust23THRUST_200600_302600_NS6detail15normal_iteratorINS8_10device_ptrIsEEEEPss9plus_mod3IsEEE10hipError_tPvRmT1_T2_T3_mT4_P12ihipStream_tbEUlT_E0_NS1_11comp_targetILNS1_3genE8ELNS1_11target_archE1030ELNS1_3gpuE2ELNS1_3repE0EEENS1_30default_config_static_selectorELNS0_4arch9wavefront6targetE1EEEvSK_, .Lfunc_end973-_ZN7rocprim17ROCPRIM_400000_NS6detail17trampoline_kernelINS0_14default_configENS1_22reduce_config_selectorIsEEZNS1_11reduce_implILb1ES3_N6thrust23THRUST_200600_302600_NS6detail15normal_iteratorINS8_10device_ptrIsEEEEPss9plus_mod3IsEEE10hipError_tPvRmT1_T2_T3_mT4_P12ihipStream_tbEUlT_E0_NS1_11comp_targetILNS1_3genE8ELNS1_11target_archE1030ELNS1_3gpuE2ELNS1_3repE0EEENS1_30default_config_static_selectorELNS0_4arch9wavefront6targetE1EEEvSK_
                                        ; -- End function
	.set _ZN7rocprim17ROCPRIM_400000_NS6detail17trampoline_kernelINS0_14default_configENS1_22reduce_config_selectorIsEEZNS1_11reduce_implILb1ES3_N6thrust23THRUST_200600_302600_NS6detail15normal_iteratorINS8_10device_ptrIsEEEEPss9plus_mod3IsEEE10hipError_tPvRmT1_T2_T3_mT4_P12ihipStream_tbEUlT_E0_NS1_11comp_targetILNS1_3genE8ELNS1_11target_archE1030ELNS1_3gpuE2ELNS1_3repE0EEENS1_30default_config_static_selectorELNS0_4arch9wavefront6targetE1EEEvSK_.num_vgpr, 0
	.set _ZN7rocprim17ROCPRIM_400000_NS6detail17trampoline_kernelINS0_14default_configENS1_22reduce_config_selectorIsEEZNS1_11reduce_implILb1ES3_N6thrust23THRUST_200600_302600_NS6detail15normal_iteratorINS8_10device_ptrIsEEEEPss9plus_mod3IsEEE10hipError_tPvRmT1_T2_T3_mT4_P12ihipStream_tbEUlT_E0_NS1_11comp_targetILNS1_3genE8ELNS1_11target_archE1030ELNS1_3gpuE2ELNS1_3repE0EEENS1_30default_config_static_selectorELNS0_4arch9wavefront6targetE1EEEvSK_.num_agpr, 0
	.set _ZN7rocprim17ROCPRIM_400000_NS6detail17trampoline_kernelINS0_14default_configENS1_22reduce_config_selectorIsEEZNS1_11reduce_implILb1ES3_N6thrust23THRUST_200600_302600_NS6detail15normal_iteratorINS8_10device_ptrIsEEEEPss9plus_mod3IsEEE10hipError_tPvRmT1_T2_T3_mT4_P12ihipStream_tbEUlT_E0_NS1_11comp_targetILNS1_3genE8ELNS1_11target_archE1030ELNS1_3gpuE2ELNS1_3repE0EEENS1_30default_config_static_selectorELNS0_4arch9wavefront6targetE1EEEvSK_.numbered_sgpr, 0
	.set _ZN7rocprim17ROCPRIM_400000_NS6detail17trampoline_kernelINS0_14default_configENS1_22reduce_config_selectorIsEEZNS1_11reduce_implILb1ES3_N6thrust23THRUST_200600_302600_NS6detail15normal_iteratorINS8_10device_ptrIsEEEEPss9plus_mod3IsEEE10hipError_tPvRmT1_T2_T3_mT4_P12ihipStream_tbEUlT_E0_NS1_11comp_targetILNS1_3genE8ELNS1_11target_archE1030ELNS1_3gpuE2ELNS1_3repE0EEENS1_30default_config_static_selectorELNS0_4arch9wavefront6targetE1EEEvSK_.num_named_barrier, 0
	.set _ZN7rocprim17ROCPRIM_400000_NS6detail17trampoline_kernelINS0_14default_configENS1_22reduce_config_selectorIsEEZNS1_11reduce_implILb1ES3_N6thrust23THRUST_200600_302600_NS6detail15normal_iteratorINS8_10device_ptrIsEEEEPss9plus_mod3IsEEE10hipError_tPvRmT1_T2_T3_mT4_P12ihipStream_tbEUlT_E0_NS1_11comp_targetILNS1_3genE8ELNS1_11target_archE1030ELNS1_3gpuE2ELNS1_3repE0EEENS1_30default_config_static_selectorELNS0_4arch9wavefront6targetE1EEEvSK_.private_seg_size, 0
	.set _ZN7rocprim17ROCPRIM_400000_NS6detail17trampoline_kernelINS0_14default_configENS1_22reduce_config_selectorIsEEZNS1_11reduce_implILb1ES3_N6thrust23THRUST_200600_302600_NS6detail15normal_iteratorINS8_10device_ptrIsEEEEPss9plus_mod3IsEEE10hipError_tPvRmT1_T2_T3_mT4_P12ihipStream_tbEUlT_E0_NS1_11comp_targetILNS1_3genE8ELNS1_11target_archE1030ELNS1_3gpuE2ELNS1_3repE0EEENS1_30default_config_static_selectorELNS0_4arch9wavefront6targetE1EEEvSK_.uses_vcc, 0
	.set _ZN7rocprim17ROCPRIM_400000_NS6detail17trampoline_kernelINS0_14default_configENS1_22reduce_config_selectorIsEEZNS1_11reduce_implILb1ES3_N6thrust23THRUST_200600_302600_NS6detail15normal_iteratorINS8_10device_ptrIsEEEEPss9plus_mod3IsEEE10hipError_tPvRmT1_T2_T3_mT4_P12ihipStream_tbEUlT_E0_NS1_11comp_targetILNS1_3genE8ELNS1_11target_archE1030ELNS1_3gpuE2ELNS1_3repE0EEENS1_30default_config_static_selectorELNS0_4arch9wavefront6targetE1EEEvSK_.uses_flat_scratch, 0
	.set _ZN7rocprim17ROCPRIM_400000_NS6detail17trampoline_kernelINS0_14default_configENS1_22reduce_config_selectorIsEEZNS1_11reduce_implILb1ES3_N6thrust23THRUST_200600_302600_NS6detail15normal_iteratorINS8_10device_ptrIsEEEEPss9plus_mod3IsEEE10hipError_tPvRmT1_T2_T3_mT4_P12ihipStream_tbEUlT_E0_NS1_11comp_targetILNS1_3genE8ELNS1_11target_archE1030ELNS1_3gpuE2ELNS1_3repE0EEENS1_30default_config_static_selectorELNS0_4arch9wavefront6targetE1EEEvSK_.has_dyn_sized_stack, 0
	.set _ZN7rocprim17ROCPRIM_400000_NS6detail17trampoline_kernelINS0_14default_configENS1_22reduce_config_selectorIsEEZNS1_11reduce_implILb1ES3_N6thrust23THRUST_200600_302600_NS6detail15normal_iteratorINS8_10device_ptrIsEEEEPss9plus_mod3IsEEE10hipError_tPvRmT1_T2_T3_mT4_P12ihipStream_tbEUlT_E0_NS1_11comp_targetILNS1_3genE8ELNS1_11target_archE1030ELNS1_3gpuE2ELNS1_3repE0EEENS1_30default_config_static_selectorELNS0_4arch9wavefront6targetE1EEEvSK_.has_recursion, 0
	.set _ZN7rocprim17ROCPRIM_400000_NS6detail17trampoline_kernelINS0_14default_configENS1_22reduce_config_selectorIsEEZNS1_11reduce_implILb1ES3_N6thrust23THRUST_200600_302600_NS6detail15normal_iteratorINS8_10device_ptrIsEEEEPss9plus_mod3IsEEE10hipError_tPvRmT1_T2_T3_mT4_P12ihipStream_tbEUlT_E0_NS1_11comp_targetILNS1_3genE8ELNS1_11target_archE1030ELNS1_3gpuE2ELNS1_3repE0EEENS1_30default_config_static_selectorELNS0_4arch9wavefront6targetE1EEEvSK_.has_indirect_call, 0
	.section	.AMDGPU.csdata,"",@progbits
; Kernel info:
; codeLenInByte = 0
; TotalNumSgprs: 6
; NumVgprs: 0
; NumAgprs: 0
; TotalNumVgprs: 0
; ScratchSize: 0
; MemoryBound: 0
; FloatMode: 240
; IeeeMode: 1
; LDSByteSize: 0 bytes/workgroup (compile time only)
; SGPRBlocks: 0
; VGPRBlocks: 0
; NumSGPRsForWavesPerEU: 6
; NumVGPRsForWavesPerEU: 1
; AccumOffset: 4
; Occupancy: 8
; WaveLimiterHint : 0
; COMPUTE_PGM_RSRC2:SCRATCH_EN: 0
; COMPUTE_PGM_RSRC2:USER_SGPR: 2
; COMPUTE_PGM_RSRC2:TRAP_HANDLER: 0
; COMPUTE_PGM_RSRC2:TGID_X_EN: 1
; COMPUTE_PGM_RSRC2:TGID_Y_EN: 0
; COMPUTE_PGM_RSRC2:TGID_Z_EN: 0
; COMPUTE_PGM_RSRC2:TIDIG_COMP_CNT: 0
; COMPUTE_PGM_RSRC3_GFX90A:ACCUM_OFFSET: 0
; COMPUTE_PGM_RSRC3_GFX90A:TG_SPLIT: 0
	.section	.text._ZN7rocprim17ROCPRIM_400000_NS6detail17trampoline_kernelINS0_14default_configENS1_22reduce_config_selectorIsEEZNS1_11reduce_implILb1ES3_N6thrust23THRUST_200600_302600_NS6detail15normal_iteratorINS8_10device_ptrIsEEEEPss9plus_mod3IsEEE10hipError_tPvRmT1_T2_T3_mT4_P12ihipStream_tbEUlT_E1_NS1_11comp_targetILNS1_3genE0ELNS1_11target_archE4294967295ELNS1_3gpuE0ELNS1_3repE0EEENS1_30default_config_static_selectorELNS0_4arch9wavefront6targetE1EEEvSK_,"axG",@progbits,_ZN7rocprim17ROCPRIM_400000_NS6detail17trampoline_kernelINS0_14default_configENS1_22reduce_config_selectorIsEEZNS1_11reduce_implILb1ES3_N6thrust23THRUST_200600_302600_NS6detail15normal_iteratorINS8_10device_ptrIsEEEEPss9plus_mod3IsEEE10hipError_tPvRmT1_T2_T3_mT4_P12ihipStream_tbEUlT_E1_NS1_11comp_targetILNS1_3genE0ELNS1_11target_archE4294967295ELNS1_3gpuE0ELNS1_3repE0EEENS1_30default_config_static_selectorELNS0_4arch9wavefront6targetE1EEEvSK_,comdat
	.protected	_ZN7rocprim17ROCPRIM_400000_NS6detail17trampoline_kernelINS0_14default_configENS1_22reduce_config_selectorIsEEZNS1_11reduce_implILb1ES3_N6thrust23THRUST_200600_302600_NS6detail15normal_iteratorINS8_10device_ptrIsEEEEPss9plus_mod3IsEEE10hipError_tPvRmT1_T2_T3_mT4_P12ihipStream_tbEUlT_E1_NS1_11comp_targetILNS1_3genE0ELNS1_11target_archE4294967295ELNS1_3gpuE0ELNS1_3repE0EEENS1_30default_config_static_selectorELNS0_4arch9wavefront6targetE1EEEvSK_ ; -- Begin function _ZN7rocprim17ROCPRIM_400000_NS6detail17trampoline_kernelINS0_14default_configENS1_22reduce_config_selectorIsEEZNS1_11reduce_implILb1ES3_N6thrust23THRUST_200600_302600_NS6detail15normal_iteratorINS8_10device_ptrIsEEEEPss9plus_mod3IsEEE10hipError_tPvRmT1_T2_T3_mT4_P12ihipStream_tbEUlT_E1_NS1_11comp_targetILNS1_3genE0ELNS1_11target_archE4294967295ELNS1_3gpuE0ELNS1_3repE0EEENS1_30default_config_static_selectorELNS0_4arch9wavefront6targetE1EEEvSK_
	.globl	_ZN7rocprim17ROCPRIM_400000_NS6detail17trampoline_kernelINS0_14default_configENS1_22reduce_config_selectorIsEEZNS1_11reduce_implILb1ES3_N6thrust23THRUST_200600_302600_NS6detail15normal_iteratorINS8_10device_ptrIsEEEEPss9plus_mod3IsEEE10hipError_tPvRmT1_T2_T3_mT4_P12ihipStream_tbEUlT_E1_NS1_11comp_targetILNS1_3genE0ELNS1_11target_archE4294967295ELNS1_3gpuE0ELNS1_3repE0EEENS1_30default_config_static_selectorELNS0_4arch9wavefront6targetE1EEEvSK_
	.p2align	8
	.type	_ZN7rocprim17ROCPRIM_400000_NS6detail17trampoline_kernelINS0_14default_configENS1_22reduce_config_selectorIsEEZNS1_11reduce_implILb1ES3_N6thrust23THRUST_200600_302600_NS6detail15normal_iteratorINS8_10device_ptrIsEEEEPss9plus_mod3IsEEE10hipError_tPvRmT1_T2_T3_mT4_P12ihipStream_tbEUlT_E1_NS1_11comp_targetILNS1_3genE0ELNS1_11target_archE4294967295ELNS1_3gpuE0ELNS1_3repE0EEENS1_30default_config_static_selectorELNS0_4arch9wavefront6targetE1EEEvSK_,@function
_ZN7rocprim17ROCPRIM_400000_NS6detail17trampoline_kernelINS0_14default_configENS1_22reduce_config_selectorIsEEZNS1_11reduce_implILb1ES3_N6thrust23THRUST_200600_302600_NS6detail15normal_iteratorINS8_10device_ptrIsEEEEPss9plus_mod3IsEEE10hipError_tPvRmT1_T2_T3_mT4_P12ihipStream_tbEUlT_E1_NS1_11comp_targetILNS1_3genE0ELNS1_11target_archE4294967295ELNS1_3gpuE0ELNS1_3repE0EEENS1_30default_config_static_selectorELNS0_4arch9wavefront6targetE1EEEvSK_: ; @_ZN7rocprim17ROCPRIM_400000_NS6detail17trampoline_kernelINS0_14default_configENS1_22reduce_config_selectorIsEEZNS1_11reduce_implILb1ES3_N6thrust23THRUST_200600_302600_NS6detail15normal_iteratorINS8_10device_ptrIsEEEEPss9plus_mod3IsEEE10hipError_tPvRmT1_T2_T3_mT4_P12ihipStream_tbEUlT_E1_NS1_11comp_targetILNS1_3genE0ELNS1_11target_archE4294967295ELNS1_3gpuE0ELNS1_3repE0EEENS1_30default_config_static_selectorELNS0_4arch9wavefront6targetE1EEEvSK_
; %bb.0:
	s_load_dword s82, s[0:1], 0x4
	s_load_dwordx4 s[68:71], s[0:1], 0x8
	s_load_dword s33, s[0:1], 0x20
	s_load_dwordx2 s[66:67], s[0:1], 0x28
	s_waitcnt lgkmcnt(0)
	s_cmp_lt_i32 s82, 8
	s_cbranch_scc1 .LBB974_10
; %bb.1:
	s_cmp_gt_i32 s82, 31
	s_cbranch_scc0 .LBB974_11
; %bb.2:
	s_cmp_gt_i32 s82, 63
	s_cbranch_scc0 .LBB974_12
; %bb.3:
	s_cmp_eq_u32 s82, 64
	s_mov_b64 s[40:41], 0
	s_cbranch_scc0 .LBB974_13
; %bb.4:
	s_mov_b32 s3, 0
	s_lshl_b32 s4, s2, 13
	s_mov_b32 s5, s3
	s_lshr_b64 s[6:7], s[70:71], 13
	s_lshl_b64 s[8:9], s[4:5], 1
	s_add_u32 s42, s68, s8
	s_addc_u32 s43, s69, s9
	s_cmp_lg_u64 s[6:7], s[2:3]
                                        ; implicit-def: $vgpr38 : SGPR spill to VGPR lane
	s_cbranch_scc0 .LBB974_22
; %bb.5:
	v_lshlrev_b32_e32 v2, 1, v0
	global_load_ushort v1, v2, s[42:43]
	global_load_ushort v3, v2, s[42:43] offset:256
	global_load_ushort v8, v2, s[42:43] offset:512
	;; [unrolled: 1-line block ×7, first 2 shown]
	s_movk_i32 s5, 0x2000
	s_waitcnt vmcnt(7)
	v_bfe_i32 v4, v1, 0, 16
	s_waitcnt vmcnt(6)
	v_bfe_i32 v6, v3, 0, 16
	v_ashrrev_i32_e32 v5, 31, v4
	v_ashrrev_i32_e32 v7, 31, v6
	v_lshl_add_u64 v[4:5], v[4:5], 1, s[66:67]
	v_lshl_add_u64 v[4:5], v[6:7], 1, v[4:5]
	global_load_ushort v1, v[4:5], off
	s_waitcnt vmcnt(6)
	v_bfe_i32 v4, v8, 0, 16
	v_ashrrev_i32_e32 v5, 31, v4
	s_waitcnt vmcnt(0)
	v_bfe_i32 v6, v1, 0, 16
	v_ashrrev_i32_e32 v7, 31, v6
	v_lshl_add_u64 v[6:7], v[6:7], 1, s[66:67]
	v_lshl_add_u64 v[4:5], v[4:5], 1, v[6:7]
	global_load_ushort v1, v[4:5], off
	v_bfe_i32 v4, v9, 0, 16
	v_ashrrev_i32_e32 v5, 31, v4
	s_waitcnt vmcnt(0)
	v_bfe_i32 v6, v1, 0, 16
	v_ashrrev_i32_e32 v7, 31, v6
	v_lshl_add_u64 v[6:7], v[6:7], 1, s[66:67]
	v_lshl_add_u64 v[4:5], v[4:5], 1, v[6:7]
	global_load_ushort v1, v[4:5], off
	;; [unrolled: 8-line block ×5, first 2 shown]
	global_load_ushort v3, v2, s[42:43] offset:2048
	v_bfe_i32 v4, v13, 0, 16
	v_ashrrev_i32_e32 v5, 31, v4
	s_waitcnt vmcnt(1)
	v_bfe_i32 v6, v1, 0, 16
	v_ashrrev_i32_e32 v7, 31, v6
	v_lshl_add_u64 v[6:7], v[6:7], 1, s[66:67]
	v_lshl_add_u64 v[4:5], v[4:5], 1, v[6:7]
	global_load_ushort v1, v[4:5], off
	global_load_ushort v8, v2, s[42:43] offset:2304
	global_load_ushort v9, v2, s[42:43] offset:2560
	;; [unrolled: 1-line block ×7, first 2 shown]
	s_waitcnt vmcnt(8)
	v_bfe_i32 v4, v3, 0, 16
	v_ashrrev_i32_e32 v5, 31, v4
	v_mov_b32_e32 v3, 0
	v_lshl_add_u64 v[2:3], s[42:43], 0, v[2:3]
	s_waitcnt vmcnt(7)
	v_bfe_i32 v6, v1, 0, 16
	v_ashrrev_i32_e32 v7, 31, v6
	v_lshl_add_u64 v[6:7], v[6:7], 1, s[66:67]
	v_lshl_add_u64 v[4:5], v[4:5], 1, v[6:7]
	global_load_ushort v1, v[4:5], off
	s_waitcnt vmcnt(7)
	v_bfe_i32 v4, v8, 0, 16
	v_ashrrev_i32_e32 v5, 31, v4
	s_waitcnt vmcnt(0)
	v_bfe_i32 v6, v1, 0, 16
	v_ashrrev_i32_e32 v7, 31, v6
	v_lshl_add_u64 v[6:7], v[6:7], 1, s[66:67]
	v_lshl_add_u64 v[4:5], v[4:5], 1, v[6:7]
	global_load_ushort v1, v[4:5], off
	v_bfe_i32 v4, v9, 0, 16
	v_ashrrev_i32_e32 v5, 31, v4
	s_waitcnt vmcnt(0)
	v_bfe_i32 v6, v1, 0, 16
	v_ashrrev_i32_e32 v7, 31, v6
	v_lshl_add_u64 v[6:7], v[6:7], 1, s[66:67]
	v_lshl_add_u64 v[4:5], v[4:5], 1, v[6:7]
	global_load_ushort v1, v[4:5], off
	;; [unrolled: 8-line block ×6, first 2 shown]
	v_bfe_i32 v6, v14, 0, 16
	v_add_co_u32_e32 v4, vcc, s5, v2
	v_ashrrev_i32_e32 v7, 31, v6
	s_nop 0
	v_addc_co_u32_e32 v5, vcc, 0, v3, vcc
	global_load_ushort v10, v[4:5], off offset:-4096
	s_movk_i32 s5, 0x1000
	s_waitcnt vmcnt(1)
	v_bfe_i32 v8, v1, 0, 16
	v_ashrrev_i32_e32 v9, 31, v8
	v_lshl_add_u64 v[8:9], v[8:9], 1, s[66:67]
	v_lshl_add_u64 v[6:7], v[6:7], 1, v[8:9]
	global_load_ushort v1, v[6:7], off
	v_add_co_u32_e32 v6, vcc, s5, v2
	s_waitcnt vmcnt(1)
	v_bfe_i32 v8, v10, 0, 16
	v_ashrrev_i32_e32 v9, 31, v8
	v_addc_co_u32_e32 v7, vcc, 0, v3, vcc
	global_load_ushort v12, v[6:7], off offset:256
	global_load_ushort v13, v[4:5], off
	global_load_ushort v14, v[4:5], off offset:256
	global_load_ushort v15, v[4:5], off offset:512
	;; [unrolled: 1-line block ×6, first 2 shown]
	s_movk_i32 s5, 0x3000
	v_add_co_u32_e32 v2, vcc, s5, v2
	s_waitcnt vmcnt(8)
	v_bfe_i32 v10, v1, 0, 16
	v_ashrrev_i32_e32 v11, 31, v10
	v_lshl_add_u64 v[10:11], v[10:11], 1, s[66:67]
	v_lshl_add_u64 v[8:9], v[8:9], 1, v[10:11]
	global_load_ushort v1, v[8:9], off
	global_load_ushort v20, v[6:7], off offset:512
	global_load_ushort v21, v[6:7], off offset:768
	;; [unrolled: 1-line block ×7, first 2 shown]
	s_waitcnt vmcnt(15)
	v_bfe_i32 v8, v12, 0, 16
	v_ashrrev_i32_e32 v9, 31, v8
	v_addc_co_u32_e32 v3, vcc, 0, v3, vcc
	s_waitcnt vmcnt(7)
	v_bfe_i32 v10, v1, 0, 16
	v_ashrrev_i32_e32 v11, 31, v10
	v_lshl_add_u64 v[10:11], v[10:11], 1, s[66:67]
	v_lshl_add_u64 v[8:9], v[8:9], 1, v[10:11]
	global_load_ushort v1, v[8:9], off
	s_waitcnt vmcnt(7)
	v_bfe_i32 v8, v20, 0, 16
	v_ashrrev_i32_e32 v9, 31, v8
	s_waitcnt vmcnt(0)
	v_bfe_i32 v10, v1, 0, 16
	v_ashrrev_i32_e32 v11, 31, v10
	v_lshl_add_u64 v[10:11], v[10:11], 1, s[66:67]
	v_lshl_add_u64 v[8:9], v[8:9], 1, v[10:11]
	global_load_ushort v1, v[8:9], off
	v_bfe_i32 v8, v21, 0, 16
	v_ashrrev_i32_e32 v9, 31, v8
	s_waitcnt vmcnt(0)
	v_bfe_i32 v10, v1, 0, 16
	v_ashrrev_i32_e32 v11, 31, v10
	v_lshl_add_u64 v[10:11], v[10:11], 1, s[66:67]
	v_lshl_add_u64 v[8:9], v[8:9], 1, v[10:11]
	global_load_ushort v1, v[8:9], off
	;; [unrolled: 8-line block ×6, first 2 shown]
	global_load_ushort v12, v[6:7], off offset:2304
	v_bfe_i32 v8, v26, 0, 16
	v_ashrrev_i32_e32 v9, 31, v8
	s_waitcnt vmcnt(1)
	v_bfe_i32 v10, v1, 0, 16
	v_ashrrev_i32_e32 v11, 31, v10
	v_lshl_add_u64 v[10:11], v[10:11], 1, s[66:67]
	v_lshl_add_u64 v[8:9], v[8:9], 1, v[10:11]
	global_load_ushort v1, v[8:9], off
	global_load_ushort v10, v[6:7], off offset:2560
	global_load_ushort v11, v[6:7], off offset:2816
	;; [unrolled: 1-line block ×6, first 2 shown]
	global_load_ushort v24, v[2:3], off
	s_waitcnt vmcnt(8)
	v_bfe_i32 v6, v12, 0, 16
	v_ashrrev_i32_e32 v7, 31, v6
	s_waitcnt vmcnt(7)
	v_bfe_i32 v8, v1, 0, 16
	v_ashrrev_i32_e32 v9, 31, v8
	v_lshl_add_u64 v[8:9], v[8:9], 1, s[66:67]
	v_lshl_add_u64 v[6:7], v[6:7], 1, v[8:9]
	global_load_ushort v1, v[6:7], off
	s_waitcnt vmcnt(7)
	v_bfe_i32 v6, v10, 0, 16
	v_ashrrev_i32_e32 v7, 31, v6
	s_waitcnt vmcnt(0)
	v_bfe_i32 v8, v1, 0, 16
	v_ashrrev_i32_e32 v9, 31, v8
	v_lshl_add_u64 v[8:9], v[8:9], 1, s[66:67]
	v_lshl_add_u64 v[6:7], v[6:7], 1, v[8:9]
	global_load_ushort v1, v[6:7], off
	v_bfe_i32 v6, v11, 0, 16
	v_ashrrev_i32_e32 v7, 31, v6
	s_waitcnt vmcnt(0)
	v_bfe_i32 v8, v1, 0, 16
	v_ashrrev_i32_e32 v9, 31, v8
	v_lshl_add_u64 v[8:9], v[8:9], 1, s[66:67]
	v_lshl_add_u64 v[6:7], v[6:7], 1, v[8:9]
	global_load_ushort v1, v[6:7], off
	;; [unrolled: 8-line block ×12, first 2 shown]
	global_load_ushort v10, v[4:5], off offset:1792
	v_bfe_i32 v6, v19, 0, 16
	v_ashrrev_i32_e32 v7, 31, v6
	s_waitcnt vmcnt(1)
	v_bfe_i32 v8, v1, 0, 16
	v_ashrrev_i32_e32 v9, 31, v8
	v_lshl_add_u64 v[8:9], v[8:9], 1, s[66:67]
	v_lshl_add_u64 v[6:7], v[6:7], 1, v[8:9]
	global_load_ushort v1, v[6:7], off
	global_load_ushort v11, v[4:5], off offset:2048
	global_load_ushort v12, v[4:5], off offset:2304
	;; [unrolled: 1-line block ×7, first 2 shown]
	s_waitcnt vmcnt(8)
	v_bfe_i32 v6, v10, 0, 16
	v_ashrrev_i32_e32 v7, 31, v6
	s_waitcnt vmcnt(7)
	v_bfe_i32 v8, v1, 0, 16
	v_ashrrev_i32_e32 v9, 31, v8
	v_lshl_add_u64 v[8:9], v[8:9], 1, s[66:67]
	v_lshl_add_u64 v[6:7], v[6:7], 1, v[8:9]
	global_load_ushort v1, v[6:7], off
	s_waitcnt vmcnt(7)
	v_bfe_i32 v6, v11, 0, 16
	v_ashrrev_i32_e32 v7, 31, v6
	s_waitcnt vmcnt(0)
	v_bfe_i32 v8, v1, 0, 16
	v_ashrrev_i32_e32 v9, 31, v8
	v_lshl_add_u64 v[8:9], v[8:9], 1, s[66:67]
	v_lshl_add_u64 v[6:7], v[6:7], 1, v[8:9]
	global_load_ushort v1, v[6:7], off
	v_bfe_i32 v6, v12, 0, 16
	v_ashrrev_i32_e32 v7, 31, v6
	s_waitcnt vmcnt(0)
	v_bfe_i32 v8, v1, 0, 16
	v_ashrrev_i32_e32 v9, 31, v8
	v_lshl_add_u64 v[8:9], v[8:9], 1, s[66:67]
	v_lshl_add_u64 v[6:7], v[6:7], 1, v[8:9]
	global_load_ushort v1, v[6:7], off
	;; [unrolled: 8-line block ×6, first 2 shown]
	global_load_ushort v8, v[4:5], off offset:3840
	v_bfe_i32 v4, v17, 0, 16
	v_ashrrev_i32_e32 v5, 31, v4
	s_waitcnt vmcnt(1)
	v_bfe_i32 v6, v1, 0, 16
	v_ashrrev_i32_e32 v7, 31, v6
	v_lshl_add_u64 v[6:7], v[6:7], 1, s[66:67]
	v_lshl_add_u64 v[4:5], v[4:5], 1, v[6:7]
	global_load_ushort v1, v[4:5], off
	s_waitcnt vmcnt(1)
	v_bfe_i32 v4, v8, 0, 16
	v_ashrrev_i32_e32 v5, 31, v4
	s_waitcnt vmcnt(0)
	v_bfe_i32 v6, v1, 0, 16
	v_ashrrev_i32_e32 v7, 31, v6
	v_lshl_add_u64 v[6:7], v[6:7], 1, s[66:67]
	v_lshl_add_u64 v[4:5], v[4:5], 1, v[6:7]
	global_load_ushort v1, v[4:5], off
	global_load_ushort v8, v[2:3], off offset:256
	v_bfe_i32 v4, v24, 0, 16
	v_ashrrev_i32_e32 v5, 31, v4
	s_waitcnt vmcnt(1)
	v_bfe_i32 v6, v1, 0, 16
	v_ashrrev_i32_e32 v7, 31, v6
	v_lshl_add_u64 v[6:7], v[6:7], 1, s[66:67]
	v_lshl_add_u64 v[4:5], v[4:5], 1, v[6:7]
	global_load_ushort v1, v[4:5], off
	global_load_ushort v9, v[2:3], off offset:512
	global_load_ushort v10, v[2:3], off offset:768
	;; [unrolled: 1-line block ×7, first 2 shown]
	s_waitcnt vmcnt(8)
	v_bfe_i32 v4, v8, 0, 16
	v_ashrrev_i32_e32 v5, 31, v4
	s_waitcnt vmcnt(7)
	v_bfe_i32 v6, v1, 0, 16
	v_ashrrev_i32_e32 v7, 31, v6
	v_lshl_add_u64 v[6:7], v[6:7], 1, s[66:67]
	v_lshl_add_u64 v[4:5], v[4:5], 1, v[6:7]
	global_load_ushort v1, v[4:5], off
	s_waitcnt vmcnt(7)
	v_bfe_i32 v4, v9, 0, 16
	v_ashrrev_i32_e32 v5, 31, v4
	s_waitcnt vmcnt(0)
	v_bfe_i32 v6, v1, 0, 16
	v_ashrrev_i32_e32 v7, 31, v6
	v_lshl_add_u64 v[6:7], v[6:7], 1, s[66:67]
	v_lshl_add_u64 v[4:5], v[4:5], 1, v[6:7]
	global_load_ushort v1, v[4:5], off
	v_bfe_i32 v4, v10, 0, 16
	v_ashrrev_i32_e32 v5, 31, v4
	s_waitcnt vmcnt(0)
	v_bfe_i32 v6, v1, 0, 16
	v_ashrrev_i32_e32 v7, 31, v6
	v_lshl_add_u64 v[6:7], v[6:7], 1, s[66:67]
	v_lshl_add_u64 v[4:5], v[4:5], 1, v[6:7]
	global_load_ushort v1, v[4:5], off
	;; [unrolled: 8-line block ×6, first 2 shown]
	global_load_ushort v8, v[2:3], off offset:2304
	v_bfe_i32 v4, v15, 0, 16
	v_ashrrev_i32_e32 v5, 31, v4
	s_waitcnt vmcnt(1)
	v_bfe_i32 v6, v1, 0, 16
	v_ashrrev_i32_e32 v7, 31, v6
	v_lshl_add_u64 v[6:7], v[6:7], 1, s[66:67]
	v_lshl_add_u64 v[4:5], v[4:5], 1, v[6:7]
	global_load_ushort v1, v[4:5], off
	global_load_ushort v6, v[2:3], off offset:2560
	global_load_ushort v7, v[2:3], off offset:2816
	;; [unrolled: 1-line block ×6, first 2 shown]
	s_waitcnt vmcnt(7)
	v_bfe_i32 v2, v8, 0, 16
	v_ashrrev_i32_e32 v3, 31, v2
	s_waitcnt vmcnt(6)
	v_bfe_i32 v4, v1, 0, 16
	v_ashrrev_i32_e32 v5, 31, v4
	v_lshl_add_u64 v[4:5], v[4:5], 1, s[66:67]
	v_lshl_add_u64 v[2:3], v[2:3], 1, v[4:5]
	global_load_ushort v1, v[2:3], off
	s_waitcnt vmcnt(6)
	v_bfe_i32 v2, v6, 0, 16
	v_ashrrev_i32_e32 v3, 31, v2
	s_waitcnt vmcnt(0)
	v_bfe_i32 v4, v1, 0, 16
	v_ashrrev_i32_e32 v5, 31, v4
	v_lshl_add_u64 v[4:5], v[4:5], 1, s[66:67]
	v_lshl_add_u64 v[2:3], v[2:3], 1, v[4:5]
	global_load_ushort v1, v[2:3], off
	v_bfe_i32 v2, v7, 0, 16
	v_ashrrev_i32_e32 v3, 31, v2
	s_waitcnt vmcnt(0)
	v_bfe_i32 v4, v1, 0, 16
	v_ashrrev_i32_e32 v5, 31, v4
	v_lshl_add_u64 v[4:5], v[4:5], 1, s[66:67]
	v_lshl_add_u64 v[2:3], v[2:3], 1, v[4:5]
	global_load_ushort v1, v[2:3], off
	;; [unrolled: 8-line block ×6, first 2 shown]
	s_waitcnt vmcnt(0)
	v_and_b32_e32 v3, 0xffff, v1
	v_bfe_i32 v2, v1, 0, 16
	s_nop 0
	v_mov_b32_dpp v1, v3 quad_perm:[1,0,3,2] row_mask:0xf bank_mask:0xf bound_ctrl:1
	v_lshlrev_b32_e32 v4, 16, v1
	v_bfe_i32 v5, v1, 15, 1
	v_ashrrev_i32_e32 v4, 15, v4
	v_ashrrev_i32_e32 v3, 31, v2
	v_lshl_add_u64 v[4:5], s[66:67], 0, v[4:5]
	v_lshl_add_u64 v[2:3], v[2:3], 1, v[4:5]
	global_load_ushort v1, v[2:3], off
	s_waitcnt vmcnt(0)
	v_and_b32_e32 v3, 0xffff, v1
	v_bfe_i32 v2, v1, 0, 16
	s_nop 0
	v_mov_b32_dpp v1, v3 quad_perm:[2,3,0,1] row_mask:0xf bank_mask:0xf bound_ctrl:1
	v_lshlrev_b32_e32 v4, 16, v1
	v_bfe_i32 v5, v1, 15, 1
	v_ashrrev_i32_e32 v4, 15, v4
	v_ashrrev_i32_e32 v3, 31, v2
	v_lshl_add_u64 v[4:5], s[66:67], 0, v[4:5]
	v_lshl_add_u64 v[2:3], v[2:3], 1, v[4:5]
	global_load_ushort v1, v[2:3], off
	s_waitcnt vmcnt(0)
	v_and_b32_e32 v3, 0xffff, v1
	v_bfe_i32 v2, v1, 0, 16
	s_nop 0
	v_mov_b32_dpp v1, v3 row_ror:4 row_mask:0xf bank_mask:0xf bound_ctrl:1
	v_lshlrev_b32_e32 v4, 16, v1
	v_bfe_i32 v5, v1, 15, 1
	v_ashrrev_i32_e32 v4, 15, v4
	v_ashrrev_i32_e32 v3, 31, v2
	v_lshl_add_u64 v[4:5], s[66:67], 0, v[4:5]
	v_lshl_add_u64 v[2:3], v[2:3], 1, v[4:5]
	global_load_ushort v1, v[2:3], off
	s_waitcnt vmcnt(0)
	v_and_b32_e32 v3, 0xffff, v1
	v_bfe_i32 v2, v1, 0, 16
	s_nop 0
	v_mov_b32_dpp v1, v3 row_ror:8 row_mask:0xf bank_mask:0xf bound_ctrl:1
	v_lshlrev_b32_e32 v4, 16, v1
	v_bfe_i32 v5, v1, 15, 1
	v_ashrrev_i32_e32 v4, 15, v4
	v_ashrrev_i32_e32 v3, 31, v2
	v_lshl_add_u64 v[4:5], s[66:67], 0, v[4:5]
	v_lshl_add_u64 v[2:3], v[2:3], 1, v[4:5]
	global_load_ushort v1, v[2:3], off
	s_waitcnt vmcnt(0)
	v_and_b32_e32 v3, 0xffff, v1
	v_bfe_i32 v2, v1, 0, 16
	s_nop 0
	v_mov_b32_dpp v1, v3 row_bcast:15 row_mask:0xf bank_mask:0xf bound_ctrl:1
	v_lshlrev_b32_e32 v4, 16, v1
	v_bfe_i32 v5, v1, 15, 1
	v_ashrrev_i32_e32 v4, 15, v4
	v_ashrrev_i32_e32 v3, 31, v2
	v_lshl_add_u64 v[4:5], s[66:67], 0, v[4:5]
	v_lshl_add_u64 v[2:3], v[2:3], 1, v[4:5]
	global_load_ushort v1, v[2:3], off
	s_waitcnt vmcnt(0)
	v_and_b32_e32 v3, 0xffff, v1
	v_bfe_i32 v2, v1, 0, 16
	s_nop 0
	v_mov_b32_dpp v1, v3 row_bcast:31 row_mask:0xf bank_mask:0xf bound_ctrl:1
	v_lshlrev_b32_e32 v4, 16, v1
	v_ashrrev_i32_e32 v4, 15, v4
	v_bfe_i32 v5, v1, 15, 1
	v_ashrrev_i32_e32 v3, 31, v2
	v_lshl_add_u64 v[4:5], s[66:67], 0, v[4:5]
	v_lshl_add_u64 v[2:3], v[2:3], 1, v[4:5]
	global_load_ushort v2, v[2:3], off
	v_mbcnt_lo_u32_b32 v1, -1, 0
	v_mbcnt_hi_u32_b32 v5, -1, v1
	v_lshlrev_b32_e32 v1, 2, v5
	v_or_b32_e32 v3, 0xfc, v1
	v_cmp_eq_u32_e32 vcc, 0, v5
	s_waitcnt vmcnt(0)
	ds_bpermute_b32 v2, v3, v2
	s_and_saveexec_b64 s[6:7], vcc
	s_cbranch_execz .LBB974_7
; %bb.6:
	v_lshrrev_b32_e32 v3, 5, v0
	v_and_b32_e32 v3, 2, v3
	s_waitcnt lgkmcnt(0)
	ds_write_b16 v3, v2 offset:24
.LBB974_7:
	s_or_b64 exec, exec, s[6:7]
	s_mov_b64 s[8:9], 0
	v_cmp_gt_u32_e32 vcc, 64, v0
	s_mov_b64 s[6:7], 0
	v_writelane_b32 v38, s8, 0
	s_waitcnt lgkmcnt(0)
	s_barrier
	v_writelane_b32 v38, s9, 1
                                        ; implicit-def: $vgpr3
                                        ; implicit-def: $vgpr4
	s_and_saveexec_b64 s[8:9], vcc
	s_xor_b64 s[8:9], exec, s[8:9]
	s_cbranch_execz .LBB974_9
; %bb.8:
	v_and_b32_e32 v3, 1, v5
	v_lshlrev_b32_e32 v3, 1, v3
	ds_read_u16 v3, v3 offset:24
	v_or_b32_e32 v1, 4, v1
	s_mov_b64 s[10:11], exec
	v_writelane_b32 v38, s10, 0
	s_waitcnt lgkmcnt(0)
	v_and_b32_e32 v4, 0xffff, v3
	ds_bpermute_b32 v4, v1, v4
	v_writelane_b32 v38, s11, 1
.LBB974_9:
	s_or_b64 exec, exec, s[8:9]
	s_branch .LBB974_23
.LBB974_10:
	s_mov_b64 s[74:75], 0
	s_mov_b64 s[72:73], 0
                                        ; implicit-def: $vgpr2
	s_cbranch_execz .LBB974_709
	s_branch .LBB974_556
.LBB974_11:
	s_mov_b64 s[74:75], 0
	s_mov_b64 s[72:73], 0
                                        ; implicit-def: $vgpr2
	s_cbranch_execnz .LBB974_451
	s_branch .LBB974_555
.LBB974_12:
	s_mov_b64 s[40:41], -1
.LBB974_13:
	s_mov_b64 s[74:75], 0
	s_mov_b64 s[72:73], 0
                                        ; implicit-def: $vgpr2
	s_and_b64 vcc, exec, s[40:41]
	s_cbranch_vccz .LBB974_260
.LBB974_14:
	s_cmp_eq_u32 s82, 32
	s_cbranch_scc0 .LBB974_21
; %bb.15:
	s_mov_b32 s3, 0
	s_lshl_b32 s4, s2, 12
	s_mov_b32 s5, s3
	s_lshr_b64 s[6:7], s[70:71], 12
	s_lshl_b64 s[8:9], s[4:5], 1
	s_add_u32 s78, s68, s8
	s_addc_u32 s79, s69, s9
	s_cmp_lg_u64 s[6:7], s[2:3]
	s_cbranch_scc0 .LBB974_261
; %bb.16:
	s_waitcnt vmcnt(0)
	v_lshlrev_b32_e32 v2, 1, v0
	global_load_ushort v1, v2, s[78:79]
	global_load_ushort v3, v2, s[78:79] offset:256
	global_load_ushort v8, v2, s[78:79] offset:512
	;; [unrolled: 1-line block ×7, first 2 shown]
	s_movk_i32 s5, 0x1000
	s_waitcnt vmcnt(7) lgkmcnt(0)
	v_bfe_i32 v4, v1, 0, 16
	s_waitcnt vmcnt(6)
	v_bfe_i32 v6, v3, 0, 16
	v_ashrrev_i32_e32 v5, 31, v4
	v_ashrrev_i32_e32 v7, 31, v6
	v_lshl_add_u64 v[4:5], v[4:5], 1, s[66:67]
	v_lshl_add_u64 v[4:5], v[6:7], 1, v[4:5]
	global_load_ushort v1, v[4:5], off
	s_waitcnt vmcnt(6)
	v_bfe_i32 v4, v8, 0, 16
	v_ashrrev_i32_e32 v5, 31, v4
	s_waitcnt vmcnt(0)
	v_bfe_i32 v6, v1, 0, 16
	v_ashrrev_i32_e32 v7, 31, v6
	v_lshl_add_u64 v[6:7], v[6:7], 1, s[66:67]
	v_lshl_add_u64 v[4:5], v[4:5], 1, v[6:7]
	global_load_ushort v1, v[4:5], off
	v_bfe_i32 v4, v9, 0, 16
	v_ashrrev_i32_e32 v5, 31, v4
	s_waitcnt vmcnt(0)
	v_bfe_i32 v6, v1, 0, 16
	v_ashrrev_i32_e32 v7, 31, v6
	v_lshl_add_u64 v[6:7], v[6:7], 1, s[66:67]
	v_lshl_add_u64 v[4:5], v[4:5], 1, v[6:7]
	global_load_ushort v1, v[4:5], off
	;; [unrolled: 8-line block ×5, first 2 shown]
	global_load_ushort v3, v2, s[78:79] offset:2048
	v_bfe_i32 v4, v13, 0, 16
	v_ashrrev_i32_e32 v5, 31, v4
	s_waitcnt vmcnt(1)
	v_bfe_i32 v6, v1, 0, 16
	v_ashrrev_i32_e32 v7, 31, v6
	v_lshl_add_u64 v[6:7], v[6:7], 1, s[66:67]
	v_lshl_add_u64 v[4:5], v[4:5], 1, v[6:7]
	global_load_ushort v1, v[4:5], off
	global_load_ushort v8, v2, s[78:79] offset:2304
	global_load_ushort v9, v2, s[78:79] offset:2560
	;; [unrolled: 1-line block ×7, first 2 shown]
	s_waitcnt vmcnt(8)
	v_bfe_i32 v4, v3, 0, 16
	v_ashrrev_i32_e32 v5, 31, v4
	v_mov_b32_e32 v3, 0
	v_lshl_add_u64 v[2:3], s[78:79], 0, v[2:3]
	v_add_co_u32_e32 v2, vcc, s5, v2
	s_waitcnt vmcnt(7)
	v_bfe_i32 v6, v1, 0, 16
	v_ashrrev_i32_e32 v7, 31, v6
	v_lshl_add_u64 v[6:7], v[6:7], 1, s[66:67]
	v_lshl_add_u64 v[4:5], v[4:5], 1, v[6:7]
	global_load_ushort v1, v[4:5], off
	s_waitcnt vmcnt(7)
	v_bfe_i32 v4, v8, 0, 16
	v_ashrrev_i32_e32 v5, 31, v4
	v_addc_co_u32_e32 v3, vcc, 0, v3, vcc
	global_load_ushort v8, v[2:3], off
	s_waitcnt vmcnt(1)
	v_bfe_i32 v6, v1, 0, 16
	v_ashrrev_i32_e32 v7, 31, v6
	v_lshl_add_u64 v[6:7], v[6:7], 1, s[66:67]
	v_lshl_add_u64 v[4:5], v[4:5], 1, v[6:7]
	global_load_ushort v1, v[4:5], off
	v_bfe_i32 v4, v9, 0, 16
	v_ashrrev_i32_e32 v5, 31, v4
	s_waitcnt vmcnt(0)
	v_bfe_i32 v6, v1, 0, 16
	v_ashrrev_i32_e32 v7, 31, v6
	v_lshl_add_u64 v[6:7], v[6:7], 1, s[66:67]
	v_lshl_add_u64 v[4:5], v[4:5], 1, v[6:7]
	global_load_ushort v1, v[4:5], off
	v_bfe_i32 v4, v10, 0, 16
	v_ashrrev_i32_e32 v5, 31, v4
	;; [unrolled: 8-line block ×6, first 2 shown]
	s_waitcnt vmcnt(0)
	v_bfe_i32 v6, v1, 0, 16
	v_ashrrev_i32_e32 v7, 31, v6
	v_lshl_add_u64 v[6:7], v[6:7], 1, s[66:67]
	v_lshl_add_u64 v[4:5], v[4:5], 1, v[6:7]
	global_load_ushort v1, v[4:5], off
	global_load_ushort v9, v[2:3], off offset:256
	global_load_ushort v10, v[2:3], off offset:512
	;; [unrolled: 1-line block ×7, first 2 shown]
	v_bfe_i32 v4, v8, 0, 16
	v_ashrrev_i32_e32 v5, 31, v4
	s_waitcnt vmcnt(7)
	v_bfe_i32 v6, v1, 0, 16
	v_ashrrev_i32_e32 v7, 31, v6
	v_lshl_add_u64 v[6:7], v[6:7], 1, s[66:67]
	v_lshl_add_u64 v[4:5], v[4:5], 1, v[6:7]
	global_load_ushort v1, v[4:5], off
	s_waitcnt vmcnt(7)
	v_bfe_i32 v4, v9, 0, 16
	v_ashrrev_i32_e32 v5, 31, v4
	s_waitcnt vmcnt(0)
	v_bfe_i32 v6, v1, 0, 16
	v_ashrrev_i32_e32 v7, 31, v6
	v_lshl_add_u64 v[6:7], v[6:7], 1, s[66:67]
	v_lshl_add_u64 v[4:5], v[4:5], 1, v[6:7]
	global_load_ushort v1, v[4:5], off
	v_bfe_i32 v4, v10, 0, 16
	v_ashrrev_i32_e32 v5, 31, v4
	s_waitcnt vmcnt(0)
	v_bfe_i32 v6, v1, 0, 16
	v_ashrrev_i32_e32 v7, 31, v6
	v_lshl_add_u64 v[6:7], v[6:7], 1, s[66:67]
	v_lshl_add_u64 v[4:5], v[4:5], 1, v[6:7]
	global_load_ushort v1, v[4:5], off
	;; [unrolled: 8-line block ×6, first 2 shown]
	global_load_ushort v8, v[2:3], off offset:2048
	v_bfe_i32 v4, v15, 0, 16
	v_ashrrev_i32_e32 v5, 31, v4
	s_waitcnt vmcnt(1)
	v_bfe_i32 v6, v1, 0, 16
	v_ashrrev_i32_e32 v7, 31, v6
	v_lshl_add_u64 v[6:7], v[6:7], 1, s[66:67]
	v_lshl_add_u64 v[4:5], v[4:5], 1, v[6:7]
	global_load_ushort v1, v[4:5], off
	global_load_ushort v6, v[2:3], off offset:2304
	global_load_ushort v7, v[2:3], off offset:2560
	;; [unrolled: 1-line block ×7, first 2 shown]
	s_waitcnt vmcnt(8)
	v_bfe_i32 v2, v8, 0, 16
	v_ashrrev_i32_e32 v3, 31, v2
	s_waitcnt vmcnt(7)
	v_bfe_i32 v4, v1, 0, 16
	v_ashrrev_i32_e32 v5, 31, v4
	v_lshl_add_u64 v[4:5], v[4:5], 1, s[66:67]
	v_lshl_add_u64 v[2:3], v[2:3], 1, v[4:5]
	global_load_ushort v1, v[2:3], off
	s_waitcnt vmcnt(7)
	v_bfe_i32 v2, v6, 0, 16
	v_ashrrev_i32_e32 v3, 31, v2
	s_waitcnt vmcnt(0)
	v_bfe_i32 v4, v1, 0, 16
	v_ashrrev_i32_e32 v5, 31, v4
	v_lshl_add_u64 v[4:5], v[4:5], 1, s[66:67]
	v_lshl_add_u64 v[2:3], v[2:3], 1, v[4:5]
	global_load_ushort v1, v[2:3], off
	v_bfe_i32 v2, v7, 0, 16
	v_ashrrev_i32_e32 v3, 31, v2
	s_waitcnt vmcnt(0)
	v_bfe_i32 v4, v1, 0, 16
	v_ashrrev_i32_e32 v5, 31, v4
	v_lshl_add_u64 v[4:5], v[4:5], 1, s[66:67]
	v_lshl_add_u64 v[2:3], v[2:3], 1, v[4:5]
	global_load_ushort v1, v[2:3], off
	;; [unrolled: 8-line block ×7, first 2 shown]
	s_waitcnt vmcnt(0)
	v_and_b32_e32 v3, 0xffff, v1
	v_bfe_i32 v2, v1, 0, 16
	s_nop 0
	v_mov_b32_dpp v1, v3 quad_perm:[1,0,3,2] row_mask:0xf bank_mask:0xf bound_ctrl:1
	v_lshlrev_b32_e32 v4, 16, v1
	v_bfe_i32 v5, v1, 15, 1
	v_ashrrev_i32_e32 v4, 15, v4
	v_ashrrev_i32_e32 v3, 31, v2
	v_lshl_add_u64 v[4:5], s[66:67], 0, v[4:5]
	v_lshl_add_u64 v[2:3], v[2:3], 1, v[4:5]
	global_load_ushort v1, v[2:3], off
	s_waitcnt vmcnt(0)
	v_and_b32_e32 v3, 0xffff, v1
	v_bfe_i32 v2, v1, 0, 16
	s_nop 0
	v_mov_b32_dpp v1, v3 quad_perm:[2,3,0,1] row_mask:0xf bank_mask:0xf bound_ctrl:1
	v_lshlrev_b32_e32 v4, 16, v1
	v_bfe_i32 v5, v1, 15, 1
	v_ashrrev_i32_e32 v4, 15, v4
	v_ashrrev_i32_e32 v3, 31, v2
	v_lshl_add_u64 v[4:5], s[66:67], 0, v[4:5]
	v_lshl_add_u64 v[2:3], v[2:3], 1, v[4:5]
	global_load_ushort v1, v[2:3], off
	s_waitcnt vmcnt(0)
	v_and_b32_e32 v3, 0xffff, v1
	v_bfe_i32 v2, v1, 0, 16
	s_nop 0
	v_mov_b32_dpp v1, v3 row_ror:4 row_mask:0xf bank_mask:0xf bound_ctrl:1
	v_lshlrev_b32_e32 v4, 16, v1
	v_bfe_i32 v5, v1, 15, 1
	v_ashrrev_i32_e32 v4, 15, v4
	v_ashrrev_i32_e32 v3, 31, v2
	v_lshl_add_u64 v[4:5], s[66:67], 0, v[4:5]
	v_lshl_add_u64 v[2:3], v[2:3], 1, v[4:5]
	global_load_ushort v1, v[2:3], off
	s_waitcnt vmcnt(0)
	v_and_b32_e32 v3, 0xffff, v1
	v_bfe_i32 v2, v1, 0, 16
	s_nop 0
	v_mov_b32_dpp v1, v3 row_ror:8 row_mask:0xf bank_mask:0xf bound_ctrl:1
	v_lshlrev_b32_e32 v4, 16, v1
	v_bfe_i32 v5, v1, 15, 1
	v_ashrrev_i32_e32 v4, 15, v4
	v_ashrrev_i32_e32 v3, 31, v2
	v_lshl_add_u64 v[4:5], s[66:67], 0, v[4:5]
	v_lshl_add_u64 v[2:3], v[2:3], 1, v[4:5]
	global_load_ushort v1, v[2:3], off
	s_waitcnt vmcnt(0)
	v_and_b32_e32 v3, 0xffff, v1
	v_bfe_i32 v2, v1, 0, 16
	s_nop 0
	v_mov_b32_dpp v1, v3 row_bcast:15 row_mask:0xf bank_mask:0xf bound_ctrl:1
	v_lshlrev_b32_e32 v4, 16, v1
	v_bfe_i32 v5, v1, 15, 1
	v_ashrrev_i32_e32 v4, 15, v4
	v_ashrrev_i32_e32 v3, 31, v2
	v_lshl_add_u64 v[4:5], s[66:67], 0, v[4:5]
	v_lshl_add_u64 v[2:3], v[2:3], 1, v[4:5]
	global_load_ushort v1, v[2:3], off
	s_waitcnt vmcnt(0)
	v_and_b32_e32 v3, 0xffff, v1
	v_bfe_i32 v2, v1, 0, 16
	s_nop 0
	v_mov_b32_dpp v1, v3 row_bcast:31 row_mask:0xf bank_mask:0xf bound_ctrl:1
	v_lshlrev_b32_e32 v4, 16, v1
	v_ashrrev_i32_e32 v4, 15, v4
	v_bfe_i32 v5, v1, 15, 1
	v_ashrrev_i32_e32 v3, 31, v2
	v_lshl_add_u64 v[4:5], s[66:67], 0, v[4:5]
	v_lshl_add_u64 v[2:3], v[2:3], 1, v[4:5]
	global_load_ushort v2, v[2:3], off
	v_mbcnt_lo_u32_b32 v1, -1, 0
	v_mbcnt_hi_u32_b32 v5, -1, v1
	v_lshlrev_b32_e32 v1, 2, v5
	v_or_b32_e32 v3, 0xfc, v1
	v_cmp_eq_u32_e32 vcc, 0, v5
	s_waitcnt vmcnt(0)
	ds_bpermute_b32 v2, v3, v2
	s_and_saveexec_b64 s[6:7], vcc
	s_cbranch_execz .LBB974_18
; %bb.17:
	v_lshrrev_b32_e32 v3, 5, v0
	v_and_b32_e32 v3, 2, v3
	s_waitcnt lgkmcnt(0)
	ds_write_b16 v3, v2 offset:16
.LBB974_18:
	s_or_b64 exec, exec, s[6:7]
	v_cmp_gt_u32_e32 vcc, 64, v0
	s_mov_b64 s[6:7], 0
	s_mov_b64 s[76:77], 0
	s_waitcnt lgkmcnt(0)
	s_barrier
                                        ; implicit-def: $vgpr3
                                        ; implicit-def: $vgpr4
	s_and_saveexec_b64 s[8:9], vcc
	s_xor_b64 s[8:9], exec, s[8:9]
	s_cbranch_execz .LBB974_20
; %bb.19:
	v_and_b32_e32 v3, 1, v5
	v_lshlrev_b32_e32 v3, 1, v3
	ds_read_u16 v3, v3 offset:16
	v_or_b32_e32 v1, 4, v1
	s_mov_b64 s[76:77], exec
	s_waitcnt lgkmcnt(0)
	v_and_b32_e32 v4, 0xffff, v3
	ds_bpermute_b32 v4, v1, v4
.LBB974_20:
	s_or_b64 exec, exec, s[8:9]
	s_branch .LBB974_262
.LBB974_21:
                                        ; implicit-def: $vgpr2
	s_branch .LBB974_555
.LBB974_22:
	s_mov_b64 s[8:9], 0
	v_writelane_b32 v38, s8, 0
	s_mov_b64 s[6:7], -1
                                        ; implicit-def: $vgpr3
                                        ; implicit-def: $vgpr4
                                        ; implicit-def: $vgpr2
	s_nop 0
	v_writelane_b32 v38, s9, 1
.LBB974_23:
	s_and_b64 vcc, exec, s[6:7]
	s_cbranch_vccz .LBB974_255
; %bb.24:
	s_sub_i32 s83, s70, s4
	s_mov_b32 s4, 0
	s_mov_b32 s5, s4
	;; [unrolled: 1-line block ×16, first 2 shown]
	s_waitcnt lgkmcnt(0)
	v_mov_b64_e32 v[2:3], s[4:5]
	v_mov_b64_e32 v[16:17], s[18:19]
	;; [unrolled: 1-line block ×9, first 2 shown]
	v_cmp_gt_u32_e32 vcc, s83, v0
	v_mov_b64_e32 v[30:31], v[14:15]
	v_mov_b64_e32 v[28:29], v[12:13]
	;; [unrolled: 1-line block ×7, first 2 shown]
	s_and_saveexec_b64 s[4:5], vcc
	s_cbranch_execz .LBB974_26
; %bb.25:
	v_lshlrev_b32_e32 v1, 1, v0
	global_load_ushort v1, v1, s[42:43]
	v_mov_b32_e32 v3, 0
	v_mov_b32_e32 v4, v3
	;; [unrolled: 1-line block ×31, first 2 shown]
	s_waitcnt vmcnt(0)
	v_and_b32_e32 v2, 0xffff, v1
.LBB974_26:
	s_or_b64 exec, exec, s[4:5]
	v_or_b32_e32 v1, 0x80, v0
	v_cmp_gt_u32_e64 s[6:7], s83, v1
	s_mov_b64 s[4:5], exec
	s_nop 0
	v_writelane_b32 v38, s6, 2
	s_nop 1
	v_writelane_b32 v38, s7, 3
	s_and_b64 s[6:7], s[4:5], s[6:7]
	s_mov_b64 exec, s[6:7]
	s_cbranch_execz .LBB974_28
; %bb.27:
	v_lshlrev_b32_e32 v1, 1, v0
	global_load_ushort v1, v1, s[42:43] offset:256
	s_mov_b32 s6, 0x5040100
	s_waitcnt vmcnt(0)
	v_perm_b32 v2, v1, v2, s6
.LBB974_28:
	s_or_b64 exec, exec, s[4:5]
	v_or_b32_e32 v1, 0x100, v0
	v_cmp_gt_u32_e64 s[6:7], s83, v1
	s_mov_b64 s[4:5], exec
	s_nop 0
	v_writelane_b32 v38, s6, 4
	s_nop 1
	v_writelane_b32 v38, s7, 5
	s_and_b64 s[6:7], s[4:5], s[6:7]
	s_mov_b64 exec, s[6:7]
	s_cbranch_execz .LBB974_30
; %bb.29:
	v_lshlrev_b32_e32 v1, 1, v0
	global_load_ushort v1, v1, s[42:43] offset:512
	s_mov_b32 s6, 0xffff
	s_waitcnt vmcnt(0)
	v_bfi_b32 v3, s6, v1, v3
.LBB974_30:
	s_or_b64 exec, exec, s[4:5]
	v_or_b32_e32 v1, 0x180, v0
	v_cmp_gt_u32_e64 s[6:7], s83, v1
	s_mov_b64 s[4:5], exec
	s_nop 0
	v_writelane_b32 v38, s6, 6
	s_nop 1
	v_writelane_b32 v38, s7, 7
	s_and_b64 s[6:7], s[4:5], s[6:7]
	s_mov_b64 exec, s[6:7]
	s_cbranch_execz .LBB974_32
; %bb.31:
	v_lshlrev_b32_e32 v1, 1, v0
	global_load_ushort v1, v1, s[42:43] offset:768
	s_mov_b32 s6, 0x5040100
	s_waitcnt vmcnt(0)
	v_perm_b32 v3, v1, v3, s6
.LBB974_32:
	s_or_b64 exec, exec, s[4:5]
	v_or_b32_e32 v1, 0x200, v0
	v_cmp_gt_u32_e64 s[6:7], s83, v1
	s_mov_b64 s[4:5], exec
	s_nop 0
	v_writelane_b32 v38, s6, 8
	s_nop 1
	v_writelane_b32 v38, s7, 9
	s_and_b64 s[6:7], s[4:5], s[6:7]
	s_mov_b64 exec, s[6:7]
	s_cbranch_execz .LBB974_34
; %bb.33:
	v_lshlrev_b32_e32 v1, 1, v0
	global_load_ushort v1, v1, s[42:43] offset:1024
	s_mov_b32 s6, 0xffff
	s_waitcnt vmcnt(0)
	v_bfi_b32 v4, s6, v1, v4
.LBB974_34:
	;; [unrolled: 36-line block ×7, first 2 shown]
	s_or_b64 exec, exec, s[4:5]
	v_or_b32_e32 v1, 0x780, v0
	v_cmp_gt_u32_e64 s[6:7], s83, v1
	s_mov_b64 s[4:5], exec
	s_nop 0
	v_writelane_b32 v38, s6, 30
	s_nop 1
	v_writelane_b32 v38, s7, 31
	s_and_b64 s[6:7], s[4:5], s[6:7]
	s_mov_b64 exec, s[6:7]
	s_cbranch_execz .LBB974_56
; %bb.55:
	v_lshlrev_b32_e32 v1, 1, v0
	global_load_ushort v1, v1, s[42:43] offset:3840
	s_mov_b32 s6, 0x5040100
	s_waitcnt vmcnt(0)
	v_perm_b32 v9, v1, v9, s6
.LBB974_56:
	s_or_b64 exec, exec, s[4:5]
	v_or_b32_e32 v1, 0x800, v0
	v_cmp_gt_u32_e64 s[6:7], s83, v1
	s_mov_b64 s[4:5], exec
	s_nop 0
	v_writelane_b32 v38, s6, 32
	s_nop 1
	v_writelane_b32 v38, s7, 33
	s_and_b64 s[6:7], s[4:5], s[6:7]
	s_mov_b64 exec, s[6:7]
	s_cbranch_execz .LBB974_58
; %bb.57:
	v_lshlrev_b32_e32 v1, 1, v1
	global_load_ushort v1, v1, s[42:43]
	s_mov_b32 s6, 0xffff
	s_waitcnt vmcnt(0)
	v_bfi_b32 v10, s6, v1, v10
.LBB974_58:
	s_or_b64 exec, exec, s[4:5]
	v_or_b32_e32 v1, 0x880, v0
	v_cmp_gt_u32_e64 s[6:7], s83, v1
	s_mov_b64 s[4:5], exec
	s_nop 0
	v_writelane_b32 v38, s6, 34
	s_nop 1
	v_writelane_b32 v38, s7, 35
	s_and_b64 s[6:7], s[4:5], s[6:7]
	s_mov_b64 exec, s[6:7]
	s_cbranch_execz .LBB974_60
; %bb.59:
	v_lshlrev_b32_e32 v1, 1, v1
	global_load_ushort v1, v1, s[42:43]
	s_mov_b32 s6, 0x5040100
	s_waitcnt vmcnt(0)
	v_perm_b32 v10, v1, v10, s6
.LBB974_60:
	s_or_b64 exec, exec, s[4:5]
	v_or_b32_e32 v1, 0x900, v0
	v_cmp_gt_u32_e64 s[6:7], s83, v1
	s_mov_b64 s[4:5], exec
	s_nop 0
	v_writelane_b32 v38, s6, 36
	s_nop 1
	v_writelane_b32 v38, s7, 37
	s_and_b64 s[6:7], s[4:5], s[6:7]
	s_mov_b64 exec, s[6:7]
	s_cbranch_execz .LBB974_62
; %bb.61:
	v_lshlrev_b32_e32 v1, 1, v1
	global_load_ushort v1, v1, s[42:43]
	s_mov_b32 s6, 0xffff
	s_waitcnt vmcnt(0)
	v_bfi_b32 v11, s6, v1, v11
.LBB974_62:
	s_or_b64 exec, exec, s[4:5]
	v_or_b32_e32 v1, 0x980, v0
	v_cmp_gt_u32_e64 s[6:7], s83, v1
	s_mov_b64 s[4:5], exec
	s_nop 0
	v_writelane_b32 v38, s6, 38
	s_nop 1
	v_writelane_b32 v38, s7, 39
	s_and_b64 s[6:7], s[4:5], s[6:7]
	s_mov_b64 exec, s[6:7]
	s_cbranch_execz .LBB974_64
; %bb.63:
	v_lshlrev_b32_e32 v1, 1, v1
	global_load_ushort v1, v1, s[42:43]
	s_mov_b32 s6, 0x5040100
	s_waitcnt vmcnt(0)
	v_perm_b32 v11, v1, v11, s6
.LBB974_64:
	;; [unrolled: 36-line block ×4, first 2 shown]
	s_or_b64 exec, exec, s[4:5]
	v_or_b32_e32 v1, 0xc00, v0
	v_cmp_gt_u32_e64 s[50:51], s83, v1
	s_and_saveexec_b64 s[4:5], s[50:51]
	s_cbranch_execz .LBB974_74
; %bb.73:
	v_lshlrev_b32_e32 v1, 1, v1
	global_load_ushort v1, v1, s[42:43]
	s_mov_b32 s6, 0xffff
	s_waitcnt vmcnt(0)
	v_bfi_b32 v14, s6, v1, v14
.LBB974_74:
	s_or_b64 exec, exec, s[4:5]
	v_or_b32_e32 v1, 0xc80, v0
	v_cmp_gt_u32_e64 s[52:53], s83, v1
	s_and_saveexec_b64 s[4:5], s[52:53]
	s_cbranch_execz .LBB974_76
; %bb.75:
	v_lshlrev_b32_e32 v1, 1, v1
	global_load_ushort v1, v1, s[42:43]
	s_mov_b32 s6, 0x5040100
	s_waitcnt vmcnt(0)
	v_perm_b32 v14, v1, v14, s6
.LBB974_76:
	s_or_b64 exec, exec, s[4:5]
	v_or_b32_e32 v1, 0xd00, v0
	v_cmp_gt_u32_e64 s[54:55], s83, v1
	s_and_saveexec_b64 s[4:5], s[54:55]
	s_cbranch_execz .LBB974_78
; %bb.77:
	v_lshlrev_b32_e32 v1, 1, v1
	global_load_ushort v1, v1, s[42:43]
	s_mov_b32 s6, 0xffff
	s_waitcnt vmcnt(0)
	v_bfi_b32 v15, s6, v1, v15
.LBB974_78:
	s_or_b64 exec, exec, s[4:5]
	v_or_b32_e32 v1, 0xd80, v0
	v_cmp_gt_u32_e64 s[56:57], s83, v1
	s_and_saveexec_b64 s[4:5], s[56:57]
	s_cbranch_execz .LBB974_80
; %bb.79:
	v_lshlrev_b32_e32 v1, 1, v1
	global_load_ushort v1, v1, s[42:43]
	s_mov_b32 s6, 0x5040100
	s_waitcnt vmcnt(0)
	v_perm_b32 v15, v1, v15, s6
.LBB974_80:
	;; [unrolled: 24-line block ×19, first 2 shown]
	s_or_b64 exec, exec, s[30:31]
	v_or_b32_e32 v1, 0x1f00, v0
	v_cmp_gt_u32_e64 s[30:31], s83, v1
	s_and_saveexec_b64 vcc, s[30:31]
	s_cbranch_execz .LBB974_150
; %bb.149:
	v_lshlrev_b32_e32 v1, 1, v1
	global_load_ushort v1, v1, s[42:43]
	s_mov_b32 s44, 0xffff
	s_waitcnt vmcnt(0)
	v_bfi_b32 v33, s44, v1, v33
.LBB974_150:
	s_or_b64 exec, exec, vcc
	v_or_b32_e32 v1, 0x1f80, v0
	v_cmp_gt_u32_e32 vcc, s83, v1
	s_and_saveexec_b64 s[44:45], vcc
	s_cbranch_execz .LBB974_152
; %bb.151:
	v_lshlrev_b32_e32 v1, 1, v1
	global_load_ushort v1, v1, s[42:43]
	s_mov_b32 s42, 0x5040100
	s_waitcnt vmcnt(0)
	v_perm_b32 v33, v1, v33, s42
.LBB974_152:
	s_or_b64 exec, exec, s[44:45]
	s_mov_b64 s[42:43], exec
	v_readlane_b32 s44, v38, 2
	v_readlane_b32 s45, v38, 3
	s_and_b64 s[44:45], s[42:43], s[44:45]
	s_mov_b64 exec, s[44:45]
	s_cbranch_execz .LBB974_154
; %bb.153:
	v_bfe_i32 v34, v2, 0, 16
	v_lshrrev_b32_e32 v1, 16, v2
	v_ashrrev_i32_e32 v35, 31, v34
	v_bfe_i32 v36, v1, 0, 16
	v_lshl_add_u64 v[34:35], v[34:35], 1, s[66:67]
	v_ashrrev_i32_e32 v37, 31, v36
	v_lshl_add_u64 v[34:35], v[36:37], 1, v[34:35]
	global_load_ushort v2, v[34:35], off
.LBB974_154:
	s_or_b64 exec, exec, s[42:43]
	s_mov_b64 s[42:43], exec
	v_readlane_b32 s44, v38, 4
	v_readlane_b32 s45, v38, 5
	s_and_b64 s[44:45], s[42:43], s[44:45]
	s_mov_b64 exec, s[44:45]
	s_cbranch_execz .LBB974_156
; %bb.155:
	s_waitcnt vmcnt(0)
	v_bfe_i32 v34, v2, 0, 16
	v_ashrrev_i32_e32 v35, 31, v34
	v_bfe_i32 v36, v3, 0, 16
	v_lshl_add_u64 v[34:35], v[34:35], 1, s[66:67]
	v_ashrrev_i32_e32 v37, 31, v36
	v_lshl_add_u64 v[34:35], v[36:37], 1, v[34:35]
	global_load_ushort v2, v[34:35], off
.LBB974_156:
	s_or_b64 exec, exec, s[42:43]
	s_mov_b64 s[42:43], exec
	v_readlane_b32 s44, v38, 6
	v_readlane_b32 s45, v38, 7
	s_and_b64 s[44:45], s[42:43], s[44:45]
	s_mov_b64 exec, s[44:45]
	s_cbranch_execz .LBB974_158
; %bb.157:
	s_waitcnt vmcnt(0)
	v_bfe_i32 v34, v2, 0, 16
	v_lshrrev_b32_e32 v1, 16, v3
	v_ashrrev_i32_e32 v35, 31, v34
	v_bfe_i32 v2, v1, 0, 16
	v_lshl_add_u64 v[34:35], v[34:35], 1, s[66:67]
	v_ashrrev_i32_e32 v3, 31, v2
	v_lshl_add_u64 v[2:3], v[2:3], 1, v[34:35]
	global_load_ushort v2, v[2:3], off
.LBB974_158:
	s_or_b64 exec, exec, s[42:43]
	s_mov_b64 s[42:43], exec
	v_readlane_b32 s44, v38, 8
	v_readlane_b32 s45, v38, 9
	s_and_b64 s[44:45], s[42:43], s[44:45]
	s_mov_b64 exec, s[44:45]
	s_cbranch_execz .LBB974_160
; %bb.159:
	s_waitcnt vmcnt(0)
	v_bfe_i32 v2, v2, 0, 16
	v_ashrrev_i32_e32 v3, 31, v2
	v_bfe_i32 v34, v4, 0, 16
	v_lshl_add_u64 v[2:3], v[2:3], 1, s[66:67]
	v_ashrrev_i32_e32 v35, 31, v34
	v_lshl_add_u64 v[2:3], v[34:35], 1, v[2:3]
	global_load_ushort v2, v[2:3], off
.LBB974_160:
	s_or_b64 exec, exec, s[42:43]
	s_mov_b64 s[42:43], exec
	v_readlane_b32 s44, v38, 10
	v_readlane_b32 s45, v38, 11
	s_and_b64 s[44:45], s[42:43], s[44:45]
	s_mov_b64 exec, s[44:45]
	s_cbranch_execz .LBB974_162
; %bb.161:
	s_waitcnt vmcnt(0)
	v_bfe_i32 v2, v2, 0, 16
	v_lshrrev_b32_e32 v1, 16, v4
	v_ashrrev_i32_e32 v3, 31, v2
	v_bfe_i32 v34, v1, 0, 16
	v_lshl_add_u64 v[2:3], v[2:3], 1, s[66:67]
	v_ashrrev_i32_e32 v35, 31, v34
	v_lshl_add_u64 v[2:3], v[34:35], 1, v[2:3]
	global_load_ushort v2, v[2:3], off
.LBB974_162:
	;; [unrolled: 35-line block ×10, first 2 shown]
	s_or_b64 exec, exec, s[42:43]
	s_mov_b64 s[42:43], exec
	v_readlane_b32 s44, v38, 44
	v_readlane_b32 s45, v38, 45
	s_and_b64 s[44:45], s[42:43], s[44:45]
	s_mov_b64 exec, s[44:45]
	s_cbranch_execz .LBB974_196
; %bb.195:
	s_waitcnt vmcnt(0)
	v_bfe_i32 v2, v2, 0, 16
	v_ashrrev_i32_e32 v3, 31, v2
	v_bfe_i32 v4, v13, 0, 16
	v_lshl_add_u64 v[2:3], v[2:3], 1, s[66:67]
	v_ashrrev_i32_e32 v5, 31, v4
	v_lshl_add_u64 v[2:3], v[4:5], 1, v[2:3]
	global_load_ushort v2, v[2:3], off
.LBB974_196:
	s_or_b64 exec, exec, s[42:43]
	s_mov_b64 s[42:43], exec
	v_readlane_b32 s44, v38, 46
	v_readlane_b32 s45, v38, 47
	s_and_b64 s[44:45], s[42:43], s[44:45]
	s_mov_b64 exec, s[44:45]
	s_cbranch_execz .LBB974_357
; %bb.197:
	s_waitcnt vmcnt(0)
	v_bfe_i32 v2, v2, 0, 16
	v_lshrrev_b32_e32 v1, 16, v13
	v_ashrrev_i32_e32 v3, 31, v2
	v_bfe_i32 v4, v1, 0, 16
	v_lshl_add_u64 v[2:3], v[2:3], 1, s[66:67]
	v_ashrrev_i32_e32 v5, 31, v4
	v_lshl_add_u64 v[2:3], v[4:5], 1, v[2:3]
	global_load_ushort v2, v[2:3], off
	s_or_b64 exec, exec, s[42:43]
	s_and_saveexec_b64 s[42:43], s[50:51]
	s_cbranch_execnz .LBB974_358
.LBB974_198:
	s_or_b64 exec, exec, s[42:43]
	s_and_saveexec_b64 s[42:43], s[52:53]
	s_cbranch_execz .LBB974_359
.LBB974_199:
	s_waitcnt vmcnt(0)
	v_bfe_i32 v2, v2, 0, 16
	v_lshrrev_b32_e32 v1, 16, v14
	v_ashrrev_i32_e32 v3, 31, v2
	v_bfe_i32 v4, v1, 0, 16
	v_lshl_add_u64 v[2:3], v[2:3], 1, s[66:67]
	v_ashrrev_i32_e32 v5, 31, v4
	v_lshl_add_u64 v[2:3], v[4:5], 1, v[2:3]
	global_load_ushort v2, v[2:3], off
	s_or_b64 exec, exec, s[42:43]
	s_and_saveexec_b64 s[42:43], s[54:55]
	s_cbranch_execnz .LBB974_360
.LBB974_200:
	s_or_b64 exec, exec, s[42:43]
	s_and_saveexec_b64 s[42:43], s[56:57]
	s_cbranch_execz .LBB974_361
.LBB974_201:
	s_waitcnt vmcnt(0)
	v_bfe_i32 v2, v2, 0, 16
	v_lshrrev_b32_e32 v1, 16, v15
	v_ashrrev_i32_e32 v3, 31, v2
	v_bfe_i32 v4, v1, 0, 16
	v_lshl_add_u64 v[2:3], v[2:3], 1, s[66:67]
	v_ashrrev_i32_e32 v5, 31, v4
	v_lshl_add_u64 v[2:3], v[4:5], 1, v[2:3]
	global_load_ushort v2, v[2:3], off
	s_or_b64 exec, exec, s[42:43]
	s_and_saveexec_b64 s[42:43], s[58:59]
	s_cbranch_execnz .LBB974_362
.LBB974_202:
	s_or_b64 exec, exec, s[42:43]
	s_and_saveexec_b64 s[42:43], s[60:61]
	s_cbranch_execz .LBB974_363
.LBB974_203:
	s_waitcnt vmcnt(0)
	v_bfe_i32 v2, v2, 0, 16
	v_lshrrev_b32_e32 v1, 16, v16
	v_ashrrev_i32_e32 v3, 31, v2
	v_bfe_i32 v4, v1, 0, 16
	v_lshl_add_u64 v[2:3], v[2:3], 1, s[66:67]
	v_ashrrev_i32_e32 v5, 31, v4
	v_lshl_add_u64 v[2:3], v[4:5], 1, v[2:3]
	global_load_ushort v2, v[2:3], off
	s_or_b64 exec, exec, s[42:43]
	s_and_saveexec_b64 s[42:43], s[62:63]
	s_cbranch_execnz .LBB974_364
.LBB974_204:
	s_or_b64 exec, exec, s[42:43]
	s_and_saveexec_b64 s[42:43], s[64:65]
	s_cbranch_execz .LBB974_365
.LBB974_205:
	s_waitcnt vmcnt(0)
	v_bfe_i32 v2, v2, 0, 16
	v_lshrrev_b32_e32 v1, 16, v17
	v_ashrrev_i32_e32 v3, 31, v2
	v_bfe_i32 v4, v1, 0, 16
	v_lshl_add_u64 v[2:3], v[2:3], 1, s[66:67]
	v_ashrrev_i32_e32 v5, 31, v4
	v_lshl_add_u64 v[2:3], v[4:5], 1, v[2:3]
	global_load_ushort v2, v[2:3], off
	s_or_b64 exec, exec, s[42:43]
	s_and_saveexec_b64 s[42:43], s[38:39]
	s_cbranch_execnz .LBB974_366
.LBB974_206:
	s_or_b64 exec, exec, s[42:43]
	s_and_saveexec_b64 s[38:39], s[34:35]
	s_cbranch_execz .LBB974_367
.LBB974_207:
	s_waitcnt vmcnt(0)
	v_bfe_i32 v2, v2, 0, 16
	v_lshrrev_b32_e32 v1, 16, v18
	v_ashrrev_i32_e32 v3, 31, v2
	v_bfe_i32 v4, v1, 0, 16
	v_lshl_add_u64 v[2:3], v[2:3], 1, s[66:67]
	v_ashrrev_i32_e32 v5, 31, v4
	v_lshl_add_u64 v[2:3], v[4:5], 1, v[2:3]
	global_load_ushort v2, v[2:3], off
	s_or_b64 exec, exec, s[38:39]
	s_and_saveexec_b64 s[34:35], s[36:37]
	s_cbranch_execnz .LBB974_368
.LBB974_208:
	s_or_b64 exec, exec, s[34:35]
	s_and_saveexec_b64 s[34:35], s[72:73]
	s_cbranch_execz .LBB974_369
.LBB974_209:
	s_waitcnt vmcnt(0)
	v_bfe_i32 v2, v2, 0, 16
	v_lshrrev_b32_e32 v1, 16, v19
	v_ashrrev_i32_e32 v3, 31, v2
	v_bfe_i32 v4, v1, 0, 16
	v_lshl_add_u64 v[2:3], v[2:3], 1, s[66:67]
	v_ashrrev_i32_e32 v5, 31, v4
	v_lshl_add_u64 v[2:3], v[4:5], 1, v[2:3]
	global_load_ushort v2, v[2:3], off
	s_or_b64 exec, exec, s[34:35]
	s_and_saveexec_b64 s[34:35], s[74:75]
	s_cbranch_execnz .LBB974_370
.LBB974_210:
	s_or_b64 exec, exec, s[34:35]
	s_and_saveexec_b64 s[34:35], s[76:77]
	s_cbranch_execz .LBB974_371
.LBB974_211:
	s_waitcnt vmcnt(0)
	v_bfe_i32 v2, v2, 0, 16
	v_lshrrev_b32_e32 v1, 16, v20
	v_ashrrev_i32_e32 v3, 31, v2
	v_bfe_i32 v4, v1, 0, 16
	v_lshl_add_u64 v[2:3], v[2:3], 1, s[66:67]
	v_ashrrev_i32_e32 v5, 31, v4
	v_lshl_add_u64 v[2:3], v[4:5], 1, v[2:3]
	global_load_ushort v2, v[2:3], off
	s_or_b64 exec, exec, s[34:35]
	s_and_saveexec_b64 s[34:35], s[78:79]
	s_cbranch_execnz .LBB974_372
.LBB974_212:
	s_or_b64 exec, exec, s[34:35]
	s_and_saveexec_b64 s[34:35], s[80:81]
	s_cbranch_execz .LBB974_373
.LBB974_213:
	s_waitcnt vmcnt(0)
	v_bfe_i32 v2, v2, 0, 16
	v_lshrrev_b32_e32 v1, 16, v21
	v_ashrrev_i32_e32 v3, 31, v2
	v_bfe_i32 v4, v1, 0, 16
	v_lshl_add_u64 v[2:3], v[2:3], 1, s[66:67]
	v_ashrrev_i32_e32 v5, 31, v4
	v_lshl_add_u64 v[2:3], v[4:5], 1, v[2:3]
	global_load_ushort v2, v[2:3], off
	s_or_b64 exec, exec, s[34:35]
	s_and_saveexec_b64 s[34:35], s[46:47]
	s_cbranch_execnz .LBB974_374
.LBB974_214:
	s_or_b64 exec, exec, s[34:35]
	s_and_saveexec_b64 s[34:35], s[84:85]
	s_cbranch_execz .LBB974_375
.LBB974_215:
	s_waitcnt vmcnt(0)
	v_bfe_i32 v2, v2, 0, 16
	v_lshrrev_b32_e32 v1, 16, v22
	v_ashrrev_i32_e32 v3, 31, v2
	v_bfe_i32 v4, v1, 0, 16
	v_lshl_add_u64 v[2:3], v[2:3], 1, s[66:67]
	v_ashrrev_i32_e32 v5, 31, v4
	v_lshl_add_u64 v[2:3], v[4:5], 1, v[2:3]
	global_load_ushort v2, v[2:3], off
	s_or_b64 exec, exec, s[34:35]
	s_and_saveexec_b64 s[34:35], s[86:87]
	s_cbranch_execnz .LBB974_376
.LBB974_216:
	s_or_b64 exec, exec, s[34:35]
	s_and_saveexec_b64 s[34:35], s[88:89]
	s_cbranch_execz .LBB974_377
.LBB974_217:
	s_waitcnt vmcnt(0)
	v_bfe_i32 v2, v2, 0, 16
	v_lshrrev_b32_e32 v1, 16, v23
	v_ashrrev_i32_e32 v3, 31, v2
	v_bfe_i32 v4, v1, 0, 16
	v_lshl_add_u64 v[2:3], v[2:3], 1, s[66:67]
	v_ashrrev_i32_e32 v5, 31, v4
	v_lshl_add_u64 v[2:3], v[4:5], 1, v[2:3]
	global_load_ushort v2, v[2:3], off
	s_or_b64 exec, exec, s[34:35]
	s_and_saveexec_b64 s[34:35], s[90:91]
	s_cbranch_execnz .LBB974_378
.LBB974_218:
	s_or_b64 exec, exec, s[34:35]
	s_and_saveexec_b64 s[34:35], s[92:93]
	s_cbranch_execz .LBB974_379
.LBB974_219:
	s_waitcnt vmcnt(0)
	v_bfe_i32 v2, v2, 0, 16
	v_lshrrev_b32_e32 v1, 16, v24
	v_ashrrev_i32_e32 v3, 31, v2
	v_bfe_i32 v4, v1, 0, 16
	v_lshl_add_u64 v[2:3], v[2:3], 1, s[66:67]
	v_ashrrev_i32_e32 v5, 31, v4
	v_lshl_add_u64 v[2:3], v[4:5], 1, v[2:3]
	global_load_ushort v2, v[2:3], off
	s_or_b64 exec, exec, s[34:35]
	s_and_saveexec_b64 s[34:35], s[94:95]
	s_cbranch_execnz .LBB974_380
.LBB974_220:
	s_or_b64 exec, exec, s[34:35]
	s_and_saveexec_b64 s[34:35], s[96:97]
	s_cbranch_execz .LBB974_381
.LBB974_221:
	s_waitcnt vmcnt(0)
	v_bfe_i32 v2, v2, 0, 16
	v_lshrrev_b32_e32 v1, 16, v25
	v_ashrrev_i32_e32 v3, 31, v2
	v_bfe_i32 v4, v1, 0, 16
	v_lshl_add_u64 v[2:3], v[2:3], 1, s[66:67]
	v_ashrrev_i32_e32 v5, 31, v4
	v_lshl_add_u64 v[2:3], v[4:5], 1, v[2:3]
	global_load_ushort v2, v[2:3], off
	s_or_b64 exec, exec, s[34:35]
	s_and_saveexec_b64 s[34:35], s[98:99]
	s_cbranch_execnz .LBB974_382
.LBB974_222:
	s_or_b64 exec, exec, s[34:35]
	s_and_saveexec_b64 s[34:35], s[4:5]
	s_cbranch_execz .LBB974_383
.LBB974_223:
	s_waitcnt vmcnt(0)
	v_bfe_i32 v2, v2, 0, 16
	v_lshrrev_b32_e32 v1, 16, v26
	v_ashrrev_i32_e32 v3, 31, v2
	v_bfe_i32 v4, v1, 0, 16
	v_lshl_add_u64 v[2:3], v[2:3], 1, s[66:67]
	v_ashrrev_i32_e32 v5, 31, v4
	v_lshl_add_u64 v[2:3], v[4:5], 1, v[2:3]
	global_load_ushort v2, v[2:3], off
	s_or_b64 exec, exec, s[34:35]
	s_and_saveexec_b64 s[4:5], s[6:7]
	s_cbranch_execnz .LBB974_384
.LBB974_224:
	s_or_b64 exec, exec, s[4:5]
	s_and_saveexec_b64 s[4:5], s[8:9]
	s_cbranch_execz .LBB974_385
.LBB974_225:
	s_waitcnt vmcnt(0)
	v_bfe_i32 v2, v2, 0, 16
	v_lshrrev_b32_e32 v1, 16, v27
	v_ashrrev_i32_e32 v3, 31, v2
	v_bfe_i32 v4, v1, 0, 16
	v_lshl_add_u64 v[2:3], v[2:3], 1, s[66:67]
	v_ashrrev_i32_e32 v5, 31, v4
	v_lshl_add_u64 v[2:3], v[4:5], 1, v[2:3]
	global_load_ushort v2, v[2:3], off
	s_or_b64 exec, exec, s[4:5]
	s_and_saveexec_b64 s[4:5], s[10:11]
	s_cbranch_execnz .LBB974_386
.LBB974_226:
	s_or_b64 exec, exec, s[4:5]
	s_and_saveexec_b64 s[4:5], s[12:13]
	s_cbranch_execz .LBB974_387
.LBB974_227:
	s_waitcnt vmcnt(0)
	v_bfe_i32 v2, v2, 0, 16
	v_lshrrev_b32_e32 v1, 16, v28
	v_ashrrev_i32_e32 v3, 31, v2
	v_bfe_i32 v4, v1, 0, 16
	v_lshl_add_u64 v[2:3], v[2:3], 1, s[66:67]
	v_ashrrev_i32_e32 v5, 31, v4
	v_lshl_add_u64 v[2:3], v[4:5], 1, v[2:3]
	global_load_ushort v2, v[2:3], off
	s_or_b64 exec, exec, s[4:5]
	s_and_saveexec_b64 s[4:5], s[14:15]
	s_cbranch_execnz .LBB974_388
.LBB974_228:
	s_or_b64 exec, exec, s[4:5]
	s_and_saveexec_b64 s[4:5], s[16:17]
	s_cbranch_execz .LBB974_389
.LBB974_229:
	s_waitcnt vmcnt(0)
	v_bfe_i32 v2, v2, 0, 16
	v_lshrrev_b32_e32 v1, 16, v29
	v_ashrrev_i32_e32 v3, 31, v2
	v_bfe_i32 v4, v1, 0, 16
	v_lshl_add_u64 v[2:3], v[2:3], 1, s[66:67]
	v_ashrrev_i32_e32 v5, 31, v4
	v_lshl_add_u64 v[2:3], v[4:5], 1, v[2:3]
	global_load_ushort v2, v[2:3], off
	s_or_b64 exec, exec, s[4:5]
	s_and_saveexec_b64 s[4:5], s[18:19]
	s_cbranch_execnz .LBB974_390
.LBB974_230:
	s_or_b64 exec, exec, s[4:5]
	s_and_saveexec_b64 s[4:5], s[20:21]
	s_cbranch_execz .LBB974_391
.LBB974_231:
	s_waitcnt vmcnt(0)
	v_bfe_i32 v2, v2, 0, 16
	v_lshrrev_b32_e32 v1, 16, v30
	v_ashrrev_i32_e32 v3, 31, v2
	v_bfe_i32 v4, v1, 0, 16
	v_lshl_add_u64 v[2:3], v[2:3], 1, s[66:67]
	v_ashrrev_i32_e32 v5, 31, v4
	v_lshl_add_u64 v[2:3], v[4:5], 1, v[2:3]
	global_load_ushort v2, v[2:3], off
	s_or_b64 exec, exec, s[4:5]
	s_and_saveexec_b64 s[4:5], s[22:23]
	s_cbranch_execnz .LBB974_392
.LBB974_232:
	s_or_b64 exec, exec, s[4:5]
	s_and_saveexec_b64 s[4:5], s[24:25]
	s_cbranch_execz .LBB974_393
.LBB974_233:
	s_waitcnt vmcnt(0)
	v_bfe_i32 v2, v2, 0, 16
	v_lshrrev_b32_e32 v1, 16, v31
	v_ashrrev_i32_e32 v3, 31, v2
	v_bfe_i32 v4, v1, 0, 16
	v_lshl_add_u64 v[2:3], v[2:3], 1, s[66:67]
	v_ashrrev_i32_e32 v5, 31, v4
	v_lshl_add_u64 v[2:3], v[4:5], 1, v[2:3]
	global_load_ushort v2, v[2:3], off
	s_or_b64 exec, exec, s[4:5]
	s_and_saveexec_b64 s[4:5], s[26:27]
	s_cbranch_execnz .LBB974_394
.LBB974_234:
	s_or_b64 exec, exec, s[4:5]
	s_and_saveexec_b64 s[4:5], s[28:29]
	s_cbranch_execz .LBB974_395
.LBB974_235:
	s_waitcnt vmcnt(0)
	v_bfe_i32 v2, v2, 0, 16
	v_lshrrev_b32_e32 v1, 16, v32
	v_ashrrev_i32_e32 v3, 31, v2
	v_bfe_i32 v4, v1, 0, 16
	v_lshl_add_u64 v[2:3], v[2:3], 1, s[66:67]
	v_ashrrev_i32_e32 v5, 31, v4
	v_lshl_add_u64 v[2:3], v[4:5], 1, v[2:3]
	global_load_ushort v2, v[2:3], off
	s_or_b64 exec, exec, s[4:5]
	s_and_saveexec_b64 s[4:5], s[30:31]
	s_cbranch_execnz .LBB974_396
.LBB974_236:
	s_or_b64 exec, exec, s[4:5]
	s_and_saveexec_b64 s[4:5], vcc
	s_cbranch_execz .LBB974_238
.LBB974_237:
	s_waitcnt vmcnt(0)
	v_bfe_i32 v2, v2, 0, 16
	v_lshrrev_b32_e32 v1, 16, v33
	v_ashrrev_i32_e32 v3, 31, v2
	v_bfe_i32 v4, v1, 0, 16
	v_lshl_add_u64 v[2:3], v[2:3], 1, s[66:67]
	v_ashrrev_i32_e32 v5, 31, v4
	v_lshl_add_u64 v[2:3], v[4:5], 1, v[2:3]
	global_load_ushort v2, v[2:3], off
.LBB974_238:
	s_or_b64 exec, exec, s[4:5]
	v_mbcnt_lo_u32_b32 v1, -1, 0
	v_mbcnt_hi_u32_b32 v1, -1, v1
	v_and_b32_e32 v3, 63, v1
	v_cmp_ne_u32_e32 vcc, 63, v3
	s_waitcnt vmcnt(0)
	v_and_b32_e32 v6, 0xffff, v2
	s_min_u32 s6, s83, 0x80
	v_addc_co_u32_e32 v4, vcc, 0, v1, vcc
	v_lshlrev_b32_e32 v4, 2, v4
	ds_bpermute_b32 v4, v4, v6
	v_and_b32_e32 v5, 64, v0
	v_sub_u32_e64 v5, s6, v5 clamp
	v_add_u32_e32 v7, 1, v3
	v_cmp_lt_u32_e32 vcc, v7, v5
	s_and_saveexec_b64 s[4:5], vcc
	s_xor_b64 s[4:5], exec, s[4:5]
	s_cbranch_execz .LBB974_240
; %bb.239:
	v_bfe_i32 v6, v2, 0, 16
	v_ashrrev_i32_e32 v7, 31, v6
	s_waitcnt lgkmcnt(0)
	v_lshlrev_b32_e32 v2, 16, v4
	v_lshl_add_u64 v[6:7], v[6:7], 1, s[66:67]
	v_ashrrev_i32_e32 v8, 15, v2
	v_bfe_i32 v9, v4, 15, 1
	v_lshl_add_u64 v[6:7], v[6:7], 0, v[8:9]
	global_load_ushort v2, v[6:7], off
	s_waitcnt vmcnt(0)
	v_and_b32_e32 v6, 0xffff, v2
.LBB974_240:
	s_or_b64 exec, exec, s[4:5]
	v_cmp_gt_u32_e32 vcc, 62, v3
	v_add_u32_e32 v7, 2, v3
	s_waitcnt lgkmcnt(0)
	v_cndmask_b32_e64 v4, 0, 2, vcc
	v_add_lshl_u32 v4, v4, v1, 2
	ds_bpermute_b32 v4, v4, v6
	v_cmp_lt_u32_e32 vcc, v7, v5
	s_and_saveexec_b64 s[4:5], vcc
	s_cbranch_execz .LBB974_242
; %bb.241:
	v_bfe_i32 v6, v2, 0, 16
	v_ashrrev_i32_e32 v7, 31, v6
	s_waitcnt lgkmcnt(0)
	v_lshlrev_b32_e32 v2, 16, v4
	v_lshl_add_u64 v[6:7], v[6:7], 1, s[66:67]
	v_ashrrev_i32_e32 v8, 15, v2
	v_bfe_i32 v9, v4, 15, 1
	v_lshl_add_u64 v[6:7], v[6:7], 0, v[8:9]
	global_load_ushort v2, v[6:7], off
	s_waitcnt vmcnt(0)
	v_and_b32_e32 v6, 0xffff, v2
.LBB974_242:
	s_or_b64 exec, exec, s[4:5]
	v_cmp_gt_u32_e32 vcc, 60, v3
	v_add_u32_e32 v7, 4, v3
	s_waitcnt lgkmcnt(0)
	v_cndmask_b32_e64 v4, 0, 4, vcc
	v_add_lshl_u32 v4, v4, v1, 2
	ds_bpermute_b32 v4, v4, v6
	v_cmp_lt_u32_e32 vcc, v7, v5
	s_and_saveexec_b64 s[4:5], vcc
	;; [unrolled: 23-line block ×4, first 2 shown]
	s_cbranch_execz .LBB974_248
; %bb.247:
	v_bfe_i32 v6, v2, 0, 16
	v_ashrrev_i32_e32 v7, 31, v6
	s_waitcnt lgkmcnt(0)
	v_lshlrev_b32_e32 v2, 16, v4
	v_lshl_add_u64 v[6:7], v[6:7], 1, s[66:67]
	v_ashrrev_i32_e32 v8, 15, v2
	v_bfe_i32 v9, v4, 15, 1
	v_lshl_add_u64 v[6:7], v[6:7], 0, v[8:9]
	global_load_ushort v2, v[6:7], off
	s_waitcnt vmcnt(0)
	v_and_b32_e32 v6, 0xffff, v2
.LBB974_248:
	s_or_b64 exec, exec, s[4:5]
	v_lshlrev_b32_e32 v7, 2, v1
	s_waitcnt lgkmcnt(0)
	v_or_b32_e32 v4, 0x80, v7
	ds_bpermute_b32 v4, v4, v6
	v_add_u32_e32 v3, 32, v3
	v_cmp_lt_u32_e32 vcc, v3, v5
	s_and_saveexec_b64 s[4:5], vcc
	s_cbranch_execz .LBB974_250
; %bb.249:
	v_bfe_i32 v2, v2, 0, 16
	v_ashrrev_i32_e32 v3, 31, v2
	s_waitcnt lgkmcnt(0)
	v_lshlrev_b32_e32 v5, 16, v4
	v_lshl_add_u64 v[2:3], v[2:3], 1, s[66:67]
	v_ashrrev_i32_e32 v8, 15, v5
	v_bfe_i32 v9, v4, 15, 1
	v_lshl_add_u64 v[2:3], v[2:3], 0, v[8:9]
	global_load_ushort v2, v[2:3], off
.LBB974_250:
	s_or_b64 exec, exec, s[4:5]
	v_cmp_eq_u32_e32 vcc, 0, v1
	s_and_saveexec_b64 s[4:5], vcc
	s_cbranch_execz .LBB974_252
; %bb.251:
	v_lshrrev_b32_e32 v3, 5, v0
	v_and_b32_e32 v3, 2, v3
	s_waitcnt vmcnt(0)
	ds_write_b16 v3, v2
.LBB974_252:
	s_or_b64 exec, exec, s[4:5]
	v_cmp_gt_u32_e32 vcc, 2, v0
	s_waitcnt lgkmcnt(0)
	s_barrier
                                        ; implicit-def: $vgpr3
                                        ; implicit-def: $vgpr4
	s_and_saveexec_b64 s[4:5], vcc
	s_cbranch_execz .LBB974_254
; %bb.253:
	s_waitcnt vmcnt(0)
	v_lshlrev_b32_e32 v2, 1, v1
	ds_read_u16 v3, v2
	s_add_i32 s6, s6, 63
	v_and_b32_e32 v1, 1, v1
	s_lshr_b32 s6, s6, 6
	v_add_u32_e32 v1, 1, v1
	v_or_b32_e32 v2, 4, v7
	v_cmp_gt_u32_e32 vcc, s6, v1
	s_waitcnt lgkmcnt(0)
	v_and_b32_e32 v1, 0xffff, v3
	ds_bpermute_b32 v4, v2, v1
	v_readlane_b32 s6, v38, 0
	v_readlane_b32 s7, v38, 1
	s_andn2_b64 s[6:7], s[6:7], exec
	s_and_b64 s[8:9], vcc, exec
	s_or_b64 s[6:7], s[6:7], s[8:9]
	v_writelane_b32 v38, s6, 0
	v_mov_b32_e32 v2, v3
	s_nop 0
	v_writelane_b32 v38, s7, 1
.LBB974_254:
	s_or_b64 exec, exec, s[4:5]
.LBB974_255:
	s_mov_b64 s[4:5], exec
	v_readlane_b32 s6, v38, 0
	v_readlane_b32 s7, v38, 1
	s_and_b64 s[6:7], s[4:5], s[6:7]
	s_mov_b64 exec, s[6:7]
	s_cbranch_execz .LBB974_257
; %bb.256:
	s_waitcnt vmcnt(0)
	v_bfe_i32 v2, v3, 0, 16
	v_ashrrev_i32_e32 v3, 31, v2
	s_waitcnt lgkmcnt(0)
	v_lshlrev_b32_e32 v1, 16, v4
	v_lshl_add_u64 v[2:3], v[2:3], 1, s[66:67]
	v_ashrrev_i32_e32 v6, 15, v1
	v_bfe_i32 v7, v4, 15, 1
	v_lshl_add_u64 v[2:3], v[2:3], 0, v[6:7]
	global_load_ushort v2, v[2:3], off
.LBB974_257:
	s_or_b64 exec, exec, s[4:5]
	v_cmp_eq_u32_e32 vcc, 0, v0
	s_mov_b64 s[74:75], 0
	s_mov_b64 s[72:73], 0
	s_and_saveexec_b64 s[4:5], vcc
	s_xor_b64 s[4:5], exec, s[4:5]
; %bb.258:
	s_cmp_eq_u64 s[70:71], 0
	s_cselect_b64 s[6:7], -1, 0
	s_cmp_lg_u64 s[70:71], 0
	s_cselect_b64 s[8:9], -1, 0
	s_and_b64 s[72:73], s[6:7], exec
	s_and_b64 s[74:75], s[8:9], exec
; %bb.259:
	s_or_b64 exec, exec, s[4:5]
	s_and_b64 vcc, exec, s[40:41]
	s_cbranch_vccnz .LBB974_14
.LBB974_260:
	s_branch .LBB974_555
.LBB974_261:
	s_mov_b64 s[6:7], -1
	s_mov_b64 s[76:77], 0
                                        ; implicit-def: $vgpr3
                                        ; implicit-def: $vgpr4
                                        ; implicit-def: $vgpr2
.LBB974_262:
	s_and_b64 vcc, exec, s[6:7]
	s_cbranch_vccz .LBB974_446
; %bb.263:
	s_sub_i32 s83, s70, s4
	s_waitcnt vmcnt(0)
	v_mov_b32_e32 v2, 0
	v_cmp_gt_u32_e32 vcc, s83, v0
	v_mov_b32_e32 v3, v2
	s_waitcnt lgkmcnt(0)
	v_mov_b32_e32 v4, v2
	v_mov_b32_e32 v5, v2
	v_mov_b32_e32 v6, v2
	v_mov_b32_e32 v7, v2
	v_mov_b32_e32 v8, v2
	v_mov_b32_e32 v9, v2
	v_mov_b32_e32 v10, v2
	v_mov_b32_e32 v11, v2
	v_mov_b32_e32 v12, v2
	v_mov_b32_e32 v13, v2
	v_mov_b32_e32 v14, v2
	v_mov_b32_e32 v15, v2
	v_mov_b32_e32 v16, v2
	v_mov_b32_e32 v17, v2
	s_and_saveexec_b64 s[4:5], vcc
	s_cbranch_execz .LBB974_265
; %bb.264:
	v_lshlrev_b32_e32 v1, 1, v0
	global_load_ushort v1, v1, s[78:79]
	v_mov_b32_e32 v5, v2
	v_mov_b32_e32 v6, v2
	;; [unrolled: 1-line block ×15, first 2 shown]
	s_waitcnt vmcnt(0)
	v_and_b32_e32 v4, 0xffff, v1
	v_mov_b64_e32 v[2:3], v[4:5]
	v_mov_b64_e32 v[4:5], v[6:7]
	;; [unrolled: 1-line block ×8, first 2 shown]
.LBB974_265:
	s_or_b64 exec, exec, s[4:5]
	v_or_b32_e32 v1, 0x80, v0
	v_cmp_gt_u32_e32 vcc, s83, v1
	s_and_saveexec_b64 s[4:5], vcc
	s_cbranch_execz .LBB974_267
; %bb.266:
	v_lshlrev_b32_e32 v1, 1, v0
	global_load_ushort v1, v1, s[78:79] offset:256
	s_mov_b32 s6, 0x5040100
	s_waitcnt vmcnt(0)
	v_perm_b32 v2, v1, v2, s6
.LBB974_267:
	s_or_b64 exec, exec, s[4:5]
	v_or_b32_e32 v1, 0x100, v0
	v_cmp_gt_u32_e64 s[4:5], s83, v1
	s_and_saveexec_b64 s[6:7], s[4:5]
	s_cbranch_execz .LBB974_269
; %bb.268:
	v_lshlrev_b32_e32 v1, 1, v0
	global_load_ushort v1, v1, s[78:79] offset:512
	s_mov_b32 s8, 0xffff
	s_waitcnt vmcnt(0)
	v_bfi_b32 v3, s8, v1, v3
.LBB974_269:
	s_or_b64 exec, exec, s[6:7]
	v_or_b32_e32 v1, 0x180, v0
	v_cmp_gt_u32_e64 s[6:7], s83, v1
	s_and_saveexec_b64 s[8:9], s[6:7]
	s_cbranch_execz .LBB974_271
; %bb.270:
	v_lshlrev_b32_e32 v1, 1, v0
	global_load_ushort v1, v1, s[78:79] offset:768
	s_mov_b32 s10, 0x5040100
	s_waitcnt vmcnt(0)
	v_perm_b32 v3, v1, v3, s10
.LBB974_271:
	s_or_b64 exec, exec, s[8:9]
	v_or_b32_e32 v1, 0x200, v0
	v_cmp_gt_u32_e64 s[8:9], s83, v1
	s_and_saveexec_b64 s[10:11], s[8:9]
	s_cbranch_execz .LBB974_273
; %bb.272:
	v_lshlrev_b32_e32 v1, 1, v0
	global_load_ushort v1, v1, s[78:79] offset:1024
	s_mov_b32 s12, 0xffff
	s_waitcnt vmcnt(0)
	v_bfi_b32 v4, s12, v1, v4
.LBB974_273:
	s_or_b64 exec, exec, s[10:11]
	v_or_b32_e32 v1, 0x280, v0
	v_cmp_gt_u32_e64 s[10:11], s83, v1
	s_and_saveexec_b64 s[12:13], s[10:11]
	;; [unrolled: 24-line block ×7, first 2 shown]
	s_cbranch_execz .LBB974_295
; %bb.294:
	v_lshlrev_b32_e32 v1, 1, v0
	global_load_ushort v1, v1, s[78:79] offset:3840
	s_mov_b32 s36, 0x5040100
	s_waitcnt vmcnt(0)
	v_perm_b32 v9, v1, v9, s36
.LBB974_295:
	s_or_b64 exec, exec, s[34:35]
	v_or_b32_e32 v1, 0x800, v0
	v_cmp_gt_u32_e64 s[34:35], s83, v1
	s_and_saveexec_b64 s[36:37], s[34:35]
	s_cbranch_execz .LBB974_297
; %bb.296:
	v_lshlrev_b32_e32 v1, 1, v1
	global_load_ushort v1, v1, s[78:79]
	s_mov_b32 s38, 0xffff
	s_waitcnt vmcnt(0)
	v_bfi_b32 v10, s38, v1, v10
.LBB974_297:
	s_or_b64 exec, exec, s[36:37]
	v_or_b32_e32 v1, 0x880, v0
	v_cmp_gt_u32_e64 s[36:37], s83, v1
	s_and_saveexec_b64 s[38:39], s[36:37]
	s_cbranch_execz .LBB974_299
; %bb.298:
	v_lshlrev_b32_e32 v1, 1, v1
	global_load_ushort v1, v1, s[78:79]
	s_mov_b32 s40, 0x5040100
	s_waitcnt vmcnt(0)
	v_perm_b32 v10, v1, v10, s40
.LBB974_299:
	s_or_b64 exec, exec, s[38:39]
	v_or_b32_e32 v1, 0x900, v0
	v_cmp_gt_u32_e64 s[38:39], s83, v1
	s_and_saveexec_b64 s[40:41], s[38:39]
	s_cbranch_execz .LBB974_301
; %bb.300:
	v_lshlrev_b32_e32 v1, 1, v1
	global_load_ushort v1, v1, s[78:79]
	s_mov_b32 s42, 0xffff
	s_waitcnt vmcnt(0)
	v_bfi_b32 v11, s42, v1, v11
.LBB974_301:
	s_or_b64 exec, exec, s[40:41]
	v_or_b32_e32 v1, 0x980, v0
	v_cmp_gt_u32_e64 s[40:41], s83, v1
	s_and_saveexec_b64 s[42:43], s[40:41]
	s_cbranch_execz .LBB974_303
; %bb.302:
	v_lshlrev_b32_e32 v1, 1, v1
	global_load_ushort v1, v1, s[78:79]
	s_mov_b32 s44, 0x5040100
	s_waitcnt vmcnt(0)
	v_perm_b32 v11, v1, v11, s44
.LBB974_303:
	;; [unrolled: 24-line block ×7, first 2 shown]
	s_or_b64 exec, exec, s[62:63]
	v_or_b32_e32 v1, 0xf00, v0
	v_cmp_gt_u32_e64 s[62:63], s83, v1
	s_and_saveexec_b64 s[64:65], s[62:63]
	s_cbranch_execz .LBB974_325
; %bb.324:
	v_lshlrev_b32_e32 v1, 1, v1
	global_load_ushort v1, v1, s[78:79]
	s_mov_b32 s80, 0xffff
	s_waitcnt vmcnt(0)
	v_bfi_b32 v17, s80, v1, v17
.LBB974_325:
	s_or_b64 exec, exec, s[64:65]
	v_or_b32_e32 v1, 0xf80, v0
	v_cmp_gt_u32_e64 s[64:65], s83, v1
	s_and_saveexec_b64 s[80:81], s[64:65]
	s_cbranch_execz .LBB974_397
; %bb.326:
	v_lshlrev_b32_e32 v1, 1, v1
	global_load_ushort v1, v1, s[78:79]
	s_mov_b32 s78, 0x5040100
	s_waitcnt vmcnt(0)
	v_perm_b32 v17, v1, v17, s78
	s_or_b64 exec, exec, s[80:81]
	s_and_saveexec_b64 s[78:79], vcc
	s_cbranch_execnz .LBB974_398
.LBB974_327:
	s_or_b64 exec, exec, s[78:79]
	s_and_saveexec_b64 s[78:79], s[4:5]
	s_cbranch_execz .LBB974_399
.LBB974_328:
	s_waitcnt vmcnt(0)
	v_bfe_i32 v18, v2, 0, 16
	v_ashrrev_i32_e32 v19, 31, v18
	v_bfe_i32 v20, v3, 0, 16
	v_lshl_add_u64 v[18:19], v[18:19], 1, s[66:67]
	v_ashrrev_i32_e32 v21, 31, v20
	v_lshl_add_u64 v[18:19], v[20:21], 1, v[18:19]
	global_load_ushort v2, v[18:19], off
	s_or_b64 exec, exec, s[78:79]
	s_and_saveexec_b64 s[4:5], s[6:7]
	s_cbranch_execnz .LBB974_400
.LBB974_329:
	s_or_b64 exec, exec, s[4:5]
	s_and_saveexec_b64 s[4:5], s[8:9]
	s_cbranch_execz .LBB974_401
.LBB974_330:
	s_waitcnt vmcnt(0)
	v_bfe_i32 v2, v2, 0, 16
	v_ashrrev_i32_e32 v3, 31, v2
	v_bfe_i32 v18, v4, 0, 16
	v_lshl_add_u64 v[2:3], v[2:3], 1, s[66:67]
	v_ashrrev_i32_e32 v19, 31, v18
	v_lshl_add_u64 v[2:3], v[18:19], 1, v[2:3]
	global_load_ushort v2, v[2:3], off
	s_or_b64 exec, exec, s[4:5]
	s_and_saveexec_b64 s[4:5], s[10:11]
	s_cbranch_execnz .LBB974_402
.LBB974_331:
	s_or_b64 exec, exec, s[4:5]
	s_and_saveexec_b64 s[4:5], s[12:13]
	s_cbranch_execz .LBB974_403
.LBB974_332:
	s_waitcnt vmcnt(0)
	v_bfe_i32 v2, v2, 0, 16
	v_ashrrev_i32_e32 v3, 31, v2
	v_bfe_i32 v18, v5, 0, 16
	v_lshl_add_u64 v[2:3], v[2:3], 1, s[66:67]
	v_ashrrev_i32_e32 v19, 31, v18
	v_lshl_add_u64 v[2:3], v[18:19], 1, v[2:3]
	global_load_ushort v2, v[2:3], off
	s_or_b64 exec, exec, s[4:5]
	s_and_saveexec_b64 s[4:5], s[14:15]
	s_cbranch_execnz .LBB974_404
.LBB974_333:
	s_or_b64 exec, exec, s[4:5]
	s_and_saveexec_b64 s[4:5], s[16:17]
	s_cbranch_execz .LBB974_405
.LBB974_334:
	s_waitcnt vmcnt(0)
	v_bfe_i32 v2, v2, 0, 16
	v_ashrrev_i32_e32 v3, 31, v2
	v_bfe_i32 v4, v6, 0, 16
	v_lshl_add_u64 v[2:3], v[2:3], 1, s[66:67]
	v_ashrrev_i32_e32 v5, 31, v4
	v_lshl_add_u64 v[2:3], v[4:5], 1, v[2:3]
	global_load_ushort v2, v[2:3], off
	s_or_b64 exec, exec, s[4:5]
	s_and_saveexec_b64 s[4:5], s[18:19]
	s_cbranch_execnz .LBB974_406
.LBB974_335:
	s_or_b64 exec, exec, s[4:5]
	s_and_saveexec_b64 s[4:5], s[20:21]
	s_cbranch_execz .LBB974_407
.LBB974_336:
	s_waitcnt vmcnt(0)
	v_bfe_i32 v2, v2, 0, 16
	v_ashrrev_i32_e32 v3, 31, v2
	v_bfe_i32 v4, v7, 0, 16
	v_lshl_add_u64 v[2:3], v[2:3], 1, s[66:67]
	v_ashrrev_i32_e32 v5, 31, v4
	v_lshl_add_u64 v[2:3], v[4:5], 1, v[2:3]
	global_load_ushort v2, v[2:3], off
	s_or_b64 exec, exec, s[4:5]
	s_and_saveexec_b64 s[4:5], s[22:23]
	s_cbranch_execnz .LBB974_408
.LBB974_337:
	s_or_b64 exec, exec, s[4:5]
	s_and_saveexec_b64 s[4:5], s[24:25]
	s_cbranch_execz .LBB974_409
.LBB974_338:
	s_waitcnt vmcnt(0)
	v_bfe_i32 v2, v2, 0, 16
	v_ashrrev_i32_e32 v3, 31, v2
	v_bfe_i32 v4, v8, 0, 16
	v_lshl_add_u64 v[2:3], v[2:3], 1, s[66:67]
	v_ashrrev_i32_e32 v5, 31, v4
	v_lshl_add_u64 v[2:3], v[4:5], 1, v[2:3]
	global_load_ushort v2, v[2:3], off
	s_or_b64 exec, exec, s[4:5]
	s_and_saveexec_b64 s[4:5], s[26:27]
	s_cbranch_execnz .LBB974_410
.LBB974_339:
	s_or_b64 exec, exec, s[4:5]
	s_and_saveexec_b64 s[4:5], s[28:29]
	s_cbranch_execz .LBB974_411
.LBB974_340:
	s_waitcnt vmcnt(0)
	v_bfe_i32 v2, v2, 0, 16
	v_ashrrev_i32_e32 v3, 31, v2
	v_bfe_i32 v4, v9, 0, 16
	v_lshl_add_u64 v[2:3], v[2:3], 1, s[66:67]
	v_ashrrev_i32_e32 v5, 31, v4
	v_lshl_add_u64 v[2:3], v[4:5], 1, v[2:3]
	global_load_ushort v2, v[2:3], off
	s_or_b64 exec, exec, s[4:5]
	s_and_saveexec_b64 s[4:5], s[30:31]
	s_cbranch_execnz .LBB974_412
.LBB974_341:
	s_or_b64 exec, exec, s[4:5]
	s_and_saveexec_b64 s[4:5], s[34:35]
	s_cbranch_execz .LBB974_413
.LBB974_342:
	s_waitcnt vmcnt(0)
	v_bfe_i32 v2, v2, 0, 16
	v_ashrrev_i32_e32 v3, 31, v2
	v_bfe_i32 v4, v10, 0, 16
	v_lshl_add_u64 v[2:3], v[2:3], 1, s[66:67]
	v_ashrrev_i32_e32 v5, 31, v4
	v_lshl_add_u64 v[2:3], v[4:5], 1, v[2:3]
	global_load_ushort v2, v[2:3], off
	s_or_b64 exec, exec, s[4:5]
	s_and_saveexec_b64 s[4:5], s[36:37]
	s_cbranch_execnz .LBB974_414
.LBB974_343:
	s_or_b64 exec, exec, s[4:5]
	s_and_saveexec_b64 s[4:5], s[38:39]
	s_cbranch_execz .LBB974_415
.LBB974_344:
	s_waitcnt vmcnt(0)
	v_bfe_i32 v2, v2, 0, 16
	v_ashrrev_i32_e32 v3, 31, v2
	v_bfe_i32 v4, v11, 0, 16
	v_lshl_add_u64 v[2:3], v[2:3], 1, s[66:67]
	v_ashrrev_i32_e32 v5, 31, v4
	v_lshl_add_u64 v[2:3], v[4:5], 1, v[2:3]
	global_load_ushort v2, v[2:3], off
	s_or_b64 exec, exec, s[4:5]
	s_and_saveexec_b64 s[4:5], s[40:41]
	s_cbranch_execnz .LBB974_416
.LBB974_345:
	s_or_b64 exec, exec, s[4:5]
	s_and_saveexec_b64 s[4:5], s[42:43]
	s_cbranch_execz .LBB974_417
.LBB974_346:
	s_waitcnt vmcnt(0)
	v_bfe_i32 v2, v2, 0, 16
	v_ashrrev_i32_e32 v3, 31, v2
	v_bfe_i32 v4, v12, 0, 16
	v_lshl_add_u64 v[2:3], v[2:3], 1, s[66:67]
	v_ashrrev_i32_e32 v5, 31, v4
	v_lshl_add_u64 v[2:3], v[4:5], 1, v[2:3]
	global_load_ushort v2, v[2:3], off
	s_or_b64 exec, exec, s[4:5]
	s_and_saveexec_b64 s[4:5], s[44:45]
	s_cbranch_execnz .LBB974_418
.LBB974_347:
	s_or_b64 exec, exec, s[4:5]
	s_and_saveexec_b64 s[4:5], s[46:47]
	s_cbranch_execz .LBB974_419
.LBB974_348:
	s_waitcnt vmcnt(0)
	v_bfe_i32 v2, v2, 0, 16
	v_ashrrev_i32_e32 v3, 31, v2
	v_bfe_i32 v4, v13, 0, 16
	v_lshl_add_u64 v[2:3], v[2:3], 1, s[66:67]
	v_ashrrev_i32_e32 v5, 31, v4
	v_lshl_add_u64 v[2:3], v[4:5], 1, v[2:3]
	global_load_ushort v2, v[2:3], off
	s_or_b64 exec, exec, s[4:5]
	s_and_saveexec_b64 s[4:5], s[48:49]
	s_cbranch_execnz .LBB974_420
.LBB974_349:
	s_or_b64 exec, exec, s[4:5]
	s_and_saveexec_b64 s[4:5], s[50:51]
	s_cbranch_execz .LBB974_421
.LBB974_350:
	s_waitcnt vmcnt(0)
	v_bfe_i32 v2, v2, 0, 16
	v_ashrrev_i32_e32 v3, 31, v2
	v_bfe_i32 v4, v14, 0, 16
	v_lshl_add_u64 v[2:3], v[2:3], 1, s[66:67]
	v_ashrrev_i32_e32 v5, 31, v4
	v_lshl_add_u64 v[2:3], v[4:5], 1, v[2:3]
	global_load_ushort v2, v[2:3], off
	s_or_b64 exec, exec, s[4:5]
	s_and_saveexec_b64 s[4:5], s[52:53]
	s_cbranch_execnz .LBB974_422
.LBB974_351:
	s_or_b64 exec, exec, s[4:5]
	s_and_saveexec_b64 s[4:5], s[54:55]
	s_cbranch_execz .LBB974_423
.LBB974_352:
	s_waitcnt vmcnt(0)
	v_bfe_i32 v2, v2, 0, 16
	v_ashrrev_i32_e32 v3, 31, v2
	v_bfe_i32 v4, v15, 0, 16
	v_lshl_add_u64 v[2:3], v[2:3], 1, s[66:67]
	v_ashrrev_i32_e32 v5, 31, v4
	v_lshl_add_u64 v[2:3], v[4:5], 1, v[2:3]
	global_load_ushort v2, v[2:3], off
	s_or_b64 exec, exec, s[4:5]
	s_and_saveexec_b64 s[4:5], s[56:57]
	s_cbranch_execnz .LBB974_424
.LBB974_353:
	s_or_b64 exec, exec, s[4:5]
	s_and_saveexec_b64 s[4:5], s[58:59]
	s_cbranch_execz .LBB974_425
.LBB974_354:
	s_waitcnt vmcnt(0)
	v_bfe_i32 v2, v2, 0, 16
	v_ashrrev_i32_e32 v3, 31, v2
	v_bfe_i32 v4, v16, 0, 16
	v_lshl_add_u64 v[2:3], v[2:3], 1, s[66:67]
	v_ashrrev_i32_e32 v5, 31, v4
	v_lshl_add_u64 v[2:3], v[4:5], 1, v[2:3]
	global_load_ushort v2, v[2:3], off
	s_or_b64 exec, exec, s[4:5]
	s_and_saveexec_b64 s[4:5], s[60:61]
	s_cbranch_execnz .LBB974_426
.LBB974_355:
	s_or_b64 exec, exec, s[4:5]
	s_and_saveexec_b64 s[4:5], s[62:63]
	s_cbranch_execz .LBB974_427
.LBB974_356:
	s_waitcnt vmcnt(0)
	v_bfe_i32 v2, v2, 0, 16
	v_ashrrev_i32_e32 v3, 31, v2
	v_bfe_i32 v4, v17, 0, 16
	v_lshl_add_u64 v[2:3], v[2:3], 1, s[66:67]
	v_ashrrev_i32_e32 v5, 31, v4
	v_lshl_add_u64 v[2:3], v[4:5], 1, v[2:3]
	global_load_ushort v2, v[2:3], off
	s_or_b64 exec, exec, s[4:5]
	s_and_saveexec_b64 s[4:5], s[64:65]
	s_cbranch_execnz .LBB974_428
	s_branch .LBB974_429
.LBB974_357:
	s_or_b64 exec, exec, s[42:43]
	s_and_saveexec_b64 s[42:43], s[50:51]
	s_cbranch_execz .LBB974_198
.LBB974_358:
	s_waitcnt vmcnt(0)
	v_bfe_i32 v2, v2, 0, 16
	v_ashrrev_i32_e32 v3, 31, v2
	v_bfe_i32 v4, v14, 0, 16
	v_lshl_add_u64 v[2:3], v[2:3], 1, s[66:67]
	v_ashrrev_i32_e32 v5, 31, v4
	v_lshl_add_u64 v[2:3], v[4:5], 1, v[2:3]
	global_load_ushort v2, v[2:3], off
	s_or_b64 exec, exec, s[42:43]
	s_and_saveexec_b64 s[42:43], s[52:53]
	s_cbranch_execnz .LBB974_199
.LBB974_359:
	s_or_b64 exec, exec, s[42:43]
	s_and_saveexec_b64 s[42:43], s[54:55]
	s_cbranch_execz .LBB974_200
.LBB974_360:
	s_waitcnt vmcnt(0)
	v_bfe_i32 v2, v2, 0, 16
	v_ashrrev_i32_e32 v3, 31, v2
	v_bfe_i32 v4, v15, 0, 16
	v_lshl_add_u64 v[2:3], v[2:3], 1, s[66:67]
	v_ashrrev_i32_e32 v5, 31, v4
	v_lshl_add_u64 v[2:3], v[4:5], 1, v[2:3]
	global_load_ushort v2, v[2:3], off
	s_or_b64 exec, exec, s[42:43]
	s_and_saveexec_b64 s[42:43], s[56:57]
	s_cbranch_execnz .LBB974_201
.LBB974_361:
	s_or_b64 exec, exec, s[42:43]
	s_and_saveexec_b64 s[42:43], s[58:59]
	s_cbranch_execz .LBB974_202
.LBB974_362:
	s_waitcnt vmcnt(0)
	v_bfe_i32 v2, v2, 0, 16
	v_ashrrev_i32_e32 v3, 31, v2
	v_bfe_i32 v4, v16, 0, 16
	v_lshl_add_u64 v[2:3], v[2:3], 1, s[66:67]
	v_ashrrev_i32_e32 v5, 31, v4
	v_lshl_add_u64 v[2:3], v[4:5], 1, v[2:3]
	global_load_ushort v2, v[2:3], off
	s_or_b64 exec, exec, s[42:43]
	s_and_saveexec_b64 s[42:43], s[60:61]
	s_cbranch_execnz .LBB974_203
.LBB974_363:
	s_or_b64 exec, exec, s[42:43]
	s_and_saveexec_b64 s[42:43], s[62:63]
	s_cbranch_execz .LBB974_204
.LBB974_364:
	s_waitcnt vmcnt(0)
	v_bfe_i32 v2, v2, 0, 16
	v_ashrrev_i32_e32 v3, 31, v2
	v_bfe_i32 v4, v17, 0, 16
	v_lshl_add_u64 v[2:3], v[2:3], 1, s[66:67]
	v_ashrrev_i32_e32 v5, 31, v4
	v_lshl_add_u64 v[2:3], v[4:5], 1, v[2:3]
	global_load_ushort v2, v[2:3], off
	s_or_b64 exec, exec, s[42:43]
	s_and_saveexec_b64 s[42:43], s[64:65]
	s_cbranch_execnz .LBB974_205
.LBB974_365:
	s_or_b64 exec, exec, s[42:43]
	s_and_saveexec_b64 s[42:43], s[38:39]
	s_cbranch_execz .LBB974_206
.LBB974_366:
	s_waitcnt vmcnt(0)
	v_bfe_i32 v2, v2, 0, 16
	v_ashrrev_i32_e32 v3, 31, v2
	v_bfe_i32 v4, v18, 0, 16
	v_lshl_add_u64 v[2:3], v[2:3], 1, s[66:67]
	v_ashrrev_i32_e32 v5, 31, v4
	v_lshl_add_u64 v[2:3], v[4:5], 1, v[2:3]
	global_load_ushort v2, v[2:3], off
	s_or_b64 exec, exec, s[42:43]
	s_and_saveexec_b64 s[38:39], s[34:35]
	s_cbranch_execnz .LBB974_207
.LBB974_367:
	s_or_b64 exec, exec, s[38:39]
	s_and_saveexec_b64 s[34:35], s[36:37]
	s_cbranch_execz .LBB974_208
.LBB974_368:
	s_waitcnt vmcnt(0)
	v_bfe_i32 v2, v2, 0, 16
	v_ashrrev_i32_e32 v3, 31, v2
	v_bfe_i32 v4, v19, 0, 16
	v_lshl_add_u64 v[2:3], v[2:3], 1, s[66:67]
	v_ashrrev_i32_e32 v5, 31, v4
	v_lshl_add_u64 v[2:3], v[4:5], 1, v[2:3]
	global_load_ushort v2, v[2:3], off
	s_or_b64 exec, exec, s[34:35]
	s_and_saveexec_b64 s[34:35], s[72:73]
	s_cbranch_execnz .LBB974_209
.LBB974_369:
	s_or_b64 exec, exec, s[34:35]
	s_and_saveexec_b64 s[34:35], s[74:75]
	s_cbranch_execz .LBB974_210
.LBB974_370:
	s_waitcnt vmcnt(0)
	v_bfe_i32 v2, v2, 0, 16
	v_ashrrev_i32_e32 v3, 31, v2
	v_bfe_i32 v4, v20, 0, 16
	v_lshl_add_u64 v[2:3], v[2:3], 1, s[66:67]
	v_ashrrev_i32_e32 v5, 31, v4
	v_lshl_add_u64 v[2:3], v[4:5], 1, v[2:3]
	global_load_ushort v2, v[2:3], off
	s_or_b64 exec, exec, s[34:35]
	s_and_saveexec_b64 s[34:35], s[76:77]
	s_cbranch_execnz .LBB974_211
.LBB974_371:
	s_or_b64 exec, exec, s[34:35]
	s_and_saveexec_b64 s[34:35], s[78:79]
	s_cbranch_execz .LBB974_212
.LBB974_372:
	s_waitcnt vmcnt(0)
	v_bfe_i32 v2, v2, 0, 16
	v_ashrrev_i32_e32 v3, 31, v2
	v_bfe_i32 v4, v21, 0, 16
	v_lshl_add_u64 v[2:3], v[2:3], 1, s[66:67]
	v_ashrrev_i32_e32 v5, 31, v4
	v_lshl_add_u64 v[2:3], v[4:5], 1, v[2:3]
	global_load_ushort v2, v[2:3], off
	s_or_b64 exec, exec, s[34:35]
	s_and_saveexec_b64 s[34:35], s[80:81]
	s_cbranch_execnz .LBB974_213
.LBB974_373:
	s_or_b64 exec, exec, s[34:35]
	s_and_saveexec_b64 s[34:35], s[46:47]
	s_cbranch_execz .LBB974_214
.LBB974_374:
	s_waitcnt vmcnt(0)
	v_bfe_i32 v2, v2, 0, 16
	v_ashrrev_i32_e32 v3, 31, v2
	v_bfe_i32 v4, v22, 0, 16
	v_lshl_add_u64 v[2:3], v[2:3], 1, s[66:67]
	v_ashrrev_i32_e32 v5, 31, v4
	v_lshl_add_u64 v[2:3], v[4:5], 1, v[2:3]
	global_load_ushort v2, v[2:3], off
	s_or_b64 exec, exec, s[34:35]
	s_and_saveexec_b64 s[34:35], s[84:85]
	s_cbranch_execnz .LBB974_215
.LBB974_375:
	s_or_b64 exec, exec, s[34:35]
	s_and_saveexec_b64 s[34:35], s[86:87]
	s_cbranch_execz .LBB974_216
.LBB974_376:
	s_waitcnt vmcnt(0)
	v_bfe_i32 v2, v2, 0, 16
	v_ashrrev_i32_e32 v3, 31, v2
	v_bfe_i32 v4, v23, 0, 16
	v_lshl_add_u64 v[2:3], v[2:3], 1, s[66:67]
	v_ashrrev_i32_e32 v5, 31, v4
	v_lshl_add_u64 v[2:3], v[4:5], 1, v[2:3]
	global_load_ushort v2, v[2:3], off
	s_or_b64 exec, exec, s[34:35]
	s_and_saveexec_b64 s[34:35], s[88:89]
	s_cbranch_execnz .LBB974_217
.LBB974_377:
	s_or_b64 exec, exec, s[34:35]
	s_and_saveexec_b64 s[34:35], s[90:91]
	s_cbranch_execz .LBB974_218
.LBB974_378:
	s_waitcnt vmcnt(0)
	v_bfe_i32 v2, v2, 0, 16
	v_ashrrev_i32_e32 v3, 31, v2
	v_bfe_i32 v4, v24, 0, 16
	v_lshl_add_u64 v[2:3], v[2:3], 1, s[66:67]
	v_ashrrev_i32_e32 v5, 31, v4
	v_lshl_add_u64 v[2:3], v[4:5], 1, v[2:3]
	global_load_ushort v2, v[2:3], off
	s_or_b64 exec, exec, s[34:35]
	s_and_saveexec_b64 s[34:35], s[92:93]
	s_cbranch_execnz .LBB974_219
.LBB974_379:
	s_or_b64 exec, exec, s[34:35]
	s_and_saveexec_b64 s[34:35], s[94:95]
	s_cbranch_execz .LBB974_220
.LBB974_380:
	s_waitcnt vmcnt(0)
	v_bfe_i32 v2, v2, 0, 16
	v_ashrrev_i32_e32 v3, 31, v2
	v_bfe_i32 v4, v25, 0, 16
	v_lshl_add_u64 v[2:3], v[2:3], 1, s[66:67]
	v_ashrrev_i32_e32 v5, 31, v4
	v_lshl_add_u64 v[2:3], v[4:5], 1, v[2:3]
	global_load_ushort v2, v[2:3], off
	s_or_b64 exec, exec, s[34:35]
	s_and_saveexec_b64 s[34:35], s[96:97]
	s_cbranch_execnz .LBB974_221
.LBB974_381:
	s_or_b64 exec, exec, s[34:35]
	s_and_saveexec_b64 s[34:35], s[98:99]
	s_cbranch_execz .LBB974_222
.LBB974_382:
	s_waitcnt vmcnt(0)
	v_bfe_i32 v2, v2, 0, 16
	v_ashrrev_i32_e32 v3, 31, v2
	v_bfe_i32 v4, v26, 0, 16
	v_lshl_add_u64 v[2:3], v[2:3], 1, s[66:67]
	v_ashrrev_i32_e32 v5, 31, v4
	v_lshl_add_u64 v[2:3], v[4:5], 1, v[2:3]
	global_load_ushort v2, v[2:3], off
	s_or_b64 exec, exec, s[34:35]
	s_and_saveexec_b64 s[34:35], s[4:5]
	s_cbranch_execnz .LBB974_223
.LBB974_383:
	s_or_b64 exec, exec, s[34:35]
	s_and_saveexec_b64 s[4:5], s[6:7]
	s_cbranch_execz .LBB974_224
.LBB974_384:
	s_waitcnt vmcnt(0)
	v_bfe_i32 v2, v2, 0, 16
	v_ashrrev_i32_e32 v3, 31, v2
	v_bfe_i32 v4, v27, 0, 16
	v_lshl_add_u64 v[2:3], v[2:3], 1, s[66:67]
	v_ashrrev_i32_e32 v5, 31, v4
	v_lshl_add_u64 v[2:3], v[4:5], 1, v[2:3]
	global_load_ushort v2, v[2:3], off
	s_or_b64 exec, exec, s[4:5]
	s_and_saveexec_b64 s[4:5], s[8:9]
	s_cbranch_execnz .LBB974_225
.LBB974_385:
	s_or_b64 exec, exec, s[4:5]
	s_and_saveexec_b64 s[4:5], s[10:11]
	s_cbranch_execz .LBB974_226
.LBB974_386:
	s_waitcnt vmcnt(0)
	v_bfe_i32 v2, v2, 0, 16
	v_ashrrev_i32_e32 v3, 31, v2
	v_bfe_i32 v4, v28, 0, 16
	v_lshl_add_u64 v[2:3], v[2:3], 1, s[66:67]
	v_ashrrev_i32_e32 v5, 31, v4
	v_lshl_add_u64 v[2:3], v[4:5], 1, v[2:3]
	global_load_ushort v2, v[2:3], off
	s_or_b64 exec, exec, s[4:5]
	s_and_saveexec_b64 s[4:5], s[12:13]
	s_cbranch_execnz .LBB974_227
.LBB974_387:
	s_or_b64 exec, exec, s[4:5]
	s_and_saveexec_b64 s[4:5], s[14:15]
	s_cbranch_execz .LBB974_228
.LBB974_388:
	s_waitcnt vmcnt(0)
	v_bfe_i32 v2, v2, 0, 16
	v_ashrrev_i32_e32 v3, 31, v2
	v_bfe_i32 v4, v29, 0, 16
	v_lshl_add_u64 v[2:3], v[2:3], 1, s[66:67]
	v_ashrrev_i32_e32 v5, 31, v4
	v_lshl_add_u64 v[2:3], v[4:5], 1, v[2:3]
	global_load_ushort v2, v[2:3], off
	s_or_b64 exec, exec, s[4:5]
	s_and_saveexec_b64 s[4:5], s[16:17]
	s_cbranch_execnz .LBB974_229
.LBB974_389:
	s_or_b64 exec, exec, s[4:5]
	s_and_saveexec_b64 s[4:5], s[18:19]
	s_cbranch_execz .LBB974_230
.LBB974_390:
	s_waitcnt vmcnt(0)
	v_bfe_i32 v2, v2, 0, 16
	v_ashrrev_i32_e32 v3, 31, v2
	v_bfe_i32 v4, v30, 0, 16
	v_lshl_add_u64 v[2:3], v[2:3], 1, s[66:67]
	v_ashrrev_i32_e32 v5, 31, v4
	v_lshl_add_u64 v[2:3], v[4:5], 1, v[2:3]
	global_load_ushort v2, v[2:3], off
	s_or_b64 exec, exec, s[4:5]
	s_and_saveexec_b64 s[4:5], s[20:21]
	s_cbranch_execnz .LBB974_231
.LBB974_391:
	s_or_b64 exec, exec, s[4:5]
	s_and_saveexec_b64 s[4:5], s[22:23]
	s_cbranch_execz .LBB974_232
.LBB974_392:
	s_waitcnt vmcnt(0)
	v_bfe_i32 v2, v2, 0, 16
	v_ashrrev_i32_e32 v3, 31, v2
	v_bfe_i32 v4, v31, 0, 16
	v_lshl_add_u64 v[2:3], v[2:3], 1, s[66:67]
	v_ashrrev_i32_e32 v5, 31, v4
	v_lshl_add_u64 v[2:3], v[4:5], 1, v[2:3]
	global_load_ushort v2, v[2:3], off
	s_or_b64 exec, exec, s[4:5]
	s_and_saveexec_b64 s[4:5], s[24:25]
	s_cbranch_execnz .LBB974_233
.LBB974_393:
	s_or_b64 exec, exec, s[4:5]
	s_and_saveexec_b64 s[4:5], s[26:27]
	s_cbranch_execz .LBB974_234
.LBB974_394:
	s_waitcnt vmcnt(0)
	v_bfe_i32 v2, v2, 0, 16
	v_ashrrev_i32_e32 v3, 31, v2
	v_bfe_i32 v4, v32, 0, 16
	v_lshl_add_u64 v[2:3], v[2:3], 1, s[66:67]
	v_ashrrev_i32_e32 v5, 31, v4
	v_lshl_add_u64 v[2:3], v[4:5], 1, v[2:3]
	global_load_ushort v2, v[2:3], off
	s_or_b64 exec, exec, s[4:5]
	s_and_saveexec_b64 s[4:5], s[28:29]
	s_cbranch_execnz .LBB974_235
.LBB974_395:
	s_or_b64 exec, exec, s[4:5]
	s_and_saveexec_b64 s[4:5], s[30:31]
	s_cbranch_execz .LBB974_236
.LBB974_396:
	s_waitcnt vmcnt(0)
	v_bfe_i32 v2, v2, 0, 16
	v_ashrrev_i32_e32 v3, 31, v2
	v_bfe_i32 v4, v33, 0, 16
	v_lshl_add_u64 v[2:3], v[2:3], 1, s[66:67]
	v_ashrrev_i32_e32 v5, 31, v4
	v_lshl_add_u64 v[2:3], v[4:5], 1, v[2:3]
	global_load_ushort v2, v[2:3], off
	s_or_b64 exec, exec, s[4:5]
	s_and_saveexec_b64 s[4:5], vcc
	s_cbranch_execnz .LBB974_237
	s_branch .LBB974_238
.LBB974_397:
	s_or_b64 exec, exec, s[80:81]
	s_and_saveexec_b64 s[78:79], vcc
	s_cbranch_execz .LBB974_327
.LBB974_398:
	v_bfe_i32 v18, v2, 0, 16
	v_lshrrev_b32_e32 v1, 16, v2
	v_ashrrev_i32_e32 v19, 31, v18
	v_bfe_i32 v20, v1, 0, 16
	v_lshl_add_u64 v[18:19], v[18:19], 1, s[66:67]
	v_ashrrev_i32_e32 v21, 31, v20
	v_lshl_add_u64 v[18:19], v[20:21], 1, v[18:19]
	global_load_ushort v2, v[18:19], off
	s_or_b64 exec, exec, s[78:79]
	s_and_saveexec_b64 s[78:79], s[4:5]
	s_cbranch_execnz .LBB974_328
.LBB974_399:
	s_or_b64 exec, exec, s[78:79]
	s_and_saveexec_b64 s[4:5], s[6:7]
	s_cbranch_execz .LBB974_329
.LBB974_400:
	s_waitcnt vmcnt(0)
	v_bfe_i32 v18, v2, 0, 16
	v_lshrrev_b32_e32 v1, 16, v3
	v_ashrrev_i32_e32 v19, 31, v18
	v_bfe_i32 v2, v1, 0, 16
	v_lshl_add_u64 v[18:19], v[18:19], 1, s[66:67]
	v_ashrrev_i32_e32 v3, 31, v2
	v_lshl_add_u64 v[2:3], v[2:3], 1, v[18:19]
	global_load_ushort v2, v[2:3], off
	s_or_b64 exec, exec, s[4:5]
	s_and_saveexec_b64 s[4:5], s[8:9]
	s_cbranch_execnz .LBB974_330
.LBB974_401:
	s_or_b64 exec, exec, s[4:5]
	s_and_saveexec_b64 s[4:5], s[10:11]
	s_cbranch_execz .LBB974_331
.LBB974_402:
	s_waitcnt vmcnt(0)
	v_bfe_i32 v2, v2, 0, 16
	v_lshrrev_b32_e32 v1, 16, v4
	v_ashrrev_i32_e32 v3, 31, v2
	v_bfe_i32 v18, v1, 0, 16
	v_lshl_add_u64 v[2:3], v[2:3], 1, s[66:67]
	v_ashrrev_i32_e32 v19, 31, v18
	v_lshl_add_u64 v[2:3], v[18:19], 1, v[2:3]
	global_load_ushort v2, v[2:3], off
	s_or_b64 exec, exec, s[4:5]
	s_and_saveexec_b64 s[4:5], s[12:13]
	s_cbranch_execnz .LBB974_332
.LBB974_403:
	s_or_b64 exec, exec, s[4:5]
	s_and_saveexec_b64 s[4:5], s[14:15]
	s_cbranch_execz .LBB974_333
.LBB974_404:
	s_waitcnt vmcnt(0)
	v_bfe_i32 v2, v2, 0, 16
	v_lshrrev_b32_e32 v1, 16, v5
	v_ashrrev_i32_e32 v3, 31, v2
	v_bfe_i32 v4, v1, 0, 16
	v_lshl_add_u64 v[2:3], v[2:3], 1, s[66:67]
	v_ashrrev_i32_e32 v5, 31, v4
	v_lshl_add_u64 v[2:3], v[4:5], 1, v[2:3]
	global_load_ushort v2, v[2:3], off
	s_or_b64 exec, exec, s[4:5]
	s_and_saveexec_b64 s[4:5], s[16:17]
	s_cbranch_execnz .LBB974_334
.LBB974_405:
	s_or_b64 exec, exec, s[4:5]
	s_and_saveexec_b64 s[4:5], s[18:19]
	s_cbranch_execz .LBB974_335
.LBB974_406:
	s_waitcnt vmcnt(0)
	v_bfe_i32 v2, v2, 0, 16
	v_lshrrev_b32_e32 v1, 16, v6
	v_ashrrev_i32_e32 v3, 31, v2
	v_bfe_i32 v4, v1, 0, 16
	v_lshl_add_u64 v[2:3], v[2:3], 1, s[66:67]
	v_ashrrev_i32_e32 v5, 31, v4
	v_lshl_add_u64 v[2:3], v[4:5], 1, v[2:3]
	global_load_ushort v2, v[2:3], off
	s_or_b64 exec, exec, s[4:5]
	s_and_saveexec_b64 s[4:5], s[20:21]
	s_cbranch_execnz .LBB974_336
.LBB974_407:
	s_or_b64 exec, exec, s[4:5]
	s_and_saveexec_b64 s[4:5], s[22:23]
	s_cbranch_execz .LBB974_337
.LBB974_408:
	s_waitcnt vmcnt(0)
	v_bfe_i32 v2, v2, 0, 16
	v_lshrrev_b32_e32 v1, 16, v7
	v_ashrrev_i32_e32 v3, 31, v2
	v_bfe_i32 v4, v1, 0, 16
	v_lshl_add_u64 v[2:3], v[2:3], 1, s[66:67]
	v_ashrrev_i32_e32 v5, 31, v4
	v_lshl_add_u64 v[2:3], v[4:5], 1, v[2:3]
	global_load_ushort v2, v[2:3], off
	s_or_b64 exec, exec, s[4:5]
	s_and_saveexec_b64 s[4:5], s[24:25]
	s_cbranch_execnz .LBB974_338
.LBB974_409:
	s_or_b64 exec, exec, s[4:5]
	s_and_saveexec_b64 s[4:5], s[26:27]
	s_cbranch_execz .LBB974_339
.LBB974_410:
	s_waitcnt vmcnt(0)
	v_bfe_i32 v2, v2, 0, 16
	v_lshrrev_b32_e32 v1, 16, v8
	v_ashrrev_i32_e32 v3, 31, v2
	v_bfe_i32 v4, v1, 0, 16
	v_lshl_add_u64 v[2:3], v[2:3], 1, s[66:67]
	v_ashrrev_i32_e32 v5, 31, v4
	v_lshl_add_u64 v[2:3], v[4:5], 1, v[2:3]
	global_load_ushort v2, v[2:3], off
	s_or_b64 exec, exec, s[4:5]
	s_and_saveexec_b64 s[4:5], s[28:29]
	s_cbranch_execnz .LBB974_340
.LBB974_411:
	s_or_b64 exec, exec, s[4:5]
	s_and_saveexec_b64 s[4:5], s[30:31]
	s_cbranch_execz .LBB974_341
.LBB974_412:
	s_waitcnt vmcnt(0)
	v_bfe_i32 v2, v2, 0, 16
	v_lshrrev_b32_e32 v1, 16, v9
	v_ashrrev_i32_e32 v3, 31, v2
	v_bfe_i32 v4, v1, 0, 16
	v_lshl_add_u64 v[2:3], v[2:3], 1, s[66:67]
	v_ashrrev_i32_e32 v5, 31, v4
	v_lshl_add_u64 v[2:3], v[4:5], 1, v[2:3]
	global_load_ushort v2, v[2:3], off
	s_or_b64 exec, exec, s[4:5]
	s_and_saveexec_b64 s[4:5], s[34:35]
	s_cbranch_execnz .LBB974_342
.LBB974_413:
	s_or_b64 exec, exec, s[4:5]
	s_and_saveexec_b64 s[4:5], s[36:37]
	s_cbranch_execz .LBB974_343
.LBB974_414:
	s_waitcnt vmcnt(0)
	v_bfe_i32 v2, v2, 0, 16
	v_lshrrev_b32_e32 v1, 16, v10
	v_ashrrev_i32_e32 v3, 31, v2
	v_bfe_i32 v4, v1, 0, 16
	v_lshl_add_u64 v[2:3], v[2:3], 1, s[66:67]
	v_ashrrev_i32_e32 v5, 31, v4
	v_lshl_add_u64 v[2:3], v[4:5], 1, v[2:3]
	global_load_ushort v2, v[2:3], off
	s_or_b64 exec, exec, s[4:5]
	s_and_saveexec_b64 s[4:5], s[38:39]
	s_cbranch_execnz .LBB974_344
.LBB974_415:
	s_or_b64 exec, exec, s[4:5]
	s_and_saveexec_b64 s[4:5], s[40:41]
	s_cbranch_execz .LBB974_345
.LBB974_416:
	s_waitcnt vmcnt(0)
	v_bfe_i32 v2, v2, 0, 16
	v_lshrrev_b32_e32 v1, 16, v11
	v_ashrrev_i32_e32 v3, 31, v2
	v_bfe_i32 v4, v1, 0, 16
	v_lshl_add_u64 v[2:3], v[2:3], 1, s[66:67]
	v_ashrrev_i32_e32 v5, 31, v4
	v_lshl_add_u64 v[2:3], v[4:5], 1, v[2:3]
	global_load_ushort v2, v[2:3], off
	s_or_b64 exec, exec, s[4:5]
	s_and_saveexec_b64 s[4:5], s[42:43]
	s_cbranch_execnz .LBB974_346
.LBB974_417:
	s_or_b64 exec, exec, s[4:5]
	s_and_saveexec_b64 s[4:5], s[44:45]
	s_cbranch_execz .LBB974_347
.LBB974_418:
	s_waitcnt vmcnt(0)
	v_bfe_i32 v2, v2, 0, 16
	v_lshrrev_b32_e32 v1, 16, v12
	v_ashrrev_i32_e32 v3, 31, v2
	v_bfe_i32 v4, v1, 0, 16
	v_lshl_add_u64 v[2:3], v[2:3], 1, s[66:67]
	v_ashrrev_i32_e32 v5, 31, v4
	v_lshl_add_u64 v[2:3], v[4:5], 1, v[2:3]
	global_load_ushort v2, v[2:3], off
	s_or_b64 exec, exec, s[4:5]
	s_and_saveexec_b64 s[4:5], s[46:47]
	s_cbranch_execnz .LBB974_348
.LBB974_419:
	s_or_b64 exec, exec, s[4:5]
	s_and_saveexec_b64 s[4:5], s[48:49]
	s_cbranch_execz .LBB974_349
.LBB974_420:
	s_waitcnt vmcnt(0)
	v_bfe_i32 v2, v2, 0, 16
	v_lshrrev_b32_e32 v1, 16, v13
	v_ashrrev_i32_e32 v3, 31, v2
	v_bfe_i32 v4, v1, 0, 16
	v_lshl_add_u64 v[2:3], v[2:3], 1, s[66:67]
	v_ashrrev_i32_e32 v5, 31, v4
	v_lshl_add_u64 v[2:3], v[4:5], 1, v[2:3]
	global_load_ushort v2, v[2:3], off
	s_or_b64 exec, exec, s[4:5]
	s_and_saveexec_b64 s[4:5], s[50:51]
	s_cbranch_execnz .LBB974_350
.LBB974_421:
	s_or_b64 exec, exec, s[4:5]
	s_and_saveexec_b64 s[4:5], s[52:53]
	s_cbranch_execz .LBB974_351
.LBB974_422:
	s_waitcnt vmcnt(0)
	v_bfe_i32 v2, v2, 0, 16
	v_lshrrev_b32_e32 v1, 16, v14
	v_ashrrev_i32_e32 v3, 31, v2
	v_bfe_i32 v4, v1, 0, 16
	v_lshl_add_u64 v[2:3], v[2:3], 1, s[66:67]
	v_ashrrev_i32_e32 v5, 31, v4
	v_lshl_add_u64 v[2:3], v[4:5], 1, v[2:3]
	global_load_ushort v2, v[2:3], off
	s_or_b64 exec, exec, s[4:5]
	s_and_saveexec_b64 s[4:5], s[54:55]
	s_cbranch_execnz .LBB974_352
.LBB974_423:
	s_or_b64 exec, exec, s[4:5]
	s_and_saveexec_b64 s[4:5], s[56:57]
	s_cbranch_execz .LBB974_353
.LBB974_424:
	s_waitcnt vmcnt(0)
	v_bfe_i32 v2, v2, 0, 16
	v_lshrrev_b32_e32 v1, 16, v15
	v_ashrrev_i32_e32 v3, 31, v2
	v_bfe_i32 v4, v1, 0, 16
	v_lshl_add_u64 v[2:3], v[2:3], 1, s[66:67]
	v_ashrrev_i32_e32 v5, 31, v4
	v_lshl_add_u64 v[2:3], v[4:5], 1, v[2:3]
	global_load_ushort v2, v[2:3], off
	s_or_b64 exec, exec, s[4:5]
	s_and_saveexec_b64 s[4:5], s[58:59]
	s_cbranch_execnz .LBB974_354
.LBB974_425:
	s_or_b64 exec, exec, s[4:5]
	s_and_saveexec_b64 s[4:5], s[60:61]
	s_cbranch_execz .LBB974_355
.LBB974_426:
	s_waitcnt vmcnt(0)
	v_bfe_i32 v2, v2, 0, 16
	v_lshrrev_b32_e32 v1, 16, v16
	v_ashrrev_i32_e32 v3, 31, v2
	v_bfe_i32 v4, v1, 0, 16
	v_lshl_add_u64 v[2:3], v[2:3], 1, s[66:67]
	v_ashrrev_i32_e32 v5, 31, v4
	v_lshl_add_u64 v[2:3], v[4:5], 1, v[2:3]
	global_load_ushort v2, v[2:3], off
	s_or_b64 exec, exec, s[4:5]
	s_and_saveexec_b64 s[4:5], s[62:63]
	s_cbranch_execnz .LBB974_356
.LBB974_427:
	s_or_b64 exec, exec, s[4:5]
	s_and_saveexec_b64 s[4:5], s[64:65]
	s_cbranch_execz .LBB974_429
.LBB974_428:
	s_waitcnt vmcnt(0)
	v_bfe_i32 v2, v2, 0, 16
	v_lshrrev_b32_e32 v1, 16, v17
	v_ashrrev_i32_e32 v3, 31, v2
	v_bfe_i32 v4, v1, 0, 16
	v_lshl_add_u64 v[2:3], v[2:3], 1, s[66:67]
	v_ashrrev_i32_e32 v5, 31, v4
	v_lshl_add_u64 v[2:3], v[4:5], 1, v[2:3]
	global_load_ushort v2, v[2:3], off
.LBB974_429:
	s_or_b64 exec, exec, s[4:5]
	v_mbcnt_lo_u32_b32 v1, -1, 0
	v_mbcnt_hi_u32_b32 v1, -1, v1
	v_and_b32_e32 v3, 63, v1
	v_cmp_ne_u32_e32 vcc, 63, v3
	s_waitcnt vmcnt(0)
	v_and_b32_e32 v6, 0xffff, v2
	s_min_u32 s6, s83, 0x80
	v_addc_co_u32_e32 v4, vcc, 0, v1, vcc
	v_lshlrev_b32_e32 v4, 2, v4
	ds_bpermute_b32 v4, v4, v6
	v_and_b32_e32 v5, 64, v0
	v_sub_u32_e64 v5, s6, v5 clamp
	v_add_u32_e32 v7, 1, v3
	v_cmp_lt_u32_e32 vcc, v7, v5
	s_and_saveexec_b64 s[4:5], vcc
	s_xor_b64 s[4:5], exec, s[4:5]
	s_cbranch_execz .LBB974_431
; %bb.430:
	v_bfe_i32 v6, v2, 0, 16
	v_ashrrev_i32_e32 v7, 31, v6
	s_waitcnt lgkmcnt(0)
	v_lshlrev_b32_e32 v2, 16, v4
	v_lshl_add_u64 v[6:7], v[6:7], 1, s[66:67]
	v_ashrrev_i32_e32 v8, 15, v2
	v_bfe_i32 v9, v4, 15, 1
	v_lshl_add_u64 v[6:7], v[6:7], 0, v[8:9]
	global_load_ushort v2, v[6:7], off
	s_waitcnt vmcnt(0)
	v_and_b32_e32 v6, 0xffff, v2
.LBB974_431:
	s_or_b64 exec, exec, s[4:5]
	v_cmp_gt_u32_e32 vcc, 62, v3
	v_add_u32_e32 v7, 2, v3
	s_waitcnt lgkmcnt(0)
	v_cndmask_b32_e64 v4, 0, 2, vcc
	v_add_lshl_u32 v4, v4, v1, 2
	ds_bpermute_b32 v4, v4, v6
	v_cmp_lt_u32_e32 vcc, v7, v5
	s_and_saveexec_b64 s[4:5], vcc
	s_cbranch_execz .LBB974_433
; %bb.432:
	v_bfe_i32 v6, v2, 0, 16
	v_ashrrev_i32_e32 v7, 31, v6
	s_waitcnt lgkmcnt(0)
	v_lshlrev_b32_e32 v2, 16, v4
	v_lshl_add_u64 v[6:7], v[6:7], 1, s[66:67]
	v_ashrrev_i32_e32 v8, 15, v2
	v_bfe_i32 v9, v4, 15, 1
	v_lshl_add_u64 v[6:7], v[6:7], 0, v[8:9]
	global_load_ushort v2, v[6:7], off
	s_waitcnt vmcnt(0)
	v_and_b32_e32 v6, 0xffff, v2
.LBB974_433:
	s_or_b64 exec, exec, s[4:5]
	v_cmp_gt_u32_e32 vcc, 60, v3
	v_add_u32_e32 v7, 4, v3
	s_waitcnt lgkmcnt(0)
	v_cndmask_b32_e64 v4, 0, 4, vcc
	v_add_lshl_u32 v4, v4, v1, 2
	ds_bpermute_b32 v4, v4, v6
	v_cmp_lt_u32_e32 vcc, v7, v5
	s_and_saveexec_b64 s[4:5], vcc
	;; [unrolled: 23-line block ×4, first 2 shown]
	s_cbranch_execz .LBB974_439
; %bb.438:
	v_bfe_i32 v6, v2, 0, 16
	v_ashrrev_i32_e32 v7, 31, v6
	s_waitcnt lgkmcnt(0)
	v_lshlrev_b32_e32 v2, 16, v4
	v_lshl_add_u64 v[6:7], v[6:7], 1, s[66:67]
	v_ashrrev_i32_e32 v8, 15, v2
	v_bfe_i32 v9, v4, 15, 1
	v_lshl_add_u64 v[6:7], v[6:7], 0, v[8:9]
	global_load_ushort v2, v[6:7], off
	s_waitcnt vmcnt(0)
	v_and_b32_e32 v6, 0xffff, v2
.LBB974_439:
	s_or_b64 exec, exec, s[4:5]
	v_lshlrev_b32_e32 v7, 2, v1
	s_waitcnt lgkmcnt(0)
	v_or_b32_e32 v4, 0x80, v7
	ds_bpermute_b32 v4, v4, v6
	v_add_u32_e32 v3, 32, v3
	v_cmp_lt_u32_e32 vcc, v3, v5
	s_and_saveexec_b64 s[4:5], vcc
	s_cbranch_execz .LBB974_441
; %bb.440:
	v_bfe_i32 v2, v2, 0, 16
	v_ashrrev_i32_e32 v3, 31, v2
	s_waitcnt lgkmcnt(0)
	v_lshlrev_b32_e32 v5, 16, v4
	v_lshl_add_u64 v[2:3], v[2:3], 1, s[66:67]
	v_ashrrev_i32_e32 v8, 15, v5
	v_bfe_i32 v9, v4, 15, 1
	v_lshl_add_u64 v[2:3], v[2:3], 0, v[8:9]
	global_load_ushort v2, v[2:3], off
.LBB974_441:
	s_or_b64 exec, exec, s[4:5]
	v_cmp_eq_u32_e32 vcc, 0, v1
	s_and_saveexec_b64 s[4:5], vcc
	s_cbranch_execz .LBB974_443
; %bb.442:
	v_lshrrev_b32_e32 v3, 5, v0
	v_and_b32_e32 v3, 2, v3
	s_waitcnt vmcnt(0)
	ds_write_b16 v3, v2
.LBB974_443:
	s_or_b64 exec, exec, s[4:5]
	v_cmp_gt_u32_e32 vcc, 2, v0
	s_waitcnt lgkmcnt(0)
	s_barrier
                                        ; implicit-def: $vgpr3
                                        ; implicit-def: $vgpr4
	s_and_saveexec_b64 s[4:5], vcc
	s_cbranch_execz .LBB974_445
; %bb.444:
	s_waitcnt vmcnt(0)
	v_lshlrev_b32_e32 v2, 1, v1
	ds_read_u16 v3, v2
	s_add_i32 s6, s6, 63
	v_and_b32_e32 v1, 1, v1
	s_lshr_b32 s6, s6, 6
	v_add_u32_e32 v1, 1, v1
	v_or_b32_e32 v2, 4, v7
	v_cmp_gt_u32_e32 vcc, s6, v1
	s_waitcnt lgkmcnt(0)
	v_and_b32_e32 v1, 0xffff, v3
	ds_bpermute_b32 v4, v2, v1
	s_andn2_b64 s[6:7], s[76:77], exec
	s_and_b64 s[8:9], vcc, exec
	s_or_b64 s[76:77], s[6:7], s[8:9]
	v_mov_b32_e32 v2, v3
.LBB974_445:
	s_or_b64 exec, exec, s[4:5]
.LBB974_446:
	s_and_saveexec_b64 s[4:5], s[76:77]
	s_cbranch_execz .LBB974_448
; %bb.447:
	s_waitcnt vmcnt(0)
	v_bfe_i32 v2, v3, 0, 16
	v_ashrrev_i32_e32 v3, 31, v2
	s_waitcnt lgkmcnt(0)
	v_lshlrev_b32_e32 v1, 16, v4
	v_lshl_add_u64 v[2:3], v[2:3], 1, s[66:67]
	v_ashrrev_i32_e32 v6, 15, v1
	v_bfe_i32 v7, v4, 15, 1
	v_lshl_add_u64 v[2:3], v[2:3], 0, v[6:7]
	global_load_ushort v2, v[2:3], off
.LBB974_448:
	s_or_b64 exec, exec, s[4:5]
	v_cmp_eq_u32_e32 vcc, 0, v0
	s_and_saveexec_b64 s[4:5], vcc
	s_xor_b64 s[4:5], exec, s[4:5]
	s_cbranch_execz .LBB974_450
; %bb.449:
	s_cmp_eq_u64 s[70:71], 0
	s_cselect_b64 s[6:7], -1, 0
	s_cmp_lg_u64 s[70:71], 0
	s_cselect_b64 s[8:9], -1, 0
	s_andn2_b64 s[10:11], s[72:73], exec
	s_and_b64 s[6:7], s[6:7], exec
	s_or_b64 s[72:73], s[10:11], s[6:7]
	s_andn2_b64 s[6:7], s[74:75], exec
	s_and_b64 s[8:9], s[8:9], exec
	s_or_b64 s[74:75], s[6:7], s[8:9]
.LBB974_450:
	s_or_b64 exec, exec, s[4:5]
	s_branch .LBB974_555
.LBB974_451:
	s_cmp_gt_i32 s82, 15
	s_cbranch_scc0 .LBB974_459
; %bb.452:
	s_cmp_eq_u32 s82, 16
	s_cbranch_scc0 .LBB974_460
; %bb.453:
	s_mov_b32 s3, 0
	s_lshl_b32 s4, s2, 11
	s_mov_b32 s5, s3
	s_lshr_b64 s[6:7], s[70:71], 11
	s_lshl_b64 s[8:9], s[4:5], 1
	s_add_u32 s36, s68, s8
	s_addc_u32 s37, s69, s9
	s_cmp_lg_u64 s[6:7], s[2:3]
	s_cbranch_scc0 .LBB974_461
; %bb.454:
	v_lshlrev_b32_e32 v1, 1, v0
	global_load_ushort v2, v1, s[36:37]
	global_load_ushort v3, v1, s[36:37] offset:256
	global_load_ushort v6, v1, s[36:37] offset:512
	;; [unrolled: 1-line block ×7, first 2 shown]
	s_waitcnt vmcnt(7)
	v_bfe_i32 v2, v2, 0, 16
	s_waitcnt vmcnt(6) lgkmcnt(0)
	v_bfe_i32 v4, v3, 0, 16
	v_ashrrev_i32_e32 v3, 31, v2
	v_ashrrev_i32_e32 v5, 31, v4
	v_lshl_add_u64 v[2:3], v[2:3], 1, s[66:67]
	v_lshl_add_u64 v[2:3], v[4:5], 1, v[2:3]
	global_load_ushort v4, v[2:3], off
	s_waitcnt vmcnt(6)
	v_bfe_i32 v2, v6, 0, 16
	v_ashrrev_i32_e32 v3, 31, v2
	s_waitcnt vmcnt(0)
	v_bfe_i32 v4, v4, 0, 16
	v_ashrrev_i32_e32 v5, 31, v4
	v_lshl_add_u64 v[4:5], v[4:5], 1, s[66:67]
	v_lshl_add_u64 v[2:3], v[2:3], 1, v[4:5]
	global_load_ushort v4, v[2:3], off
	v_bfe_i32 v2, v7, 0, 16
	v_ashrrev_i32_e32 v3, 31, v2
	s_waitcnt vmcnt(0)
	v_bfe_i32 v4, v4, 0, 16
	v_ashrrev_i32_e32 v5, 31, v4
	v_lshl_add_u64 v[4:5], v[4:5], 1, s[66:67]
	v_lshl_add_u64 v[2:3], v[2:3], 1, v[4:5]
	global_load_ushort v4, v[2:3], off
	;; [unrolled: 8-line block ×5, first 2 shown]
	global_load_ushort v6, v1, s[36:37] offset:2048
	v_bfe_i32 v2, v11, 0, 16
	v_ashrrev_i32_e32 v3, 31, v2
	s_waitcnt vmcnt(1)
	v_bfe_i32 v4, v4, 0, 16
	v_ashrrev_i32_e32 v5, 31, v4
	v_lshl_add_u64 v[4:5], v[4:5], 1, s[66:67]
	v_lshl_add_u64 v[2:3], v[2:3], 1, v[4:5]
	global_load_ushort v4, v[2:3], off
	global_load_ushort v7, v1, s[36:37] offset:2304
	global_load_ushort v8, v1, s[36:37] offset:2560
	;; [unrolled: 1-line block ×7, first 2 shown]
	s_waitcnt vmcnt(8)
	v_bfe_i32 v2, v6, 0, 16
	v_ashrrev_i32_e32 v3, 31, v2
	s_waitcnt vmcnt(7)
	v_bfe_i32 v4, v4, 0, 16
	v_ashrrev_i32_e32 v5, 31, v4
	v_lshl_add_u64 v[4:5], v[4:5], 1, s[66:67]
	v_lshl_add_u64 v[2:3], v[2:3], 1, v[4:5]
	global_load_ushort v1, v[2:3], off
	s_waitcnt vmcnt(7)
	v_bfe_i32 v2, v7, 0, 16
	v_ashrrev_i32_e32 v3, 31, v2
	s_waitcnt vmcnt(0)
	v_bfe_i32 v4, v1, 0, 16
	v_ashrrev_i32_e32 v5, 31, v4
	v_lshl_add_u64 v[4:5], v[4:5], 1, s[66:67]
	v_lshl_add_u64 v[2:3], v[2:3], 1, v[4:5]
	global_load_ushort v1, v[2:3], off
	v_bfe_i32 v2, v8, 0, 16
	v_ashrrev_i32_e32 v3, 31, v2
	s_waitcnt vmcnt(0)
	v_bfe_i32 v4, v1, 0, 16
	v_ashrrev_i32_e32 v5, 31, v4
	v_lshl_add_u64 v[4:5], v[4:5], 1, s[66:67]
	v_lshl_add_u64 v[2:3], v[2:3], 1, v[4:5]
	global_load_ushort v1, v[2:3], off
	;; [unrolled: 8-line block ×7, first 2 shown]
	s_waitcnt vmcnt(0)
	v_and_b32_e32 v3, 0xffff, v1
	v_bfe_i32 v2, v1, 0, 16
	s_nop 0
	v_mov_b32_dpp v1, v3 quad_perm:[1,0,3,2] row_mask:0xf bank_mask:0xf bound_ctrl:1
	v_lshlrev_b32_e32 v4, 16, v1
	v_bfe_i32 v5, v1, 15, 1
	v_ashrrev_i32_e32 v4, 15, v4
	v_ashrrev_i32_e32 v3, 31, v2
	v_lshl_add_u64 v[4:5], s[66:67], 0, v[4:5]
	v_lshl_add_u64 v[2:3], v[2:3], 1, v[4:5]
	global_load_ushort v1, v[2:3], off
	s_waitcnt vmcnt(0)
	v_and_b32_e32 v3, 0xffff, v1
	v_bfe_i32 v2, v1, 0, 16
	s_nop 0
	v_mov_b32_dpp v1, v3 quad_perm:[2,3,0,1] row_mask:0xf bank_mask:0xf bound_ctrl:1
	v_lshlrev_b32_e32 v4, 16, v1
	v_bfe_i32 v5, v1, 15, 1
	v_ashrrev_i32_e32 v4, 15, v4
	v_ashrrev_i32_e32 v3, 31, v2
	v_lshl_add_u64 v[4:5], s[66:67], 0, v[4:5]
	v_lshl_add_u64 v[2:3], v[2:3], 1, v[4:5]
	global_load_ushort v1, v[2:3], off
	s_waitcnt vmcnt(0)
	v_and_b32_e32 v3, 0xffff, v1
	v_bfe_i32 v2, v1, 0, 16
	s_nop 0
	v_mov_b32_dpp v1, v3 row_ror:4 row_mask:0xf bank_mask:0xf bound_ctrl:1
	v_lshlrev_b32_e32 v4, 16, v1
	v_bfe_i32 v5, v1, 15, 1
	v_ashrrev_i32_e32 v4, 15, v4
	v_ashrrev_i32_e32 v3, 31, v2
	v_lshl_add_u64 v[4:5], s[66:67], 0, v[4:5]
	v_lshl_add_u64 v[2:3], v[2:3], 1, v[4:5]
	global_load_ushort v1, v[2:3], off
	s_waitcnt vmcnt(0)
	v_and_b32_e32 v3, 0xffff, v1
	v_bfe_i32 v2, v1, 0, 16
	s_nop 0
	v_mov_b32_dpp v1, v3 row_ror:8 row_mask:0xf bank_mask:0xf bound_ctrl:1
	v_lshlrev_b32_e32 v4, 16, v1
	v_bfe_i32 v5, v1, 15, 1
	v_ashrrev_i32_e32 v4, 15, v4
	v_ashrrev_i32_e32 v3, 31, v2
	v_lshl_add_u64 v[4:5], s[66:67], 0, v[4:5]
	v_lshl_add_u64 v[2:3], v[2:3], 1, v[4:5]
	global_load_ushort v1, v[2:3], off
	s_waitcnt vmcnt(0)
	v_and_b32_e32 v3, 0xffff, v1
	v_bfe_i32 v2, v1, 0, 16
	s_nop 0
	v_mov_b32_dpp v1, v3 row_bcast:15 row_mask:0xf bank_mask:0xf bound_ctrl:1
	v_lshlrev_b32_e32 v4, 16, v1
	v_bfe_i32 v5, v1, 15, 1
	v_ashrrev_i32_e32 v4, 15, v4
	v_ashrrev_i32_e32 v3, 31, v2
	v_lshl_add_u64 v[4:5], s[66:67], 0, v[4:5]
	v_lshl_add_u64 v[2:3], v[2:3], 1, v[4:5]
	global_load_ushort v1, v[2:3], off
	s_waitcnt vmcnt(0)
	v_and_b32_e32 v3, 0xffff, v1
	v_bfe_i32 v2, v1, 0, 16
	s_nop 0
	v_mov_b32_dpp v1, v3 row_bcast:31 row_mask:0xf bank_mask:0xf bound_ctrl:1
	v_lshlrev_b32_e32 v4, 16, v1
	v_ashrrev_i32_e32 v4, 15, v4
	v_bfe_i32 v5, v1, 15, 1
	v_ashrrev_i32_e32 v3, 31, v2
	v_lshl_add_u64 v[4:5], s[66:67], 0, v[4:5]
	v_lshl_add_u64 v[2:3], v[2:3], 1, v[4:5]
	global_load_ushort v2, v[2:3], off
	v_mbcnt_lo_u32_b32 v1, -1, 0
	v_mbcnt_hi_u32_b32 v5, -1, v1
	v_lshlrev_b32_e32 v1, 2, v5
	v_or_b32_e32 v3, 0xfc, v1
	v_cmp_eq_u32_e32 vcc, 0, v5
	s_waitcnt vmcnt(0)
	ds_bpermute_b32 v2, v3, v2
	s_and_saveexec_b64 s[6:7], vcc
	s_cbranch_execz .LBB974_456
; %bb.455:
	v_lshrrev_b32_e32 v3, 5, v0
	v_and_b32_e32 v3, 2, v3
	s_waitcnt lgkmcnt(0)
	ds_write_b16 v3, v2 offset:4
.LBB974_456:
	s_or_b64 exec, exec, s[6:7]
	v_cmp_gt_u32_e32 vcc, 64, v0
	s_mov_b64 s[6:7], 0
	s_mov_b64 s[34:35], 0
	s_waitcnt lgkmcnt(0)
	s_barrier
                                        ; implicit-def: $vgpr3
                                        ; implicit-def: $vgpr4
	s_and_saveexec_b64 s[8:9], vcc
	s_xor_b64 s[8:9], exec, s[8:9]
	s_cbranch_execz .LBB974_458
; %bb.457:
	v_and_b32_e32 v3, 1, v5
	v_lshlrev_b32_e32 v3, 1, v3
	ds_read_u16 v3, v3 offset:4
	v_or_b32_e32 v1, 4, v1
	s_mov_b64 s[34:35], exec
	s_waitcnt lgkmcnt(0)
	v_and_b32_e32 v4, 0xffff, v3
	ds_bpermute_b32 v4, v1, v4
.LBB974_458:
	s_or_b64 exec, exec, s[8:9]
	s_branch .LBB974_462
.LBB974_459:
                                        ; implicit-def: $vgpr2
	s_cbranch_execz .LBB974_555
	s_branch .LBB974_547
.LBB974_460:
                                        ; implicit-def: $vgpr2
	s_branch .LBB974_555
.LBB974_461:
	s_mov_b64 s[6:7], -1
	s_mov_b64 s[34:35], 0
                                        ; implicit-def: $vgpr3
                                        ; implicit-def: $vgpr4
                                        ; implicit-def: $vgpr2
.LBB974_462:
	s_and_b64 vcc, exec, s[6:7]
	s_cbranch_vccz .LBB974_542
; %bb.463:
	s_sub_i32 s40, s70, s4
	s_waitcnt vmcnt(0)
	v_mov_b32_e32 v2, 0
	v_cmp_gt_u32_e32 vcc, s40, v0
	v_mov_b32_e32 v3, v2
	s_waitcnt lgkmcnt(0)
	v_mov_b32_e32 v4, v2
	v_mov_b32_e32 v5, v2
	;; [unrolled: 1-line block ×6, first 2 shown]
	s_and_saveexec_b64 s[4:5], vcc
	s_cbranch_execz .LBB974_465
; %bb.464:
	v_lshlrev_b32_e32 v1, 1, v0
	global_load_ushort v1, v1, s[36:37]
	v_mov_b32_e32 v5, v2
	v_mov_b32_e32 v6, v2
	;; [unrolled: 1-line block ×7, first 2 shown]
	s_waitcnt vmcnt(0)
	v_and_b32_e32 v4, 0xffff, v1
	v_mov_b64_e32 v[2:3], v[4:5]
	v_mov_b64_e32 v[4:5], v[6:7]
	;; [unrolled: 1-line block ×4, first 2 shown]
.LBB974_465:
	s_or_b64 exec, exec, s[4:5]
	v_or_b32_e32 v1, 0x80, v0
	v_cmp_gt_u32_e32 vcc, s40, v1
	s_and_saveexec_b64 s[4:5], vcc
	s_cbranch_execz .LBB974_467
; %bb.466:
	v_lshlrev_b32_e32 v1, 1, v0
	global_load_ushort v1, v1, s[36:37] offset:256
	s_mov_b32 s6, 0x5040100
	s_waitcnt vmcnt(0)
	v_perm_b32 v2, v1, v2, s6
.LBB974_467:
	s_or_b64 exec, exec, s[4:5]
	v_or_b32_e32 v1, 0x100, v0
	v_cmp_gt_u32_e64 s[4:5], s40, v1
	s_and_saveexec_b64 s[6:7], s[4:5]
	s_cbranch_execz .LBB974_469
; %bb.468:
	v_lshlrev_b32_e32 v1, 1, v0
	global_load_ushort v1, v1, s[36:37] offset:512
	s_mov_b32 s8, 0xffff
	s_waitcnt vmcnt(0)
	v_bfi_b32 v3, s8, v1, v3
.LBB974_469:
	s_or_b64 exec, exec, s[6:7]
	v_or_b32_e32 v1, 0x180, v0
	v_cmp_gt_u32_e64 s[6:7], s40, v1
	s_and_saveexec_b64 s[8:9], s[6:7]
	s_cbranch_execz .LBB974_471
; %bb.470:
	v_lshlrev_b32_e32 v1, 1, v0
	global_load_ushort v1, v1, s[36:37] offset:768
	s_mov_b32 s10, 0x5040100
	s_waitcnt vmcnt(0)
	v_perm_b32 v3, v1, v3, s10
.LBB974_471:
	s_or_b64 exec, exec, s[8:9]
	v_or_b32_e32 v1, 0x200, v0
	v_cmp_gt_u32_e64 s[8:9], s40, v1
	s_and_saveexec_b64 s[10:11], s[8:9]
	s_cbranch_execz .LBB974_473
; %bb.472:
	v_lshlrev_b32_e32 v1, 1, v0
	global_load_ushort v1, v1, s[36:37] offset:1024
	s_mov_b32 s12, 0xffff
	s_waitcnt vmcnt(0)
	v_bfi_b32 v4, s12, v1, v4
.LBB974_473:
	s_or_b64 exec, exec, s[10:11]
	v_or_b32_e32 v1, 0x280, v0
	v_cmp_gt_u32_e64 s[10:11], s40, v1
	s_and_saveexec_b64 s[12:13], s[10:11]
	;; [unrolled: 24-line block ×7, first 2 shown]
	s_cbranch_execz .LBB974_509
; %bb.494:
	v_lshlrev_b32_e32 v1, 1, v0
	global_load_ushort v1, v1, s[36:37] offset:3840
	s_mov_b32 s36, 0x5040100
	s_waitcnt vmcnt(0)
	v_perm_b32 v9, v1, v9, s36
	s_or_b64 exec, exec, s[38:39]
	s_and_saveexec_b64 s[36:37], vcc
	s_cbranch_execnz .LBB974_510
.LBB974_495:
	s_or_b64 exec, exec, s[36:37]
	s_and_saveexec_b64 s[36:37], s[4:5]
	s_cbranch_execz .LBB974_511
.LBB974_496:
	s_waitcnt vmcnt(0)
	v_bfe_i32 v10, v2, 0, 16
	v_ashrrev_i32_e32 v11, 31, v10
	v_bfe_i32 v12, v3, 0, 16
	v_lshl_add_u64 v[10:11], v[10:11], 1, s[66:67]
	v_ashrrev_i32_e32 v13, 31, v12
	v_lshl_add_u64 v[10:11], v[12:13], 1, v[10:11]
	global_load_ushort v2, v[10:11], off
	s_or_b64 exec, exec, s[36:37]
	s_and_saveexec_b64 s[4:5], s[6:7]
	s_cbranch_execnz .LBB974_512
.LBB974_497:
	s_or_b64 exec, exec, s[4:5]
	s_and_saveexec_b64 s[4:5], s[8:9]
	s_cbranch_execz .LBB974_513
.LBB974_498:
	s_waitcnt vmcnt(0)
	v_bfe_i32 v2, v2, 0, 16
	v_ashrrev_i32_e32 v3, 31, v2
	v_bfe_i32 v10, v4, 0, 16
	v_lshl_add_u64 v[2:3], v[2:3], 1, s[66:67]
	v_ashrrev_i32_e32 v11, 31, v10
	v_lshl_add_u64 v[2:3], v[10:11], 1, v[2:3]
	global_load_ushort v2, v[2:3], off
	s_or_b64 exec, exec, s[4:5]
	s_and_saveexec_b64 s[4:5], s[10:11]
	s_cbranch_execnz .LBB974_514
.LBB974_499:
	s_or_b64 exec, exec, s[4:5]
	s_and_saveexec_b64 s[4:5], s[12:13]
	s_cbranch_execz .LBB974_515
.LBB974_500:
	s_waitcnt vmcnt(0)
	v_bfe_i32 v2, v2, 0, 16
	v_ashrrev_i32_e32 v3, 31, v2
	v_bfe_i32 v10, v5, 0, 16
	v_lshl_add_u64 v[2:3], v[2:3], 1, s[66:67]
	v_ashrrev_i32_e32 v11, 31, v10
	v_lshl_add_u64 v[2:3], v[10:11], 1, v[2:3]
	global_load_ushort v2, v[2:3], off
	s_or_b64 exec, exec, s[4:5]
	s_and_saveexec_b64 s[4:5], s[14:15]
	s_cbranch_execnz .LBB974_516
.LBB974_501:
	s_or_b64 exec, exec, s[4:5]
	s_and_saveexec_b64 s[4:5], s[16:17]
	s_cbranch_execz .LBB974_517
.LBB974_502:
	s_waitcnt vmcnt(0)
	v_bfe_i32 v2, v2, 0, 16
	v_ashrrev_i32_e32 v3, 31, v2
	v_bfe_i32 v4, v6, 0, 16
	v_lshl_add_u64 v[2:3], v[2:3], 1, s[66:67]
	v_ashrrev_i32_e32 v5, 31, v4
	v_lshl_add_u64 v[2:3], v[4:5], 1, v[2:3]
	global_load_ushort v2, v[2:3], off
	s_or_b64 exec, exec, s[4:5]
	s_and_saveexec_b64 s[4:5], s[18:19]
	s_cbranch_execnz .LBB974_518
.LBB974_503:
	s_or_b64 exec, exec, s[4:5]
	s_and_saveexec_b64 s[4:5], s[20:21]
	s_cbranch_execz .LBB974_519
.LBB974_504:
	s_waitcnt vmcnt(0)
	v_bfe_i32 v2, v2, 0, 16
	v_ashrrev_i32_e32 v3, 31, v2
	v_bfe_i32 v4, v7, 0, 16
	v_lshl_add_u64 v[2:3], v[2:3], 1, s[66:67]
	v_ashrrev_i32_e32 v5, 31, v4
	v_lshl_add_u64 v[2:3], v[4:5], 1, v[2:3]
	global_load_ushort v2, v[2:3], off
	s_or_b64 exec, exec, s[4:5]
	s_and_saveexec_b64 s[4:5], s[22:23]
	s_cbranch_execnz .LBB974_520
.LBB974_505:
	s_or_b64 exec, exec, s[4:5]
	s_and_saveexec_b64 s[4:5], s[24:25]
	s_cbranch_execz .LBB974_521
.LBB974_506:
	s_waitcnt vmcnt(0)
	v_bfe_i32 v2, v2, 0, 16
	v_ashrrev_i32_e32 v3, 31, v2
	v_bfe_i32 v4, v8, 0, 16
	v_lshl_add_u64 v[2:3], v[2:3], 1, s[66:67]
	v_ashrrev_i32_e32 v5, 31, v4
	v_lshl_add_u64 v[2:3], v[4:5], 1, v[2:3]
	global_load_ushort v2, v[2:3], off
	s_or_b64 exec, exec, s[4:5]
	s_and_saveexec_b64 s[4:5], s[26:27]
	s_cbranch_execnz .LBB974_522
.LBB974_507:
	s_or_b64 exec, exec, s[4:5]
	s_and_saveexec_b64 s[4:5], s[28:29]
	s_cbranch_execz .LBB974_523
.LBB974_508:
	s_waitcnt vmcnt(0)
	v_bfe_i32 v2, v2, 0, 16
	v_ashrrev_i32_e32 v3, 31, v2
	v_bfe_i32 v4, v9, 0, 16
	v_lshl_add_u64 v[2:3], v[2:3], 1, s[66:67]
	v_ashrrev_i32_e32 v5, 31, v4
	v_lshl_add_u64 v[2:3], v[4:5], 1, v[2:3]
	global_load_ushort v2, v[2:3], off
	s_or_b64 exec, exec, s[4:5]
	s_and_saveexec_b64 s[4:5], s[30:31]
	s_cbranch_execnz .LBB974_524
	s_branch .LBB974_525
.LBB974_509:
	s_or_b64 exec, exec, s[38:39]
	s_and_saveexec_b64 s[36:37], vcc
	s_cbranch_execz .LBB974_495
.LBB974_510:
	v_bfe_i32 v10, v2, 0, 16
	v_lshrrev_b32_e32 v1, 16, v2
	v_ashrrev_i32_e32 v11, 31, v10
	v_bfe_i32 v12, v1, 0, 16
	v_lshl_add_u64 v[10:11], v[10:11], 1, s[66:67]
	v_ashrrev_i32_e32 v13, 31, v12
	v_lshl_add_u64 v[10:11], v[12:13], 1, v[10:11]
	global_load_ushort v2, v[10:11], off
	s_or_b64 exec, exec, s[36:37]
	s_and_saveexec_b64 s[36:37], s[4:5]
	s_cbranch_execnz .LBB974_496
.LBB974_511:
	s_or_b64 exec, exec, s[36:37]
	s_and_saveexec_b64 s[4:5], s[6:7]
	s_cbranch_execz .LBB974_497
.LBB974_512:
	s_waitcnt vmcnt(0)
	v_bfe_i32 v10, v2, 0, 16
	v_lshrrev_b32_e32 v1, 16, v3
	v_ashrrev_i32_e32 v11, 31, v10
	v_bfe_i32 v2, v1, 0, 16
	v_lshl_add_u64 v[10:11], v[10:11], 1, s[66:67]
	v_ashrrev_i32_e32 v3, 31, v2
	v_lshl_add_u64 v[2:3], v[2:3], 1, v[10:11]
	global_load_ushort v2, v[2:3], off
	s_or_b64 exec, exec, s[4:5]
	s_and_saveexec_b64 s[4:5], s[8:9]
	s_cbranch_execnz .LBB974_498
.LBB974_513:
	s_or_b64 exec, exec, s[4:5]
	s_and_saveexec_b64 s[4:5], s[10:11]
	s_cbranch_execz .LBB974_499
.LBB974_514:
	s_waitcnt vmcnt(0)
	v_bfe_i32 v2, v2, 0, 16
	v_lshrrev_b32_e32 v1, 16, v4
	v_ashrrev_i32_e32 v3, 31, v2
	v_bfe_i32 v10, v1, 0, 16
	v_lshl_add_u64 v[2:3], v[2:3], 1, s[66:67]
	v_ashrrev_i32_e32 v11, 31, v10
	v_lshl_add_u64 v[2:3], v[10:11], 1, v[2:3]
	global_load_ushort v2, v[2:3], off
	s_or_b64 exec, exec, s[4:5]
	s_and_saveexec_b64 s[4:5], s[12:13]
	s_cbranch_execnz .LBB974_500
.LBB974_515:
	s_or_b64 exec, exec, s[4:5]
	s_and_saveexec_b64 s[4:5], s[14:15]
	s_cbranch_execz .LBB974_501
.LBB974_516:
	s_waitcnt vmcnt(0)
	v_bfe_i32 v2, v2, 0, 16
	v_lshrrev_b32_e32 v1, 16, v5
	v_ashrrev_i32_e32 v3, 31, v2
	v_bfe_i32 v4, v1, 0, 16
	v_lshl_add_u64 v[2:3], v[2:3], 1, s[66:67]
	v_ashrrev_i32_e32 v5, 31, v4
	v_lshl_add_u64 v[2:3], v[4:5], 1, v[2:3]
	global_load_ushort v2, v[2:3], off
	s_or_b64 exec, exec, s[4:5]
	s_and_saveexec_b64 s[4:5], s[16:17]
	s_cbranch_execnz .LBB974_502
.LBB974_517:
	s_or_b64 exec, exec, s[4:5]
	s_and_saveexec_b64 s[4:5], s[18:19]
	s_cbranch_execz .LBB974_503
.LBB974_518:
	s_waitcnt vmcnt(0)
	v_bfe_i32 v2, v2, 0, 16
	v_lshrrev_b32_e32 v1, 16, v6
	v_ashrrev_i32_e32 v3, 31, v2
	v_bfe_i32 v4, v1, 0, 16
	v_lshl_add_u64 v[2:3], v[2:3], 1, s[66:67]
	v_ashrrev_i32_e32 v5, 31, v4
	v_lshl_add_u64 v[2:3], v[4:5], 1, v[2:3]
	global_load_ushort v2, v[2:3], off
	s_or_b64 exec, exec, s[4:5]
	s_and_saveexec_b64 s[4:5], s[20:21]
	s_cbranch_execnz .LBB974_504
.LBB974_519:
	s_or_b64 exec, exec, s[4:5]
	s_and_saveexec_b64 s[4:5], s[22:23]
	s_cbranch_execz .LBB974_505
.LBB974_520:
	s_waitcnt vmcnt(0)
	v_bfe_i32 v2, v2, 0, 16
	v_lshrrev_b32_e32 v1, 16, v7
	v_ashrrev_i32_e32 v3, 31, v2
	v_bfe_i32 v4, v1, 0, 16
	v_lshl_add_u64 v[2:3], v[2:3], 1, s[66:67]
	v_ashrrev_i32_e32 v5, 31, v4
	v_lshl_add_u64 v[2:3], v[4:5], 1, v[2:3]
	global_load_ushort v2, v[2:3], off
	s_or_b64 exec, exec, s[4:5]
	s_and_saveexec_b64 s[4:5], s[24:25]
	s_cbranch_execnz .LBB974_506
.LBB974_521:
	s_or_b64 exec, exec, s[4:5]
	s_and_saveexec_b64 s[4:5], s[26:27]
	s_cbranch_execz .LBB974_507
.LBB974_522:
	s_waitcnt vmcnt(0)
	v_bfe_i32 v2, v2, 0, 16
	v_lshrrev_b32_e32 v1, 16, v8
	v_ashrrev_i32_e32 v3, 31, v2
	v_bfe_i32 v4, v1, 0, 16
	v_lshl_add_u64 v[2:3], v[2:3], 1, s[66:67]
	v_ashrrev_i32_e32 v5, 31, v4
	v_lshl_add_u64 v[2:3], v[4:5], 1, v[2:3]
	global_load_ushort v2, v[2:3], off
	s_or_b64 exec, exec, s[4:5]
	s_and_saveexec_b64 s[4:5], s[28:29]
	s_cbranch_execnz .LBB974_508
.LBB974_523:
	s_or_b64 exec, exec, s[4:5]
	s_and_saveexec_b64 s[4:5], s[30:31]
	s_cbranch_execz .LBB974_525
.LBB974_524:
	s_waitcnt vmcnt(0)
	v_bfe_i32 v2, v2, 0, 16
	v_lshrrev_b32_e32 v1, 16, v9
	v_ashrrev_i32_e32 v3, 31, v2
	v_bfe_i32 v4, v1, 0, 16
	v_lshl_add_u64 v[2:3], v[2:3], 1, s[66:67]
	v_ashrrev_i32_e32 v5, 31, v4
	v_lshl_add_u64 v[2:3], v[4:5], 1, v[2:3]
	global_load_ushort v2, v[2:3], off
.LBB974_525:
	s_or_b64 exec, exec, s[4:5]
	v_mbcnt_lo_u32_b32 v1, -1, 0
	v_mbcnt_hi_u32_b32 v1, -1, v1
	v_and_b32_e32 v3, 63, v1
	v_cmp_ne_u32_e32 vcc, 63, v3
	s_waitcnt vmcnt(0)
	v_and_b32_e32 v6, 0xffff, v2
	s_min_u32 s6, s40, 0x80
	v_addc_co_u32_e32 v4, vcc, 0, v1, vcc
	v_lshlrev_b32_e32 v4, 2, v4
	ds_bpermute_b32 v4, v4, v6
	v_and_b32_e32 v5, 64, v0
	v_sub_u32_e64 v5, s6, v5 clamp
	v_add_u32_e32 v7, 1, v3
	v_cmp_lt_u32_e32 vcc, v7, v5
	s_and_saveexec_b64 s[4:5], vcc
	s_xor_b64 s[4:5], exec, s[4:5]
	s_cbranch_execz .LBB974_527
; %bb.526:
	v_bfe_i32 v6, v2, 0, 16
	v_ashrrev_i32_e32 v7, 31, v6
	s_waitcnt lgkmcnt(0)
	v_lshlrev_b32_e32 v2, 16, v4
	v_lshl_add_u64 v[6:7], v[6:7], 1, s[66:67]
	v_ashrrev_i32_e32 v8, 15, v2
	v_bfe_i32 v9, v4, 15, 1
	v_lshl_add_u64 v[6:7], v[6:7], 0, v[8:9]
	global_load_ushort v2, v[6:7], off
	s_waitcnt vmcnt(0)
	v_and_b32_e32 v6, 0xffff, v2
.LBB974_527:
	s_or_b64 exec, exec, s[4:5]
	v_cmp_gt_u32_e32 vcc, 62, v3
	v_add_u32_e32 v7, 2, v3
	s_waitcnt lgkmcnt(0)
	v_cndmask_b32_e64 v4, 0, 2, vcc
	v_add_lshl_u32 v4, v4, v1, 2
	ds_bpermute_b32 v4, v4, v6
	v_cmp_lt_u32_e32 vcc, v7, v5
	s_and_saveexec_b64 s[4:5], vcc
	s_cbranch_execz .LBB974_529
; %bb.528:
	v_bfe_i32 v6, v2, 0, 16
	v_ashrrev_i32_e32 v7, 31, v6
	s_waitcnt lgkmcnt(0)
	v_lshlrev_b32_e32 v2, 16, v4
	v_lshl_add_u64 v[6:7], v[6:7], 1, s[66:67]
	v_ashrrev_i32_e32 v8, 15, v2
	v_bfe_i32 v9, v4, 15, 1
	v_lshl_add_u64 v[6:7], v[6:7], 0, v[8:9]
	global_load_ushort v2, v[6:7], off
	s_waitcnt vmcnt(0)
	v_and_b32_e32 v6, 0xffff, v2
.LBB974_529:
	s_or_b64 exec, exec, s[4:5]
	v_cmp_gt_u32_e32 vcc, 60, v3
	v_add_u32_e32 v7, 4, v3
	s_waitcnt lgkmcnt(0)
	v_cndmask_b32_e64 v4, 0, 4, vcc
	v_add_lshl_u32 v4, v4, v1, 2
	ds_bpermute_b32 v4, v4, v6
	v_cmp_lt_u32_e32 vcc, v7, v5
	s_and_saveexec_b64 s[4:5], vcc
	;; [unrolled: 23-line block ×4, first 2 shown]
	s_cbranch_execz .LBB974_535
; %bb.534:
	v_bfe_i32 v6, v2, 0, 16
	v_ashrrev_i32_e32 v7, 31, v6
	s_waitcnt lgkmcnt(0)
	v_lshlrev_b32_e32 v2, 16, v4
	v_lshl_add_u64 v[6:7], v[6:7], 1, s[66:67]
	v_ashrrev_i32_e32 v8, 15, v2
	v_bfe_i32 v9, v4, 15, 1
	v_lshl_add_u64 v[6:7], v[6:7], 0, v[8:9]
	global_load_ushort v2, v[6:7], off
	s_waitcnt vmcnt(0)
	v_and_b32_e32 v6, 0xffff, v2
.LBB974_535:
	s_or_b64 exec, exec, s[4:5]
	v_lshlrev_b32_e32 v7, 2, v1
	s_waitcnt lgkmcnt(0)
	v_or_b32_e32 v4, 0x80, v7
	ds_bpermute_b32 v4, v4, v6
	v_add_u32_e32 v3, 32, v3
	v_cmp_lt_u32_e32 vcc, v3, v5
	s_and_saveexec_b64 s[4:5], vcc
	s_cbranch_execz .LBB974_537
; %bb.536:
	v_bfe_i32 v2, v2, 0, 16
	v_ashrrev_i32_e32 v3, 31, v2
	s_waitcnt lgkmcnt(0)
	v_lshlrev_b32_e32 v5, 16, v4
	v_lshl_add_u64 v[2:3], v[2:3], 1, s[66:67]
	v_ashrrev_i32_e32 v8, 15, v5
	v_bfe_i32 v9, v4, 15, 1
	v_lshl_add_u64 v[2:3], v[2:3], 0, v[8:9]
	global_load_ushort v2, v[2:3], off
.LBB974_537:
	s_or_b64 exec, exec, s[4:5]
	v_cmp_eq_u32_e32 vcc, 0, v1
	s_and_saveexec_b64 s[4:5], vcc
	s_cbranch_execz .LBB974_539
; %bb.538:
	v_lshrrev_b32_e32 v3, 5, v0
	v_and_b32_e32 v3, 2, v3
	s_waitcnt vmcnt(0)
	ds_write_b16 v3, v2
.LBB974_539:
	s_or_b64 exec, exec, s[4:5]
	v_cmp_gt_u32_e32 vcc, 2, v0
	s_waitcnt lgkmcnt(0)
	s_barrier
                                        ; implicit-def: $vgpr3
                                        ; implicit-def: $vgpr4
	s_and_saveexec_b64 s[4:5], vcc
	s_cbranch_execz .LBB974_541
; %bb.540:
	s_waitcnt vmcnt(0)
	v_lshlrev_b32_e32 v2, 1, v1
	ds_read_u16 v3, v2
	s_add_i32 s6, s6, 63
	v_and_b32_e32 v1, 1, v1
	s_lshr_b32 s6, s6, 6
	v_add_u32_e32 v1, 1, v1
	v_or_b32_e32 v2, 4, v7
	v_cmp_gt_u32_e32 vcc, s6, v1
	s_waitcnt lgkmcnt(0)
	v_and_b32_e32 v1, 0xffff, v3
	ds_bpermute_b32 v4, v2, v1
	s_andn2_b64 s[6:7], s[34:35], exec
	s_and_b64 s[8:9], vcc, exec
	s_or_b64 s[34:35], s[6:7], s[8:9]
	v_mov_b32_e32 v2, v3
.LBB974_541:
	s_or_b64 exec, exec, s[4:5]
.LBB974_542:
	s_and_saveexec_b64 s[4:5], s[34:35]
	s_cbranch_execz .LBB974_544
; %bb.543:
	s_waitcnt vmcnt(0)
	v_bfe_i32 v2, v3, 0, 16
	v_ashrrev_i32_e32 v3, 31, v2
	s_waitcnt lgkmcnt(0)
	v_lshlrev_b32_e32 v1, 16, v4
	v_lshl_add_u64 v[2:3], v[2:3], 1, s[66:67]
	v_ashrrev_i32_e32 v6, 15, v1
	v_bfe_i32 v7, v4, 15, 1
	v_lshl_add_u64 v[2:3], v[2:3], 0, v[6:7]
	global_load_ushort v2, v[2:3], off
.LBB974_544:
	s_or_b64 exec, exec, s[4:5]
	v_cmp_eq_u32_e32 vcc, 0, v0
	s_and_saveexec_b64 s[4:5], vcc
	s_xor_b64 s[4:5], exec, s[4:5]
	s_cbranch_execz .LBB974_546
; %bb.545:
	s_cmp_eq_u64 s[70:71], 0
	s_cselect_b64 s[6:7], -1, 0
	s_cmp_lg_u64 s[70:71], 0
	s_cselect_b64 s[8:9], -1, 0
	s_andn2_b64 s[10:11], s[72:73], exec
	s_and_b64 s[6:7], s[6:7], exec
	s_or_b64 s[72:73], s[10:11], s[6:7]
	s_andn2_b64 s[6:7], s[74:75], exec
	s_and_b64 s[8:9], s[8:9], exec
	s_or_b64 s[74:75], s[6:7], s[8:9]
.LBB974_546:
	s_or_b64 exec, exec, s[4:5]
	s_branch .LBB974_555
.LBB974_547:
	s_cmp_eq_u32 s82, 8
	s_cbranch_scc0 .LBB974_554
; %bb.548:
	s_mov_b32 s3, 0
	s_lshl_b32 s4, s2, 10
	s_mov_b32 s5, s3
	s_lshr_b64 s[6:7], s[70:71], 10
	s_lshl_b64 s[8:9], s[4:5], 1
	s_add_u32 s18, s68, s8
	s_addc_u32 s19, s69, s9
	s_cmp_lg_u64 s[6:7], s[2:3]
	s_cbranch_scc0 .LBB974_576
; %bb.549:
	v_lshlrev_b32_e32 v1, 1, v0
	global_load_ushort v2, v1, s[18:19]
	global_load_ushort v3, v1, s[18:19] offset:256
	global_load_ushort v6, v1, s[18:19] offset:512
	;; [unrolled: 1-line block ×7, first 2 shown]
	s_waitcnt vmcnt(7)
	v_bfe_i32 v2, v2, 0, 16
	s_waitcnt vmcnt(6) lgkmcnt(0)
	v_bfe_i32 v4, v3, 0, 16
	v_ashrrev_i32_e32 v3, 31, v2
	v_ashrrev_i32_e32 v5, 31, v4
	v_lshl_add_u64 v[2:3], v[2:3], 1, s[66:67]
	v_lshl_add_u64 v[2:3], v[4:5], 1, v[2:3]
	global_load_ushort v1, v[2:3], off
	s_waitcnt vmcnt(6)
	v_bfe_i32 v2, v6, 0, 16
	v_ashrrev_i32_e32 v3, 31, v2
	s_waitcnt vmcnt(0)
	v_bfe_i32 v4, v1, 0, 16
	v_ashrrev_i32_e32 v5, 31, v4
	v_lshl_add_u64 v[4:5], v[4:5], 1, s[66:67]
	v_lshl_add_u64 v[2:3], v[2:3], 1, v[4:5]
	global_load_ushort v1, v[2:3], off
	v_bfe_i32 v2, v7, 0, 16
	v_ashrrev_i32_e32 v3, 31, v2
	s_waitcnt vmcnt(0)
	v_bfe_i32 v4, v1, 0, 16
	v_ashrrev_i32_e32 v5, 31, v4
	v_lshl_add_u64 v[4:5], v[4:5], 1, s[66:67]
	v_lshl_add_u64 v[2:3], v[2:3], 1, v[4:5]
	global_load_ushort v1, v[2:3], off
	;; [unrolled: 8-line block ×6, first 2 shown]
	s_waitcnt vmcnt(0)
	v_and_b32_e32 v3, 0xffff, v1
	v_bfe_i32 v2, v1, 0, 16
	s_nop 0
	v_mov_b32_dpp v1, v3 quad_perm:[1,0,3,2] row_mask:0xf bank_mask:0xf bound_ctrl:1
	v_lshlrev_b32_e32 v4, 16, v1
	v_bfe_i32 v5, v1, 15, 1
	v_ashrrev_i32_e32 v4, 15, v4
	v_ashrrev_i32_e32 v3, 31, v2
	v_lshl_add_u64 v[4:5], s[66:67], 0, v[4:5]
	v_lshl_add_u64 v[2:3], v[2:3], 1, v[4:5]
	global_load_ushort v1, v[2:3], off
	s_waitcnt vmcnt(0)
	v_and_b32_e32 v3, 0xffff, v1
	v_bfe_i32 v2, v1, 0, 16
	s_nop 0
	v_mov_b32_dpp v1, v3 quad_perm:[2,3,0,1] row_mask:0xf bank_mask:0xf bound_ctrl:1
	v_lshlrev_b32_e32 v4, 16, v1
	v_bfe_i32 v5, v1, 15, 1
	v_ashrrev_i32_e32 v4, 15, v4
	v_ashrrev_i32_e32 v3, 31, v2
	v_lshl_add_u64 v[4:5], s[66:67], 0, v[4:5]
	v_lshl_add_u64 v[2:3], v[2:3], 1, v[4:5]
	global_load_ushort v1, v[2:3], off
	s_waitcnt vmcnt(0)
	v_and_b32_e32 v3, 0xffff, v1
	v_bfe_i32 v2, v1, 0, 16
	s_nop 0
	v_mov_b32_dpp v1, v3 row_ror:4 row_mask:0xf bank_mask:0xf bound_ctrl:1
	v_lshlrev_b32_e32 v4, 16, v1
	v_bfe_i32 v5, v1, 15, 1
	v_ashrrev_i32_e32 v4, 15, v4
	v_ashrrev_i32_e32 v3, 31, v2
	v_lshl_add_u64 v[4:5], s[66:67], 0, v[4:5]
	v_lshl_add_u64 v[2:3], v[2:3], 1, v[4:5]
	global_load_ushort v1, v[2:3], off
	s_waitcnt vmcnt(0)
	v_and_b32_e32 v3, 0xffff, v1
	v_bfe_i32 v2, v1, 0, 16
	s_nop 0
	v_mov_b32_dpp v1, v3 row_ror:8 row_mask:0xf bank_mask:0xf bound_ctrl:1
	v_lshlrev_b32_e32 v4, 16, v1
	v_bfe_i32 v5, v1, 15, 1
	v_ashrrev_i32_e32 v4, 15, v4
	v_ashrrev_i32_e32 v3, 31, v2
	v_lshl_add_u64 v[4:5], s[66:67], 0, v[4:5]
	v_lshl_add_u64 v[2:3], v[2:3], 1, v[4:5]
	global_load_ushort v1, v[2:3], off
	s_waitcnt vmcnt(0)
	v_and_b32_e32 v3, 0xffff, v1
	v_bfe_i32 v2, v1, 0, 16
	s_nop 0
	v_mov_b32_dpp v1, v3 row_bcast:15 row_mask:0xf bank_mask:0xf bound_ctrl:1
	v_lshlrev_b32_e32 v4, 16, v1
	v_bfe_i32 v5, v1, 15, 1
	v_ashrrev_i32_e32 v4, 15, v4
	v_ashrrev_i32_e32 v3, 31, v2
	v_lshl_add_u64 v[4:5], s[66:67], 0, v[4:5]
	v_lshl_add_u64 v[2:3], v[2:3], 1, v[4:5]
	global_load_ushort v1, v[2:3], off
	s_waitcnt vmcnt(0)
	v_and_b32_e32 v3, 0xffff, v1
	v_bfe_i32 v2, v1, 0, 16
	s_nop 0
	v_mov_b32_dpp v1, v3 row_bcast:31 row_mask:0xf bank_mask:0xf bound_ctrl:1
	v_lshlrev_b32_e32 v4, 16, v1
	v_ashrrev_i32_e32 v4, 15, v4
	v_bfe_i32 v5, v1, 15, 1
	v_ashrrev_i32_e32 v3, 31, v2
	v_lshl_add_u64 v[4:5], s[66:67], 0, v[4:5]
	v_lshl_add_u64 v[2:3], v[2:3], 1, v[4:5]
	global_load_ushort v2, v[2:3], off
	v_mbcnt_lo_u32_b32 v1, -1, 0
	v_mbcnt_hi_u32_b32 v5, -1, v1
	v_lshlrev_b32_e32 v1, 2, v5
	v_or_b32_e32 v3, 0xfc, v1
	v_cmp_eq_u32_e32 vcc, 0, v5
	s_waitcnt vmcnt(0)
	ds_bpermute_b32 v2, v3, v2
	s_and_saveexec_b64 s[6:7], vcc
	s_cbranch_execz .LBB974_551
; %bb.550:
	v_lshrrev_b32_e32 v3, 5, v0
	v_and_b32_e32 v3, 2, v3
	s_waitcnt lgkmcnt(0)
	ds_write_b16 v3, v2 offset:28
.LBB974_551:
	s_or_b64 exec, exec, s[6:7]
	v_cmp_gt_u32_e32 vcc, 64, v0
	s_mov_b64 s[6:7], 0
	s_mov_b64 s[16:17], 0
	s_waitcnt lgkmcnt(0)
	s_barrier
                                        ; implicit-def: $vgpr3
                                        ; implicit-def: $vgpr4
	s_and_saveexec_b64 s[8:9], vcc
	s_xor_b64 s[8:9], exec, s[8:9]
	s_cbranch_execz .LBB974_553
; %bb.552:
	v_and_b32_e32 v3, 1, v5
	v_lshlrev_b32_e32 v3, 1, v3
	ds_read_u16 v3, v3 offset:28
	v_or_b32_e32 v1, 4, v1
	s_mov_b64 s[16:17], exec
	s_waitcnt lgkmcnt(0)
	v_and_b32_e32 v4, 0xffff, v3
	ds_bpermute_b32 v4, v1, v4
.LBB974_553:
	s_or_b64 exec, exec, s[8:9]
	s_branch .LBB974_577
.LBB974_554:
                                        ; implicit-def: $vgpr2
.LBB974_555:
	s_branch .LBB974_709
.LBB974_556:
	s_cmp_gt_i32 s82, 1
	s_cbranch_scc0 .LBB974_565
; %bb.557:
	s_cmp_gt_i32 s82, 3
	s_cbranch_scc0 .LBB974_566
; %bb.558:
	s_cmp_eq_u32 s82, 4
	s_cbranch_scc0 .LBB974_574
; %bb.559:
	s_mov_b32 s3, 0
	s_lshl_b32 s4, s2, 9
	s_mov_b32 s5, s3
	s_lshr_b64 s[6:7], s[70:71], 9
	s_lshl_b64 s[8:9], s[4:5], 1
	s_add_u32 s10, s68, s8
	s_addc_u32 s11, s69, s9
	s_cmp_lg_u64 s[6:7], s[2:3]
	s_cbranch_scc0 .LBB974_600
; %bb.560:
	v_lshlrev_b32_e32 v1, 1, v0
	global_load_ushort v2, v1, s[10:11]
	global_load_ushort v3, v1, s[10:11] offset:256
	global_load_ushort v6, v1, s[10:11] offset:512
	;; [unrolled: 1-line block ×3, first 2 shown]
	s_waitcnt vmcnt(3)
	v_bfe_i32 v2, v2, 0, 16
	s_waitcnt vmcnt(2) lgkmcnt(0)
	v_bfe_i32 v4, v3, 0, 16
	v_ashrrev_i32_e32 v3, 31, v2
	v_ashrrev_i32_e32 v5, 31, v4
	v_lshl_add_u64 v[2:3], v[2:3], 1, s[66:67]
	v_lshl_add_u64 v[2:3], v[4:5], 1, v[2:3]
	global_load_ushort v1, v[2:3], off
	s_waitcnt vmcnt(2)
	v_bfe_i32 v2, v6, 0, 16
	v_ashrrev_i32_e32 v3, 31, v2
	s_waitcnt vmcnt(0)
	v_bfe_i32 v4, v1, 0, 16
	v_ashrrev_i32_e32 v5, 31, v4
	v_lshl_add_u64 v[4:5], v[4:5], 1, s[66:67]
	v_lshl_add_u64 v[2:3], v[2:3], 1, v[4:5]
	global_load_ushort v1, v[2:3], off
	v_bfe_i32 v2, v7, 0, 16
	v_ashrrev_i32_e32 v3, 31, v2
	s_waitcnt vmcnt(0)
	v_bfe_i32 v4, v1, 0, 16
	v_ashrrev_i32_e32 v5, 31, v4
	v_lshl_add_u64 v[4:5], v[4:5], 1, s[66:67]
	v_lshl_add_u64 v[2:3], v[2:3], 1, v[4:5]
	global_load_ushort v1, v[2:3], off
	s_waitcnt vmcnt(0)
	v_and_b32_e32 v3, 0xffff, v1
	v_bfe_i32 v2, v1, 0, 16
	s_nop 0
	v_mov_b32_dpp v1, v3 quad_perm:[1,0,3,2] row_mask:0xf bank_mask:0xf bound_ctrl:1
	v_lshlrev_b32_e32 v4, 16, v1
	v_bfe_i32 v5, v1, 15, 1
	v_ashrrev_i32_e32 v4, 15, v4
	v_ashrrev_i32_e32 v3, 31, v2
	v_lshl_add_u64 v[4:5], s[66:67], 0, v[4:5]
	v_lshl_add_u64 v[2:3], v[2:3], 1, v[4:5]
	global_load_ushort v1, v[2:3], off
	s_waitcnt vmcnt(0)
	v_and_b32_e32 v3, 0xffff, v1
	v_bfe_i32 v2, v1, 0, 16
	s_nop 0
	v_mov_b32_dpp v1, v3 quad_perm:[2,3,0,1] row_mask:0xf bank_mask:0xf bound_ctrl:1
	v_lshlrev_b32_e32 v4, 16, v1
	v_bfe_i32 v5, v1, 15, 1
	v_ashrrev_i32_e32 v4, 15, v4
	v_ashrrev_i32_e32 v3, 31, v2
	v_lshl_add_u64 v[4:5], s[66:67], 0, v[4:5]
	v_lshl_add_u64 v[2:3], v[2:3], 1, v[4:5]
	global_load_ushort v1, v[2:3], off
	s_waitcnt vmcnt(0)
	v_and_b32_e32 v3, 0xffff, v1
	v_bfe_i32 v2, v1, 0, 16
	s_nop 0
	v_mov_b32_dpp v1, v3 row_ror:4 row_mask:0xf bank_mask:0xf bound_ctrl:1
	v_lshlrev_b32_e32 v4, 16, v1
	v_bfe_i32 v5, v1, 15, 1
	v_ashrrev_i32_e32 v4, 15, v4
	v_ashrrev_i32_e32 v3, 31, v2
	v_lshl_add_u64 v[4:5], s[66:67], 0, v[4:5]
	v_lshl_add_u64 v[2:3], v[2:3], 1, v[4:5]
	global_load_ushort v1, v[2:3], off
	s_waitcnt vmcnt(0)
	v_and_b32_e32 v3, 0xffff, v1
	v_bfe_i32 v2, v1, 0, 16
	s_nop 0
	v_mov_b32_dpp v1, v3 row_ror:8 row_mask:0xf bank_mask:0xf bound_ctrl:1
	v_lshlrev_b32_e32 v4, 16, v1
	v_bfe_i32 v5, v1, 15, 1
	v_ashrrev_i32_e32 v4, 15, v4
	v_ashrrev_i32_e32 v3, 31, v2
	v_lshl_add_u64 v[4:5], s[66:67], 0, v[4:5]
	v_lshl_add_u64 v[2:3], v[2:3], 1, v[4:5]
	global_load_ushort v1, v[2:3], off
	s_waitcnt vmcnt(0)
	v_and_b32_e32 v3, 0xffff, v1
	v_bfe_i32 v2, v1, 0, 16
	s_nop 0
	v_mov_b32_dpp v1, v3 row_bcast:15 row_mask:0xf bank_mask:0xf bound_ctrl:1
	v_lshlrev_b32_e32 v4, 16, v1
	v_bfe_i32 v5, v1, 15, 1
	v_ashrrev_i32_e32 v4, 15, v4
	v_ashrrev_i32_e32 v3, 31, v2
	v_lshl_add_u64 v[4:5], s[66:67], 0, v[4:5]
	v_lshl_add_u64 v[2:3], v[2:3], 1, v[4:5]
	global_load_ushort v1, v[2:3], off
	s_waitcnt vmcnt(0)
	v_and_b32_e32 v3, 0xffff, v1
	v_bfe_i32 v2, v1, 0, 16
	s_nop 0
	v_mov_b32_dpp v1, v3 row_bcast:31 row_mask:0xf bank_mask:0xf bound_ctrl:1
	v_lshlrev_b32_e32 v4, 16, v1
	v_ashrrev_i32_e32 v4, 15, v4
	v_bfe_i32 v5, v1, 15, 1
	v_ashrrev_i32_e32 v3, 31, v2
	v_lshl_add_u64 v[4:5], s[66:67], 0, v[4:5]
	v_lshl_add_u64 v[2:3], v[2:3], 1, v[4:5]
	global_load_ushort v2, v[2:3], off
	v_mbcnt_lo_u32_b32 v1, -1, 0
	v_mbcnt_hi_u32_b32 v5, -1, v1
	v_lshlrev_b32_e32 v1, 2, v5
	v_or_b32_e32 v3, 0xfc, v1
	v_cmp_eq_u32_e32 vcc, 0, v5
	s_waitcnt vmcnt(0)
	ds_bpermute_b32 v2, v3, v2
	s_and_saveexec_b64 s[6:7], vcc
	s_cbranch_execz .LBB974_562
; %bb.561:
	v_lshrrev_b32_e32 v3, 5, v0
	v_and_b32_e32 v3, 2, v3
	s_waitcnt lgkmcnt(0)
	ds_write_b16 v3, v2 offset:20
.LBB974_562:
	s_or_b64 exec, exec, s[6:7]
	v_cmp_gt_u32_e32 vcc, 64, v0
	s_mov_b64 s[6:7], 0
	s_mov_b64 s[8:9], 0
	s_waitcnt lgkmcnt(0)
	s_barrier
                                        ; implicit-def: $vgpr3
                                        ; implicit-def: $vgpr4
	s_and_saveexec_b64 s[12:13], vcc
	s_xor_b64 s[12:13], exec, s[12:13]
	s_cbranch_execz .LBB974_564
; %bb.563:
	v_and_b32_e32 v3, 1, v5
	v_lshlrev_b32_e32 v3, 1, v3
	ds_read_u16 v3, v3 offset:20
	v_or_b32_e32 v1, 4, v1
	s_mov_b64 s[8:9], exec
	s_waitcnt lgkmcnt(0)
	v_and_b32_e32 v4, 0xffff, v3
	ds_bpermute_b32 v4, v1, v4
.LBB974_564:
	s_or_b64 exec, exec, s[12:13]
	s_branch .LBB974_601
.LBB974_565:
                                        ; implicit-def: $vgpr2
	s_cbranch_execnz .LBB974_699
	s_branch .LBB974_709
.LBB974_566:
                                        ; implicit-def: $vgpr2
	s_cbranch_execz .LBB974_698
; %bb.567:
	s_cmp_eq_u32 s82, 2
	s_cbranch_scc0 .LBB974_575
; %bb.568:
	s_mov_b32 s3, 0
	s_lshl_b32 s8, s2, 8
	s_mov_b32 s9, s3
	s_lshr_b64 s[4:5], s[70:71], 8
	s_lshl_b64 s[6:7], s[8:9], 1
	s_add_u32 s6, s68, s6
	s_addc_u32 s7, s69, s7
	s_cmp_lg_u64 s[4:5], s[2:3]
	s_cbranch_scc0 .LBB974_612
; %bb.569:
	v_lshlrev_b32_e32 v1, 1, v0
	global_load_ushort v2, v1, s[6:7]
	global_load_ushort v3, v1, s[6:7] offset:256
	s_waitcnt vmcnt(1)
	v_bfe_i32 v2, v2, 0, 16
	s_waitcnt vmcnt(0) lgkmcnt(0)
	v_bfe_i32 v4, v3, 0, 16
	v_ashrrev_i32_e32 v5, 31, v4
	v_ashrrev_i32_e32 v3, 31, v2
	v_lshl_add_u64 v[4:5], v[4:5], 1, s[66:67]
	v_lshl_add_u64 v[2:3], v[2:3], 1, v[4:5]
	global_load_ushort v1, v[2:3], off
	s_waitcnt vmcnt(0)
	v_and_b32_e32 v3, 0xffff, v1
	v_bfe_i32 v2, v1, 0, 16
	s_nop 0
	v_mov_b32_dpp v1, v3 quad_perm:[1,0,3,2] row_mask:0xf bank_mask:0xf bound_ctrl:1
	v_lshlrev_b32_e32 v4, 16, v1
	v_bfe_i32 v5, v1, 15, 1
	v_ashrrev_i32_e32 v4, 15, v4
	v_ashrrev_i32_e32 v3, 31, v2
	v_lshl_add_u64 v[4:5], s[66:67], 0, v[4:5]
	v_lshl_add_u64 v[2:3], v[2:3], 1, v[4:5]
	global_load_ushort v1, v[2:3], off
	s_waitcnt vmcnt(0)
	v_and_b32_e32 v3, 0xffff, v1
	v_bfe_i32 v2, v1, 0, 16
	s_nop 0
	v_mov_b32_dpp v1, v3 quad_perm:[2,3,0,1] row_mask:0xf bank_mask:0xf bound_ctrl:1
	v_lshlrev_b32_e32 v4, 16, v1
	v_bfe_i32 v5, v1, 15, 1
	v_ashrrev_i32_e32 v4, 15, v4
	v_ashrrev_i32_e32 v3, 31, v2
	v_lshl_add_u64 v[4:5], s[66:67], 0, v[4:5]
	v_lshl_add_u64 v[2:3], v[2:3], 1, v[4:5]
	global_load_ushort v1, v[2:3], off
	s_waitcnt vmcnt(0)
	v_and_b32_e32 v3, 0xffff, v1
	v_bfe_i32 v2, v1, 0, 16
	s_nop 0
	v_mov_b32_dpp v1, v3 row_ror:4 row_mask:0xf bank_mask:0xf bound_ctrl:1
	v_lshlrev_b32_e32 v4, 16, v1
	v_bfe_i32 v5, v1, 15, 1
	v_ashrrev_i32_e32 v4, 15, v4
	v_ashrrev_i32_e32 v3, 31, v2
	v_lshl_add_u64 v[4:5], s[66:67], 0, v[4:5]
	v_lshl_add_u64 v[2:3], v[2:3], 1, v[4:5]
	global_load_ushort v1, v[2:3], off
	s_waitcnt vmcnt(0)
	v_and_b32_e32 v3, 0xffff, v1
	v_bfe_i32 v2, v1, 0, 16
	s_nop 0
	v_mov_b32_dpp v1, v3 row_ror:8 row_mask:0xf bank_mask:0xf bound_ctrl:1
	v_lshlrev_b32_e32 v4, 16, v1
	v_bfe_i32 v5, v1, 15, 1
	v_ashrrev_i32_e32 v4, 15, v4
	v_ashrrev_i32_e32 v3, 31, v2
	v_lshl_add_u64 v[4:5], s[66:67], 0, v[4:5]
	v_lshl_add_u64 v[2:3], v[2:3], 1, v[4:5]
	global_load_ushort v1, v[2:3], off
	s_waitcnt vmcnt(0)
	v_and_b32_e32 v3, 0xffff, v1
	v_bfe_i32 v2, v1, 0, 16
	s_nop 0
	v_mov_b32_dpp v1, v3 row_bcast:15 row_mask:0xf bank_mask:0xf bound_ctrl:1
	v_lshlrev_b32_e32 v4, 16, v1
	v_bfe_i32 v5, v1, 15, 1
	v_ashrrev_i32_e32 v4, 15, v4
	v_ashrrev_i32_e32 v3, 31, v2
	v_lshl_add_u64 v[4:5], s[66:67], 0, v[4:5]
	v_lshl_add_u64 v[2:3], v[2:3], 1, v[4:5]
	global_load_ushort v1, v[2:3], off
	s_waitcnt vmcnt(0)
	v_and_b32_e32 v3, 0xffff, v1
	v_bfe_i32 v2, v1, 0, 16
	s_nop 0
	v_mov_b32_dpp v1, v3 row_bcast:31 row_mask:0xf bank_mask:0xf bound_ctrl:1
	v_lshlrev_b32_e32 v4, 16, v1
	v_ashrrev_i32_e32 v4, 15, v4
	v_bfe_i32 v5, v1, 15, 1
	v_ashrrev_i32_e32 v3, 31, v2
	v_lshl_add_u64 v[4:5], s[66:67], 0, v[4:5]
	v_lshl_add_u64 v[2:3], v[2:3], 1, v[4:5]
	global_load_ushort v2, v[2:3], off
	v_mbcnt_lo_u32_b32 v1, -1, 0
	v_mbcnt_hi_u32_b32 v5, -1, v1
	v_lshlrev_b32_e32 v1, 2, v5
	v_or_b32_e32 v3, 0xfc, v1
	v_cmp_eq_u32_e32 vcc, 0, v5
	s_waitcnt vmcnt(0)
	ds_bpermute_b32 v2, v3, v2
	s_and_saveexec_b64 s[4:5], vcc
	s_cbranch_execz .LBB974_571
; %bb.570:
	v_lshrrev_b32_e32 v3, 5, v0
	v_and_b32_e32 v3, 2, v3
	s_waitcnt lgkmcnt(0)
	ds_write_b16 v3, v2 offset:12
.LBB974_571:
	s_or_b64 exec, exec, s[4:5]
	v_cmp_gt_u32_e32 vcc, 64, v0
	s_mov_b64 s[10:11], 0
	s_mov_b64 s[4:5], 0
	s_waitcnt lgkmcnt(0)
	s_barrier
                                        ; implicit-def: $vgpr3
                                        ; implicit-def: $vgpr4
	s_and_saveexec_b64 s[12:13], vcc
	s_xor_b64 s[12:13], exec, s[12:13]
	s_cbranch_execz .LBB974_573
; %bb.572:
	v_and_b32_e32 v3, 1, v5
	v_lshlrev_b32_e32 v3, 1, v3
	ds_read_u16 v3, v3 offset:12
	v_or_b32_e32 v1, 4, v1
	s_mov_b64 s[4:5], exec
	s_waitcnt lgkmcnt(0)
	v_and_b32_e32 v4, 0xffff, v3
	ds_bpermute_b32 v4, v1, v4
.LBB974_573:
	s_or_b64 exec, exec, s[12:13]
	s_branch .LBB974_613
.LBB974_574:
                                        ; implicit-def: $vgpr2
	s_branch .LBB974_698
.LBB974_575:
                                        ; implicit-def: $vgpr2
	s_branch .LBB974_709
.LBB974_576:
	s_mov_b64 s[6:7], -1
	s_mov_b64 s[16:17], 0
                                        ; implicit-def: $vgpr3
                                        ; implicit-def: $vgpr4
                                        ; implicit-def: $vgpr2
.LBB974_577:
	s_and_b64 vcc, exec, s[6:7]
	s_cbranch_vccz .LBB974_667
; %bb.578:
	s_sub_i32 s22, s70, s4
	s_waitcnt vmcnt(0)
	v_mov_b32_e32 v2, 0
	v_cmp_gt_u32_e32 vcc, s22, v0
	v_mov_b32_e32 v3, v2
	s_waitcnt lgkmcnt(0)
	v_mov_b32_e32 v4, v2
	v_mov_b32_e32 v5, v2
	s_and_saveexec_b64 s[4:5], vcc
	s_cbranch_execz .LBB974_580
; %bb.579:
	v_lshlrev_b32_e32 v1, 1, v0
	global_load_ushort v1, v1, s[18:19]
	v_mov_b32_e32 v5, v2
	v_mov_b32_e32 v6, v2
	;; [unrolled: 1-line block ×3, first 2 shown]
	s_waitcnt vmcnt(0)
	v_and_b32_e32 v4, 0xffff, v1
	v_mov_b64_e32 v[2:3], v[4:5]
	v_mov_b64_e32 v[4:5], v[6:7]
.LBB974_580:
	s_or_b64 exec, exec, s[4:5]
	v_or_b32_e32 v1, 0x80, v0
	v_cmp_gt_u32_e64 s[14:15], s22, v1
	s_and_saveexec_b64 s[4:5], s[14:15]
	s_cbranch_execz .LBB974_582
; %bb.581:
	v_lshlrev_b32_e32 v1, 1, v0
	global_load_ushort v1, v1, s[18:19] offset:256
	s_mov_b32 s6, 0x5040100
	s_waitcnt vmcnt(0)
	v_perm_b32 v2, v1, v2, s6
.LBB974_582:
	s_or_b64 exec, exec, s[4:5]
	v_or_b32_e32 v1, 0x100, v0
	v_cmp_gt_u32_e64 s[10:11], s22, v1
	s_and_saveexec_b64 s[4:5], s[10:11]
	s_cbranch_execz .LBB974_584
; %bb.583:
	v_lshlrev_b32_e32 v1, 1, v0
	global_load_ushort v1, v1, s[18:19] offset:512
	s_mov_b32 s6, 0xffff
	s_waitcnt vmcnt(0)
	v_bfi_b32 v3, s6, v1, v3
.LBB974_584:
	s_or_b64 exec, exec, s[4:5]
	v_or_b32_e32 v1, 0x180, v0
	v_cmp_gt_u32_e64 s[12:13], s22, v1
	s_and_saveexec_b64 s[4:5], s[12:13]
	s_cbranch_execz .LBB974_586
; %bb.585:
	v_lshlrev_b32_e32 v1, 1, v0
	global_load_ushort v1, v1, s[18:19] offset:768
	s_mov_b32 s6, 0x5040100
	s_waitcnt vmcnt(0)
	v_perm_b32 v3, v1, v3, s6
.LBB974_586:
	s_or_b64 exec, exec, s[4:5]
	v_or_b32_e32 v1, 0x200, v0
	v_cmp_gt_u32_e64 s[6:7], s22, v1
	s_and_saveexec_b64 s[4:5], s[6:7]
	s_cbranch_execz .LBB974_588
; %bb.587:
	v_lshlrev_b32_e32 v1, 1, v0
	global_load_ushort v1, v1, s[18:19] offset:1024
	s_mov_b32 s8, 0xffff
	s_waitcnt vmcnt(0)
	v_bfi_b32 v4, s8, v1, v4
.LBB974_588:
	s_or_b64 exec, exec, s[4:5]
	v_or_b32_e32 v1, 0x280, v0
	v_cmp_gt_u32_e64 s[8:9], s22, v1
	s_and_saveexec_b64 s[4:5], s[8:9]
	s_cbranch_execz .LBB974_590
; %bb.589:
	v_lshlrev_b32_e32 v1, 1, v0
	global_load_ushort v1, v1, s[18:19] offset:1280
	s_mov_b32 s20, 0x5040100
	s_waitcnt vmcnt(0)
	v_perm_b32 v4, v1, v4, s20
.LBB974_590:
	s_or_b64 exec, exec, s[4:5]
	v_or_b32_e32 v1, 0x300, v0
	v_cmp_gt_u32_e32 vcc, s22, v1
	s_and_saveexec_b64 s[4:5], vcc
	s_cbranch_execz .LBB974_592
; %bb.591:
	v_lshlrev_b32_e32 v1, 1, v0
	global_load_ushort v1, v1, s[18:19] offset:1536
	s_mov_b32 s20, 0xffff
	s_waitcnt vmcnt(0)
	v_bfi_b32 v5, s20, v1, v5
.LBB974_592:
	s_or_b64 exec, exec, s[4:5]
	v_or_b32_e32 v1, 0x380, v0
	v_cmp_gt_u32_e64 s[4:5], s22, v1
	s_and_saveexec_b64 s[20:21], s[4:5]
	s_cbranch_execz .LBB974_642
; %bb.593:
	v_lshlrev_b32_e32 v1, 1, v0
	global_load_ushort v1, v1, s[18:19] offset:1792
	s_mov_b32 s18, 0x5040100
	s_waitcnt vmcnt(0)
	v_perm_b32 v5, v1, v5, s18
	s_or_b64 exec, exec, s[20:21]
	s_and_saveexec_b64 s[18:19], s[14:15]
	s_cbranch_execnz .LBB974_643
.LBB974_594:
	s_or_b64 exec, exec, s[18:19]
	s_and_saveexec_b64 s[14:15], s[10:11]
	s_cbranch_execz .LBB974_644
.LBB974_595:
	s_waitcnt vmcnt(0)
	v_bfe_i32 v6, v2, 0, 16
	v_ashrrev_i32_e32 v7, 31, v6
	v_bfe_i32 v8, v3, 0, 16
	v_lshl_add_u64 v[6:7], v[6:7], 1, s[66:67]
	v_ashrrev_i32_e32 v9, 31, v8
	v_lshl_add_u64 v[6:7], v[8:9], 1, v[6:7]
	global_load_ushort v2, v[6:7], off
	s_or_b64 exec, exec, s[14:15]
	s_and_saveexec_b64 s[10:11], s[12:13]
	s_cbranch_execnz .LBB974_645
.LBB974_596:
	s_or_b64 exec, exec, s[10:11]
	s_and_saveexec_b64 s[10:11], s[6:7]
	s_cbranch_execz .LBB974_646
.LBB974_597:
	s_waitcnt vmcnt(0)
	v_bfe_i32 v2, v2, 0, 16
	v_ashrrev_i32_e32 v3, 31, v2
	v_bfe_i32 v6, v4, 0, 16
	v_lshl_add_u64 v[2:3], v[2:3], 1, s[66:67]
	v_ashrrev_i32_e32 v7, 31, v6
	v_lshl_add_u64 v[2:3], v[6:7], 1, v[2:3]
	global_load_ushort v2, v[2:3], off
	s_or_b64 exec, exec, s[10:11]
	s_and_saveexec_b64 s[6:7], s[8:9]
	s_cbranch_execnz .LBB974_647
.LBB974_598:
	s_or_b64 exec, exec, s[6:7]
	s_and_saveexec_b64 s[6:7], vcc
	s_cbranch_execz .LBB974_648
.LBB974_599:
	s_waitcnt vmcnt(0)
	v_bfe_i32 v2, v2, 0, 16
	v_ashrrev_i32_e32 v3, 31, v2
	v_bfe_i32 v6, v5, 0, 16
	v_lshl_add_u64 v[2:3], v[2:3], 1, s[66:67]
	v_ashrrev_i32_e32 v7, 31, v6
	v_lshl_add_u64 v[2:3], v[6:7], 1, v[2:3]
	global_load_ushort v2, v[2:3], off
	s_or_b64 exec, exec, s[6:7]
	s_and_saveexec_b64 s[6:7], s[4:5]
	s_cbranch_execnz .LBB974_649
	s_branch .LBB974_650
.LBB974_600:
	s_mov_b64 s[6:7], -1
	s_mov_b64 s[8:9], 0
                                        ; implicit-def: $vgpr3
                                        ; implicit-def: $vgpr4
                                        ; implicit-def: $vgpr2
.LBB974_601:
	s_and_b64 vcc, exec, s[6:7]
	s_cbranch_vccz .LBB974_693
; %bb.602:
	s_sub_i32 s14, s70, s4
	s_waitcnt vmcnt(0)
	v_mov_b32_e32 v2, 0
	v_cmp_gt_u32_e32 vcc, s14, v0
	v_mov_b32_e32 v3, v2
	s_and_saveexec_b64 s[4:5], vcc
	s_cbranch_execz .LBB974_604
; %bb.603:
	v_lshlrev_b32_e32 v1, 1, v0
	global_load_ushort v1, v1, s[10:11]
	v_mov_b32_e32 v5, v2
	s_waitcnt vmcnt(0) lgkmcnt(0)
	v_and_b32_e32 v4, 0xffff, v1
	v_mov_b64_e32 v[2:3], v[4:5]
.LBB974_604:
	s_or_b64 exec, exec, s[4:5]
	v_or_b32_e32 v1, 0x80, v0
	v_cmp_gt_u32_e64 s[6:7], s14, v1
	s_and_saveexec_b64 s[4:5], s[6:7]
	s_cbranch_execz .LBB974_606
; %bb.605:
	v_lshlrev_b32_e32 v1, 1, v0
	global_load_ushort v1, v1, s[10:11] offset:256
	s_mov_b32 s12, 0x5040100
	s_waitcnt vmcnt(0)
	v_perm_b32 v2, v1, v2, s12
.LBB974_606:
	s_or_b64 exec, exec, s[4:5]
	v_or_b32_e32 v1, 0x100, v0
	v_cmp_gt_u32_e64 s[4:5], s14, v1
	s_and_saveexec_b64 s[12:13], s[4:5]
	s_cbranch_execz .LBB974_608
; %bb.607:
	v_lshlrev_b32_e32 v1, 1, v0
	global_load_ushort v1, v1, s[10:11] offset:512
	s_mov_b32 s15, 0xffff
	s_waitcnt vmcnt(0)
	v_bfi_b32 v3, s15, v1, v3
.LBB974_608:
	s_or_b64 exec, exec, s[12:13]
	v_or_b32_e32 v1, 0x180, v0
	v_cmp_gt_u32_e32 vcc, s14, v1
	s_and_saveexec_b64 s[12:13], vcc
	s_cbranch_execz .LBB974_672
; %bb.609:
	v_lshlrev_b32_e32 v1, 1, v0
	global_load_ushort v1, v1, s[10:11] offset:768
	s_mov_b32 s10, 0x5040100
	s_waitcnt vmcnt(0)
	v_perm_b32 v3, v1, v3, s10
	s_or_b64 exec, exec, s[12:13]
	s_and_saveexec_b64 s[10:11], s[6:7]
	s_cbranch_execnz .LBB974_673
.LBB974_610:
	s_or_b64 exec, exec, s[10:11]
	s_and_saveexec_b64 s[6:7], s[4:5]
	s_cbranch_execz .LBB974_674
.LBB974_611:
	s_waitcnt vmcnt(0) lgkmcnt(0)
	v_bfe_i32 v4, v2, 0, 16
	v_ashrrev_i32_e32 v5, 31, v4
	v_bfe_i32 v6, v3, 0, 16
	v_lshl_add_u64 v[4:5], v[4:5], 1, s[66:67]
	v_ashrrev_i32_e32 v7, 31, v6
	v_lshl_add_u64 v[4:5], v[6:7], 1, v[4:5]
	global_load_ushort v2, v[4:5], off
	s_or_b64 exec, exec, s[6:7]
	s_and_saveexec_b64 s[4:5], vcc
	s_cbranch_execnz .LBB974_675
	s_branch .LBB974_676
.LBB974_612:
	s_mov_b64 s[10:11], -1
	s_mov_b64 s[4:5], 0
                                        ; implicit-def: $vgpr3
                                        ; implicit-def: $vgpr4
                                        ; implicit-def: $vgpr2
.LBB974_613:
	s_and_b64 vcc, exec, s[10:11]
	s_cbranch_vccz .LBB974_637
; %bb.614:
	s_sub_i32 s10, s70, s8
	v_cmp_gt_u32_e32 vcc, s10, v0
	s_waitcnt vmcnt(0)
	v_mov_b32_e32 v2, 0
	s_and_saveexec_b64 s[8:9], vcc
	s_cbranch_execz .LBB974_616
; %bb.615:
	v_lshlrev_b32_e32 v1, 1, v0
	global_load_ushort v1, v1, s[6:7]
	s_waitcnt vmcnt(0)
	v_and_b32_e32 v2, 0xffff, v1
.LBB974_616:
	s_or_b64 exec, exec, s[8:9]
	v_or_b32_e32 v1, 0x80, v0
	v_cmp_gt_u32_e32 vcc, s10, v1
	s_and_saveexec_b64 s[8:9], vcc
	s_cbranch_execz .LBB974_618
; %bb.617:
	v_lshlrev_b32_e32 v1, 1, v0
	global_load_ushort v1, v1, s[6:7] offset:256
	s_mov_b32 s6, 0x5040100
	s_waitcnt vmcnt(0)
	v_perm_b32 v2, v1, v2, s6
.LBB974_618:
	s_or_b64 exec, exec, s[8:9]
	s_and_saveexec_b64 s[6:7], vcc
	s_cbranch_execz .LBB974_620
; %bb.619:
	v_lshrrev_b32_e32 v1, 16, v2
	s_waitcnt lgkmcnt(0)
	v_bfe_i32 v4, v1, 0, 16
	v_ashrrev_i32_e32 v5, 31, v4
	v_bfe_i32 v2, v2, 0, 16
	v_lshl_add_u64 v[4:5], v[4:5], 1, s[66:67]
	v_ashrrev_i32_e32 v3, 31, v2
	v_lshl_add_u64 v[2:3], v[2:3], 1, v[4:5]
	global_load_ushort v2, v[2:3], off
.LBB974_620:
	s_or_b64 exec, exec, s[6:7]
	v_mbcnt_lo_u32_b32 v1, -1, 0
	v_mbcnt_hi_u32_b32 v1, -1, v1
	v_and_b32_e32 v3, 63, v1
	v_cmp_ne_u32_e32 vcc, 63, v3
	s_waitcnt vmcnt(0)
	v_and_b32_e32 v6, 0xffff, v2
	s_min_u32 s8, s10, 0x80
	s_waitcnt lgkmcnt(0)
	v_addc_co_u32_e32 v4, vcc, 0, v1, vcc
	v_lshlrev_b32_e32 v4, 2, v4
	ds_bpermute_b32 v4, v4, v6
	v_and_b32_e32 v5, 64, v0
	v_sub_u32_e64 v5, s8, v5 clamp
	v_add_u32_e32 v7, 1, v3
	v_cmp_lt_u32_e32 vcc, v7, v5
	s_and_saveexec_b64 s[6:7], vcc
	s_xor_b64 s[6:7], exec, s[6:7]
	s_cbranch_execz .LBB974_622
; %bb.621:
	v_bfe_i32 v6, v2, 0, 16
	v_ashrrev_i32_e32 v7, 31, v6
	s_waitcnt lgkmcnt(0)
	v_lshlrev_b32_e32 v2, 16, v4
	v_lshl_add_u64 v[6:7], v[6:7], 1, s[66:67]
	v_ashrrev_i32_e32 v8, 15, v2
	v_bfe_i32 v9, v4, 15, 1
	v_lshl_add_u64 v[6:7], v[6:7], 0, v[8:9]
	global_load_ushort v2, v[6:7], off
	s_waitcnt vmcnt(0)
	v_and_b32_e32 v6, 0xffff, v2
.LBB974_622:
	s_or_b64 exec, exec, s[6:7]
	v_cmp_gt_u32_e32 vcc, 62, v3
	v_add_u32_e32 v7, 2, v3
	s_waitcnt lgkmcnt(0)
	v_cndmask_b32_e64 v4, 0, 2, vcc
	v_add_lshl_u32 v4, v4, v1, 2
	ds_bpermute_b32 v4, v4, v6
	v_cmp_lt_u32_e32 vcc, v7, v5
	s_and_saveexec_b64 s[6:7], vcc
	s_cbranch_execz .LBB974_624
; %bb.623:
	v_bfe_i32 v6, v2, 0, 16
	v_ashrrev_i32_e32 v7, 31, v6
	s_waitcnt lgkmcnt(0)
	v_lshlrev_b32_e32 v2, 16, v4
	v_lshl_add_u64 v[6:7], v[6:7], 1, s[66:67]
	v_ashrrev_i32_e32 v8, 15, v2
	v_bfe_i32 v9, v4, 15, 1
	v_lshl_add_u64 v[6:7], v[6:7], 0, v[8:9]
	global_load_ushort v2, v[6:7], off
	s_waitcnt vmcnt(0)
	v_and_b32_e32 v6, 0xffff, v2
.LBB974_624:
	s_or_b64 exec, exec, s[6:7]
	v_cmp_gt_u32_e32 vcc, 60, v3
	v_add_u32_e32 v7, 4, v3
	s_waitcnt lgkmcnt(0)
	v_cndmask_b32_e64 v4, 0, 4, vcc
	v_add_lshl_u32 v4, v4, v1, 2
	ds_bpermute_b32 v4, v4, v6
	v_cmp_lt_u32_e32 vcc, v7, v5
	s_and_saveexec_b64 s[6:7], vcc
	;; [unrolled: 23-line block ×4, first 2 shown]
	s_cbranch_execz .LBB974_630
; %bb.629:
	v_bfe_i32 v6, v2, 0, 16
	v_ashrrev_i32_e32 v7, 31, v6
	s_waitcnt lgkmcnt(0)
	v_lshlrev_b32_e32 v2, 16, v4
	v_lshl_add_u64 v[6:7], v[6:7], 1, s[66:67]
	v_ashrrev_i32_e32 v8, 15, v2
	v_bfe_i32 v9, v4, 15, 1
	v_lshl_add_u64 v[6:7], v[6:7], 0, v[8:9]
	global_load_ushort v2, v[6:7], off
	s_waitcnt vmcnt(0)
	v_and_b32_e32 v6, 0xffff, v2
.LBB974_630:
	s_or_b64 exec, exec, s[6:7]
	v_lshlrev_b32_e32 v7, 2, v1
	s_waitcnt lgkmcnt(0)
	v_or_b32_e32 v4, 0x80, v7
	ds_bpermute_b32 v4, v4, v6
	v_add_u32_e32 v3, 32, v3
	v_cmp_lt_u32_e32 vcc, v3, v5
	s_and_saveexec_b64 s[6:7], vcc
	s_cbranch_execz .LBB974_632
; %bb.631:
	v_bfe_i32 v2, v2, 0, 16
	v_ashrrev_i32_e32 v3, 31, v2
	s_waitcnt lgkmcnt(0)
	v_lshlrev_b32_e32 v5, 16, v4
	v_lshl_add_u64 v[2:3], v[2:3], 1, s[66:67]
	v_ashrrev_i32_e32 v8, 15, v5
	v_bfe_i32 v9, v4, 15, 1
	v_lshl_add_u64 v[2:3], v[2:3], 0, v[8:9]
	global_load_ushort v2, v[2:3], off
.LBB974_632:
	s_or_b64 exec, exec, s[6:7]
	v_cmp_eq_u32_e32 vcc, 0, v1
	s_and_saveexec_b64 s[6:7], vcc
	s_cbranch_execz .LBB974_634
; %bb.633:
	v_lshrrev_b32_e32 v3, 5, v0
	v_and_b32_e32 v3, 2, v3
	s_waitcnt vmcnt(0)
	ds_write_b16 v3, v2
.LBB974_634:
	s_or_b64 exec, exec, s[6:7]
	v_cmp_gt_u32_e32 vcc, 2, v0
	s_waitcnt lgkmcnt(0)
	s_barrier
                                        ; implicit-def: $vgpr3
                                        ; implicit-def: $vgpr4
	s_and_saveexec_b64 s[6:7], vcc
	s_cbranch_execz .LBB974_636
; %bb.635:
	s_waitcnt vmcnt(0)
	v_lshlrev_b32_e32 v2, 1, v1
	ds_read_u16 v3, v2
	s_add_i32 s8, s8, 63
	v_and_b32_e32 v1, 1, v1
	s_lshr_b32 s8, s8, 6
	v_add_u32_e32 v1, 1, v1
	v_or_b32_e32 v2, 4, v7
	v_cmp_gt_u32_e32 vcc, s8, v1
	s_waitcnt lgkmcnt(0)
	v_and_b32_e32 v1, 0xffff, v3
	ds_bpermute_b32 v4, v2, v1
	s_andn2_b64 s[4:5], s[4:5], exec
	s_and_b64 s[8:9], vcc, exec
	s_or_b64 s[4:5], s[4:5], s[8:9]
	v_mov_b32_e32 v2, v3
.LBB974_636:
	s_or_b64 exec, exec, s[6:7]
.LBB974_637:
	s_and_saveexec_b64 s[6:7], s[4:5]
	s_cbranch_execz .LBB974_639
; %bb.638:
	s_waitcnt vmcnt(0)
	v_bfe_i32 v2, v3, 0, 16
	v_ashrrev_i32_e32 v3, 31, v2
	s_waitcnt lgkmcnt(0)
	v_lshlrev_b32_e32 v1, 16, v4
	v_lshl_add_u64 v[2:3], v[2:3], 1, s[66:67]
	v_ashrrev_i32_e32 v6, 15, v1
	v_bfe_i32 v7, v4, 15, 1
	v_lshl_add_u64 v[2:3], v[2:3], 0, v[6:7]
	global_load_ushort v2, v[2:3], off
.LBB974_639:
	s_or_b64 exec, exec, s[6:7]
	v_cmp_eq_u32_e32 vcc, 0, v0
	s_and_saveexec_b64 s[4:5], vcc
	s_xor_b64 s[4:5], exec, s[4:5]
	s_cbranch_execz .LBB974_641
; %bb.640:
	s_cmp_eq_u64 s[70:71], 0
	s_cselect_b64 s[6:7], -1, 0
	s_cmp_lg_u64 s[70:71], 0
	s_cselect_b64 s[8:9], -1, 0
	s_andn2_b64 s[10:11], s[72:73], exec
	s_and_b64 s[6:7], s[6:7], exec
	s_or_b64 s[72:73], s[10:11], s[6:7]
	s_andn2_b64 s[6:7], s[74:75], exec
	s_and_b64 s[8:9], s[8:9], exec
	s_or_b64 s[74:75], s[6:7], s[8:9]
.LBB974_641:
	s_or_b64 exec, exec, s[4:5]
	s_branch .LBB974_709
.LBB974_642:
	s_or_b64 exec, exec, s[20:21]
	s_and_saveexec_b64 s[18:19], s[14:15]
	s_cbranch_execz .LBB974_594
.LBB974_643:
	v_bfe_i32 v6, v2, 0, 16
	v_lshrrev_b32_e32 v1, 16, v2
	v_ashrrev_i32_e32 v7, 31, v6
	v_bfe_i32 v8, v1, 0, 16
	v_lshl_add_u64 v[6:7], v[6:7], 1, s[66:67]
	v_ashrrev_i32_e32 v9, 31, v8
	v_lshl_add_u64 v[6:7], v[8:9], 1, v[6:7]
	global_load_ushort v2, v[6:7], off
	s_or_b64 exec, exec, s[18:19]
	s_and_saveexec_b64 s[14:15], s[10:11]
	s_cbranch_execnz .LBB974_595
.LBB974_644:
	s_or_b64 exec, exec, s[14:15]
	s_and_saveexec_b64 s[10:11], s[12:13]
	s_cbranch_execz .LBB974_596
.LBB974_645:
	s_waitcnt vmcnt(0)
	v_bfe_i32 v6, v2, 0, 16
	v_lshrrev_b32_e32 v1, 16, v3
	v_ashrrev_i32_e32 v7, 31, v6
	v_bfe_i32 v2, v1, 0, 16
	v_lshl_add_u64 v[6:7], v[6:7], 1, s[66:67]
	v_ashrrev_i32_e32 v3, 31, v2
	v_lshl_add_u64 v[2:3], v[2:3], 1, v[6:7]
	global_load_ushort v2, v[2:3], off
	s_or_b64 exec, exec, s[10:11]
	s_and_saveexec_b64 s[10:11], s[6:7]
	s_cbranch_execnz .LBB974_597
.LBB974_646:
	s_or_b64 exec, exec, s[10:11]
	s_and_saveexec_b64 s[6:7], s[8:9]
	s_cbranch_execz .LBB974_598
.LBB974_647:
	s_waitcnt vmcnt(0)
	v_bfe_i32 v2, v2, 0, 16
	v_lshrrev_b32_e32 v1, 16, v4
	v_ashrrev_i32_e32 v3, 31, v2
	v_bfe_i32 v6, v1, 0, 16
	v_lshl_add_u64 v[2:3], v[2:3], 1, s[66:67]
	v_ashrrev_i32_e32 v7, 31, v6
	v_lshl_add_u64 v[2:3], v[6:7], 1, v[2:3]
	global_load_ushort v2, v[2:3], off
	s_or_b64 exec, exec, s[6:7]
	s_and_saveexec_b64 s[6:7], vcc
	s_cbranch_execnz .LBB974_599
.LBB974_648:
	s_or_b64 exec, exec, s[6:7]
	s_and_saveexec_b64 s[6:7], s[4:5]
	s_cbranch_execz .LBB974_650
.LBB974_649:
	s_waitcnt vmcnt(0)
	v_bfe_i32 v2, v2, 0, 16
	v_lshrrev_b32_e32 v1, 16, v5
	v_ashrrev_i32_e32 v3, 31, v2
	v_bfe_i32 v4, v1, 0, 16
	v_lshl_add_u64 v[2:3], v[2:3], 1, s[66:67]
	v_ashrrev_i32_e32 v5, 31, v4
	v_lshl_add_u64 v[2:3], v[4:5], 1, v[2:3]
	global_load_ushort v2, v[2:3], off
.LBB974_650:
	s_or_b64 exec, exec, s[6:7]
	v_mbcnt_lo_u32_b32 v1, -1, 0
	v_mbcnt_hi_u32_b32 v1, -1, v1
	v_and_b32_e32 v3, 63, v1
	v_cmp_ne_u32_e32 vcc, 63, v3
	s_waitcnt vmcnt(0)
	v_and_b32_e32 v6, 0xffff, v2
	s_min_u32 s6, s22, 0x80
	v_addc_co_u32_e32 v4, vcc, 0, v1, vcc
	v_lshlrev_b32_e32 v4, 2, v4
	ds_bpermute_b32 v4, v4, v6
	v_and_b32_e32 v5, 64, v0
	v_sub_u32_e64 v5, s6, v5 clamp
	v_add_u32_e32 v7, 1, v3
	v_cmp_lt_u32_e32 vcc, v7, v5
	s_and_saveexec_b64 s[4:5], vcc
	s_xor_b64 s[4:5], exec, s[4:5]
	s_cbranch_execz .LBB974_652
; %bb.651:
	v_bfe_i32 v6, v2, 0, 16
	v_ashrrev_i32_e32 v7, 31, v6
	s_waitcnt lgkmcnt(0)
	v_lshlrev_b32_e32 v2, 16, v4
	v_lshl_add_u64 v[6:7], v[6:7], 1, s[66:67]
	v_ashrrev_i32_e32 v8, 15, v2
	v_bfe_i32 v9, v4, 15, 1
	v_lshl_add_u64 v[6:7], v[6:7], 0, v[8:9]
	global_load_ushort v2, v[6:7], off
	s_waitcnt vmcnt(0)
	v_and_b32_e32 v6, 0xffff, v2
.LBB974_652:
	s_or_b64 exec, exec, s[4:5]
	v_cmp_gt_u32_e32 vcc, 62, v3
	v_add_u32_e32 v7, 2, v3
	s_waitcnt lgkmcnt(0)
	v_cndmask_b32_e64 v4, 0, 2, vcc
	v_add_lshl_u32 v4, v4, v1, 2
	ds_bpermute_b32 v4, v4, v6
	v_cmp_lt_u32_e32 vcc, v7, v5
	s_and_saveexec_b64 s[4:5], vcc
	s_cbranch_execz .LBB974_654
; %bb.653:
	v_bfe_i32 v6, v2, 0, 16
	v_ashrrev_i32_e32 v7, 31, v6
	s_waitcnt lgkmcnt(0)
	v_lshlrev_b32_e32 v2, 16, v4
	v_lshl_add_u64 v[6:7], v[6:7], 1, s[66:67]
	v_ashrrev_i32_e32 v8, 15, v2
	v_bfe_i32 v9, v4, 15, 1
	v_lshl_add_u64 v[6:7], v[6:7], 0, v[8:9]
	global_load_ushort v2, v[6:7], off
	s_waitcnt vmcnt(0)
	v_and_b32_e32 v6, 0xffff, v2
.LBB974_654:
	s_or_b64 exec, exec, s[4:5]
	v_cmp_gt_u32_e32 vcc, 60, v3
	v_add_u32_e32 v7, 4, v3
	s_waitcnt lgkmcnt(0)
	v_cndmask_b32_e64 v4, 0, 4, vcc
	v_add_lshl_u32 v4, v4, v1, 2
	ds_bpermute_b32 v4, v4, v6
	v_cmp_lt_u32_e32 vcc, v7, v5
	s_and_saveexec_b64 s[4:5], vcc
	;; [unrolled: 23-line block ×4, first 2 shown]
	s_cbranch_execz .LBB974_660
; %bb.659:
	v_bfe_i32 v6, v2, 0, 16
	v_ashrrev_i32_e32 v7, 31, v6
	s_waitcnt lgkmcnt(0)
	v_lshlrev_b32_e32 v2, 16, v4
	v_lshl_add_u64 v[6:7], v[6:7], 1, s[66:67]
	v_ashrrev_i32_e32 v8, 15, v2
	v_bfe_i32 v9, v4, 15, 1
	v_lshl_add_u64 v[6:7], v[6:7], 0, v[8:9]
	global_load_ushort v2, v[6:7], off
	s_waitcnt vmcnt(0)
	v_and_b32_e32 v6, 0xffff, v2
.LBB974_660:
	s_or_b64 exec, exec, s[4:5]
	v_lshlrev_b32_e32 v7, 2, v1
	s_waitcnt lgkmcnt(0)
	v_or_b32_e32 v4, 0x80, v7
	ds_bpermute_b32 v4, v4, v6
	v_add_u32_e32 v3, 32, v3
	v_cmp_lt_u32_e32 vcc, v3, v5
	s_and_saveexec_b64 s[4:5], vcc
	s_cbranch_execz .LBB974_662
; %bb.661:
	v_bfe_i32 v2, v2, 0, 16
	v_ashrrev_i32_e32 v3, 31, v2
	s_waitcnt lgkmcnt(0)
	v_lshlrev_b32_e32 v5, 16, v4
	v_lshl_add_u64 v[2:3], v[2:3], 1, s[66:67]
	v_ashrrev_i32_e32 v8, 15, v5
	v_bfe_i32 v9, v4, 15, 1
	v_lshl_add_u64 v[2:3], v[2:3], 0, v[8:9]
	global_load_ushort v2, v[2:3], off
.LBB974_662:
	s_or_b64 exec, exec, s[4:5]
	v_cmp_eq_u32_e32 vcc, 0, v1
	s_and_saveexec_b64 s[4:5], vcc
	s_cbranch_execz .LBB974_664
; %bb.663:
	v_lshrrev_b32_e32 v3, 5, v0
	v_and_b32_e32 v3, 2, v3
	s_waitcnt vmcnt(0)
	ds_write_b16 v3, v2
.LBB974_664:
	s_or_b64 exec, exec, s[4:5]
	v_cmp_gt_u32_e32 vcc, 2, v0
	s_waitcnt lgkmcnt(0)
	s_barrier
                                        ; implicit-def: $vgpr3
                                        ; implicit-def: $vgpr4
	s_and_saveexec_b64 s[4:5], vcc
	s_cbranch_execz .LBB974_666
; %bb.665:
	s_waitcnt vmcnt(0)
	v_lshlrev_b32_e32 v2, 1, v1
	ds_read_u16 v3, v2
	s_add_i32 s6, s6, 63
	v_and_b32_e32 v1, 1, v1
	s_lshr_b32 s6, s6, 6
	v_add_u32_e32 v1, 1, v1
	v_or_b32_e32 v2, 4, v7
	v_cmp_gt_u32_e32 vcc, s6, v1
	s_waitcnt lgkmcnt(0)
	v_and_b32_e32 v1, 0xffff, v3
	ds_bpermute_b32 v4, v2, v1
	s_andn2_b64 s[6:7], s[16:17], exec
	s_and_b64 s[8:9], vcc, exec
	s_or_b64 s[16:17], s[6:7], s[8:9]
	v_mov_b32_e32 v2, v3
.LBB974_666:
	s_or_b64 exec, exec, s[4:5]
.LBB974_667:
	s_and_saveexec_b64 s[4:5], s[16:17]
	s_cbranch_execz .LBB974_669
; %bb.668:
	s_waitcnt vmcnt(0)
	v_bfe_i32 v2, v3, 0, 16
	v_ashrrev_i32_e32 v3, 31, v2
	s_waitcnt lgkmcnt(0)
	v_lshlrev_b32_e32 v1, 16, v4
	v_lshl_add_u64 v[2:3], v[2:3], 1, s[66:67]
	v_ashrrev_i32_e32 v6, 15, v1
	v_bfe_i32 v7, v4, 15, 1
	v_lshl_add_u64 v[2:3], v[2:3], 0, v[6:7]
	global_load_ushort v2, v[2:3], off
.LBB974_669:
	s_or_b64 exec, exec, s[4:5]
	v_cmp_eq_u32_e32 vcc, 0, v0
	s_and_saveexec_b64 s[4:5], vcc
	s_xor_b64 s[4:5], exec, s[4:5]
	s_cbranch_execz .LBB974_671
; %bb.670:
	s_cmp_eq_u64 s[70:71], 0
	s_cselect_b64 s[6:7], -1, 0
	s_cmp_lg_u64 s[70:71], 0
	s_cselect_b64 s[8:9], -1, 0
	s_andn2_b64 s[10:11], s[72:73], exec
	s_and_b64 s[6:7], s[6:7], exec
	s_or_b64 s[72:73], s[10:11], s[6:7]
	s_andn2_b64 s[6:7], s[74:75], exec
	s_and_b64 s[8:9], s[8:9], exec
	s_or_b64 s[74:75], s[6:7], s[8:9]
.LBB974_671:
	s_or_b64 exec, exec, s[4:5]
	s_branch .LBB974_709
.LBB974_672:
	s_or_b64 exec, exec, s[12:13]
	s_and_saveexec_b64 s[10:11], s[6:7]
	s_cbranch_execz .LBB974_610
.LBB974_673:
	s_waitcnt lgkmcnt(0)
	v_bfe_i32 v4, v2, 0, 16
	v_lshrrev_b32_e32 v1, 16, v2
	v_ashrrev_i32_e32 v5, 31, v4
	v_bfe_i32 v6, v1, 0, 16
	v_lshl_add_u64 v[4:5], v[4:5], 1, s[66:67]
	v_ashrrev_i32_e32 v7, 31, v6
	v_lshl_add_u64 v[4:5], v[6:7], 1, v[4:5]
	global_load_ushort v2, v[4:5], off
	s_or_b64 exec, exec, s[10:11]
	s_and_saveexec_b64 s[6:7], s[4:5]
	s_cbranch_execnz .LBB974_611
.LBB974_674:
	s_or_b64 exec, exec, s[6:7]
	s_and_saveexec_b64 s[4:5], vcc
	s_cbranch_execz .LBB974_676
.LBB974_675:
	s_waitcnt vmcnt(0) lgkmcnt(0)
	v_bfe_i32 v4, v2, 0, 16
	v_lshrrev_b32_e32 v1, 16, v3
	v_ashrrev_i32_e32 v5, 31, v4
	v_bfe_i32 v2, v1, 0, 16
	v_lshl_add_u64 v[4:5], v[4:5], 1, s[66:67]
	v_ashrrev_i32_e32 v3, 31, v2
	v_lshl_add_u64 v[2:3], v[2:3], 1, v[4:5]
	global_load_ushort v2, v[2:3], off
.LBB974_676:
	s_or_b64 exec, exec, s[4:5]
	v_mbcnt_lo_u32_b32 v1, -1, 0
	v_mbcnt_hi_u32_b32 v1, -1, v1
	v_and_b32_e32 v3, 63, v1
	v_cmp_ne_u32_e32 vcc, 63, v3
	s_waitcnt vmcnt(0)
	v_and_b32_e32 v6, 0xffff, v2
	s_min_u32 s6, s14, 0x80
	s_waitcnt lgkmcnt(0)
	v_addc_co_u32_e32 v4, vcc, 0, v1, vcc
	v_lshlrev_b32_e32 v4, 2, v4
	ds_bpermute_b32 v4, v4, v6
	v_and_b32_e32 v5, 64, v0
	v_sub_u32_e64 v5, s6, v5 clamp
	v_add_u32_e32 v7, 1, v3
	v_cmp_lt_u32_e32 vcc, v7, v5
	s_and_saveexec_b64 s[4:5], vcc
	s_xor_b64 s[4:5], exec, s[4:5]
	s_cbranch_execz .LBB974_678
; %bb.677:
	v_bfe_i32 v6, v2, 0, 16
	v_ashrrev_i32_e32 v7, 31, v6
	s_waitcnt lgkmcnt(0)
	v_lshlrev_b32_e32 v2, 16, v4
	v_lshl_add_u64 v[6:7], v[6:7], 1, s[66:67]
	v_ashrrev_i32_e32 v8, 15, v2
	v_bfe_i32 v9, v4, 15, 1
	v_lshl_add_u64 v[6:7], v[6:7], 0, v[8:9]
	global_load_ushort v2, v[6:7], off
	s_waitcnt vmcnt(0)
	v_and_b32_e32 v6, 0xffff, v2
.LBB974_678:
	s_or_b64 exec, exec, s[4:5]
	v_cmp_gt_u32_e32 vcc, 62, v3
	v_add_u32_e32 v7, 2, v3
	s_waitcnt lgkmcnt(0)
	v_cndmask_b32_e64 v4, 0, 2, vcc
	v_add_lshl_u32 v4, v4, v1, 2
	ds_bpermute_b32 v4, v4, v6
	v_cmp_lt_u32_e32 vcc, v7, v5
	s_and_saveexec_b64 s[4:5], vcc
	s_cbranch_execz .LBB974_680
; %bb.679:
	v_bfe_i32 v6, v2, 0, 16
	v_ashrrev_i32_e32 v7, 31, v6
	s_waitcnt lgkmcnt(0)
	v_lshlrev_b32_e32 v2, 16, v4
	v_lshl_add_u64 v[6:7], v[6:7], 1, s[66:67]
	v_ashrrev_i32_e32 v8, 15, v2
	v_bfe_i32 v9, v4, 15, 1
	v_lshl_add_u64 v[6:7], v[6:7], 0, v[8:9]
	global_load_ushort v2, v[6:7], off
	s_waitcnt vmcnt(0)
	v_and_b32_e32 v6, 0xffff, v2
.LBB974_680:
	s_or_b64 exec, exec, s[4:5]
	v_cmp_gt_u32_e32 vcc, 60, v3
	v_add_u32_e32 v7, 4, v3
	s_waitcnt lgkmcnt(0)
	v_cndmask_b32_e64 v4, 0, 4, vcc
	v_add_lshl_u32 v4, v4, v1, 2
	ds_bpermute_b32 v4, v4, v6
	v_cmp_lt_u32_e32 vcc, v7, v5
	s_and_saveexec_b64 s[4:5], vcc
	;; [unrolled: 23-line block ×4, first 2 shown]
	s_cbranch_execz .LBB974_686
; %bb.685:
	v_bfe_i32 v6, v2, 0, 16
	v_ashrrev_i32_e32 v7, 31, v6
	s_waitcnt lgkmcnt(0)
	v_lshlrev_b32_e32 v2, 16, v4
	v_lshl_add_u64 v[6:7], v[6:7], 1, s[66:67]
	v_ashrrev_i32_e32 v8, 15, v2
	v_bfe_i32 v9, v4, 15, 1
	v_lshl_add_u64 v[6:7], v[6:7], 0, v[8:9]
	global_load_ushort v2, v[6:7], off
	s_waitcnt vmcnt(0)
	v_and_b32_e32 v6, 0xffff, v2
.LBB974_686:
	s_or_b64 exec, exec, s[4:5]
	v_lshlrev_b32_e32 v7, 2, v1
	s_waitcnt lgkmcnt(0)
	v_or_b32_e32 v4, 0x80, v7
	ds_bpermute_b32 v4, v4, v6
	v_add_u32_e32 v3, 32, v3
	v_cmp_lt_u32_e32 vcc, v3, v5
	s_and_saveexec_b64 s[4:5], vcc
	s_cbranch_execz .LBB974_688
; %bb.687:
	v_bfe_i32 v2, v2, 0, 16
	v_ashrrev_i32_e32 v3, 31, v2
	s_waitcnt lgkmcnt(0)
	v_lshlrev_b32_e32 v5, 16, v4
	v_lshl_add_u64 v[2:3], v[2:3], 1, s[66:67]
	v_ashrrev_i32_e32 v8, 15, v5
	v_bfe_i32 v9, v4, 15, 1
	v_lshl_add_u64 v[2:3], v[2:3], 0, v[8:9]
	global_load_ushort v2, v[2:3], off
.LBB974_688:
	s_or_b64 exec, exec, s[4:5]
	v_cmp_eq_u32_e32 vcc, 0, v1
	s_and_saveexec_b64 s[4:5], vcc
	s_cbranch_execz .LBB974_690
; %bb.689:
	v_lshrrev_b32_e32 v3, 5, v0
	v_and_b32_e32 v3, 2, v3
	s_waitcnt vmcnt(0)
	ds_write_b16 v3, v2
.LBB974_690:
	s_or_b64 exec, exec, s[4:5]
	v_cmp_gt_u32_e32 vcc, 2, v0
	s_waitcnt lgkmcnt(0)
	s_barrier
                                        ; implicit-def: $vgpr3
                                        ; implicit-def: $vgpr4
	s_and_saveexec_b64 s[4:5], vcc
	s_cbranch_execz .LBB974_692
; %bb.691:
	s_waitcnt vmcnt(0)
	v_lshlrev_b32_e32 v2, 1, v1
	ds_read_u16 v3, v2
	s_add_i32 s6, s6, 63
	v_and_b32_e32 v1, 1, v1
	s_lshr_b32 s6, s6, 6
	v_add_u32_e32 v1, 1, v1
	v_or_b32_e32 v2, 4, v7
	v_cmp_gt_u32_e32 vcc, s6, v1
	s_waitcnt lgkmcnt(0)
	v_and_b32_e32 v1, 0xffff, v3
	ds_bpermute_b32 v4, v2, v1
	s_andn2_b64 s[6:7], s[8:9], exec
	s_and_b64 s[8:9], vcc, exec
	s_or_b64 s[8:9], s[6:7], s[8:9]
	v_mov_b32_e32 v2, v3
.LBB974_692:
	s_or_b64 exec, exec, s[4:5]
.LBB974_693:
	s_and_saveexec_b64 s[4:5], s[8:9]
	s_cbranch_execz .LBB974_695
; %bb.694:
	s_waitcnt vmcnt(0)
	v_bfe_i32 v2, v3, 0, 16
	v_ashrrev_i32_e32 v3, 31, v2
	s_waitcnt lgkmcnt(0)
	v_lshlrev_b32_e32 v1, 16, v4
	v_lshl_add_u64 v[2:3], v[2:3], 1, s[66:67]
	v_ashrrev_i32_e32 v6, 15, v1
	v_bfe_i32 v7, v4, 15, 1
	v_lshl_add_u64 v[2:3], v[2:3], 0, v[6:7]
	global_load_ushort v2, v[2:3], off
.LBB974_695:
	s_or_b64 exec, exec, s[4:5]
	v_cmp_eq_u32_e32 vcc, 0, v0
	s_and_saveexec_b64 s[4:5], vcc
	s_xor_b64 s[4:5], exec, s[4:5]
	s_cbranch_execz .LBB974_697
; %bb.696:
	s_cmp_eq_u64 s[70:71], 0
	s_cselect_b64 s[6:7], -1, 0
	s_cmp_lg_u64 s[70:71], 0
	s_cselect_b64 s[8:9], -1, 0
	s_andn2_b64 s[10:11], s[72:73], exec
	s_and_b64 s[6:7], s[6:7], exec
	s_or_b64 s[72:73], s[10:11], s[6:7]
	s_andn2_b64 s[6:7], s[74:75], exec
	s_and_b64 s[8:9], s[8:9], exec
	s_or_b64 s[74:75], s[6:7], s[8:9]
.LBB974_697:
	s_or_b64 exec, exec, s[4:5]
.LBB974_698:
	s_branch .LBB974_709
.LBB974_699:
	s_cmp_eq_u32 s82, 1
	s_cbranch_scc0 .LBB974_708
; %bb.700:
	s_mov_b32 s7, 0
	s_lshl_b32 s6, s2, 7
	s_mov_b32 s3, s7
	s_lshr_b64 s[4:5], s[70:71], 7
	s_cmp_lg_u64 s[4:5], s[2:3]
	v_mbcnt_lo_u32_b32 v1, -1, 0
	s_cbranch_scc0 .LBB974_712
; %bb.701:
	s_lshl_b64 s[4:5], s[6:7], 1
	s_add_u32 s4, s68, s4
	s_addc_u32 s5, s69, s5
	s_waitcnt vmcnt(0)
	v_lshlrev_b32_e32 v2, 1, v0
	global_load_ushort v2, v2, s[4:5]
	s_waitcnt vmcnt(0)
	v_and_b32_e32 v3, 0xffff, v2
	s_waitcnt lgkmcnt(0)
	s_nop 0
	v_mov_b32_dpp v4, v3 quad_perm:[1,0,3,2] row_mask:0xf bank_mask:0xf bound_ctrl:1
	v_lshlrev_b32_e32 v6, 16, v4
	v_bfe_i32 v2, v2, 0, 16
	v_bfe_i32 v5, v4, 15, 1
	v_ashrrev_i32_e32 v4, 15, v6
	v_ashrrev_i32_e32 v3, 31, v2
	v_lshl_add_u64 v[4:5], s[66:67], 0, v[4:5]
	v_lshl_add_u64 v[2:3], v[2:3], 1, v[4:5]
	global_load_ushort v2, v[2:3], off
	s_waitcnt vmcnt(0)
	v_and_b32_e32 v3, 0xffff, v2
	s_nop 1
	v_mov_b32_dpp v4, v3 quad_perm:[2,3,0,1] row_mask:0xf bank_mask:0xf bound_ctrl:1
	v_lshlrev_b32_e32 v6, 16, v4
	v_bfe_i32 v2, v2, 0, 16
	v_bfe_i32 v5, v4, 15, 1
	v_ashrrev_i32_e32 v4, 15, v6
	v_ashrrev_i32_e32 v3, 31, v2
	v_lshl_add_u64 v[4:5], s[66:67], 0, v[4:5]
	v_lshl_add_u64 v[2:3], v[2:3], 1, v[4:5]
	global_load_ushort v2, v[2:3], off
	s_waitcnt vmcnt(0)
	v_and_b32_e32 v3, 0xffff, v2
	s_nop 1
	v_mov_b32_dpp v4, v3 row_ror:4 row_mask:0xf bank_mask:0xf bound_ctrl:1
	v_lshlrev_b32_e32 v6, 16, v4
	v_bfe_i32 v2, v2, 0, 16
	v_bfe_i32 v5, v4, 15, 1
	v_ashrrev_i32_e32 v4, 15, v6
	v_ashrrev_i32_e32 v3, 31, v2
	v_lshl_add_u64 v[4:5], s[66:67], 0, v[4:5]
	v_lshl_add_u64 v[2:3], v[2:3], 1, v[4:5]
	global_load_ushort v2, v[2:3], off
	s_waitcnt vmcnt(0)
	v_and_b32_e32 v3, 0xffff, v2
	s_nop 1
	v_mov_b32_dpp v4, v3 row_ror:8 row_mask:0xf bank_mask:0xf bound_ctrl:1
	v_lshlrev_b32_e32 v6, 16, v4
	v_bfe_i32 v2, v2, 0, 16
	v_bfe_i32 v5, v4, 15, 1
	v_ashrrev_i32_e32 v4, 15, v6
	v_ashrrev_i32_e32 v3, 31, v2
	v_lshl_add_u64 v[4:5], s[66:67], 0, v[4:5]
	v_lshl_add_u64 v[2:3], v[2:3], 1, v[4:5]
	global_load_ushort v2, v[2:3], off
	s_waitcnt vmcnt(0)
	v_and_b32_e32 v3, 0xffff, v2
	s_nop 1
	v_mov_b32_dpp v4, v3 row_bcast:15 row_mask:0xf bank_mask:0xf bound_ctrl:1
	v_lshlrev_b32_e32 v6, 16, v4
	v_bfe_i32 v2, v2, 0, 16
	v_bfe_i32 v5, v4, 15, 1
	v_ashrrev_i32_e32 v4, 15, v6
	v_ashrrev_i32_e32 v3, 31, v2
	v_lshl_add_u64 v[4:5], s[66:67], 0, v[4:5]
	v_lshl_add_u64 v[2:3], v[2:3], 1, v[4:5]
	global_load_ushort v2, v[2:3], off
	v_mbcnt_hi_u32_b32 v6, -1, v1
	v_cmp_eq_u32_e32 vcc, 0, v6
	s_waitcnt vmcnt(0)
	v_and_b32_e32 v3, 0xffff, v2
	s_nop 1
	v_mov_b32_dpp v5, v3 row_bcast:31 row_mask:0xf bank_mask:0xf bound_ctrl:1
	v_lshlrev_b32_e32 v4, 16, v5
	v_bfe_i32 v2, v2, 0, 16
	v_ashrrev_i32_e32 v4, 15, v4
	v_bfe_i32 v5, v5, 15, 1
	v_ashrrev_i32_e32 v3, 31, v2
	v_lshl_add_u64 v[4:5], s[66:67], 0, v[4:5]
	v_lshl_add_u64 v[2:3], v[2:3], 1, v[4:5]
	global_load_ushort v2, v[2:3], off
	v_lshlrev_b32_e32 v5, 2, v6
	v_or_b32_e32 v3, 0xfc, v5
	s_waitcnt vmcnt(0)
	ds_bpermute_b32 v2, v3, v2
	s_and_saveexec_b64 s[4:5], vcc
	s_cbranch_execz .LBB974_703
; %bb.702:
	v_lshrrev_b32_e32 v3, 5, v0
	v_and_b32_e32 v3, 2, v3
	s_waitcnt lgkmcnt(0)
	ds_write_b16 v3, v2 offset:8
.LBB974_703:
	s_or_b64 exec, exec, s[4:5]
	v_cmp_gt_u32_e32 vcc, 64, v0
	s_mov_b64 s[8:9], 0
	s_mov_b64 s[4:5], 0
	s_waitcnt lgkmcnt(0)
	s_barrier
                                        ; implicit-def: $vgpr3
                                        ; implicit-def: $vgpr4
	s_and_saveexec_b64 s[10:11], vcc
	s_xor_b64 s[10:11], exec, s[10:11]
	s_cbranch_execz .LBB974_705
; %bb.704:
	v_and_b32_e32 v3, 1, v6
	v_lshlrev_b32_e32 v3, 1, v3
	ds_read_u16 v3, v3 offset:8
	v_or_b32_e32 v4, 4, v5
	s_mov_b64 s[4:5], exec
	s_waitcnt lgkmcnt(0)
	v_and_b32_e32 v5, 0xffff, v3
	ds_bpermute_b32 v4, v4, v5
.LBB974_705:
	s_or_b64 exec, exec, s[10:11]
	s_and_b64 vcc, exec, s[8:9]
	s_cbranch_vccnz .LBB974_713
.LBB974_706:
	s_and_saveexec_b64 s[6:7], s[4:5]
	s_cbranch_execz .LBB974_732
.LBB974_707:
	s_waitcnt vmcnt(0)
	v_bfe_i32 v2, v3, 0, 16
	v_ashrrev_i32_e32 v3, 31, v2
	s_waitcnt lgkmcnt(0)
	v_lshlrev_b32_e32 v1, 16, v4
	v_lshl_add_u64 v[2:3], v[2:3], 1, s[66:67]
	v_ashrrev_i32_e32 v6, 15, v1
	v_bfe_i32 v7, v4, 15, 1
	v_lshl_add_u64 v[2:3], v[2:3], 0, v[6:7]
	global_load_ushort v2, v[2:3], off
	s_or_b64 exec, exec, s[6:7]
	v_cmp_eq_u32_e32 vcc, 0, v0
	s_and_saveexec_b64 s[4:5], vcc
	s_cbranch_execnz .LBB974_733
	s_branch .LBB974_734
.LBB974_708:
                                        ; implicit-def: $sgpr2_sgpr3
                                        ; implicit-def: $vgpr2
.LBB974_709:
	v_mov_b32_e32 v0, s33
	s_and_saveexec_b64 s[4:5], s[74:75]
	s_cbranch_execz .LBB974_735
.LBB974_710:
	s_sext_i32_i16 s6, s33
	s_ashr_i32 s7, s6, 31
	s_lshl_b64 s[6:7], s[6:7], 1
	s_add_u32 s6, s66, s6
	s_waitcnt vmcnt(0)
	v_bfe_i32 v0, v2, 0, 16
	s_addc_u32 s7, s67, s7
	v_ashrrev_i32_e32 v1, 31, v0
	v_lshl_add_u64 v[0:1], v[0:1], 1, s[6:7]
	global_load_ushort v0, v[0:1], off
	s_or_b64 s[72:73], s[72:73], exec
	s_or_b64 exec, exec, s[4:5]
	s_and_saveexec_b64 s[4:5], s[72:73]
	s_cbranch_execnz .LBB974_736
.LBB974_711:
	s_endpgm
.LBB974_712:
	s_mov_b64 s[4:5], 0
                                        ; implicit-def: $vgpr3
                                        ; implicit-def: $vgpr4
                                        ; implicit-def: $vgpr2
	s_cbranch_execz .LBB974_706
.LBB974_713:
	s_sub_i32 s10, s70, s6
	v_cmp_gt_u32_e32 vcc, s10, v0
                                        ; implicit-def: $vgpr2
	s_and_saveexec_b64 s[8:9], vcc
	s_cbranch_execz .LBB974_715
; %bb.714:
	s_lshl_b64 s[6:7], s[6:7], 1
	s_add_u32 s6, s68, s6
	s_addc_u32 s7, s69, s7
	s_waitcnt vmcnt(0)
	v_lshlrev_b32_e32 v2, 1, v0
	global_load_ushort v2, v2, s[6:7]
.LBB974_715:
	s_or_b64 exec, exec, s[8:9]
	v_mbcnt_hi_u32_b32 v1, -1, v1
	v_and_b32_e32 v3, 63, v1
	v_cmp_ne_u32_e32 vcc, 63, v3
	s_waitcnt vmcnt(0)
	v_and_b32_e32 v6, 0xffff, v2
	s_min_u32 s8, s10, 0x80
	s_waitcnt lgkmcnt(0)
	v_addc_co_u32_e32 v4, vcc, 0, v1, vcc
	v_lshlrev_b32_e32 v4, 2, v4
	ds_bpermute_b32 v4, v4, v6
	v_and_b32_e32 v5, 64, v0
	v_sub_u32_e64 v5, s8, v5 clamp
	v_add_u32_e32 v7, 1, v3
	v_cmp_lt_u32_e32 vcc, v7, v5
	s_and_saveexec_b64 s[6:7], vcc
	s_cbranch_execz .LBB974_717
; %bb.716:
	v_bfe_i32 v6, v2, 0, 16
	v_ashrrev_i32_e32 v7, 31, v6
	s_waitcnt lgkmcnt(0)
	v_lshlrev_b32_e32 v2, 16, v4
	v_lshl_add_u64 v[6:7], v[6:7], 1, s[66:67]
	v_ashrrev_i32_e32 v8, 15, v2
	v_bfe_i32 v9, v4, 15, 1
	v_lshl_add_u64 v[6:7], v[6:7], 0, v[8:9]
	global_load_ushort v2, v[6:7], off
	s_waitcnt vmcnt(0)
	v_and_b32_e32 v6, 0xffff, v2
.LBB974_717:
	s_or_b64 exec, exec, s[6:7]
	v_cmp_gt_u32_e32 vcc, 62, v3
	v_add_u32_e32 v7, 2, v3
	s_waitcnt lgkmcnt(0)
	v_cndmask_b32_e64 v4, 0, 2, vcc
	v_add_lshl_u32 v4, v4, v1, 2
	ds_bpermute_b32 v4, v4, v6
	v_cmp_lt_u32_e32 vcc, v7, v5
	s_and_saveexec_b64 s[6:7], vcc
	s_cbranch_execz .LBB974_719
; %bb.718:
	v_bfe_i32 v6, v2, 0, 16
	v_ashrrev_i32_e32 v7, 31, v6
	s_waitcnt lgkmcnt(0)
	v_lshlrev_b32_e32 v2, 16, v4
	v_lshl_add_u64 v[6:7], v[6:7], 1, s[66:67]
	v_ashrrev_i32_e32 v8, 15, v2
	v_bfe_i32 v9, v4, 15, 1
	v_lshl_add_u64 v[6:7], v[6:7], 0, v[8:9]
	global_load_ushort v2, v[6:7], off
	s_waitcnt vmcnt(0)
	v_and_b32_e32 v6, 0xffff, v2
.LBB974_719:
	s_or_b64 exec, exec, s[6:7]
	v_cmp_gt_u32_e32 vcc, 60, v3
	v_add_u32_e32 v7, 4, v3
	s_waitcnt lgkmcnt(0)
	v_cndmask_b32_e64 v4, 0, 4, vcc
	v_add_lshl_u32 v4, v4, v1, 2
	ds_bpermute_b32 v4, v4, v6
	;; [unrolled: 23-line block ×4, first 2 shown]
	v_cmp_lt_u32_e32 vcc, v7, v5
	s_and_saveexec_b64 s[6:7], vcc
	s_cbranch_execz .LBB974_725
; %bb.724:
	v_bfe_i32 v6, v2, 0, 16
	v_ashrrev_i32_e32 v7, 31, v6
	s_waitcnt lgkmcnt(0)
	v_lshlrev_b32_e32 v2, 16, v4
	v_lshl_add_u64 v[6:7], v[6:7], 1, s[66:67]
	v_ashrrev_i32_e32 v8, 15, v2
	v_bfe_i32 v9, v4, 15, 1
	v_lshl_add_u64 v[6:7], v[6:7], 0, v[8:9]
	global_load_ushort v2, v[6:7], off
	s_waitcnt vmcnt(0)
	v_and_b32_e32 v6, 0xffff, v2
.LBB974_725:
	s_or_b64 exec, exec, s[6:7]
	v_lshlrev_b32_e32 v7, 2, v1
	s_waitcnt lgkmcnt(0)
	v_or_b32_e32 v4, 0x80, v7
	ds_bpermute_b32 v4, v4, v6
	v_add_u32_e32 v3, 32, v3
	v_cmp_lt_u32_e32 vcc, v3, v5
	s_and_saveexec_b64 s[6:7], vcc
	s_cbranch_execz .LBB974_727
; %bb.726:
	v_bfe_i32 v2, v2, 0, 16
	v_ashrrev_i32_e32 v3, 31, v2
	s_waitcnt lgkmcnt(0)
	v_lshlrev_b32_e32 v5, 16, v4
	v_lshl_add_u64 v[2:3], v[2:3], 1, s[66:67]
	v_ashrrev_i32_e32 v8, 15, v5
	v_bfe_i32 v9, v4, 15, 1
	v_lshl_add_u64 v[2:3], v[2:3], 0, v[8:9]
	global_load_ushort v2, v[2:3], off
.LBB974_727:
	s_or_b64 exec, exec, s[6:7]
	v_cmp_eq_u32_e32 vcc, 0, v1
	s_and_saveexec_b64 s[6:7], vcc
	s_cbranch_execz .LBB974_729
; %bb.728:
	v_lshrrev_b32_e32 v3, 5, v0
	v_and_b32_e32 v3, 2, v3
	s_waitcnt vmcnt(0)
	ds_write_b16 v3, v2
.LBB974_729:
	s_or_b64 exec, exec, s[6:7]
	v_cmp_gt_u32_e32 vcc, 2, v0
	s_waitcnt lgkmcnt(0)
	s_barrier
                                        ; implicit-def: $vgpr3
                                        ; implicit-def: $vgpr4
	s_and_saveexec_b64 s[6:7], vcc
	s_cbranch_execz .LBB974_731
; %bb.730:
	s_waitcnt vmcnt(0)
	v_lshlrev_b32_e32 v2, 1, v1
	ds_read_u16 v3, v2
	s_add_i32 s8, s8, 63
	v_and_b32_e32 v1, 1, v1
	s_lshr_b32 s8, s8, 6
	v_add_u32_e32 v1, 1, v1
	v_or_b32_e32 v2, 4, v7
	v_cmp_gt_u32_e32 vcc, s8, v1
	s_waitcnt lgkmcnt(0)
	v_and_b32_e32 v1, 0xffff, v3
	ds_bpermute_b32 v4, v2, v1
	s_andn2_b64 s[4:5], s[4:5], exec
	s_and_b64 s[8:9], vcc, exec
	s_or_b64 s[4:5], s[4:5], s[8:9]
	v_mov_b32_e32 v2, v3
.LBB974_731:
	s_or_b64 exec, exec, s[6:7]
	s_and_saveexec_b64 s[6:7], s[4:5]
	s_cbranch_execnz .LBB974_707
.LBB974_732:
	s_or_b64 exec, exec, s[6:7]
	v_cmp_eq_u32_e32 vcc, 0, v0
	s_and_saveexec_b64 s[4:5], vcc
	s_cbranch_execz .LBB974_734
.LBB974_733:
	s_cmp_eq_u64 s[70:71], 0
	s_cselect_b64 s[6:7], -1, 0
	s_cmp_lg_u64 s[70:71], 0
	s_cselect_b64 s[8:9], -1, 0
	s_andn2_b64 s[10:11], s[72:73], exec
	s_and_b64 s[6:7], s[6:7], exec
	s_or_b64 s[72:73], s[10:11], s[6:7]
	s_andn2_b64 s[6:7], s[74:75], exec
	s_and_b64 s[8:9], s[8:9], exec
	s_or_b64 s[74:75], s[6:7], s[8:9]
.LBB974_734:
	s_or_b64 exec, exec, s[4:5]
	v_mov_b32_e32 v0, s33
	s_and_saveexec_b64 s[4:5], s[74:75]
	s_cbranch_execnz .LBB974_710
.LBB974_735:
	s_or_b64 exec, exec, s[4:5]
	s_and_saveexec_b64 s[4:5], s[72:73]
	s_cbranch_execz .LBB974_711
.LBB974_736:
	s_load_dwordx2 s[0:1], s[0:1], 0x18
	s_lshl_b64 s[2:3], s[2:3], 1
	v_mov_b32_e32 v1, 0
	s_waitcnt lgkmcnt(0)
	s_add_u32 s0, s0, s2
	s_addc_u32 s1, s1, s3
	s_waitcnt vmcnt(0)
	global_store_short v1, v0, s[0:1]
	s_endpgm
	.section	.rodata,"a",@progbits
	.p2align	6, 0x0
	.amdhsa_kernel _ZN7rocprim17ROCPRIM_400000_NS6detail17trampoline_kernelINS0_14default_configENS1_22reduce_config_selectorIsEEZNS1_11reduce_implILb1ES3_N6thrust23THRUST_200600_302600_NS6detail15normal_iteratorINS8_10device_ptrIsEEEEPss9plus_mod3IsEEE10hipError_tPvRmT1_T2_T3_mT4_P12ihipStream_tbEUlT_E1_NS1_11comp_targetILNS1_3genE0ELNS1_11target_archE4294967295ELNS1_3gpuE0ELNS1_3repE0EEENS1_30default_config_static_selectorELNS0_4arch9wavefront6targetE1EEEvSK_
		.amdhsa_group_segment_fixed_size 32
		.amdhsa_private_segment_fixed_size 0
		.amdhsa_kernarg_size 48
		.amdhsa_user_sgpr_count 2
		.amdhsa_user_sgpr_dispatch_ptr 0
		.amdhsa_user_sgpr_queue_ptr 0
		.amdhsa_user_sgpr_kernarg_segment_ptr 1
		.amdhsa_user_sgpr_dispatch_id 0
		.amdhsa_user_sgpr_kernarg_preload_length 0
		.amdhsa_user_sgpr_kernarg_preload_offset 0
		.amdhsa_user_sgpr_private_segment_size 0
		.amdhsa_uses_dynamic_stack 0
		.amdhsa_enable_private_segment 0
		.amdhsa_system_sgpr_workgroup_id_x 1
		.amdhsa_system_sgpr_workgroup_id_y 0
		.amdhsa_system_sgpr_workgroup_id_z 0
		.amdhsa_system_sgpr_workgroup_info 0
		.amdhsa_system_vgpr_workitem_id 0
		.amdhsa_next_free_vgpr 39
		.amdhsa_next_free_sgpr 100
		.amdhsa_accum_offset 40
		.amdhsa_reserve_vcc 1
		.amdhsa_float_round_mode_32 0
		.amdhsa_float_round_mode_16_64 0
		.amdhsa_float_denorm_mode_32 3
		.amdhsa_float_denorm_mode_16_64 3
		.amdhsa_dx10_clamp 1
		.amdhsa_ieee_mode 1
		.amdhsa_fp16_overflow 0
		.amdhsa_tg_split 0
		.amdhsa_exception_fp_ieee_invalid_op 0
		.amdhsa_exception_fp_denorm_src 0
		.amdhsa_exception_fp_ieee_div_zero 0
		.amdhsa_exception_fp_ieee_overflow 0
		.amdhsa_exception_fp_ieee_underflow 0
		.amdhsa_exception_fp_ieee_inexact 0
		.amdhsa_exception_int_div_zero 0
	.end_amdhsa_kernel
	.section	.text._ZN7rocprim17ROCPRIM_400000_NS6detail17trampoline_kernelINS0_14default_configENS1_22reduce_config_selectorIsEEZNS1_11reduce_implILb1ES3_N6thrust23THRUST_200600_302600_NS6detail15normal_iteratorINS8_10device_ptrIsEEEEPss9plus_mod3IsEEE10hipError_tPvRmT1_T2_T3_mT4_P12ihipStream_tbEUlT_E1_NS1_11comp_targetILNS1_3genE0ELNS1_11target_archE4294967295ELNS1_3gpuE0ELNS1_3repE0EEENS1_30default_config_static_selectorELNS0_4arch9wavefront6targetE1EEEvSK_,"axG",@progbits,_ZN7rocprim17ROCPRIM_400000_NS6detail17trampoline_kernelINS0_14default_configENS1_22reduce_config_selectorIsEEZNS1_11reduce_implILb1ES3_N6thrust23THRUST_200600_302600_NS6detail15normal_iteratorINS8_10device_ptrIsEEEEPss9plus_mod3IsEEE10hipError_tPvRmT1_T2_T3_mT4_P12ihipStream_tbEUlT_E1_NS1_11comp_targetILNS1_3genE0ELNS1_11target_archE4294967295ELNS1_3gpuE0ELNS1_3repE0EEENS1_30default_config_static_selectorELNS0_4arch9wavefront6targetE1EEEvSK_,comdat
.Lfunc_end974:
	.size	_ZN7rocprim17ROCPRIM_400000_NS6detail17trampoline_kernelINS0_14default_configENS1_22reduce_config_selectorIsEEZNS1_11reduce_implILb1ES3_N6thrust23THRUST_200600_302600_NS6detail15normal_iteratorINS8_10device_ptrIsEEEEPss9plus_mod3IsEEE10hipError_tPvRmT1_T2_T3_mT4_P12ihipStream_tbEUlT_E1_NS1_11comp_targetILNS1_3genE0ELNS1_11target_archE4294967295ELNS1_3gpuE0ELNS1_3repE0EEENS1_30default_config_static_selectorELNS0_4arch9wavefront6targetE1EEEvSK_, .Lfunc_end974-_ZN7rocprim17ROCPRIM_400000_NS6detail17trampoline_kernelINS0_14default_configENS1_22reduce_config_selectorIsEEZNS1_11reduce_implILb1ES3_N6thrust23THRUST_200600_302600_NS6detail15normal_iteratorINS8_10device_ptrIsEEEEPss9plus_mod3IsEEE10hipError_tPvRmT1_T2_T3_mT4_P12ihipStream_tbEUlT_E1_NS1_11comp_targetILNS1_3genE0ELNS1_11target_archE4294967295ELNS1_3gpuE0ELNS1_3repE0EEENS1_30default_config_static_selectorELNS0_4arch9wavefront6targetE1EEEvSK_
                                        ; -- End function
	.set _ZN7rocprim17ROCPRIM_400000_NS6detail17trampoline_kernelINS0_14default_configENS1_22reduce_config_selectorIsEEZNS1_11reduce_implILb1ES3_N6thrust23THRUST_200600_302600_NS6detail15normal_iteratorINS8_10device_ptrIsEEEEPss9plus_mod3IsEEE10hipError_tPvRmT1_T2_T3_mT4_P12ihipStream_tbEUlT_E1_NS1_11comp_targetILNS1_3genE0ELNS1_11target_archE4294967295ELNS1_3gpuE0ELNS1_3repE0EEENS1_30default_config_static_selectorELNS0_4arch9wavefront6targetE1EEEvSK_.num_vgpr, 39
	.set _ZN7rocprim17ROCPRIM_400000_NS6detail17trampoline_kernelINS0_14default_configENS1_22reduce_config_selectorIsEEZNS1_11reduce_implILb1ES3_N6thrust23THRUST_200600_302600_NS6detail15normal_iteratorINS8_10device_ptrIsEEEEPss9plus_mod3IsEEE10hipError_tPvRmT1_T2_T3_mT4_P12ihipStream_tbEUlT_E1_NS1_11comp_targetILNS1_3genE0ELNS1_11target_archE4294967295ELNS1_3gpuE0ELNS1_3repE0EEENS1_30default_config_static_selectorELNS0_4arch9wavefront6targetE1EEEvSK_.num_agpr, 0
	.set _ZN7rocprim17ROCPRIM_400000_NS6detail17trampoline_kernelINS0_14default_configENS1_22reduce_config_selectorIsEEZNS1_11reduce_implILb1ES3_N6thrust23THRUST_200600_302600_NS6detail15normal_iteratorINS8_10device_ptrIsEEEEPss9plus_mod3IsEEE10hipError_tPvRmT1_T2_T3_mT4_P12ihipStream_tbEUlT_E1_NS1_11comp_targetILNS1_3genE0ELNS1_11target_archE4294967295ELNS1_3gpuE0ELNS1_3repE0EEENS1_30default_config_static_selectorELNS0_4arch9wavefront6targetE1EEEvSK_.numbered_sgpr, 100
	.set _ZN7rocprim17ROCPRIM_400000_NS6detail17trampoline_kernelINS0_14default_configENS1_22reduce_config_selectorIsEEZNS1_11reduce_implILb1ES3_N6thrust23THRUST_200600_302600_NS6detail15normal_iteratorINS8_10device_ptrIsEEEEPss9plus_mod3IsEEE10hipError_tPvRmT1_T2_T3_mT4_P12ihipStream_tbEUlT_E1_NS1_11comp_targetILNS1_3genE0ELNS1_11target_archE4294967295ELNS1_3gpuE0ELNS1_3repE0EEENS1_30default_config_static_selectorELNS0_4arch9wavefront6targetE1EEEvSK_.num_named_barrier, 0
	.set _ZN7rocprim17ROCPRIM_400000_NS6detail17trampoline_kernelINS0_14default_configENS1_22reduce_config_selectorIsEEZNS1_11reduce_implILb1ES3_N6thrust23THRUST_200600_302600_NS6detail15normal_iteratorINS8_10device_ptrIsEEEEPss9plus_mod3IsEEE10hipError_tPvRmT1_T2_T3_mT4_P12ihipStream_tbEUlT_E1_NS1_11comp_targetILNS1_3genE0ELNS1_11target_archE4294967295ELNS1_3gpuE0ELNS1_3repE0EEENS1_30default_config_static_selectorELNS0_4arch9wavefront6targetE1EEEvSK_.private_seg_size, 0
	.set _ZN7rocprim17ROCPRIM_400000_NS6detail17trampoline_kernelINS0_14default_configENS1_22reduce_config_selectorIsEEZNS1_11reduce_implILb1ES3_N6thrust23THRUST_200600_302600_NS6detail15normal_iteratorINS8_10device_ptrIsEEEEPss9plus_mod3IsEEE10hipError_tPvRmT1_T2_T3_mT4_P12ihipStream_tbEUlT_E1_NS1_11comp_targetILNS1_3genE0ELNS1_11target_archE4294967295ELNS1_3gpuE0ELNS1_3repE0EEENS1_30default_config_static_selectorELNS0_4arch9wavefront6targetE1EEEvSK_.uses_vcc, 1
	.set _ZN7rocprim17ROCPRIM_400000_NS6detail17trampoline_kernelINS0_14default_configENS1_22reduce_config_selectorIsEEZNS1_11reduce_implILb1ES3_N6thrust23THRUST_200600_302600_NS6detail15normal_iteratorINS8_10device_ptrIsEEEEPss9plus_mod3IsEEE10hipError_tPvRmT1_T2_T3_mT4_P12ihipStream_tbEUlT_E1_NS1_11comp_targetILNS1_3genE0ELNS1_11target_archE4294967295ELNS1_3gpuE0ELNS1_3repE0EEENS1_30default_config_static_selectorELNS0_4arch9wavefront6targetE1EEEvSK_.uses_flat_scratch, 0
	.set _ZN7rocprim17ROCPRIM_400000_NS6detail17trampoline_kernelINS0_14default_configENS1_22reduce_config_selectorIsEEZNS1_11reduce_implILb1ES3_N6thrust23THRUST_200600_302600_NS6detail15normal_iteratorINS8_10device_ptrIsEEEEPss9plus_mod3IsEEE10hipError_tPvRmT1_T2_T3_mT4_P12ihipStream_tbEUlT_E1_NS1_11comp_targetILNS1_3genE0ELNS1_11target_archE4294967295ELNS1_3gpuE0ELNS1_3repE0EEENS1_30default_config_static_selectorELNS0_4arch9wavefront6targetE1EEEvSK_.has_dyn_sized_stack, 0
	.set _ZN7rocprim17ROCPRIM_400000_NS6detail17trampoline_kernelINS0_14default_configENS1_22reduce_config_selectorIsEEZNS1_11reduce_implILb1ES3_N6thrust23THRUST_200600_302600_NS6detail15normal_iteratorINS8_10device_ptrIsEEEEPss9plus_mod3IsEEE10hipError_tPvRmT1_T2_T3_mT4_P12ihipStream_tbEUlT_E1_NS1_11comp_targetILNS1_3genE0ELNS1_11target_archE4294967295ELNS1_3gpuE0ELNS1_3repE0EEENS1_30default_config_static_selectorELNS0_4arch9wavefront6targetE1EEEvSK_.has_recursion, 0
	.set _ZN7rocprim17ROCPRIM_400000_NS6detail17trampoline_kernelINS0_14default_configENS1_22reduce_config_selectorIsEEZNS1_11reduce_implILb1ES3_N6thrust23THRUST_200600_302600_NS6detail15normal_iteratorINS8_10device_ptrIsEEEEPss9plus_mod3IsEEE10hipError_tPvRmT1_T2_T3_mT4_P12ihipStream_tbEUlT_E1_NS1_11comp_targetILNS1_3genE0ELNS1_11target_archE4294967295ELNS1_3gpuE0ELNS1_3repE0EEENS1_30default_config_static_selectorELNS0_4arch9wavefront6targetE1EEEvSK_.has_indirect_call, 0
	.section	.AMDGPU.csdata,"",@progbits
; Kernel info:
; codeLenInByte = 38240
; TotalNumSgprs: 106
; NumVgprs: 39
; NumAgprs: 0
; TotalNumVgprs: 39
; ScratchSize: 0
; MemoryBound: 0
; FloatMode: 240
; IeeeMode: 1
; LDSByteSize: 32 bytes/workgroup (compile time only)
; SGPRBlocks: 13
; VGPRBlocks: 4
; NumSGPRsForWavesPerEU: 106
; NumVGPRsForWavesPerEU: 39
; AccumOffset: 40
; Occupancy: 7
; WaveLimiterHint : 1
; COMPUTE_PGM_RSRC2:SCRATCH_EN: 0
; COMPUTE_PGM_RSRC2:USER_SGPR: 2
; COMPUTE_PGM_RSRC2:TRAP_HANDLER: 0
; COMPUTE_PGM_RSRC2:TGID_X_EN: 1
; COMPUTE_PGM_RSRC2:TGID_Y_EN: 0
; COMPUTE_PGM_RSRC2:TGID_Z_EN: 0
; COMPUTE_PGM_RSRC2:TIDIG_COMP_CNT: 0
; COMPUTE_PGM_RSRC3_GFX90A:ACCUM_OFFSET: 9
; COMPUTE_PGM_RSRC3_GFX90A:TG_SPLIT: 0
	.section	.text._ZN7rocprim17ROCPRIM_400000_NS6detail17trampoline_kernelINS0_14default_configENS1_22reduce_config_selectorIsEEZNS1_11reduce_implILb1ES3_N6thrust23THRUST_200600_302600_NS6detail15normal_iteratorINS8_10device_ptrIsEEEEPss9plus_mod3IsEEE10hipError_tPvRmT1_T2_T3_mT4_P12ihipStream_tbEUlT_E1_NS1_11comp_targetILNS1_3genE5ELNS1_11target_archE942ELNS1_3gpuE9ELNS1_3repE0EEENS1_30default_config_static_selectorELNS0_4arch9wavefront6targetE1EEEvSK_,"axG",@progbits,_ZN7rocprim17ROCPRIM_400000_NS6detail17trampoline_kernelINS0_14default_configENS1_22reduce_config_selectorIsEEZNS1_11reduce_implILb1ES3_N6thrust23THRUST_200600_302600_NS6detail15normal_iteratorINS8_10device_ptrIsEEEEPss9plus_mod3IsEEE10hipError_tPvRmT1_T2_T3_mT4_P12ihipStream_tbEUlT_E1_NS1_11comp_targetILNS1_3genE5ELNS1_11target_archE942ELNS1_3gpuE9ELNS1_3repE0EEENS1_30default_config_static_selectorELNS0_4arch9wavefront6targetE1EEEvSK_,comdat
	.protected	_ZN7rocprim17ROCPRIM_400000_NS6detail17trampoline_kernelINS0_14default_configENS1_22reduce_config_selectorIsEEZNS1_11reduce_implILb1ES3_N6thrust23THRUST_200600_302600_NS6detail15normal_iteratorINS8_10device_ptrIsEEEEPss9plus_mod3IsEEE10hipError_tPvRmT1_T2_T3_mT4_P12ihipStream_tbEUlT_E1_NS1_11comp_targetILNS1_3genE5ELNS1_11target_archE942ELNS1_3gpuE9ELNS1_3repE0EEENS1_30default_config_static_selectorELNS0_4arch9wavefront6targetE1EEEvSK_ ; -- Begin function _ZN7rocprim17ROCPRIM_400000_NS6detail17trampoline_kernelINS0_14default_configENS1_22reduce_config_selectorIsEEZNS1_11reduce_implILb1ES3_N6thrust23THRUST_200600_302600_NS6detail15normal_iteratorINS8_10device_ptrIsEEEEPss9plus_mod3IsEEE10hipError_tPvRmT1_T2_T3_mT4_P12ihipStream_tbEUlT_E1_NS1_11comp_targetILNS1_3genE5ELNS1_11target_archE942ELNS1_3gpuE9ELNS1_3repE0EEENS1_30default_config_static_selectorELNS0_4arch9wavefront6targetE1EEEvSK_
	.globl	_ZN7rocprim17ROCPRIM_400000_NS6detail17trampoline_kernelINS0_14default_configENS1_22reduce_config_selectorIsEEZNS1_11reduce_implILb1ES3_N6thrust23THRUST_200600_302600_NS6detail15normal_iteratorINS8_10device_ptrIsEEEEPss9plus_mod3IsEEE10hipError_tPvRmT1_T2_T3_mT4_P12ihipStream_tbEUlT_E1_NS1_11comp_targetILNS1_3genE5ELNS1_11target_archE942ELNS1_3gpuE9ELNS1_3repE0EEENS1_30default_config_static_selectorELNS0_4arch9wavefront6targetE1EEEvSK_
	.p2align	8
	.type	_ZN7rocprim17ROCPRIM_400000_NS6detail17trampoline_kernelINS0_14default_configENS1_22reduce_config_selectorIsEEZNS1_11reduce_implILb1ES3_N6thrust23THRUST_200600_302600_NS6detail15normal_iteratorINS8_10device_ptrIsEEEEPss9plus_mod3IsEEE10hipError_tPvRmT1_T2_T3_mT4_P12ihipStream_tbEUlT_E1_NS1_11comp_targetILNS1_3genE5ELNS1_11target_archE942ELNS1_3gpuE9ELNS1_3repE0EEENS1_30default_config_static_selectorELNS0_4arch9wavefront6targetE1EEEvSK_,@function
_ZN7rocprim17ROCPRIM_400000_NS6detail17trampoline_kernelINS0_14default_configENS1_22reduce_config_selectorIsEEZNS1_11reduce_implILb1ES3_N6thrust23THRUST_200600_302600_NS6detail15normal_iteratorINS8_10device_ptrIsEEEEPss9plus_mod3IsEEE10hipError_tPvRmT1_T2_T3_mT4_P12ihipStream_tbEUlT_E1_NS1_11comp_targetILNS1_3genE5ELNS1_11target_archE942ELNS1_3gpuE9ELNS1_3repE0EEENS1_30default_config_static_selectorELNS0_4arch9wavefront6targetE1EEEvSK_: ; @_ZN7rocprim17ROCPRIM_400000_NS6detail17trampoline_kernelINS0_14default_configENS1_22reduce_config_selectorIsEEZNS1_11reduce_implILb1ES3_N6thrust23THRUST_200600_302600_NS6detail15normal_iteratorINS8_10device_ptrIsEEEEPss9plus_mod3IsEEE10hipError_tPvRmT1_T2_T3_mT4_P12ihipStream_tbEUlT_E1_NS1_11comp_targetILNS1_3genE5ELNS1_11target_archE942ELNS1_3gpuE9ELNS1_3repE0EEENS1_30default_config_static_selectorELNS0_4arch9wavefront6targetE1EEEvSK_
; %bb.0:
	.section	.rodata,"a",@progbits
	.p2align	6, 0x0
	.amdhsa_kernel _ZN7rocprim17ROCPRIM_400000_NS6detail17trampoline_kernelINS0_14default_configENS1_22reduce_config_selectorIsEEZNS1_11reduce_implILb1ES3_N6thrust23THRUST_200600_302600_NS6detail15normal_iteratorINS8_10device_ptrIsEEEEPss9plus_mod3IsEEE10hipError_tPvRmT1_T2_T3_mT4_P12ihipStream_tbEUlT_E1_NS1_11comp_targetILNS1_3genE5ELNS1_11target_archE942ELNS1_3gpuE9ELNS1_3repE0EEENS1_30default_config_static_selectorELNS0_4arch9wavefront6targetE1EEEvSK_
		.amdhsa_group_segment_fixed_size 0
		.amdhsa_private_segment_fixed_size 0
		.amdhsa_kernarg_size 48
		.amdhsa_user_sgpr_count 2
		.amdhsa_user_sgpr_dispatch_ptr 0
		.amdhsa_user_sgpr_queue_ptr 0
		.amdhsa_user_sgpr_kernarg_segment_ptr 1
		.amdhsa_user_sgpr_dispatch_id 0
		.amdhsa_user_sgpr_kernarg_preload_length 0
		.amdhsa_user_sgpr_kernarg_preload_offset 0
		.amdhsa_user_sgpr_private_segment_size 0
		.amdhsa_uses_dynamic_stack 0
		.amdhsa_enable_private_segment 0
		.amdhsa_system_sgpr_workgroup_id_x 1
		.amdhsa_system_sgpr_workgroup_id_y 0
		.amdhsa_system_sgpr_workgroup_id_z 0
		.amdhsa_system_sgpr_workgroup_info 0
		.amdhsa_system_vgpr_workitem_id 0
		.amdhsa_next_free_vgpr 1
		.amdhsa_next_free_sgpr 0
		.amdhsa_accum_offset 4
		.amdhsa_reserve_vcc 0
		.amdhsa_float_round_mode_32 0
		.amdhsa_float_round_mode_16_64 0
		.amdhsa_float_denorm_mode_32 3
		.amdhsa_float_denorm_mode_16_64 3
		.amdhsa_dx10_clamp 1
		.amdhsa_ieee_mode 1
		.amdhsa_fp16_overflow 0
		.amdhsa_tg_split 0
		.amdhsa_exception_fp_ieee_invalid_op 0
		.amdhsa_exception_fp_denorm_src 0
		.amdhsa_exception_fp_ieee_div_zero 0
		.amdhsa_exception_fp_ieee_overflow 0
		.amdhsa_exception_fp_ieee_underflow 0
		.amdhsa_exception_fp_ieee_inexact 0
		.amdhsa_exception_int_div_zero 0
	.end_amdhsa_kernel
	.section	.text._ZN7rocprim17ROCPRIM_400000_NS6detail17trampoline_kernelINS0_14default_configENS1_22reduce_config_selectorIsEEZNS1_11reduce_implILb1ES3_N6thrust23THRUST_200600_302600_NS6detail15normal_iteratorINS8_10device_ptrIsEEEEPss9plus_mod3IsEEE10hipError_tPvRmT1_T2_T3_mT4_P12ihipStream_tbEUlT_E1_NS1_11comp_targetILNS1_3genE5ELNS1_11target_archE942ELNS1_3gpuE9ELNS1_3repE0EEENS1_30default_config_static_selectorELNS0_4arch9wavefront6targetE1EEEvSK_,"axG",@progbits,_ZN7rocprim17ROCPRIM_400000_NS6detail17trampoline_kernelINS0_14default_configENS1_22reduce_config_selectorIsEEZNS1_11reduce_implILb1ES3_N6thrust23THRUST_200600_302600_NS6detail15normal_iteratorINS8_10device_ptrIsEEEEPss9plus_mod3IsEEE10hipError_tPvRmT1_T2_T3_mT4_P12ihipStream_tbEUlT_E1_NS1_11comp_targetILNS1_3genE5ELNS1_11target_archE942ELNS1_3gpuE9ELNS1_3repE0EEENS1_30default_config_static_selectorELNS0_4arch9wavefront6targetE1EEEvSK_,comdat
.Lfunc_end975:
	.size	_ZN7rocprim17ROCPRIM_400000_NS6detail17trampoline_kernelINS0_14default_configENS1_22reduce_config_selectorIsEEZNS1_11reduce_implILb1ES3_N6thrust23THRUST_200600_302600_NS6detail15normal_iteratorINS8_10device_ptrIsEEEEPss9plus_mod3IsEEE10hipError_tPvRmT1_T2_T3_mT4_P12ihipStream_tbEUlT_E1_NS1_11comp_targetILNS1_3genE5ELNS1_11target_archE942ELNS1_3gpuE9ELNS1_3repE0EEENS1_30default_config_static_selectorELNS0_4arch9wavefront6targetE1EEEvSK_, .Lfunc_end975-_ZN7rocprim17ROCPRIM_400000_NS6detail17trampoline_kernelINS0_14default_configENS1_22reduce_config_selectorIsEEZNS1_11reduce_implILb1ES3_N6thrust23THRUST_200600_302600_NS6detail15normal_iteratorINS8_10device_ptrIsEEEEPss9plus_mod3IsEEE10hipError_tPvRmT1_T2_T3_mT4_P12ihipStream_tbEUlT_E1_NS1_11comp_targetILNS1_3genE5ELNS1_11target_archE942ELNS1_3gpuE9ELNS1_3repE0EEENS1_30default_config_static_selectorELNS0_4arch9wavefront6targetE1EEEvSK_
                                        ; -- End function
	.set _ZN7rocprim17ROCPRIM_400000_NS6detail17trampoline_kernelINS0_14default_configENS1_22reduce_config_selectorIsEEZNS1_11reduce_implILb1ES3_N6thrust23THRUST_200600_302600_NS6detail15normal_iteratorINS8_10device_ptrIsEEEEPss9plus_mod3IsEEE10hipError_tPvRmT1_T2_T3_mT4_P12ihipStream_tbEUlT_E1_NS1_11comp_targetILNS1_3genE5ELNS1_11target_archE942ELNS1_3gpuE9ELNS1_3repE0EEENS1_30default_config_static_selectorELNS0_4arch9wavefront6targetE1EEEvSK_.num_vgpr, 0
	.set _ZN7rocprim17ROCPRIM_400000_NS6detail17trampoline_kernelINS0_14default_configENS1_22reduce_config_selectorIsEEZNS1_11reduce_implILb1ES3_N6thrust23THRUST_200600_302600_NS6detail15normal_iteratorINS8_10device_ptrIsEEEEPss9plus_mod3IsEEE10hipError_tPvRmT1_T2_T3_mT4_P12ihipStream_tbEUlT_E1_NS1_11comp_targetILNS1_3genE5ELNS1_11target_archE942ELNS1_3gpuE9ELNS1_3repE0EEENS1_30default_config_static_selectorELNS0_4arch9wavefront6targetE1EEEvSK_.num_agpr, 0
	.set _ZN7rocprim17ROCPRIM_400000_NS6detail17trampoline_kernelINS0_14default_configENS1_22reduce_config_selectorIsEEZNS1_11reduce_implILb1ES3_N6thrust23THRUST_200600_302600_NS6detail15normal_iteratorINS8_10device_ptrIsEEEEPss9plus_mod3IsEEE10hipError_tPvRmT1_T2_T3_mT4_P12ihipStream_tbEUlT_E1_NS1_11comp_targetILNS1_3genE5ELNS1_11target_archE942ELNS1_3gpuE9ELNS1_3repE0EEENS1_30default_config_static_selectorELNS0_4arch9wavefront6targetE1EEEvSK_.numbered_sgpr, 0
	.set _ZN7rocprim17ROCPRIM_400000_NS6detail17trampoline_kernelINS0_14default_configENS1_22reduce_config_selectorIsEEZNS1_11reduce_implILb1ES3_N6thrust23THRUST_200600_302600_NS6detail15normal_iteratorINS8_10device_ptrIsEEEEPss9plus_mod3IsEEE10hipError_tPvRmT1_T2_T3_mT4_P12ihipStream_tbEUlT_E1_NS1_11comp_targetILNS1_3genE5ELNS1_11target_archE942ELNS1_3gpuE9ELNS1_3repE0EEENS1_30default_config_static_selectorELNS0_4arch9wavefront6targetE1EEEvSK_.num_named_barrier, 0
	.set _ZN7rocprim17ROCPRIM_400000_NS6detail17trampoline_kernelINS0_14default_configENS1_22reduce_config_selectorIsEEZNS1_11reduce_implILb1ES3_N6thrust23THRUST_200600_302600_NS6detail15normal_iteratorINS8_10device_ptrIsEEEEPss9plus_mod3IsEEE10hipError_tPvRmT1_T2_T3_mT4_P12ihipStream_tbEUlT_E1_NS1_11comp_targetILNS1_3genE5ELNS1_11target_archE942ELNS1_3gpuE9ELNS1_3repE0EEENS1_30default_config_static_selectorELNS0_4arch9wavefront6targetE1EEEvSK_.private_seg_size, 0
	.set _ZN7rocprim17ROCPRIM_400000_NS6detail17trampoline_kernelINS0_14default_configENS1_22reduce_config_selectorIsEEZNS1_11reduce_implILb1ES3_N6thrust23THRUST_200600_302600_NS6detail15normal_iteratorINS8_10device_ptrIsEEEEPss9plus_mod3IsEEE10hipError_tPvRmT1_T2_T3_mT4_P12ihipStream_tbEUlT_E1_NS1_11comp_targetILNS1_3genE5ELNS1_11target_archE942ELNS1_3gpuE9ELNS1_3repE0EEENS1_30default_config_static_selectorELNS0_4arch9wavefront6targetE1EEEvSK_.uses_vcc, 0
	.set _ZN7rocprim17ROCPRIM_400000_NS6detail17trampoline_kernelINS0_14default_configENS1_22reduce_config_selectorIsEEZNS1_11reduce_implILb1ES3_N6thrust23THRUST_200600_302600_NS6detail15normal_iteratorINS8_10device_ptrIsEEEEPss9plus_mod3IsEEE10hipError_tPvRmT1_T2_T3_mT4_P12ihipStream_tbEUlT_E1_NS1_11comp_targetILNS1_3genE5ELNS1_11target_archE942ELNS1_3gpuE9ELNS1_3repE0EEENS1_30default_config_static_selectorELNS0_4arch9wavefront6targetE1EEEvSK_.uses_flat_scratch, 0
	.set _ZN7rocprim17ROCPRIM_400000_NS6detail17trampoline_kernelINS0_14default_configENS1_22reduce_config_selectorIsEEZNS1_11reduce_implILb1ES3_N6thrust23THRUST_200600_302600_NS6detail15normal_iteratorINS8_10device_ptrIsEEEEPss9plus_mod3IsEEE10hipError_tPvRmT1_T2_T3_mT4_P12ihipStream_tbEUlT_E1_NS1_11comp_targetILNS1_3genE5ELNS1_11target_archE942ELNS1_3gpuE9ELNS1_3repE0EEENS1_30default_config_static_selectorELNS0_4arch9wavefront6targetE1EEEvSK_.has_dyn_sized_stack, 0
	.set _ZN7rocprim17ROCPRIM_400000_NS6detail17trampoline_kernelINS0_14default_configENS1_22reduce_config_selectorIsEEZNS1_11reduce_implILb1ES3_N6thrust23THRUST_200600_302600_NS6detail15normal_iteratorINS8_10device_ptrIsEEEEPss9plus_mod3IsEEE10hipError_tPvRmT1_T2_T3_mT4_P12ihipStream_tbEUlT_E1_NS1_11comp_targetILNS1_3genE5ELNS1_11target_archE942ELNS1_3gpuE9ELNS1_3repE0EEENS1_30default_config_static_selectorELNS0_4arch9wavefront6targetE1EEEvSK_.has_recursion, 0
	.set _ZN7rocprim17ROCPRIM_400000_NS6detail17trampoline_kernelINS0_14default_configENS1_22reduce_config_selectorIsEEZNS1_11reduce_implILb1ES3_N6thrust23THRUST_200600_302600_NS6detail15normal_iteratorINS8_10device_ptrIsEEEEPss9plus_mod3IsEEE10hipError_tPvRmT1_T2_T3_mT4_P12ihipStream_tbEUlT_E1_NS1_11comp_targetILNS1_3genE5ELNS1_11target_archE942ELNS1_3gpuE9ELNS1_3repE0EEENS1_30default_config_static_selectorELNS0_4arch9wavefront6targetE1EEEvSK_.has_indirect_call, 0
	.section	.AMDGPU.csdata,"",@progbits
; Kernel info:
; codeLenInByte = 0
; TotalNumSgprs: 6
; NumVgprs: 0
; NumAgprs: 0
; TotalNumVgprs: 0
; ScratchSize: 0
; MemoryBound: 0
; FloatMode: 240
; IeeeMode: 1
; LDSByteSize: 0 bytes/workgroup (compile time only)
; SGPRBlocks: 0
; VGPRBlocks: 0
; NumSGPRsForWavesPerEU: 6
; NumVGPRsForWavesPerEU: 1
; AccumOffset: 4
; Occupancy: 8
; WaveLimiterHint : 0
; COMPUTE_PGM_RSRC2:SCRATCH_EN: 0
; COMPUTE_PGM_RSRC2:USER_SGPR: 2
; COMPUTE_PGM_RSRC2:TRAP_HANDLER: 0
; COMPUTE_PGM_RSRC2:TGID_X_EN: 1
; COMPUTE_PGM_RSRC2:TGID_Y_EN: 0
; COMPUTE_PGM_RSRC2:TGID_Z_EN: 0
; COMPUTE_PGM_RSRC2:TIDIG_COMP_CNT: 0
; COMPUTE_PGM_RSRC3_GFX90A:ACCUM_OFFSET: 0
; COMPUTE_PGM_RSRC3_GFX90A:TG_SPLIT: 0
	.section	.text._ZN7rocprim17ROCPRIM_400000_NS6detail17trampoline_kernelINS0_14default_configENS1_22reduce_config_selectorIsEEZNS1_11reduce_implILb1ES3_N6thrust23THRUST_200600_302600_NS6detail15normal_iteratorINS8_10device_ptrIsEEEEPss9plus_mod3IsEEE10hipError_tPvRmT1_T2_T3_mT4_P12ihipStream_tbEUlT_E1_NS1_11comp_targetILNS1_3genE4ELNS1_11target_archE910ELNS1_3gpuE8ELNS1_3repE0EEENS1_30default_config_static_selectorELNS0_4arch9wavefront6targetE1EEEvSK_,"axG",@progbits,_ZN7rocprim17ROCPRIM_400000_NS6detail17trampoline_kernelINS0_14default_configENS1_22reduce_config_selectorIsEEZNS1_11reduce_implILb1ES3_N6thrust23THRUST_200600_302600_NS6detail15normal_iteratorINS8_10device_ptrIsEEEEPss9plus_mod3IsEEE10hipError_tPvRmT1_T2_T3_mT4_P12ihipStream_tbEUlT_E1_NS1_11comp_targetILNS1_3genE4ELNS1_11target_archE910ELNS1_3gpuE8ELNS1_3repE0EEENS1_30default_config_static_selectorELNS0_4arch9wavefront6targetE1EEEvSK_,comdat
	.protected	_ZN7rocprim17ROCPRIM_400000_NS6detail17trampoline_kernelINS0_14default_configENS1_22reduce_config_selectorIsEEZNS1_11reduce_implILb1ES3_N6thrust23THRUST_200600_302600_NS6detail15normal_iteratorINS8_10device_ptrIsEEEEPss9plus_mod3IsEEE10hipError_tPvRmT1_T2_T3_mT4_P12ihipStream_tbEUlT_E1_NS1_11comp_targetILNS1_3genE4ELNS1_11target_archE910ELNS1_3gpuE8ELNS1_3repE0EEENS1_30default_config_static_selectorELNS0_4arch9wavefront6targetE1EEEvSK_ ; -- Begin function _ZN7rocprim17ROCPRIM_400000_NS6detail17trampoline_kernelINS0_14default_configENS1_22reduce_config_selectorIsEEZNS1_11reduce_implILb1ES3_N6thrust23THRUST_200600_302600_NS6detail15normal_iteratorINS8_10device_ptrIsEEEEPss9plus_mod3IsEEE10hipError_tPvRmT1_T2_T3_mT4_P12ihipStream_tbEUlT_E1_NS1_11comp_targetILNS1_3genE4ELNS1_11target_archE910ELNS1_3gpuE8ELNS1_3repE0EEENS1_30default_config_static_selectorELNS0_4arch9wavefront6targetE1EEEvSK_
	.globl	_ZN7rocprim17ROCPRIM_400000_NS6detail17trampoline_kernelINS0_14default_configENS1_22reduce_config_selectorIsEEZNS1_11reduce_implILb1ES3_N6thrust23THRUST_200600_302600_NS6detail15normal_iteratorINS8_10device_ptrIsEEEEPss9plus_mod3IsEEE10hipError_tPvRmT1_T2_T3_mT4_P12ihipStream_tbEUlT_E1_NS1_11comp_targetILNS1_3genE4ELNS1_11target_archE910ELNS1_3gpuE8ELNS1_3repE0EEENS1_30default_config_static_selectorELNS0_4arch9wavefront6targetE1EEEvSK_
	.p2align	8
	.type	_ZN7rocprim17ROCPRIM_400000_NS6detail17trampoline_kernelINS0_14default_configENS1_22reduce_config_selectorIsEEZNS1_11reduce_implILb1ES3_N6thrust23THRUST_200600_302600_NS6detail15normal_iteratorINS8_10device_ptrIsEEEEPss9plus_mod3IsEEE10hipError_tPvRmT1_T2_T3_mT4_P12ihipStream_tbEUlT_E1_NS1_11comp_targetILNS1_3genE4ELNS1_11target_archE910ELNS1_3gpuE8ELNS1_3repE0EEENS1_30default_config_static_selectorELNS0_4arch9wavefront6targetE1EEEvSK_,@function
_ZN7rocprim17ROCPRIM_400000_NS6detail17trampoline_kernelINS0_14default_configENS1_22reduce_config_selectorIsEEZNS1_11reduce_implILb1ES3_N6thrust23THRUST_200600_302600_NS6detail15normal_iteratorINS8_10device_ptrIsEEEEPss9plus_mod3IsEEE10hipError_tPvRmT1_T2_T3_mT4_P12ihipStream_tbEUlT_E1_NS1_11comp_targetILNS1_3genE4ELNS1_11target_archE910ELNS1_3gpuE8ELNS1_3repE0EEENS1_30default_config_static_selectorELNS0_4arch9wavefront6targetE1EEEvSK_: ; @_ZN7rocprim17ROCPRIM_400000_NS6detail17trampoline_kernelINS0_14default_configENS1_22reduce_config_selectorIsEEZNS1_11reduce_implILb1ES3_N6thrust23THRUST_200600_302600_NS6detail15normal_iteratorINS8_10device_ptrIsEEEEPss9plus_mod3IsEEE10hipError_tPvRmT1_T2_T3_mT4_P12ihipStream_tbEUlT_E1_NS1_11comp_targetILNS1_3genE4ELNS1_11target_archE910ELNS1_3gpuE8ELNS1_3repE0EEENS1_30default_config_static_selectorELNS0_4arch9wavefront6targetE1EEEvSK_
; %bb.0:
	.section	.rodata,"a",@progbits
	.p2align	6, 0x0
	.amdhsa_kernel _ZN7rocprim17ROCPRIM_400000_NS6detail17trampoline_kernelINS0_14default_configENS1_22reduce_config_selectorIsEEZNS1_11reduce_implILb1ES3_N6thrust23THRUST_200600_302600_NS6detail15normal_iteratorINS8_10device_ptrIsEEEEPss9plus_mod3IsEEE10hipError_tPvRmT1_T2_T3_mT4_P12ihipStream_tbEUlT_E1_NS1_11comp_targetILNS1_3genE4ELNS1_11target_archE910ELNS1_3gpuE8ELNS1_3repE0EEENS1_30default_config_static_selectorELNS0_4arch9wavefront6targetE1EEEvSK_
		.amdhsa_group_segment_fixed_size 0
		.amdhsa_private_segment_fixed_size 0
		.amdhsa_kernarg_size 48
		.amdhsa_user_sgpr_count 2
		.amdhsa_user_sgpr_dispatch_ptr 0
		.amdhsa_user_sgpr_queue_ptr 0
		.amdhsa_user_sgpr_kernarg_segment_ptr 1
		.amdhsa_user_sgpr_dispatch_id 0
		.amdhsa_user_sgpr_kernarg_preload_length 0
		.amdhsa_user_sgpr_kernarg_preload_offset 0
		.amdhsa_user_sgpr_private_segment_size 0
		.amdhsa_uses_dynamic_stack 0
		.amdhsa_enable_private_segment 0
		.amdhsa_system_sgpr_workgroup_id_x 1
		.amdhsa_system_sgpr_workgroup_id_y 0
		.amdhsa_system_sgpr_workgroup_id_z 0
		.amdhsa_system_sgpr_workgroup_info 0
		.amdhsa_system_vgpr_workitem_id 0
		.amdhsa_next_free_vgpr 1
		.amdhsa_next_free_sgpr 0
		.amdhsa_accum_offset 4
		.amdhsa_reserve_vcc 0
		.amdhsa_float_round_mode_32 0
		.amdhsa_float_round_mode_16_64 0
		.amdhsa_float_denorm_mode_32 3
		.amdhsa_float_denorm_mode_16_64 3
		.amdhsa_dx10_clamp 1
		.amdhsa_ieee_mode 1
		.amdhsa_fp16_overflow 0
		.amdhsa_tg_split 0
		.amdhsa_exception_fp_ieee_invalid_op 0
		.amdhsa_exception_fp_denorm_src 0
		.amdhsa_exception_fp_ieee_div_zero 0
		.amdhsa_exception_fp_ieee_overflow 0
		.amdhsa_exception_fp_ieee_underflow 0
		.amdhsa_exception_fp_ieee_inexact 0
		.amdhsa_exception_int_div_zero 0
	.end_amdhsa_kernel
	.section	.text._ZN7rocprim17ROCPRIM_400000_NS6detail17trampoline_kernelINS0_14default_configENS1_22reduce_config_selectorIsEEZNS1_11reduce_implILb1ES3_N6thrust23THRUST_200600_302600_NS6detail15normal_iteratorINS8_10device_ptrIsEEEEPss9plus_mod3IsEEE10hipError_tPvRmT1_T2_T3_mT4_P12ihipStream_tbEUlT_E1_NS1_11comp_targetILNS1_3genE4ELNS1_11target_archE910ELNS1_3gpuE8ELNS1_3repE0EEENS1_30default_config_static_selectorELNS0_4arch9wavefront6targetE1EEEvSK_,"axG",@progbits,_ZN7rocprim17ROCPRIM_400000_NS6detail17trampoline_kernelINS0_14default_configENS1_22reduce_config_selectorIsEEZNS1_11reduce_implILb1ES3_N6thrust23THRUST_200600_302600_NS6detail15normal_iteratorINS8_10device_ptrIsEEEEPss9plus_mod3IsEEE10hipError_tPvRmT1_T2_T3_mT4_P12ihipStream_tbEUlT_E1_NS1_11comp_targetILNS1_3genE4ELNS1_11target_archE910ELNS1_3gpuE8ELNS1_3repE0EEENS1_30default_config_static_selectorELNS0_4arch9wavefront6targetE1EEEvSK_,comdat
.Lfunc_end976:
	.size	_ZN7rocprim17ROCPRIM_400000_NS6detail17trampoline_kernelINS0_14default_configENS1_22reduce_config_selectorIsEEZNS1_11reduce_implILb1ES3_N6thrust23THRUST_200600_302600_NS6detail15normal_iteratorINS8_10device_ptrIsEEEEPss9plus_mod3IsEEE10hipError_tPvRmT1_T2_T3_mT4_P12ihipStream_tbEUlT_E1_NS1_11comp_targetILNS1_3genE4ELNS1_11target_archE910ELNS1_3gpuE8ELNS1_3repE0EEENS1_30default_config_static_selectorELNS0_4arch9wavefront6targetE1EEEvSK_, .Lfunc_end976-_ZN7rocprim17ROCPRIM_400000_NS6detail17trampoline_kernelINS0_14default_configENS1_22reduce_config_selectorIsEEZNS1_11reduce_implILb1ES3_N6thrust23THRUST_200600_302600_NS6detail15normal_iteratorINS8_10device_ptrIsEEEEPss9plus_mod3IsEEE10hipError_tPvRmT1_T2_T3_mT4_P12ihipStream_tbEUlT_E1_NS1_11comp_targetILNS1_3genE4ELNS1_11target_archE910ELNS1_3gpuE8ELNS1_3repE0EEENS1_30default_config_static_selectorELNS0_4arch9wavefront6targetE1EEEvSK_
                                        ; -- End function
	.set _ZN7rocprim17ROCPRIM_400000_NS6detail17trampoline_kernelINS0_14default_configENS1_22reduce_config_selectorIsEEZNS1_11reduce_implILb1ES3_N6thrust23THRUST_200600_302600_NS6detail15normal_iteratorINS8_10device_ptrIsEEEEPss9plus_mod3IsEEE10hipError_tPvRmT1_T2_T3_mT4_P12ihipStream_tbEUlT_E1_NS1_11comp_targetILNS1_3genE4ELNS1_11target_archE910ELNS1_3gpuE8ELNS1_3repE0EEENS1_30default_config_static_selectorELNS0_4arch9wavefront6targetE1EEEvSK_.num_vgpr, 0
	.set _ZN7rocprim17ROCPRIM_400000_NS6detail17trampoline_kernelINS0_14default_configENS1_22reduce_config_selectorIsEEZNS1_11reduce_implILb1ES3_N6thrust23THRUST_200600_302600_NS6detail15normal_iteratorINS8_10device_ptrIsEEEEPss9plus_mod3IsEEE10hipError_tPvRmT1_T2_T3_mT4_P12ihipStream_tbEUlT_E1_NS1_11comp_targetILNS1_3genE4ELNS1_11target_archE910ELNS1_3gpuE8ELNS1_3repE0EEENS1_30default_config_static_selectorELNS0_4arch9wavefront6targetE1EEEvSK_.num_agpr, 0
	.set _ZN7rocprim17ROCPRIM_400000_NS6detail17trampoline_kernelINS0_14default_configENS1_22reduce_config_selectorIsEEZNS1_11reduce_implILb1ES3_N6thrust23THRUST_200600_302600_NS6detail15normal_iteratorINS8_10device_ptrIsEEEEPss9plus_mod3IsEEE10hipError_tPvRmT1_T2_T3_mT4_P12ihipStream_tbEUlT_E1_NS1_11comp_targetILNS1_3genE4ELNS1_11target_archE910ELNS1_3gpuE8ELNS1_3repE0EEENS1_30default_config_static_selectorELNS0_4arch9wavefront6targetE1EEEvSK_.numbered_sgpr, 0
	.set _ZN7rocprim17ROCPRIM_400000_NS6detail17trampoline_kernelINS0_14default_configENS1_22reduce_config_selectorIsEEZNS1_11reduce_implILb1ES3_N6thrust23THRUST_200600_302600_NS6detail15normal_iteratorINS8_10device_ptrIsEEEEPss9plus_mod3IsEEE10hipError_tPvRmT1_T2_T3_mT4_P12ihipStream_tbEUlT_E1_NS1_11comp_targetILNS1_3genE4ELNS1_11target_archE910ELNS1_3gpuE8ELNS1_3repE0EEENS1_30default_config_static_selectorELNS0_4arch9wavefront6targetE1EEEvSK_.num_named_barrier, 0
	.set _ZN7rocprim17ROCPRIM_400000_NS6detail17trampoline_kernelINS0_14default_configENS1_22reduce_config_selectorIsEEZNS1_11reduce_implILb1ES3_N6thrust23THRUST_200600_302600_NS6detail15normal_iteratorINS8_10device_ptrIsEEEEPss9plus_mod3IsEEE10hipError_tPvRmT1_T2_T3_mT4_P12ihipStream_tbEUlT_E1_NS1_11comp_targetILNS1_3genE4ELNS1_11target_archE910ELNS1_3gpuE8ELNS1_3repE0EEENS1_30default_config_static_selectorELNS0_4arch9wavefront6targetE1EEEvSK_.private_seg_size, 0
	.set _ZN7rocprim17ROCPRIM_400000_NS6detail17trampoline_kernelINS0_14default_configENS1_22reduce_config_selectorIsEEZNS1_11reduce_implILb1ES3_N6thrust23THRUST_200600_302600_NS6detail15normal_iteratorINS8_10device_ptrIsEEEEPss9plus_mod3IsEEE10hipError_tPvRmT1_T2_T3_mT4_P12ihipStream_tbEUlT_E1_NS1_11comp_targetILNS1_3genE4ELNS1_11target_archE910ELNS1_3gpuE8ELNS1_3repE0EEENS1_30default_config_static_selectorELNS0_4arch9wavefront6targetE1EEEvSK_.uses_vcc, 0
	.set _ZN7rocprim17ROCPRIM_400000_NS6detail17trampoline_kernelINS0_14default_configENS1_22reduce_config_selectorIsEEZNS1_11reduce_implILb1ES3_N6thrust23THRUST_200600_302600_NS6detail15normal_iteratorINS8_10device_ptrIsEEEEPss9plus_mod3IsEEE10hipError_tPvRmT1_T2_T3_mT4_P12ihipStream_tbEUlT_E1_NS1_11comp_targetILNS1_3genE4ELNS1_11target_archE910ELNS1_3gpuE8ELNS1_3repE0EEENS1_30default_config_static_selectorELNS0_4arch9wavefront6targetE1EEEvSK_.uses_flat_scratch, 0
	.set _ZN7rocprim17ROCPRIM_400000_NS6detail17trampoline_kernelINS0_14default_configENS1_22reduce_config_selectorIsEEZNS1_11reduce_implILb1ES3_N6thrust23THRUST_200600_302600_NS6detail15normal_iteratorINS8_10device_ptrIsEEEEPss9plus_mod3IsEEE10hipError_tPvRmT1_T2_T3_mT4_P12ihipStream_tbEUlT_E1_NS1_11comp_targetILNS1_3genE4ELNS1_11target_archE910ELNS1_3gpuE8ELNS1_3repE0EEENS1_30default_config_static_selectorELNS0_4arch9wavefront6targetE1EEEvSK_.has_dyn_sized_stack, 0
	.set _ZN7rocprim17ROCPRIM_400000_NS6detail17trampoline_kernelINS0_14default_configENS1_22reduce_config_selectorIsEEZNS1_11reduce_implILb1ES3_N6thrust23THRUST_200600_302600_NS6detail15normal_iteratorINS8_10device_ptrIsEEEEPss9plus_mod3IsEEE10hipError_tPvRmT1_T2_T3_mT4_P12ihipStream_tbEUlT_E1_NS1_11comp_targetILNS1_3genE4ELNS1_11target_archE910ELNS1_3gpuE8ELNS1_3repE0EEENS1_30default_config_static_selectorELNS0_4arch9wavefront6targetE1EEEvSK_.has_recursion, 0
	.set _ZN7rocprim17ROCPRIM_400000_NS6detail17trampoline_kernelINS0_14default_configENS1_22reduce_config_selectorIsEEZNS1_11reduce_implILb1ES3_N6thrust23THRUST_200600_302600_NS6detail15normal_iteratorINS8_10device_ptrIsEEEEPss9plus_mod3IsEEE10hipError_tPvRmT1_T2_T3_mT4_P12ihipStream_tbEUlT_E1_NS1_11comp_targetILNS1_3genE4ELNS1_11target_archE910ELNS1_3gpuE8ELNS1_3repE0EEENS1_30default_config_static_selectorELNS0_4arch9wavefront6targetE1EEEvSK_.has_indirect_call, 0
	.section	.AMDGPU.csdata,"",@progbits
; Kernel info:
; codeLenInByte = 0
; TotalNumSgprs: 6
; NumVgprs: 0
; NumAgprs: 0
; TotalNumVgprs: 0
; ScratchSize: 0
; MemoryBound: 0
; FloatMode: 240
; IeeeMode: 1
; LDSByteSize: 0 bytes/workgroup (compile time only)
; SGPRBlocks: 0
; VGPRBlocks: 0
; NumSGPRsForWavesPerEU: 6
; NumVGPRsForWavesPerEU: 1
; AccumOffset: 4
; Occupancy: 8
; WaveLimiterHint : 0
; COMPUTE_PGM_RSRC2:SCRATCH_EN: 0
; COMPUTE_PGM_RSRC2:USER_SGPR: 2
; COMPUTE_PGM_RSRC2:TRAP_HANDLER: 0
; COMPUTE_PGM_RSRC2:TGID_X_EN: 1
; COMPUTE_PGM_RSRC2:TGID_Y_EN: 0
; COMPUTE_PGM_RSRC2:TGID_Z_EN: 0
; COMPUTE_PGM_RSRC2:TIDIG_COMP_CNT: 0
; COMPUTE_PGM_RSRC3_GFX90A:ACCUM_OFFSET: 0
; COMPUTE_PGM_RSRC3_GFX90A:TG_SPLIT: 0
	.section	.text._ZN7rocprim17ROCPRIM_400000_NS6detail17trampoline_kernelINS0_14default_configENS1_22reduce_config_selectorIsEEZNS1_11reduce_implILb1ES3_N6thrust23THRUST_200600_302600_NS6detail15normal_iteratorINS8_10device_ptrIsEEEEPss9plus_mod3IsEEE10hipError_tPvRmT1_T2_T3_mT4_P12ihipStream_tbEUlT_E1_NS1_11comp_targetILNS1_3genE3ELNS1_11target_archE908ELNS1_3gpuE7ELNS1_3repE0EEENS1_30default_config_static_selectorELNS0_4arch9wavefront6targetE1EEEvSK_,"axG",@progbits,_ZN7rocprim17ROCPRIM_400000_NS6detail17trampoline_kernelINS0_14default_configENS1_22reduce_config_selectorIsEEZNS1_11reduce_implILb1ES3_N6thrust23THRUST_200600_302600_NS6detail15normal_iteratorINS8_10device_ptrIsEEEEPss9plus_mod3IsEEE10hipError_tPvRmT1_T2_T3_mT4_P12ihipStream_tbEUlT_E1_NS1_11comp_targetILNS1_3genE3ELNS1_11target_archE908ELNS1_3gpuE7ELNS1_3repE0EEENS1_30default_config_static_selectorELNS0_4arch9wavefront6targetE1EEEvSK_,comdat
	.protected	_ZN7rocprim17ROCPRIM_400000_NS6detail17trampoline_kernelINS0_14default_configENS1_22reduce_config_selectorIsEEZNS1_11reduce_implILb1ES3_N6thrust23THRUST_200600_302600_NS6detail15normal_iteratorINS8_10device_ptrIsEEEEPss9plus_mod3IsEEE10hipError_tPvRmT1_T2_T3_mT4_P12ihipStream_tbEUlT_E1_NS1_11comp_targetILNS1_3genE3ELNS1_11target_archE908ELNS1_3gpuE7ELNS1_3repE0EEENS1_30default_config_static_selectorELNS0_4arch9wavefront6targetE1EEEvSK_ ; -- Begin function _ZN7rocprim17ROCPRIM_400000_NS6detail17trampoline_kernelINS0_14default_configENS1_22reduce_config_selectorIsEEZNS1_11reduce_implILb1ES3_N6thrust23THRUST_200600_302600_NS6detail15normal_iteratorINS8_10device_ptrIsEEEEPss9plus_mod3IsEEE10hipError_tPvRmT1_T2_T3_mT4_P12ihipStream_tbEUlT_E1_NS1_11comp_targetILNS1_3genE3ELNS1_11target_archE908ELNS1_3gpuE7ELNS1_3repE0EEENS1_30default_config_static_selectorELNS0_4arch9wavefront6targetE1EEEvSK_
	.globl	_ZN7rocprim17ROCPRIM_400000_NS6detail17trampoline_kernelINS0_14default_configENS1_22reduce_config_selectorIsEEZNS1_11reduce_implILb1ES3_N6thrust23THRUST_200600_302600_NS6detail15normal_iteratorINS8_10device_ptrIsEEEEPss9plus_mod3IsEEE10hipError_tPvRmT1_T2_T3_mT4_P12ihipStream_tbEUlT_E1_NS1_11comp_targetILNS1_3genE3ELNS1_11target_archE908ELNS1_3gpuE7ELNS1_3repE0EEENS1_30default_config_static_selectorELNS0_4arch9wavefront6targetE1EEEvSK_
	.p2align	8
	.type	_ZN7rocprim17ROCPRIM_400000_NS6detail17trampoline_kernelINS0_14default_configENS1_22reduce_config_selectorIsEEZNS1_11reduce_implILb1ES3_N6thrust23THRUST_200600_302600_NS6detail15normal_iteratorINS8_10device_ptrIsEEEEPss9plus_mod3IsEEE10hipError_tPvRmT1_T2_T3_mT4_P12ihipStream_tbEUlT_E1_NS1_11comp_targetILNS1_3genE3ELNS1_11target_archE908ELNS1_3gpuE7ELNS1_3repE0EEENS1_30default_config_static_selectorELNS0_4arch9wavefront6targetE1EEEvSK_,@function
_ZN7rocprim17ROCPRIM_400000_NS6detail17trampoline_kernelINS0_14default_configENS1_22reduce_config_selectorIsEEZNS1_11reduce_implILb1ES3_N6thrust23THRUST_200600_302600_NS6detail15normal_iteratorINS8_10device_ptrIsEEEEPss9plus_mod3IsEEE10hipError_tPvRmT1_T2_T3_mT4_P12ihipStream_tbEUlT_E1_NS1_11comp_targetILNS1_3genE3ELNS1_11target_archE908ELNS1_3gpuE7ELNS1_3repE0EEENS1_30default_config_static_selectorELNS0_4arch9wavefront6targetE1EEEvSK_: ; @_ZN7rocprim17ROCPRIM_400000_NS6detail17trampoline_kernelINS0_14default_configENS1_22reduce_config_selectorIsEEZNS1_11reduce_implILb1ES3_N6thrust23THRUST_200600_302600_NS6detail15normal_iteratorINS8_10device_ptrIsEEEEPss9plus_mod3IsEEE10hipError_tPvRmT1_T2_T3_mT4_P12ihipStream_tbEUlT_E1_NS1_11comp_targetILNS1_3genE3ELNS1_11target_archE908ELNS1_3gpuE7ELNS1_3repE0EEENS1_30default_config_static_selectorELNS0_4arch9wavefront6targetE1EEEvSK_
; %bb.0:
	.section	.rodata,"a",@progbits
	.p2align	6, 0x0
	.amdhsa_kernel _ZN7rocprim17ROCPRIM_400000_NS6detail17trampoline_kernelINS0_14default_configENS1_22reduce_config_selectorIsEEZNS1_11reduce_implILb1ES3_N6thrust23THRUST_200600_302600_NS6detail15normal_iteratorINS8_10device_ptrIsEEEEPss9plus_mod3IsEEE10hipError_tPvRmT1_T2_T3_mT4_P12ihipStream_tbEUlT_E1_NS1_11comp_targetILNS1_3genE3ELNS1_11target_archE908ELNS1_3gpuE7ELNS1_3repE0EEENS1_30default_config_static_selectorELNS0_4arch9wavefront6targetE1EEEvSK_
		.amdhsa_group_segment_fixed_size 0
		.amdhsa_private_segment_fixed_size 0
		.amdhsa_kernarg_size 48
		.amdhsa_user_sgpr_count 2
		.amdhsa_user_sgpr_dispatch_ptr 0
		.amdhsa_user_sgpr_queue_ptr 0
		.amdhsa_user_sgpr_kernarg_segment_ptr 1
		.amdhsa_user_sgpr_dispatch_id 0
		.amdhsa_user_sgpr_kernarg_preload_length 0
		.amdhsa_user_sgpr_kernarg_preload_offset 0
		.amdhsa_user_sgpr_private_segment_size 0
		.amdhsa_uses_dynamic_stack 0
		.amdhsa_enable_private_segment 0
		.amdhsa_system_sgpr_workgroup_id_x 1
		.amdhsa_system_sgpr_workgroup_id_y 0
		.amdhsa_system_sgpr_workgroup_id_z 0
		.amdhsa_system_sgpr_workgroup_info 0
		.amdhsa_system_vgpr_workitem_id 0
		.amdhsa_next_free_vgpr 1
		.amdhsa_next_free_sgpr 0
		.amdhsa_accum_offset 4
		.amdhsa_reserve_vcc 0
		.amdhsa_float_round_mode_32 0
		.amdhsa_float_round_mode_16_64 0
		.amdhsa_float_denorm_mode_32 3
		.amdhsa_float_denorm_mode_16_64 3
		.amdhsa_dx10_clamp 1
		.amdhsa_ieee_mode 1
		.amdhsa_fp16_overflow 0
		.amdhsa_tg_split 0
		.amdhsa_exception_fp_ieee_invalid_op 0
		.amdhsa_exception_fp_denorm_src 0
		.amdhsa_exception_fp_ieee_div_zero 0
		.amdhsa_exception_fp_ieee_overflow 0
		.amdhsa_exception_fp_ieee_underflow 0
		.amdhsa_exception_fp_ieee_inexact 0
		.amdhsa_exception_int_div_zero 0
	.end_amdhsa_kernel
	.section	.text._ZN7rocprim17ROCPRIM_400000_NS6detail17trampoline_kernelINS0_14default_configENS1_22reduce_config_selectorIsEEZNS1_11reduce_implILb1ES3_N6thrust23THRUST_200600_302600_NS6detail15normal_iteratorINS8_10device_ptrIsEEEEPss9plus_mod3IsEEE10hipError_tPvRmT1_T2_T3_mT4_P12ihipStream_tbEUlT_E1_NS1_11comp_targetILNS1_3genE3ELNS1_11target_archE908ELNS1_3gpuE7ELNS1_3repE0EEENS1_30default_config_static_selectorELNS0_4arch9wavefront6targetE1EEEvSK_,"axG",@progbits,_ZN7rocprim17ROCPRIM_400000_NS6detail17trampoline_kernelINS0_14default_configENS1_22reduce_config_selectorIsEEZNS1_11reduce_implILb1ES3_N6thrust23THRUST_200600_302600_NS6detail15normal_iteratorINS8_10device_ptrIsEEEEPss9plus_mod3IsEEE10hipError_tPvRmT1_T2_T3_mT4_P12ihipStream_tbEUlT_E1_NS1_11comp_targetILNS1_3genE3ELNS1_11target_archE908ELNS1_3gpuE7ELNS1_3repE0EEENS1_30default_config_static_selectorELNS0_4arch9wavefront6targetE1EEEvSK_,comdat
.Lfunc_end977:
	.size	_ZN7rocprim17ROCPRIM_400000_NS6detail17trampoline_kernelINS0_14default_configENS1_22reduce_config_selectorIsEEZNS1_11reduce_implILb1ES3_N6thrust23THRUST_200600_302600_NS6detail15normal_iteratorINS8_10device_ptrIsEEEEPss9plus_mod3IsEEE10hipError_tPvRmT1_T2_T3_mT4_P12ihipStream_tbEUlT_E1_NS1_11comp_targetILNS1_3genE3ELNS1_11target_archE908ELNS1_3gpuE7ELNS1_3repE0EEENS1_30default_config_static_selectorELNS0_4arch9wavefront6targetE1EEEvSK_, .Lfunc_end977-_ZN7rocprim17ROCPRIM_400000_NS6detail17trampoline_kernelINS0_14default_configENS1_22reduce_config_selectorIsEEZNS1_11reduce_implILb1ES3_N6thrust23THRUST_200600_302600_NS6detail15normal_iteratorINS8_10device_ptrIsEEEEPss9plus_mod3IsEEE10hipError_tPvRmT1_T2_T3_mT4_P12ihipStream_tbEUlT_E1_NS1_11comp_targetILNS1_3genE3ELNS1_11target_archE908ELNS1_3gpuE7ELNS1_3repE0EEENS1_30default_config_static_selectorELNS0_4arch9wavefront6targetE1EEEvSK_
                                        ; -- End function
	.set _ZN7rocprim17ROCPRIM_400000_NS6detail17trampoline_kernelINS0_14default_configENS1_22reduce_config_selectorIsEEZNS1_11reduce_implILb1ES3_N6thrust23THRUST_200600_302600_NS6detail15normal_iteratorINS8_10device_ptrIsEEEEPss9plus_mod3IsEEE10hipError_tPvRmT1_T2_T3_mT4_P12ihipStream_tbEUlT_E1_NS1_11comp_targetILNS1_3genE3ELNS1_11target_archE908ELNS1_3gpuE7ELNS1_3repE0EEENS1_30default_config_static_selectorELNS0_4arch9wavefront6targetE1EEEvSK_.num_vgpr, 0
	.set _ZN7rocprim17ROCPRIM_400000_NS6detail17trampoline_kernelINS0_14default_configENS1_22reduce_config_selectorIsEEZNS1_11reduce_implILb1ES3_N6thrust23THRUST_200600_302600_NS6detail15normal_iteratorINS8_10device_ptrIsEEEEPss9plus_mod3IsEEE10hipError_tPvRmT1_T2_T3_mT4_P12ihipStream_tbEUlT_E1_NS1_11comp_targetILNS1_3genE3ELNS1_11target_archE908ELNS1_3gpuE7ELNS1_3repE0EEENS1_30default_config_static_selectorELNS0_4arch9wavefront6targetE1EEEvSK_.num_agpr, 0
	.set _ZN7rocprim17ROCPRIM_400000_NS6detail17trampoline_kernelINS0_14default_configENS1_22reduce_config_selectorIsEEZNS1_11reduce_implILb1ES3_N6thrust23THRUST_200600_302600_NS6detail15normal_iteratorINS8_10device_ptrIsEEEEPss9plus_mod3IsEEE10hipError_tPvRmT1_T2_T3_mT4_P12ihipStream_tbEUlT_E1_NS1_11comp_targetILNS1_3genE3ELNS1_11target_archE908ELNS1_3gpuE7ELNS1_3repE0EEENS1_30default_config_static_selectorELNS0_4arch9wavefront6targetE1EEEvSK_.numbered_sgpr, 0
	.set _ZN7rocprim17ROCPRIM_400000_NS6detail17trampoline_kernelINS0_14default_configENS1_22reduce_config_selectorIsEEZNS1_11reduce_implILb1ES3_N6thrust23THRUST_200600_302600_NS6detail15normal_iteratorINS8_10device_ptrIsEEEEPss9plus_mod3IsEEE10hipError_tPvRmT1_T2_T3_mT4_P12ihipStream_tbEUlT_E1_NS1_11comp_targetILNS1_3genE3ELNS1_11target_archE908ELNS1_3gpuE7ELNS1_3repE0EEENS1_30default_config_static_selectorELNS0_4arch9wavefront6targetE1EEEvSK_.num_named_barrier, 0
	.set _ZN7rocprim17ROCPRIM_400000_NS6detail17trampoline_kernelINS0_14default_configENS1_22reduce_config_selectorIsEEZNS1_11reduce_implILb1ES3_N6thrust23THRUST_200600_302600_NS6detail15normal_iteratorINS8_10device_ptrIsEEEEPss9plus_mod3IsEEE10hipError_tPvRmT1_T2_T3_mT4_P12ihipStream_tbEUlT_E1_NS1_11comp_targetILNS1_3genE3ELNS1_11target_archE908ELNS1_3gpuE7ELNS1_3repE0EEENS1_30default_config_static_selectorELNS0_4arch9wavefront6targetE1EEEvSK_.private_seg_size, 0
	.set _ZN7rocprim17ROCPRIM_400000_NS6detail17trampoline_kernelINS0_14default_configENS1_22reduce_config_selectorIsEEZNS1_11reduce_implILb1ES3_N6thrust23THRUST_200600_302600_NS6detail15normal_iteratorINS8_10device_ptrIsEEEEPss9plus_mod3IsEEE10hipError_tPvRmT1_T2_T3_mT4_P12ihipStream_tbEUlT_E1_NS1_11comp_targetILNS1_3genE3ELNS1_11target_archE908ELNS1_3gpuE7ELNS1_3repE0EEENS1_30default_config_static_selectorELNS0_4arch9wavefront6targetE1EEEvSK_.uses_vcc, 0
	.set _ZN7rocprim17ROCPRIM_400000_NS6detail17trampoline_kernelINS0_14default_configENS1_22reduce_config_selectorIsEEZNS1_11reduce_implILb1ES3_N6thrust23THRUST_200600_302600_NS6detail15normal_iteratorINS8_10device_ptrIsEEEEPss9plus_mod3IsEEE10hipError_tPvRmT1_T2_T3_mT4_P12ihipStream_tbEUlT_E1_NS1_11comp_targetILNS1_3genE3ELNS1_11target_archE908ELNS1_3gpuE7ELNS1_3repE0EEENS1_30default_config_static_selectorELNS0_4arch9wavefront6targetE1EEEvSK_.uses_flat_scratch, 0
	.set _ZN7rocprim17ROCPRIM_400000_NS6detail17trampoline_kernelINS0_14default_configENS1_22reduce_config_selectorIsEEZNS1_11reduce_implILb1ES3_N6thrust23THRUST_200600_302600_NS6detail15normal_iteratorINS8_10device_ptrIsEEEEPss9plus_mod3IsEEE10hipError_tPvRmT1_T2_T3_mT4_P12ihipStream_tbEUlT_E1_NS1_11comp_targetILNS1_3genE3ELNS1_11target_archE908ELNS1_3gpuE7ELNS1_3repE0EEENS1_30default_config_static_selectorELNS0_4arch9wavefront6targetE1EEEvSK_.has_dyn_sized_stack, 0
	.set _ZN7rocprim17ROCPRIM_400000_NS6detail17trampoline_kernelINS0_14default_configENS1_22reduce_config_selectorIsEEZNS1_11reduce_implILb1ES3_N6thrust23THRUST_200600_302600_NS6detail15normal_iteratorINS8_10device_ptrIsEEEEPss9plus_mod3IsEEE10hipError_tPvRmT1_T2_T3_mT4_P12ihipStream_tbEUlT_E1_NS1_11comp_targetILNS1_3genE3ELNS1_11target_archE908ELNS1_3gpuE7ELNS1_3repE0EEENS1_30default_config_static_selectorELNS0_4arch9wavefront6targetE1EEEvSK_.has_recursion, 0
	.set _ZN7rocprim17ROCPRIM_400000_NS6detail17trampoline_kernelINS0_14default_configENS1_22reduce_config_selectorIsEEZNS1_11reduce_implILb1ES3_N6thrust23THRUST_200600_302600_NS6detail15normal_iteratorINS8_10device_ptrIsEEEEPss9plus_mod3IsEEE10hipError_tPvRmT1_T2_T3_mT4_P12ihipStream_tbEUlT_E1_NS1_11comp_targetILNS1_3genE3ELNS1_11target_archE908ELNS1_3gpuE7ELNS1_3repE0EEENS1_30default_config_static_selectorELNS0_4arch9wavefront6targetE1EEEvSK_.has_indirect_call, 0
	.section	.AMDGPU.csdata,"",@progbits
; Kernel info:
; codeLenInByte = 0
; TotalNumSgprs: 6
; NumVgprs: 0
; NumAgprs: 0
; TotalNumVgprs: 0
; ScratchSize: 0
; MemoryBound: 0
; FloatMode: 240
; IeeeMode: 1
; LDSByteSize: 0 bytes/workgroup (compile time only)
; SGPRBlocks: 0
; VGPRBlocks: 0
; NumSGPRsForWavesPerEU: 6
; NumVGPRsForWavesPerEU: 1
; AccumOffset: 4
; Occupancy: 8
; WaveLimiterHint : 0
; COMPUTE_PGM_RSRC2:SCRATCH_EN: 0
; COMPUTE_PGM_RSRC2:USER_SGPR: 2
; COMPUTE_PGM_RSRC2:TRAP_HANDLER: 0
; COMPUTE_PGM_RSRC2:TGID_X_EN: 1
; COMPUTE_PGM_RSRC2:TGID_Y_EN: 0
; COMPUTE_PGM_RSRC2:TGID_Z_EN: 0
; COMPUTE_PGM_RSRC2:TIDIG_COMP_CNT: 0
; COMPUTE_PGM_RSRC3_GFX90A:ACCUM_OFFSET: 0
; COMPUTE_PGM_RSRC3_GFX90A:TG_SPLIT: 0
	.section	.text._ZN7rocprim17ROCPRIM_400000_NS6detail17trampoline_kernelINS0_14default_configENS1_22reduce_config_selectorIsEEZNS1_11reduce_implILb1ES3_N6thrust23THRUST_200600_302600_NS6detail15normal_iteratorINS8_10device_ptrIsEEEEPss9plus_mod3IsEEE10hipError_tPvRmT1_T2_T3_mT4_P12ihipStream_tbEUlT_E1_NS1_11comp_targetILNS1_3genE2ELNS1_11target_archE906ELNS1_3gpuE6ELNS1_3repE0EEENS1_30default_config_static_selectorELNS0_4arch9wavefront6targetE1EEEvSK_,"axG",@progbits,_ZN7rocprim17ROCPRIM_400000_NS6detail17trampoline_kernelINS0_14default_configENS1_22reduce_config_selectorIsEEZNS1_11reduce_implILb1ES3_N6thrust23THRUST_200600_302600_NS6detail15normal_iteratorINS8_10device_ptrIsEEEEPss9plus_mod3IsEEE10hipError_tPvRmT1_T2_T3_mT4_P12ihipStream_tbEUlT_E1_NS1_11comp_targetILNS1_3genE2ELNS1_11target_archE906ELNS1_3gpuE6ELNS1_3repE0EEENS1_30default_config_static_selectorELNS0_4arch9wavefront6targetE1EEEvSK_,comdat
	.protected	_ZN7rocprim17ROCPRIM_400000_NS6detail17trampoline_kernelINS0_14default_configENS1_22reduce_config_selectorIsEEZNS1_11reduce_implILb1ES3_N6thrust23THRUST_200600_302600_NS6detail15normal_iteratorINS8_10device_ptrIsEEEEPss9plus_mod3IsEEE10hipError_tPvRmT1_T2_T3_mT4_P12ihipStream_tbEUlT_E1_NS1_11comp_targetILNS1_3genE2ELNS1_11target_archE906ELNS1_3gpuE6ELNS1_3repE0EEENS1_30default_config_static_selectorELNS0_4arch9wavefront6targetE1EEEvSK_ ; -- Begin function _ZN7rocprim17ROCPRIM_400000_NS6detail17trampoline_kernelINS0_14default_configENS1_22reduce_config_selectorIsEEZNS1_11reduce_implILb1ES3_N6thrust23THRUST_200600_302600_NS6detail15normal_iteratorINS8_10device_ptrIsEEEEPss9plus_mod3IsEEE10hipError_tPvRmT1_T2_T3_mT4_P12ihipStream_tbEUlT_E1_NS1_11comp_targetILNS1_3genE2ELNS1_11target_archE906ELNS1_3gpuE6ELNS1_3repE0EEENS1_30default_config_static_selectorELNS0_4arch9wavefront6targetE1EEEvSK_
	.globl	_ZN7rocprim17ROCPRIM_400000_NS6detail17trampoline_kernelINS0_14default_configENS1_22reduce_config_selectorIsEEZNS1_11reduce_implILb1ES3_N6thrust23THRUST_200600_302600_NS6detail15normal_iteratorINS8_10device_ptrIsEEEEPss9plus_mod3IsEEE10hipError_tPvRmT1_T2_T3_mT4_P12ihipStream_tbEUlT_E1_NS1_11comp_targetILNS1_3genE2ELNS1_11target_archE906ELNS1_3gpuE6ELNS1_3repE0EEENS1_30default_config_static_selectorELNS0_4arch9wavefront6targetE1EEEvSK_
	.p2align	8
	.type	_ZN7rocprim17ROCPRIM_400000_NS6detail17trampoline_kernelINS0_14default_configENS1_22reduce_config_selectorIsEEZNS1_11reduce_implILb1ES3_N6thrust23THRUST_200600_302600_NS6detail15normal_iteratorINS8_10device_ptrIsEEEEPss9plus_mod3IsEEE10hipError_tPvRmT1_T2_T3_mT4_P12ihipStream_tbEUlT_E1_NS1_11comp_targetILNS1_3genE2ELNS1_11target_archE906ELNS1_3gpuE6ELNS1_3repE0EEENS1_30default_config_static_selectorELNS0_4arch9wavefront6targetE1EEEvSK_,@function
_ZN7rocprim17ROCPRIM_400000_NS6detail17trampoline_kernelINS0_14default_configENS1_22reduce_config_selectorIsEEZNS1_11reduce_implILb1ES3_N6thrust23THRUST_200600_302600_NS6detail15normal_iteratorINS8_10device_ptrIsEEEEPss9plus_mod3IsEEE10hipError_tPvRmT1_T2_T3_mT4_P12ihipStream_tbEUlT_E1_NS1_11comp_targetILNS1_3genE2ELNS1_11target_archE906ELNS1_3gpuE6ELNS1_3repE0EEENS1_30default_config_static_selectorELNS0_4arch9wavefront6targetE1EEEvSK_: ; @_ZN7rocprim17ROCPRIM_400000_NS6detail17trampoline_kernelINS0_14default_configENS1_22reduce_config_selectorIsEEZNS1_11reduce_implILb1ES3_N6thrust23THRUST_200600_302600_NS6detail15normal_iteratorINS8_10device_ptrIsEEEEPss9plus_mod3IsEEE10hipError_tPvRmT1_T2_T3_mT4_P12ihipStream_tbEUlT_E1_NS1_11comp_targetILNS1_3genE2ELNS1_11target_archE906ELNS1_3gpuE6ELNS1_3repE0EEENS1_30default_config_static_selectorELNS0_4arch9wavefront6targetE1EEEvSK_
; %bb.0:
	.section	.rodata,"a",@progbits
	.p2align	6, 0x0
	.amdhsa_kernel _ZN7rocprim17ROCPRIM_400000_NS6detail17trampoline_kernelINS0_14default_configENS1_22reduce_config_selectorIsEEZNS1_11reduce_implILb1ES3_N6thrust23THRUST_200600_302600_NS6detail15normal_iteratorINS8_10device_ptrIsEEEEPss9plus_mod3IsEEE10hipError_tPvRmT1_T2_T3_mT4_P12ihipStream_tbEUlT_E1_NS1_11comp_targetILNS1_3genE2ELNS1_11target_archE906ELNS1_3gpuE6ELNS1_3repE0EEENS1_30default_config_static_selectorELNS0_4arch9wavefront6targetE1EEEvSK_
		.amdhsa_group_segment_fixed_size 0
		.amdhsa_private_segment_fixed_size 0
		.amdhsa_kernarg_size 48
		.amdhsa_user_sgpr_count 2
		.amdhsa_user_sgpr_dispatch_ptr 0
		.amdhsa_user_sgpr_queue_ptr 0
		.amdhsa_user_sgpr_kernarg_segment_ptr 1
		.amdhsa_user_sgpr_dispatch_id 0
		.amdhsa_user_sgpr_kernarg_preload_length 0
		.amdhsa_user_sgpr_kernarg_preload_offset 0
		.amdhsa_user_sgpr_private_segment_size 0
		.amdhsa_uses_dynamic_stack 0
		.amdhsa_enable_private_segment 0
		.amdhsa_system_sgpr_workgroup_id_x 1
		.amdhsa_system_sgpr_workgroup_id_y 0
		.amdhsa_system_sgpr_workgroup_id_z 0
		.amdhsa_system_sgpr_workgroup_info 0
		.amdhsa_system_vgpr_workitem_id 0
		.amdhsa_next_free_vgpr 1
		.amdhsa_next_free_sgpr 0
		.amdhsa_accum_offset 4
		.amdhsa_reserve_vcc 0
		.amdhsa_float_round_mode_32 0
		.amdhsa_float_round_mode_16_64 0
		.amdhsa_float_denorm_mode_32 3
		.amdhsa_float_denorm_mode_16_64 3
		.amdhsa_dx10_clamp 1
		.amdhsa_ieee_mode 1
		.amdhsa_fp16_overflow 0
		.amdhsa_tg_split 0
		.amdhsa_exception_fp_ieee_invalid_op 0
		.amdhsa_exception_fp_denorm_src 0
		.amdhsa_exception_fp_ieee_div_zero 0
		.amdhsa_exception_fp_ieee_overflow 0
		.amdhsa_exception_fp_ieee_underflow 0
		.amdhsa_exception_fp_ieee_inexact 0
		.amdhsa_exception_int_div_zero 0
	.end_amdhsa_kernel
	.section	.text._ZN7rocprim17ROCPRIM_400000_NS6detail17trampoline_kernelINS0_14default_configENS1_22reduce_config_selectorIsEEZNS1_11reduce_implILb1ES3_N6thrust23THRUST_200600_302600_NS6detail15normal_iteratorINS8_10device_ptrIsEEEEPss9plus_mod3IsEEE10hipError_tPvRmT1_T2_T3_mT4_P12ihipStream_tbEUlT_E1_NS1_11comp_targetILNS1_3genE2ELNS1_11target_archE906ELNS1_3gpuE6ELNS1_3repE0EEENS1_30default_config_static_selectorELNS0_4arch9wavefront6targetE1EEEvSK_,"axG",@progbits,_ZN7rocprim17ROCPRIM_400000_NS6detail17trampoline_kernelINS0_14default_configENS1_22reduce_config_selectorIsEEZNS1_11reduce_implILb1ES3_N6thrust23THRUST_200600_302600_NS6detail15normal_iteratorINS8_10device_ptrIsEEEEPss9plus_mod3IsEEE10hipError_tPvRmT1_T2_T3_mT4_P12ihipStream_tbEUlT_E1_NS1_11comp_targetILNS1_3genE2ELNS1_11target_archE906ELNS1_3gpuE6ELNS1_3repE0EEENS1_30default_config_static_selectorELNS0_4arch9wavefront6targetE1EEEvSK_,comdat
.Lfunc_end978:
	.size	_ZN7rocprim17ROCPRIM_400000_NS6detail17trampoline_kernelINS0_14default_configENS1_22reduce_config_selectorIsEEZNS1_11reduce_implILb1ES3_N6thrust23THRUST_200600_302600_NS6detail15normal_iteratorINS8_10device_ptrIsEEEEPss9plus_mod3IsEEE10hipError_tPvRmT1_T2_T3_mT4_P12ihipStream_tbEUlT_E1_NS1_11comp_targetILNS1_3genE2ELNS1_11target_archE906ELNS1_3gpuE6ELNS1_3repE0EEENS1_30default_config_static_selectorELNS0_4arch9wavefront6targetE1EEEvSK_, .Lfunc_end978-_ZN7rocprim17ROCPRIM_400000_NS6detail17trampoline_kernelINS0_14default_configENS1_22reduce_config_selectorIsEEZNS1_11reduce_implILb1ES3_N6thrust23THRUST_200600_302600_NS6detail15normal_iteratorINS8_10device_ptrIsEEEEPss9plus_mod3IsEEE10hipError_tPvRmT1_T2_T3_mT4_P12ihipStream_tbEUlT_E1_NS1_11comp_targetILNS1_3genE2ELNS1_11target_archE906ELNS1_3gpuE6ELNS1_3repE0EEENS1_30default_config_static_selectorELNS0_4arch9wavefront6targetE1EEEvSK_
                                        ; -- End function
	.set _ZN7rocprim17ROCPRIM_400000_NS6detail17trampoline_kernelINS0_14default_configENS1_22reduce_config_selectorIsEEZNS1_11reduce_implILb1ES3_N6thrust23THRUST_200600_302600_NS6detail15normal_iteratorINS8_10device_ptrIsEEEEPss9plus_mod3IsEEE10hipError_tPvRmT1_T2_T3_mT4_P12ihipStream_tbEUlT_E1_NS1_11comp_targetILNS1_3genE2ELNS1_11target_archE906ELNS1_3gpuE6ELNS1_3repE0EEENS1_30default_config_static_selectorELNS0_4arch9wavefront6targetE1EEEvSK_.num_vgpr, 0
	.set _ZN7rocprim17ROCPRIM_400000_NS6detail17trampoline_kernelINS0_14default_configENS1_22reduce_config_selectorIsEEZNS1_11reduce_implILb1ES3_N6thrust23THRUST_200600_302600_NS6detail15normal_iteratorINS8_10device_ptrIsEEEEPss9plus_mod3IsEEE10hipError_tPvRmT1_T2_T3_mT4_P12ihipStream_tbEUlT_E1_NS1_11comp_targetILNS1_3genE2ELNS1_11target_archE906ELNS1_3gpuE6ELNS1_3repE0EEENS1_30default_config_static_selectorELNS0_4arch9wavefront6targetE1EEEvSK_.num_agpr, 0
	.set _ZN7rocprim17ROCPRIM_400000_NS6detail17trampoline_kernelINS0_14default_configENS1_22reduce_config_selectorIsEEZNS1_11reduce_implILb1ES3_N6thrust23THRUST_200600_302600_NS6detail15normal_iteratorINS8_10device_ptrIsEEEEPss9plus_mod3IsEEE10hipError_tPvRmT1_T2_T3_mT4_P12ihipStream_tbEUlT_E1_NS1_11comp_targetILNS1_3genE2ELNS1_11target_archE906ELNS1_3gpuE6ELNS1_3repE0EEENS1_30default_config_static_selectorELNS0_4arch9wavefront6targetE1EEEvSK_.numbered_sgpr, 0
	.set _ZN7rocprim17ROCPRIM_400000_NS6detail17trampoline_kernelINS0_14default_configENS1_22reduce_config_selectorIsEEZNS1_11reduce_implILb1ES3_N6thrust23THRUST_200600_302600_NS6detail15normal_iteratorINS8_10device_ptrIsEEEEPss9plus_mod3IsEEE10hipError_tPvRmT1_T2_T3_mT4_P12ihipStream_tbEUlT_E1_NS1_11comp_targetILNS1_3genE2ELNS1_11target_archE906ELNS1_3gpuE6ELNS1_3repE0EEENS1_30default_config_static_selectorELNS0_4arch9wavefront6targetE1EEEvSK_.num_named_barrier, 0
	.set _ZN7rocprim17ROCPRIM_400000_NS6detail17trampoline_kernelINS0_14default_configENS1_22reduce_config_selectorIsEEZNS1_11reduce_implILb1ES3_N6thrust23THRUST_200600_302600_NS6detail15normal_iteratorINS8_10device_ptrIsEEEEPss9plus_mod3IsEEE10hipError_tPvRmT1_T2_T3_mT4_P12ihipStream_tbEUlT_E1_NS1_11comp_targetILNS1_3genE2ELNS1_11target_archE906ELNS1_3gpuE6ELNS1_3repE0EEENS1_30default_config_static_selectorELNS0_4arch9wavefront6targetE1EEEvSK_.private_seg_size, 0
	.set _ZN7rocprim17ROCPRIM_400000_NS6detail17trampoline_kernelINS0_14default_configENS1_22reduce_config_selectorIsEEZNS1_11reduce_implILb1ES3_N6thrust23THRUST_200600_302600_NS6detail15normal_iteratorINS8_10device_ptrIsEEEEPss9plus_mod3IsEEE10hipError_tPvRmT1_T2_T3_mT4_P12ihipStream_tbEUlT_E1_NS1_11comp_targetILNS1_3genE2ELNS1_11target_archE906ELNS1_3gpuE6ELNS1_3repE0EEENS1_30default_config_static_selectorELNS0_4arch9wavefront6targetE1EEEvSK_.uses_vcc, 0
	.set _ZN7rocprim17ROCPRIM_400000_NS6detail17trampoline_kernelINS0_14default_configENS1_22reduce_config_selectorIsEEZNS1_11reduce_implILb1ES3_N6thrust23THRUST_200600_302600_NS6detail15normal_iteratorINS8_10device_ptrIsEEEEPss9plus_mod3IsEEE10hipError_tPvRmT1_T2_T3_mT4_P12ihipStream_tbEUlT_E1_NS1_11comp_targetILNS1_3genE2ELNS1_11target_archE906ELNS1_3gpuE6ELNS1_3repE0EEENS1_30default_config_static_selectorELNS0_4arch9wavefront6targetE1EEEvSK_.uses_flat_scratch, 0
	.set _ZN7rocprim17ROCPRIM_400000_NS6detail17trampoline_kernelINS0_14default_configENS1_22reduce_config_selectorIsEEZNS1_11reduce_implILb1ES3_N6thrust23THRUST_200600_302600_NS6detail15normal_iteratorINS8_10device_ptrIsEEEEPss9plus_mod3IsEEE10hipError_tPvRmT1_T2_T3_mT4_P12ihipStream_tbEUlT_E1_NS1_11comp_targetILNS1_3genE2ELNS1_11target_archE906ELNS1_3gpuE6ELNS1_3repE0EEENS1_30default_config_static_selectorELNS0_4arch9wavefront6targetE1EEEvSK_.has_dyn_sized_stack, 0
	.set _ZN7rocprim17ROCPRIM_400000_NS6detail17trampoline_kernelINS0_14default_configENS1_22reduce_config_selectorIsEEZNS1_11reduce_implILb1ES3_N6thrust23THRUST_200600_302600_NS6detail15normal_iteratorINS8_10device_ptrIsEEEEPss9plus_mod3IsEEE10hipError_tPvRmT1_T2_T3_mT4_P12ihipStream_tbEUlT_E1_NS1_11comp_targetILNS1_3genE2ELNS1_11target_archE906ELNS1_3gpuE6ELNS1_3repE0EEENS1_30default_config_static_selectorELNS0_4arch9wavefront6targetE1EEEvSK_.has_recursion, 0
	.set _ZN7rocprim17ROCPRIM_400000_NS6detail17trampoline_kernelINS0_14default_configENS1_22reduce_config_selectorIsEEZNS1_11reduce_implILb1ES3_N6thrust23THRUST_200600_302600_NS6detail15normal_iteratorINS8_10device_ptrIsEEEEPss9plus_mod3IsEEE10hipError_tPvRmT1_T2_T3_mT4_P12ihipStream_tbEUlT_E1_NS1_11comp_targetILNS1_3genE2ELNS1_11target_archE906ELNS1_3gpuE6ELNS1_3repE0EEENS1_30default_config_static_selectorELNS0_4arch9wavefront6targetE1EEEvSK_.has_indirect_call, 0
	.section	.AMDGPU.csdata,"",@progbits
; Kernel info:
; codeLenInByte = 0
; TotalNumSgprs: 6
; NumVgprs: 0
; NumAgprs: 0
; TotalNumVgprs: 0
; ScratchSize: 0
; MemoryBound: 0
; FloatMode: 240
; IeeeMode: 1
; LDSByteSize: 0 bytes/workgroup (compile time only)
; SGPRBlocks: 0
; VGPRBlocks: 0
; NumSGPRsForWavesPerEU: 6
; NumVGPRsForWavesPerEU: 1
; AccumOffset: 4
; Occupancy: 8
; WaveLimiterHint : 0
; COMPUTE_PGM_RSRC2:SCRATCH_EN: 0
; COMPUTE_PGM_RSRC2:USER_SGPR: 2
; COMPUTE_PGM_RSRC2:TRAP_HANDLER: 0
; COMPUTE_PGM_RSRC2:TGID_X_EN: 1
; COMPUTE_PGM_RSRC2:TGID_Y_EN: 0
; COMPUTE_PGM_RSRC2:TGID_Z_EN: 0
; COMPUTE_PGM_RSRC2:TIDIG_COMP_CNT: 0
; COMPUTE_PGM_RSRC3_GFX90A:ACCUM_OFFSET: 0
; COMPUTE_PGM_RSRC3_GFX90A:TG_SPLIT: 0
	.section	.text._ZN7rocprim17ROCPRIM_400000_NS6detail17trampoline_kernelINS0_14default_configENS1_22reduce_config_selectorIsEEZNS1_11reduce_implILb1ES3_N6thrust23THRUST_200600_302600_NS6detail15normal_iteratorINS8_10device_ptrIsEEEEPss9plus_mod3IsEEE10hipError_tPvRmT1_T2_T3_mT4_P12ihipStream_tbEUlT_E1_NS1_11comp_targetILNS1_3genE10ELNS1_11target_archE1201ELNS1_3gpuE5ELNS1_3repE0EEENS1_30default_config_static_selectorELNS0_4arch9wavefront6targetE1EEEvSK_,"axG",@progbits,_ZN7rocprim17ROCPRIM_400000_NS6detail17trampoline_kernelINS0_14default_configENS1_22reduce_config_selectorIsEEZNS1_11reduce_implILb1ES3_N6thrust23THRUST_200600_302600_NS6detail15normal_iteratorINS8_10device_ptrIsEEEEPss9plus_mod3IsEEE10hipError_tPvRmT1_T2_T3_mT4_P12ihipStream_tbEUlT_E1_NS1_11comp_targetILNS1_3genE10ELNS1_11target_archE1201ELNS1_3gpuE5ELNS1_3repE0EEENS1_30default_config_static_selectorELNS0_4arch9wavefront6targetE1EEEvSK_,comdat
	.protected	_ZN7rocprim17ROCPRIM_400000_NS6detail17trampoline_kernelINS0_14default_configENS1_22reduce_config_selectorIsEEZNS1_11reduce_implILb1ES3_N6thrust23THRUST_200600_302600_NS6detail15normal_iteratorINS8_10device_ptrIsEEEEPss9plus_mod3IsEEE10hipError_tPvRmT1_T2_T3_mT4_P12ihipStream_tbEUlT_E1_NS1_11comp_targetILNS1_3genE10ELNS1_11target_archE1201ELNS1_3gpuE5ELNS1_3repE0EEENS1_30default_config_static_selectorELNS0_4arch9wavefront6targetE1EEEvSK_ ; -- Begin function _ZN7rocprim17ROCPRIM_400000_NS6detail17trampoline_kernelINS0_14default_configENS1_22reduce_config_selectorIsEEZNS1_11reduce_implILb1ES3_N6thrust23THRUST_200600_302600_NS6detail15normal_iteratorINS8_10device_ptrIsEEEEPss9plus_mod3IsEEE10hipError_tPvRmT1_T2_T3_mT4_P12ihipStream_tbEUlT_E1_NS1_11comp_targetILNS1_3genE10ELNS1_11target_archE1201ELNS1_3gpuE5ELNS1_3repE0EEENS1_30default_config_static_selectorELNS0_4arch9wavefront6targetE1EEEvSK_
	.globl	_ZN7rocprim17ROCPRIM_400000_NS6detail17trampoline_kernelINS0_14default_configENS1_22reduce_config_selectorIsEEZNS1_11reduce_implILb1ES3_N6thrust23THRUST_200600_302600_NS6detail15normal_iteratorINS8_10device_ptrIsEEEEPss9plus_mod3IsEEE10hipError_tPvRmT1_T2_T3_mT4_P12ihipStream_tbEUlT_E1_NS1_11comp_targetILNS1_3genE10ELNS1_11target_archE1201ELNS1_3gpuE5ELNS1_3repE0EEENS1_30default_config_static_selectorELNS0_4arch9wavefront6targetE1EEEvSK_
	.p2align	8
	.type	_ZN7rocprim17ROCPRIM_400000_NS6detail17trampoline_kernelINS0_14default_configENS1_22reduce_config_selectorIsEEZNS1_11reduce_implILb1ES3_N6thrust23THRUST_200600_302600_NS6detail15normal_iteratorINS8_10device_ptrIsEEEEPss9plus_mod3IsEEE10hipError_tPvRmT1_T2_T3_mT4_P12ihipStream_tbEUlT_E1_NS1_11comp_targetILNS1_3genE10ELNS1_11target_archE1201ELNS1_3gpuE5ELNS1_3repE0EEENS1_30default_config_static_selectorELNS0_4arch9wavefront6targetE1EEEvSK_,@function
_ZN7rocprim17ROCPRIM_400000_NS6detail17trampoline_kernelINS0_14default_configENS1_22reduce_config_selectorIsEEZNS1_11reduce_implILb1ES3_N6thrust23THRUST_200600_302600_NS6detail15normal_iteratorINS8_10device_ptrIsEEEEPss9plus_mod3IsEEE10hipError_tPvRmT1_T2_T3_mT4_P12ihipStream_tbEUlT_E1_NS1_11comp_targetILNS1_3genE10ELNS1_11target_archE1201ELNS1_3gpuE5ELNS1_3repE0EEENS1_30default_config_static_selectorELNS0_4arch9wavefront6targetE1EEEvSK_: ; @_ZN7rocprim17ROCPRIM_400000_NS6detail17trampoline_kernelINS0_14default_configENS1_22reduce_config_selectorIsEEZNS1_11reduce_implILb1ES3_N6thrust23THRUST_200600_302600_NS6detail15normal_iteratorINS8_10device_ptrIsEEEEPss9plus_mod3IsEEE10hipError_tPvRmT1_T2_T3_mT4_P12ihipStream_tbEUlT_E1_NS1_11comp_targetILNS1_3genE10ELNS1_11target_archE1201ELNS1_3gpuE5ELNS1_3repE0EEENS1_30default_config_static_selectorELNS0_4arch9wavefront6targetE1EEEvSK_
; %bb.0:
	.section	.rodata,"a",@progbits
	.p2align	6, 0x0
	.amdhsa_kernel _ZN7rocprim17ROCPRIM_400000_NS6detail17trampoline_kernelINS0_14default_configENS1_22reduce_config_selectorIsEEZNS1_11reduce_implILb1ES3_N6thrust23THRUST_200600_302600_NS6detail15normal_iteratorINS8_10device_ptrIsEEEEPss9plus_mod3IsEEE10hipError_tPvRmT1_T2_T3_mT4_P12ihipStream_tbEUlT_E1_NS1_11comp_targetILNS1_3genE10ELNS1_11target_archE1201ELNS1_3gpuE5ELNS1_3repE0EEENS1_30default_config_static_selectorELNS0_4arch9wavefront6targetE1EEEvSK_
		.amdhsa_group_segment_fixed_size 0
		.amdhsa_private_segment_fixed_size 0
		.amdhsa_kernarg_size 48
		.amdhsa_user_sgpr_count 2
		.amdhsa_user_sgpr_dispatch_ptr 0
		.amdhsa_user_sgpr_queue_ptr 0
		.amdhsa_user_sgpr_kernarg_segment_ptr 1
		.amdhsa_user_sgpr_dispatch_id 0
		.amdhsa_user_sgpr_kernarg_preload_length 0
		.amdhsa_user_sgpr_kernarg_preload_offset 0
		.amdhsa_user_sgpr_private_segment_size 0
		.amdhsa_uses_dynamic_stack 0
		.amdhsa_enable_private_segment 0
		.amdhsa_system_sgpr_workgroup_id_x 1
		.amdhsa_system_sgpr_workgroup_id_y 0
		.amdhsa_system_sgpr_workgroup_id_z 0
		.amdhsa_system_sgpr_workgroup_info 0
		.amdhsa_system_vgpr_workitem_id 0
		.amdhsa_next_free_vgpr 1
		.amdhsa_next_free_sgpr 0
		.amdhsa_accum_offset 4
		.amdhsa_reserve_vcc 0
		.amdhsa_float_round_mode_32 0
		.amdhsa_float_round_mode_16_64 0
		.amdhsa_float_denorm_mode_32 3
		.amdhsa_float_denorm_mode_16_64 3
		.amdhsa_dx10_clamp 1
		.amdhsa_ieee_mode 1
		.amdhsa_fp16_overflow 0
		.amdhsa_tg_split 0
		.amdhsa_exception_fp_ieee_invalid_op 0
		.amdhsa_exception_fp_denorm_src 0
		.amdhsa_exception_fp_ieee_div_zero 0
		.amdhsa_exception_fp_ieee_overflow 0
		.amdhsa_exception_fp_ieee_underflow 0
		.amdhsa_exception_fp_ieee_inexact 0
		.amdhsa_exception_int_div_zero 0
	.end_amdhsa_kernel
	.section	.text._ZN7rocprim17ROCPRIM_400000_NS6detail17trampoline_kernelINS0_14default_configENS1_22reduce_config_selectorIsEEZNS1_11reduce_implILb1ES3_N6thrust23THRUST_200600_302600_NS6detail15normal_iteratorINS8_10device_ptrIsEEEEPss9plus_mod3IsEEE10hipError_tPvRmT1_T2_T3_mT4_P12ihipStream_tbEUlT_E1_NS1_11comp_targetILNS1_3genE10ELNS1_11target_archE1201ELNS1_3gpuE5ELNS1_3repE0EEENS1_30default_config_static_selectorELNS0_4arch9wavefront6targetE1EEEvSK_,"axG",@progbits,_ZN7rocprim17ROCPRIM_400000_NS6detail17trampoline_kernelINS0_14default_configENS1_22reduce_config_selectorIsEEZNS1_11reduce_implILb1ES3_N6thrust23THRUST_200600_302600_NS6detail15normal_iteratorINS8_10device_ptrIsEEEEPss9plus_mod3IsEEE10hipError_tPvRmT1_T2_T3_mT4_P12ihipStream_tbEUlT_E1_NS1_11comp_targetILNS1_3genE10ELNS1_11target_archE1201ELNS1_3gpuE5ELNS1_3repE0EEENS1_30default_config_static_selectorELNS0_4arch9wavefront6targetE1EEEvSK_,comdat
.Lfunc_end979:
	.size	_ZN7rocprim17ROCPRIM_400000_NS6detail17trampoline_kernelINS0_14default_configENS1_22reduce_config_selectorIsEEZNS1_11reduce_implILb1ES3_N6thrust23THRUST_200600_302600_NS6detail15normal_iteratorINS8_10device_ptrIsEEEEPss9plus_mod3IsEEE10hipError_tPvRmT1_T2_T3_mT4_P12ihipStream_tbEUlT_E1_NS1_11comp_targetILNS1_3genE10ELNS1_11target_archE1201ELNS1_3gpuE5ELNS1_3repE0EEENS1_30default_config_static_selectorELNS0_4arch9wavefront6targetE1EEEvSK_, .Lfunc_end979-_ZN7rocprim17ROCPRIM_400000_NS6detail17trampoline_kernelINS0_14default_configENS1_22reduce_config_selectorIsEEZNS1_11reduce_implILb1ES3_N6thrust23THRUST_200600_302600_NS6detail15normal_iteratorINS8_10device_ptrIsEEEEPss9plus_mod3IsEEE10hipError_tPvRmT1_T2_T3_mT4_P12ihipStream_tbEUlT_E1_NS1_11comp_targetILNS1_3genE10ELNS1_11target_archE1201ELNS1_3gpuE5ELNS1_3repE0EEENS1_30default_config_static_selectorELNS0_4arch9wavefront6targetE1EEEvSK_
                                        ; -- End function
	.set _ZN7rocprim17ROCPRIM_400000_NS6detail17trampoline_kernelINS0_14default_configENS1_22reduce_config_selectorIsEEZNS1_11reduce_implILb1ES3_N6thrust23THRUST_200600_302600_NS6detail15normal_iteratorINS8_10device_ptrIsEEEEPss9plus_mod3IsEEE10hipError_tPvRmT1_T2_T3_mT4_P12ihipStream_tbEUlT_E1_NS1_11comp_targetILNS1_3genE10ELNS1_11target_archE1201ELNS1_3gpuE5ELNS1_3repE0EEENS1_30default_config_static_selectorELNS0_4arch9wavefront6targetE1EEEvSK_.num_vgpr, 0
	.set _ZN7rocprim17ROCPRIM_400000_NS6detail17trampoline_kernelINS0_14default_configENS1_22reduce_config_selectorIsEEZNS1_11reduce_implILb1ES3_N6thrust23THRUST_200600_302600_NS6detail15normal_iteratorINS8_10device_ptrIsEEEEPss9plus_mod3IsEEE10hipError_tPvRmT1_T2_T3_mT4_P12ihipStream_tbEUlT_E1_NS1_11comp_targetILNS1_3genE10ELNS1_11target_archE1201ELNS1_3gpuE5ELNS1_3repE0EEENS1_30default_config_static_selectorELNS0_4arch9wavefront6targetE1EEEvSK_.num_agpr, 0
	.set _ZN7rocprim17ROCPRIM_400000_NS6detail17trampoline_kernelINS0_14default_configENS1_22reduce_config_selectorIsEEZNS1_11reduce_implILb1ES3_N6thrust23THRUST_200600_302600_NS6detail15normal_iteratorINS8_10device_ptrIsEEEEPss9plus_mod3IsEEE10hipError_tPvRmT1_T2_T3_mT4_P12ihipStream_tbEUlT_E1_NS1_11comp_targetILNS1_3genE10ELNS1_11target_archE1201ELNS1_3gpuE5ELNS1_3repE0EEENS1_30default_config_static_selectorELNS0_4arch9wavefront6targetE1EEEvSK_.numbered_sgpr, 0
	.set _ZN7rocprim17ROCPRIM_400000_NS6detail17trampoline_kernelINS0_14default_configENS1_22reduce_config_selectorIsEEZNS1_11reduce_implILb1ES3_N6thrust23THRUST_200600_302600_NS6detail15normal_iteratorINS8_10device_ptrIsEEEEPss9plus_mod3IsEEE10hipError_tPvRmT1_T2_T3_mT4_P12ihipStream_tbEUlT_E1_NS1_11comp_targetILNS1_3genE10ELNS1_11target_archE1201ELNS1_3gpuE5ELNS1_3repE0EEENS1_30default_config_static_selectorELNS0_4arch9wavefront6targetE1EEEvSK_.num_named_barrier, 0
	.set _ZN7rocprim17ROCPRIM_400000_NS6detail17trampoline_kernelINS0_14default_configENS1_22reduce_config_selectorIsEEZNS1_11reduce_implILb1ES3_N6thrust23THRUST_200600_302600_NS6detail15normal_iteratorINS8_10device_ptrIsEEEEPss9plus_mod3IsEEE10hipError_tPvRmT1_T2_T3_mT4_P12ihipStream_tbEUlT_E1_NS1_11comp_targetILNS1_3genE10ELNS1_11target_archE1201ELNS1_3gpuE5ELNS1_3repE0EEENS1_30default_config_static_selectorELNS0_4arch9wavefront6targetE1EEEvSK_.private_seg_size, 0
	.set _ZN7rocprim17ROCPRIM_400000_NS6detail17trampoline_kernelINS0_14default_configENS1_22reduce_config_selectorIsEEZNS1_11reduce_implILb1ES3_N6thrust23THRUST_200600_302600_NS6detail15normal_iteratorINS8_10device_ptrIsEEEEPss9plus_mod3IsEEE10hipError_tPvRmT1_T2_T3_mT4_P12ihipStream_tbEUlT_E1_NS1_11comp_targetILNS1_3genE10ELNS1_11target_archE1201ELNS1_3gpuE5ELNS1_3repE0EEENS1_30default_config_static_selectorELNS0_4arch9wavefront6targetE1EEEvSK_.uses_vcc, 0
	.set _ZN7rocprim17ROCPRIM_400000_NS6detail17trampoline_kernelINS0_14default_configENS1_22reduce_config_selectorIsEEZNS1_11reduce_implILb1ES3_N6thrust23THRUST_200600_302600_NS6detail15normal_iteratorINS8_10device_ptrIsEEEEPss9plus_mod3IsEEE10hipError_tPvRmT1_T2_T3_mT4_P12ihipStream_tbEUlT_E1_NS1_11comp_targetILNS1_3genE10ELNS1_11target_archE1201ELNS1_3gpuE5ELNS1_3repE0EEENS1_30default_config_static_selectorELNS0_4arch9wavefront6targetE1EEEvSK_.uses_flat_scratch, 0
	.set _ZN7rocprim17ROCPRIM_400000_NS6detail17trampoline_kernelINS0_14default_configENS1_22reduce_config_selectorIsEEZNS1_11reduce_implILb1ES3_N6thrust23THRUST_200600_302600_NS6detail15normal_iteratorINS8_10device_ptrIsEEEEPss9plus_mod3IsEEE10hipError_tPvRmT1_T2_T3_mT4_P12ihipStream_tbEUlT_E1_NS1_11comp_targetILNS1_3genE10ELNS1_11target_archE1201ELNS1_3gpuE5ELNS1_3repE0EEENS1_30default_config_static_selectorELNS0_4arch9wavefront6targetE1EEEvSK_.has_dyn_sized_stack, 0
	.set _ZN7rocprim17ROCPRIM_400000_NS6detail17trampoline_kernelINS0_14default_configENS1_22reduce_config_selectorIsEEZNS1_11reduce_implILb1ES3_N6thrust23THRUST_200600_302600_NS6detail15normal_iteratorINS8_10device_ptrIsEEEEPss9plus_mod3IsEEE10hipError_tPvRmT1_T2_T3_mT4_P12ihipStream_tbEUlT_E1_NS1_11comp_targetILNS1_3genE10ELNS1_11target_archE1201ELNS1_3gpuE5ELNS1_3repE0EEENS1_30default_config_static_selectorELNS0_4arch9wavefront6targetE1EEEvSK_.has_recursion, 0
	.set _ZN7rocprim17ROCPRIM_400000_NS6detail17trampoline_kernelINS0_14default_configENS1_22reduce_config_selectorIsEEZNS1_11reduce_implILb1ES3_N6thrust23THRUST_200600_302600_NS6detail15normal_iteratorINS8_10device_ptrIsEEEEPss9plus_mod3IsEEE10hipError_tPvRmT1_T2_T3_mT4_P12ihipStream_tbEUlT_E1_NS1_11comp_targetILNS1_3genE10ELNS1_11target_archE1201ELNS1_3gpuE5ELNS1_3repE0EEENS1_30default_config_static_selectorELNS0_4arch9wavefront6targetE1EEEvSK_.has_indirect_call, 0
	.section	.AMDGPU.csdata,"",@progbits
; Kernel info:
; codeLenInByte = 0
; TotalNumSgprs: 6
; NumVgprs: 0
; NumAgprs: 0
; TotalNumVgprs: 0
; ScratchSize: 0
; MemoryBound: 0
; FloatMode: 240
; IeeeMode: 1
; LDSByteSize: 0 bytes/workgroup (compile time only)
; SGPRBlocks: 0
; VGPRBlocks: 0
; NumSGPRsForWavesPerEU: 6
; NumVGPRsForWavesPerEU: 1
; AccumOffset: 4
; Occupancy: 8
; WaveLimiterHint : 0
; COMPUTE_PGM_RSRC2:SCRATCH_EN: 0
; COMPUTE_PGM_RSRC2:USER_SGPR: 2
; COMPUTE_PGM_RSRC2:TRAP_HANDLER: 0
; COMPUTE_PGM_RSRC2:TGID_X_EN: 1
; COMPUTE_PGM_RSRC2:TGID_Y_EN: 0
; COMPUTE_PGM_RSRC2:TGID_Z_EN: 0
; COMPUTE_PGM_RSRC2:TIDIG_COMP_CNT: 0
; COMPUTE_PGM_RSRC3_GFX90A:ACCUM_OFFSET: 0
; COMPUTE_PGM_RSRC3_GFX90A:TG_SPLIT: 0
	.section	.text._ZN7rocprim17ROCPRIM_400000_NS6detail17trampoline_kernelINS0_14default_configENS1_22reduce_config_selectorIsEEZNS1_11reduce_implILb1ES3_N6thrust23THRUST_200600_302600_NS6detail15normal_iteratorINS8_10device_ptrIsEEEEPss9plus_mod3IsEEE10hipError_tPvRmT1_T2_T3_mT4_P12ihipStream_tbEUlT_E1_NS1_11comp_targetILNS1_3genE10ELNS1_11target_archE1200ELNS1_3gpuE4ELNS1_3repE0EEENS1_30default_config_static_selectorELNS0_4arch9wavefront6targetE1EEEvSK_,"axG",@progbits,_ZN7rocprim17ROCPRIM_400000_NS6detail17trampoline_kernelINS0_14default_configENS1_22reduce_config_selectorIsEEZNS1_11reduce_implILb1ES3_N6thrust23THRUST_200600_302600_NS6detail15normal_iteratorINS8_10device_ptrIsEEEEPss9plus_mod3IsEEE10hipError_tPvRmT1_T2_T3_mT4_P12ihipStream_tbEUlT_E1_NS1_11comp_targetILNS1_3genE10ELNS1_11target_archE1200ELNS1_3gpuE4ELNS1_3repE0EEENS1_30default_config_static_selectorELNS0_4arch9wavefront6targetE1EEEvSK_,comdat
	.protected	_ZN7rocprim17ROCPRIM_400000_NS6detail17trampoline_kernelINS0_14default_configENS1_22reduce_config_selectorIsEEZNS1_11reduce_implILb1ES3_N6thrust23THRUST_200600_302600_NS6detail15normal_iteratorINS8_10device_ptrIsEEEEPss9plus_mod3IsEEE10hipError_tPvRmT1_T2_T3_mT4_P12ihipStream_tbEUlT_E1_NS1_11comp_targetILNS1_3genE10ELNS1_11target_archE1200ELNS1_3gpuE4ELNS1_3repE0EEENS1_30default_config_static_selectorELNS0_4arch9wavefront6targetE1EEEvSK_ ; -- Begin function _ZN7rocprim17ROCPRIM_400000_NS6detail17trampoline_kernelINS0_14default_configENS1_22reduce_config_selectorIsEEZNS1_11reduce_implILb1ES3_N6thrust23THRUST_200600_302600_NS6detail15normal_iteratorINS8_10device_ptrIsEEEEPss9plus_mod3IsEEE10hipError_tPvRmT1_T2_T3_mT4_P12ihipStream_tbEUlT_E1_NS1_11comp_targetILNS1_3genE10ELNS1_11target_archE1200ELNS1_3gpuE4ELNS1_3repE0EEENS1_30default_config_static_selectorELNS0_4arch9wavefront6targetE1EEEvSK_
	.globl	_ZN7rocprim17ROCPRIM_400000_NS6detail17trampoline_kernelINS0_14default_configENS1_22reduce_config_selectorIsEEZNS1_11reduce_implILb1ES3_N6thrust23THRUST_200600_302600_NS6detail15normal_iteratorINS8_10device_ptrIsEEEEPss9plus_mod3IsEEE10hipError_tPvRmT1_T2_T3_mT4_P12ihipStream_tbEUlT_E1_NS1_11comp_targetILNS1_3genE10ELNS1_11target_archE1200ELNS1_3gpuE4ELNS1_3repE0EEENS1_30default_config_static_selectorELNS0_4arch9wavefront6targetE1EEEvSK_
	.p2align	8
	.type	_ZN7rocprim17ROCPRIM_400000_NS6detail17trampoline_kernelINS0_14default_configENS1_22reduce_config_selectorIsEEZNS1_11reduce_implILb1ES3_N6thrust23THRUST_200600_302600_NS6detail15normal_iteratorINS8_10device_ptrIsEEEEPss9plus_mod3IsEEE10hipError_tPvRmT1_T2_T3_mT4_P12ihipStream_tbEUlT_E1_NS1_11comp_targetILNS1_3genE10ELNS1_11target_archE1200ELNS1_3gpuE4ELNS1_3repE0EEENS1_30default_config_static_selectorELNS0_4arch9wavefront6targetE1EEEvSK_,@function
_ZN7rocprim17ROCPRIM_400000_NS6detail17trampoline_kernelINS0_14default_configENS1_22reduce_config_selectorIsEEZNS1_11reduce_implILb1ES3_N6thrust23THRUST_200600_302600_NS6detail15normal_iteratorINS8_10device_ptrIsEEEEPss9plus_mod3IsEEE10hipError_tPvRmT1_T2_T3_mT4_P12ihipStream_tbEUlT_E1_NS1_11comp_targetILNS1_3genE10ELNS1_11target_archE1200ELNS1_3gpuE4ELNS1_3repE0EEENS1_30default_config_static_selectorELNS0_4arch9wavefront6targetE1EEEvSK_: ; @_ZN7rocprim17ROCPRIM_400000_NS6detail17trampoline_kernelINS0_14default_configENS1_22reduce_config_selectorIsEEZNS1_11reduce_implILb1ES3_N6thrust23THRUST_200600_302600_NS6detail15normal_iteratorINS8_10device_ptrIsEEEEPss9plus_mod3IsEEE10hipError_tPvRmT1_T2_T3_mT4_P12ihipStream_tbEUlT_E1_NS1_11comp_targetILNS1_3genE10ELNS1_11target_archE1200ELNS1_3gpuE4ELNS1_3repE0EEENS1_30default_config_static_selectorELNS0_4arch9wavefront6targetE1EEEvSK_
; %bb.0:
	.section	.rodata,"a",@progbits
	.p2align	6, 0x0
	.amdhsa_kernel _ZN7rocprim17ROCPRIM_400000_NS6detail17trampoline_kernelINS0_14default_configENS1_22reduce_config_selectorIsEEZNS1_11reduce_implILb1ES3_N6thrust23THRUST_200600_302600_NS6detail15normal_iteratorINS8_10device_ptrIsEEEEPss9plus_mod3IsEEE10hipError_tPvRmT1_T2_T3_mT4_P12ihipStream_tbEUlT_E1_NS1_11comp_targetILNS1_3genE10ELNS1_11target_archE1200ELNS1_3gpuE4ELNS1_3repE0EEENS1_30default_config_static_selectorELNS0_4arch9wavefront6targetE1EEEvSK_
		.amdhsa_group_segment_fixed_size 0
		.amdhsa_private_segment_fixed_size 0
		.amdhsa_kernarg_size 48
		.amdhsa_user_sgpr_count 2
		.amdhsa_user_sgpr_dispatch_ptr 0
		.amdhsa_user_sgpr_queue_ptr 0
		.amdhsa_user_sgpr_kernarg_segment_ptr 1
		.amdhsa_user_sgpr_dispatch_id 0
		.amdhsa_user_sgpr_kernarg_preload_length 0
		.amdhsa_user_sgpr_kernarg_preload_offset 0
		.amdhsa_user_sgpr_private_segment_size 0
		.amdhsa_uses_dynamic_stack 0
		.amdhsa_enable_private_segment 0
		.amdhsa_system_sgpr_workgroup_id_x 1
		.amdhsa_system_sgpr_workgroup_id_y 0
		.amdhsa_system_sgpr_workgroup_id_z 0
		.amdhsa_system_sgpr_workgroup_info 0
		.amdhsa_system_vgpr_workitem_id 0
		.amdhsa_next_free_vgpr 1
		.amdhsa_next_free_sgpr 0
		.amdhsa_accum_offset 4
		.amdhsa_reserve_vcc 0
		.amdhsa_float_round_mode_32 0
		.amdhsa_float_round_mode_16_64 0
		.amdhsa_float_denorm_mode_32 3
		.amdhsa_float_denorm_mode_16_64 3
		.amdhsa_dx10_clamp 1
		.amdhsa_ieee_mode 1
		.amdhsa_fp16_overflow 0
		.amdhsa_tg_split 0
		.amdhsa_exception_fp_ieee_invalid_op 0
		.amdhsa_exception_fp_denorm_src 0
		.amdhsa_exception_fp_ieee_div_zero 0
		.amdhsa_exception_fp_ieee_overflow 0
		.amdhsa_exception_fp_ieee_underflow 0
		.amdhsa_exception_fp_ieee_inexact 0
		.amdhsa_exception_int_div_zero 0
	.end_amdhsa_kernel
	.section	.text._ZN7rocprim17ROCPRIM_400000_NS6detail17trampoline_kernelINS0_14default_configENS1_22reduce_config_selectorIsEEZNS1_11reduce_implILb1ES3_N6thrust23THRUST_200600_302600_NS6detail15normal_iteratorINS8_10device_ptrIsEEEEPss9plus_mod3IsEEE10hipError_tPvRmT1_T2_T3_mT4_P12ihipStream_tbEUlT_E1_NS1_11comp_targetILNS1_3genE10ELNS1_11target_archE1200ELNS1_3gpuE4ELNS1_3repE0EEENS1_30default_config_static_selectorELNS0_4arch9wavefront6targetE1EEEvSK_,"axG",@progbits,_ZN7rocprim17ROCPRIM_400000_NS6detail17trampoline_kernelINS0_14default_configENS1_22reduce_config_selectorIsEEZNS1_11reduce_implILb1ES3_N6thrust23THRUST_200600_302600_NS6detail15normal_iteratorINS8_10device_ptrIsEEEEPss9plus_mod3IsEEE10hipError_tPvRmT1_T2_T3_mT4_P12ihipStream_tbEUlT_E1_NS1_11comp_targetILNS1_3genE10ELNS1_11target_archE1200ELNS1_3gpuE4ELNS1_3repE0EEENS1_30default_config_static_selectorELNS0_4arch9wavefront6targetE1EEEvSK_,comdat
.Lfunc_end980:
	.size	_ZN7rocprim17ROCPRIM_400000_NS6detail17trampoline_kernelINS0_14default_configENS1_22reduce_config_selectorIsEEZNS1_11reduce_implILb1ES3_N6thrust23THRUST_200600_302600_NS6detail15normal_iteratorINS8_10device_ptrIsEEEEPss9plus_mod3IsEEE10hipError_tPvRmT1_T2_T3_mT4_P12ihipStream_tbEUlT_E1_NS1_11comp_targetILNS1_3genE10ELNS1_11target_archE1200ELNS1_3gpuE4ELNS1_3repE0EEENS1_30default_config_static_selectorELNS0_4arch9wavefront6targetE1EEEvSK_, .Lfunc_end980-_ZN7rocprim17ROCPRIM_400000_NS6detail17trampoline_kernelINS0_14default_configENS1_22reduce_config_selectorIsEEZNS1_11reduce_implILb1ES3_N6thrust23THRUST_200600_302600_NS6detail15normal_iteratorINS8_10device_ptrIsEEEEPss9plus_mod3IsEEE10hipError_tPvRmT1_T2_T3_mT4_P12ihipStream_tbEUlT_E1_NS1_11comp_targetILNS1_3genE10ELNS1_11target_archE1200ELNS1_3gpuE4ELNS1_3repE0EEENS1_30default_config_static_selectorELNS0_4arch9wavefront6targetE1EEEvSK_
                                        ; -- End function
	.set _ZN7rocprim17ROCPRIM_400000_NS6detail17trampoline_kernelINS0_14default_configENS1_22reduce_config_selectorIsEEZNS1_11reduce_implILb1ES3_N6thrust23THRUST_200600_302600_NS6detail15normal_iteratorINS8_10device_ptrIsEEEEPss9plus_mod3IsEEE10hipError_tPvRmT1_T2_T3_mT4_P12ihipStream_tbEUlT_E1_NS1_11comp_targetILNS1_3genE10ELNS1_11target_archE1200ELNS1_3gpuE4ELNS1_3repE0EEENS1_30default_config_static_selectorELNS0_4arch9wavefront6targetE1EEEvSK_.num_vgpr, 0
	.set _ZN7rocprim17ROCPRIM_400000_NS6detail17trampoline_kernelINS0_14default_configENS1_22reduce_config_selectorIsEEZNS1_11reduce_implILb1ES3_N6thrust23THRUST_200600_302600_NS6detail15normal_iteratorINS8_10device_ptrIsEEEEPss9plus_mod3IsEEE10hipError_tPvRmT1_T2_T3_mT4_P12ihipStream_tbEUlT_E1_NS1_11comp_targetILNS1_3genE10ELNS1_11target_archE1200ELNS1_3gpuE4ELNS1_3repE0EEENS1_30default_config_static_selectorELNS0_4arch9wavefront6targetE1EEEvSK_.num_agpr, 0
	.set _ZN7rocprim17ROCPRIM_400000_NS6detail17trampoline_kernelINS0_14default_configENS1_22reduce_config_selectorIsEEZNS1_11reduce_implILb1ES3_N6thrust23THRUST_200600_302600_NS6detail15normal_iteratorINS8_10device_ptrIsEEEEPss9plus_mod3IsEEE10hipError_tPvRmT1_T2_T3_mT4_P12ihipStream_tbEUlT_E1_NS1_11comp_targetILNS1_3genE10ELNS1_11target_archE1200ELNS1_3gpuE4ELNS1_3repE0EEENS1_30default_config_static_selectorELNS0_4arch9wavefront6targetE1EEEvSK_.numbered_sgpr, 0
	.set _ZN7rocprim17ROCPRIM_400000_NS6detail17trampoline_kernelINS0_14default_configENS1_22reduce_config_selectorIsEEZNS1_11reduce_implILb1ES3_N6thrust23THRUST_200600_302600_NS6detail15normal_iteratorINS8_10device_ptrIsEEEEPss9plus_mod3IsEEE10hipError_tPvRmT1_T2_T3_mT4_P12ihipStream_tbEUlT_E1_NS1_11comp_targetILNS1_3genE10ELNS1_11target_archE1200ELNS1_3gpuE4ELNS1_3repE0EEENS1_30default_config_static_selectorELNS0_4arch9wavefront6targetE1EEEvSK_.num_named_barrier, 0
	.set _ZN7rocprim17ROCPRIM_400000_NS6detail17trampoline_kernelINS0_14default_configENS1_22reduce_config_selectorIsEEZNS1_11reduce_implILb1ES3_N6thrust23THRUST_200600_302600_NS6detail15normal_iteratorINS8_10device_ptrIsEEEEPss9plus_mod3IsEEE10hipError_tPvRmT1_T2_T3_mT4_P12ihipStream_tbEUlT_E1_NS1_11comp_targetILNS1_3genE10ELNS1_11target_archE1200ELNS1_3gpuE4ELNS1_3repE0EEENS1_30default_config_static_selectorELNS0_4arch9wavefront6targetE1EEEvSK_.private_seg_size, 0
	.set _ZN7rocprim17ROCPRIM_400000_NS6detail17trampoline_kernelINS0_14default_configENS1_22reduce_config_selectorIsEEZNS1_11reduce_implILb1ES3_N6thrust23THRUST_200600_302600_NS6detail15normal_iteratorINS8_10device_ptrIsEEEEPss9plus_mod3IsEEE10hipError_tPvRmT1_T2_T3_mT4_P12ihipStream_tbEUlT_E1_NS1_11comp_targetILNS1_3genE10ELNS1_11target_archE1200ELNS1_3gpuE4ELNS1_3repE0EEENS1_30default_config_static_selectorELNS0_4arch9wavefront6targetE1EEEvSK_.uses_vcc, 0
	.set _ZN7rocprim17ROCPRIM_400000_NS6detail17trampoline_kernelINS0_14default_configENS1_22reduce_config_selectorIsEEZNS1_11reduce_implILb1ES3_N6thrust23THRUST_200600_302600_NS6detail15normal_iteratorINS8_10device_ptrIsEEEEPss9plus_mod3IsEEE10hipError_tPvRmT1_T2_T3_mT4_P12ihipStream_tbEUlT_E1_NS1_11comp_targetILNS1_3genE10ELNS1_11target_archE1200ELNS1_3gpuE4ELNS1_3repE0EEENS1_30default_config_static_selectorELNS0_4arch9wavefront6targetE1EEEvSK_.uses_flat_scratch, 0
	.set _ZN7rocprim17ROCPRIM_400000_NS6detail17trampoline_kernelINS0_14default_configENS1_22reduce_config_selectorIsEEZNS1_11reduce_implILb1ES3_N6thrust23THRUST_200600_302600_NS6detail15normal_iteratorINS8_10device_ptrIsEEEEPss9plus_mod3IsEEE10hipError_tPvRmT1_T2_T3_mT4_P12ihipStream_tbEUlT_E1_NS1_11comp_targetILNS1_3genE10ELNS1_11target_archE1200ELNS1_3gpuE4ELNS1_3repE0EEENS1_30default_config_static_selectorELNS0_4arch9wavefront6targetE1EEEvSK_.has_dyn_sized_stack, 0
	.set _ZN7rocprim17ROCPRIM_400000_NS6detail17trampoline_kernelINS0_14default_configENS1_22reduce_config_selectorIsEEZNS1_11reduce_implILb1ES3_N6thrust23THRUST_200600_302600_NS6detail15normal_iteratorINS8_10device_ptrIsEEEEPss9plus_mod3IsEEE10hipError_tPvRmT1_T2_T3_mT4_P12ihipStream_tbEUlT_E1_NS1_11comp_targetILNS1_3genE10ELNS1_11target_archE1200ELNS1_3gpuE4ELNS1_3repE0EEENS1_30default_config_static_selectorELNS0_4arch9wavefront6targetE1EEEvSK_.has_recursion, 0
	.set _ZN7rocprim17ROCPRIM_400000_NS6detail17trampoline_kernelINS0_14default_configENS1_22reduce_config_selectorIsEEZNS1_11reduce_implILb1ES3_N6thrust23THRUST_200600_302600_NS6detail15normal_iteratorINS8_10device_ptrIsEEEEPss9plus_mod3IsEEE10hipError_tPvRmT1_T2_T3_mT4_P12ihipStream_tbEUlT_E1_NS1_11comp_targetILNS1_3genE10ELNS1_11target_archE1200ELNS1_3gpuE4ELNS1_3repE0EEENS1_30default_config_static_selectorELNS0_4arch9wavefront6targetE1EEEvSK_.has_indirect_call, 0
	.section	.AMDGPU.csdata,"",@progbits
; Kernel info:
; codeLenInByte = 0
; TotalNumSgprs: 6
; NumVgprs: 0
; NumAgprs: 0
; TotalNumVgprs: 0
; ScratchSize: 0
; MemoryBound: 0
; FloatMode: 240
; IeeeMode: 1
; LDSByteSize: 0 bytes/workgroup (compile time only)
; SGPRBlocks: 0
; VGPRBlocks: 0
; NumSGPRsForWavesPerEU: 6
; NumVGPRsForWavesPerEU: 1
; AccumOffset: 4
; Occupancy: 8
; WaveLimiterHint : 0
; COMPUTE_PGM_RSRC2:SCRATCH_EN: 0
; COMPUTE_PGM_RSRC2:USER_SGPR: 2
; COMPUTE_PGM_RSRC2:TRAP_HANDLER: 0
; COMPUTE_PGM_RSRC2:TGID_X_EN: 1
; COMPUTE_PGM_RSRC2:TGID_Y_EN: 0
; COMPUTE_PGM_RSRC2:TGID_Z_EN: 0
; COMPUTE_PGM_RSRC2:TIDIG_COMP_CNT: 0
; COMPUTE_PGM_RSRC3_GFX90A:ACCUM_OFFSET: 0
; COMPUTE_PGM_RSRC3_GFX90A:TG_SPLIT: 0
	.section	.text._ZN7rocprim17ROCPRIM_400000_NS6detail17trampoline_kernelINS0_14default_configENS1_22reduce_config_selectorIsEEZNS1_11reduce_implILb1ES3_N6thrust23THRUST_200600_302600_NS6detail15normal_iteratorINS8_10device_ptrIsEEEEPss9plus_mod3IsEEE10hipError_tPvRmT1_T2_T3_mT4_P12ihipStream_tbEUlT_E1_NS1_11comp_targetILNS1_3genE9ELNS1_11target_archE1100ELNS1_3gpuE3ELNS1_3repE0EEENS1_30default_config_static_selectorELNS0_4arch9wavefront6targetE1EEEvSK_,"axG",@progbits,_ZN7rocprim17ROCPRIM_400000_NS6detail17trampoline_kernelINS0_14default_configENS1_22reduce_config_selectorIsEEZNS1_11reduce_implILb1ES3_N6thrust23THRUST_200600_302600_NS6detail15normal_iteratorINS8_10device_ptrIsEEEEPss9plus_mod3IsEEE10hipError_tPvRmT1_T2_T3_mT4_P12ihipStream_tbEUlT_E1_NS1_11comp_targetILNS1_3genE9ELNS1_11target_archE1100ELNS1_3gpuE3ELNS1_3repE0EEENS1_30default_config_static_selectorELNS0_4arch9wavefront6targetE1EEEvSK_,comdat
	.protected	_ZN7rocprim17ROCPRIM_400000_NS6detail17trampoline_kernelINS0_14default_configENS1_22reduce_config_selectorIsEEZNS1_11reduce_implILb1ES3_N6thrust23THRUST_200600_302600_NS6detail15normal_iteratorINS8_10device_ptrIsEEEEPss9plus_mod3IsEEE10hipError_tPvRmT1_T2_T3_mT4_P12ihipStream_tbEUlT_E1_NS1_11comp_targetILNS1_3genE9ELNS1_11target_archE1100ELNS1_3gpuE3ELNS1_3repE0EEENS1_30default_config_static_selectorELNS0_4arch9wavefront6targetE1EEEvSK_ ; -- Begin function _ZN7rocprim17ROCPRIM_400000_NS6detail17trampoline_kernelINS0_14default_configENS1_22reduce_config_selectorIsEEZNS1_11reduce_implILb1ES3_N6thrust23THRUST_200600_302600_NS6detail15normal_iteratorINS8_10device_ptrIsEEEEPss9plus_mod3IsEEE10hipError_tPvRmT1_T2_T3_mT4_P12ihipStream_tbEUlT_E1_NS1_11comp_targetILNS1_3genE9ELNS1_11target_archE1100ELNS1_3gpuE3ELNS1_3repE0EEENS1_30default_config_static_selectorELNS0_4arch9wavefront6targetE1EEEvSK_
	.globl	_ZN7rocprim17ROCPRIM_400000_NS6detail17trampoline_kernelINS0_14default_configENS1_22reduce_config_selectorIsEEZNS1_11reduce_implILb1ES3_N6thrust23THRUST_200600_302600_NS6detail15normal_iteratorINS8_10device_ptrIsEEEEPss9plus_mod3IsEEE10hipError_tPvRmT1_T2_T3_mT4_P12ihipStream_tbEUlT_E1_NS1_11comp_targetILNS1_3genE9ELNS1_11target_archE1100ELNS1_3gpuE3ELNS1_3repE0EEENS1_30default_config_static_selectorELNS0_4arch9wavefront6targetE1EEEvSK_
	.p2align	8
	.type	_ZN7rocprim17ROCPRIM_400000_NS6detail17trampoline_kernelINS0_14default_configENS1_22reduce_config_selectorIsEEZNS1_11reduce_implILb1ES3_N6thrust23THRUST_200600_302600_NS6detail15normal_iteratorINS8_10device_ptrIsEEEEPss9plus_mod3IsEEE10hipError_tPvRmT1_T2_T3_mT4_P12ihipStream_tbEUlT_E1_NS1_11comp_targetILNS1_3genE9ELNS1_11target_archE1100ELNS1_3gpuE3ELNS1_3repE0EEENS1_30default_config_static_selectorELNS0_4arch9wavefront6targetE1EEEvSK_,@function
_ZN7rocprim17ROCPRIM_400000_NS6detail17trampoline_kernelINS0_14default_configENS1_22reduce_config_selectorIsEEZNS1_11reduce_implILb1ES3_N6thrust23THRUST_200600_302600_NS6detail15normal_iteratorINS8_10device_ptrIsEEEEPss9plus_mod3IsEEE10hipError_tPvRmT1_T2_T3_mT4_P12ihipStream_tbEUlT_E1_NS1_11comp_targetILNS1_3genE9ELNS1_11target_archE1100ELNS1_3gpuE3ELNS1_3repE0EEENS1_30default_config_static_selectorELNS0_4arch9wavefront6targetE1EEEvSK_: ; @_ZN7rocprim17ROCPRIM_400000_NS6detail17trampoline_kernelINS0_14default_configENS1_22reduce_config_selectorIsEEZNS1_11reduce_implILb1ES3_N6thrust23THRUST_200600_302600_NS6detail15normal_iteratorINS8_10device_ptrIsEEEEPss9plus_mod3IsEEE10hipError_tPvRmT1_T2_T3_mT4_P12ihipStream_tbEUlT_E1_NS1_11comp_targetILNS1_3genE9ELNS1_11target_archE1100ELNS1_3gpuE3ELNS1_3repE0EEENS1_30default_config_static_selectorELNS0_4arch9wavefront6targetE1EEEvSK_
; %bb.0:
	.section	.rodata,"a",@progbits
	.p2align	6, 0x0
	.amdhsa_kernel _ZN7rocprim17ROCPRIM_400000_NS6detail17trampoline_kernelINS0_14default_configENS1_22reduce_config_selectorIsEEZNS1_11reduce_implILb1ES3_N6thrust23THRUST_200600_302600_NS6detail15normal_iteratorINS8_10device_ptrIsEEEEPss9plus_mod3IsEEE10hipError_tPvRmT1_T2_T3_mT4_P12ihipStream_tbEUlT_E1_NS1_11comp_targetILNS1_3genE9ELNS1_11target_archE1100ELNS1_3gpuE3ELNS1_3repE0EEENS1_30default_config_static_selectorELNS0_4arch9wavefront6targetE1EEEvSK_
		.amdhsa_group_segment_fixed_size 0
		.amdhsa_private_segment_fixed_size 0
		.amdhsa_kernarg_size 48
		.amdhsa_user_sgpr_count 2
		.amdhsa_user_sgpr_dispatch_ptr 0
		.amdhsa_user_sgpr_queue_ptr 0
		.amdhsa_user_sgpr_kernarg_segment_ptr 1
		.amdhsa_user_sgpr_dispatch_id 0
		.amdhsa_user_sgpr_kernarg_preload_length 0
		.amdhsa_user_sgpr_kernarg_preload_offset 0
		.amdhsa_user_sgpr_private_segment_size 0
		.amdhsa_uses_dynamic_stack 0
		.amdhsa_enable_private_segment 0
		.amdhsa_system_sgpr_workgroup_id_x 1
		.amdhsa_system_sgpr_workgroup_id_y 0
		.amdhsa_system_sgpr_workgroup_id_z 0
		.amdhsa_system_sgpr_workgroup_info 0
		.amdhsa_system_vgpr_workitem_id 0
		.amdhsa_next_free_vgpr 1
		.amdhsa_next_free_sgpr 0
		.amdhsa_accum_offset 4
		.amdhsa_reserve_vcc 0
		.amdhsa_float_round_mode_32 0
		.amdhsa_float_round_mode_16_64 0
		.amdhsa_float_denorm_mode_32 3
		.amdhsa_float_denorm_mode_16_64 3
		.amdhsa_dx10_clamp 1
		.amdhsa_ieee_mode 1
		.amdhsa_fp16_overflow 0
		.amdhsa_tg_split 0
		.amdhsa_exception_fp_ieee_invalid_op 0
		.amdhsa_exception_fp_denorm_src 0
		.amdhsa_exception_fp_ieee_div_zero 0
		.amdhsa_exception_fp_ieee_overflow 0
		.amdhsa_exception_fp_ieee_underflow 0
		.amdhsa_exception_fp_ieee_inexact 0
		.amdhsa_exception_int_div_zero 0
	.end_amdhsa_kernel
	.section	.text._ZN7rocprim17ROCPRIM_400000_NS6detail17trampoline_kernelINS0_14default_configENS1_22reduce_config_selectorIsEEZNS1_11reduce_implILb1ES3_N6thrust23THRUST_200600_302600_NS6detail15normal_iteratorINS8_10device_ptrIsEEEEPss9plus_mod3IsEEE10hipError_tPvRmT1_T2_T3_mT4_P12ihipStream_tbEUlT_E1_NS1_11comp_targetILNS1_3genE9ELNS1_11target_archE1100ELNS1_3gpuE3ELNS1_3repE0EEENS1_30default_config_static_selectorELNS0_4arch9wavefront6targetE1EEEvSK_,"axG",@progbits,_ZN7rocprim17ROCPRIM_400000_NS6detail17trampoline_kernelINS0_14default_configENS1_22reduce_config_selectorIsEEZNS1_11reduce_implILb1ES3_N6thrust23THRUST_200600_302600_NS6detail15normal_iteratorINS8_10device_ptrIsEEEEPss9plus_mod3IsEEE10hipError_tPvRmT1_T2_T3_mT4_P12ihipStream_tbEUlT_E1_NS1_11comp_targetILNS1_3genE9ELNS1_11target_archE1100ELNS1_3gpuE3ELNS1_3repE0EEENS1_30default_config_static_selectorELNS0_4arch9wavefront6targetE1EEEvSK_,comdat
.Lfunc_end981:
	.size	_ZN7rocprim17ROCPRIM_400000_NS6detail17trampoline_kernelINS0_14default_configENS1_22reduce_config_selectorIsEEZNS1_11reduce_implILb1ES3_N6thrust23THRUST_200600_302600_NS6detail15normal_iteratorINS8_10device_ptrIsEEEEPss9plus_mod3IsEEE10hipError_tPvRmT1_T2_T3_mT4_P12ihipStream_tbEUlT_E1_NS1_11comp_targetILNS1_3genE9ELNS1_11target_archE1100ELNS1_3gpuE3ELNS1_3repE0EEENS1_30default_config_static_selectorELNS0_4arch9wavefront6targetE1EEEvSK_, .Lfunc_end981-_ZN7rocprim17ROCPRIM_400000_NS6detail17trampoline_kernelINS0_14default_configENS1_22reduce_config_selectorIsEEZNS1_11reduce_implILb1ES3_N6thrust23THRUST_200600_302600_NS6detail15normal_iteratorINS8_10device_ptrIsEEEEPss9plus_mod3IsEEE10hipError_tPvRmT1_T2_T3_mT4_P12ihipStream_tbEUlT_E1_NS1_11comp_targetILNS1_3genE9ELNS1_11target_archE1100ELNS1_3gpuE3ELNS1_3repE0EEENS1_30default_config_static_selectorELNS0_4arch9wavefront6targetE1EEEvSK_
                                        ; -- End function
	.set _ZN7rocprim17ROCPRIM_400000_NS6detail17trampoline_kernelINS0_14default_configENS1_22reduce_config_selectorIsEEZNS1_11reduce_implILb1ES3_N6thrust23THRUST_200600_302600_NS6detail15normal_iteratorINS8_10device_ptrIsEEEEPss9plus_mod3IsEEE10hipError_tPvRmT1_T2_T3_mT4_P12ihipStream_tbEUlT_E1_NS1_11comp_targetILNS1_3genE9ELNS1_11target_archE1100ELNS1_3gpuE3ELNS1_3repE0EEENS1_30default_config_static_selectorELNS0_4arch9wavefront6targetE1EEEvSK_.num_vgpr, 0
	.set _ZN7rocprim17ROCPRIM_400000_NS6detail17trampoline_kernelINS0_14default_configENS1_22reduce_config_selectorIsEEZNS1_11reduce_implILb1ES3_N6thrust23THRUST_200600_302600_NS6detail15normal_iteratorINS8_10device_ptrIsEEEEPss9plus_mod3IsEEE10hipError_tPvRmT1_T2_T3_mT4_P12ihipStream_tbEUlT_E1_NS1_11comp_targetILNS1_3genE9ELNS1_11target_archE1100ELNS1_3gpuE3ELNS1_3repE0EEENS1_30default_config_static_selectorELNS0_4arch9wavefront6targetE1EEEvSK_.num_agpr, 0
	.set _ZN7rocprim17ROCPRIM_400000_NS6detail17trampoline_kernelINS0_14default_configENS1_22reduce_config_selectorIsEEZNS1_11reduce_implILb1ES3_N6thrust23THRUST_200600_302600_NS6detail15normal_iteratorINS8_10device_ptrIsEEEEPss9plus_mod3IsEEE10hipError_tPvRmT1_T2_T3_mT4_P12ihipStream_tbEUlT_E1_NS1_11comp_targetILNS1_3genE9ELNS1_11target_archE1100ELNS1_3gpuE3ELNS1_3repE0EEENS1_30default_config_static_selectorELNS0_4arch9wavefront6targetE1EEEvSK_.numbered_sgpr, 0
	.set _ZN7rocprim17ROCPRIM_400000_NS6detail17trampoline_kernelINS0_14default_configENS1_22reduce_config_selectorIsEEZNS1_11reduce_implILb1ES3_N6thrust23THRUST_200600_302600_NS6detail15normal_iteratorINS8_10device_ptrIsEEEEPss9plus_mod3IsEEE10hipError_tPvRmT1_T2_T3_mT4_P12ihipStream_tbEUlT_E1_NS1_11comp_targetILNS1_3genE9ELNS1_11target_archE1100ELNS1_3gpuE3ELNS1_3repE0EEENS1_30default_config_static_selectorELNS0_4arch9wavefront6targetE1EEEvSK_.num_named_barrier, 0
	.set _ZN7rocprim17ROCPRIM_400000_NS6detail17trampoline_kernelINS0_14default_configENS1_22reduce_config_selectorIsEEZNS1_11reduce_implILb1ES3_N6thrust23THRUST_200600_302600_NS6detail15normal_iteratorINS8_10device_ptrIsEEEEPss9plus_mod3IsEEE10hipError_tPvRmT1_T2_T3_mT4_P12ihipStream_tbEUlT_E1_NS1_11comp_targetILNS1_3genE9ELNS1_11target_archE1100ELNS1_3gpuE3ELNS1_3repE0EEENS1_30default_config_static_selectorELNS0_4arch9wavefront6targetE1EEEvSK_.private_seg_size, 0
	.set _ZN7rocprim17ROCPRIM_400000_NS6detail17trampoline_kernelINS0_14default_configENS1_22reduce_config_selectorIsEEZNS1_11reduce_implILb1ES3_N6thrust23THRUST_200600_302600_NS6detail15normal_iteratorINS8_10device_ptrIsEEEEPss9plus_mod3IsEEE10hipError_tPvRmT1_T2_T3_mT4_P12ihipStream_tbEUlT_E1_NS1_11comp_targetILNS1_3genE9ELNS1_11target_archE1100ELNS1_3gpuE3ELNS1_3repE0EEENS1_30default_config_static_selectorELNS0_4arch9wavefront6targetE1EEEvSK_.uses_vcc, 0
	.set _ZN7rocprim17ROCPRIM_400000_NS6detail17trampoline_kernelINS0_14default_configENS1_22reduce_config_selectorIsEEZNS1_11reduce_implILb1ES3_N6thrust23THRUST_200600_302600_NS6detail15normal_iteratorINS8_10device_ptrIsEEEEPss9plus_mod3IsEEE10hipError_tPvRmT1_T2_T3_mT4_P12ihipStream_tbEUlT_E1_NS1_11comp_targetILNS1_3genE9ELNS1_11target_archE1100ELNS1_3gpuE3ELNS1_3repE0EEENS1_30default_config_static_selectorELNS0_4arch9wavefront6targetE1EEEvSK_.uses_flat_scratch, 0
	.set _ZN7rocprim17ROCPRIM_400000_NS6detail17trampoline_kernelINS0_14default_configENS1_22reduce_config_selectorIsEEZNS1_11reduce_implILb1ES3_N6thrust23THRUST_200600_302600_NS6detail15normal_iteratorINS8_10device_ptrIsEEEEPss9plus_mod3IsEEE10hipError_tPvRmT1_T2_T3_mT4_P12ihipStream_tbEUlT_E1_NS1_11comp_targetILNS1_3genE9ELNS1_11target_archE1100ELNS1_3gpuE3ELNS1_3repE0EEENS1_30default_config_static_selectorELNS0_4arch9wavefront6targetE1EEEvSK_.has_dyn_sized_stack, 0
	.set _ZN7rocprim17ROCPRIM_400000_NS6detail17trampoline_kernelINS0_14default_configENS1_22reduce_config_selectorIsEEZNS1_11reduce_implILb1ES3_N6thrust23THRUST_200600_302600_NS6detail15normal_iteratorINS8_10device_ptrIsEEEEPss9plus_mod3IsEEE10hipError_tPvRmT1_T2_T3_mT4_P12ihipStream_tbEUlT_E1_NS1_11comp_targetILNS1_3genE9ELNS1_11target_archE1100ELNS1_3gpuE3ELNS1_3repE0EEENS1_30default_config_static_selectorELNS0_4arch9wavefront6targetE1EEEvSK_.has_recursion, 0
	.set _ZN7rocprim17ROCPRIM_400000_NS6detail17trampoline_kernelINS0_14default_configENS1_22reduce_config_selectorIsEEZNS1_11reduce_implILb1ES3_N6thrust23THRUST_200600_302600_NS6detail15normal_iteratorINS8_10device_ptrIsEEEEPss9plus_mod3IsEEE10hipError_tPvRmT1_T2_T3_mT4_P12ihipStream_tbEUlT_E1_NS1_11comp_targetILNS1_3genE9ELNS1_11target_archE1100ELNS1_3gpuE3ELNS1_3repE0EEENS1_30default_config_static_selectorELNS0_4arch9wavefront6targetE1EEEvSK_.has_indirect_call, 0
	.section	.AMDGPU.csdata,"",@progbits
; Kernel info:
; codeLenInByte = 0
; TotalNumSgprs: 6
; NumVgprs: 0
; NumAgprs: 0
; TotalNumVgprs: 0
; ScratchSize: 0
; MemoryBound: 0
; FloatMode: 240
; IeeeMode: 1
; LDSByteSize: 0 bytes/workgroup (compile time only)
; SGPRBlocks: 0
; VGPRBlocks: 0
; NumSGPRsForWavesPerEU: 6
; NumVGPRsForWavesPerEU: 1
; AccumOffset: 4
; Occupancy: 8
; WaveLimiterHint : 0
; COMPUTE_PGM_RSRC2:SCRATCH_EN: 0
; COMPUTE_PGM_RSRC2:USER_SGPR: 2
; COMPUTE_PGM_RSRC2:TRAP_HANDLER: 0
; COMPUTE_PGM_RSRC2:TGID_X_EN: 1
; COMPUTE_PGM_RSRC2:TGID_Y_EN: 0
; COMPUTE_PGM_RSRC2:TGID_Z_EN: 0
; COMPUTE_PGM_RSRC2:TIDIG_COMP_CNT: 0
; COMPUTE_PGM_RSRC3_GFX90A:ACCUM_OFFSET: 0
; COMPUTE_PGM_RSRC3_GFX90A:TG_SPLIT: 0
	.section	.text._ZN7rocprim17ROCPRIM_400000_NS6detail17trampoline_kernelINS0_14default_configENS1_22reduce_config_selectorIsEEZNS1_11reduce_implILb1ES3_N6thrust23THRUST_200600_302600_NS6detail15normal_iteratorINS8_10device_ptrIsEEEEPss9plus_mod3IsEEE10hipError_tPvRmT1_T2_T3_mT4_P12ihipStream_tbEUlT_E1_NS1_11comp_targetILNS1_3genE8ELNS1_11target_archE1030ELNS1_3gpuE2ELNS1_3repE0EEENS1_30default_config_static_selectorELNS0_4arch9wavefront6targetE1EEEvSK_,"axG",@progbits,_ZN7rocprim17ROCPRIM_400000_NS6detail17trampoline_kernelINS0_14default_configENS1_22reduce_config_selectorIsEEZNS1_11reduce_implILb1ES3_N6thrust23THRUST_200600_302600_NS6detail15normal_iteratorINS8_10device_ptrIsEEEEPss9plus_mod3IsEEE10hipError_tPvRmT1_T2_T3_mT4_P12ihipStream_tbEUlT_E1_NS1_11comp_targetILNS1_3genE8ELNS1_11target_archE1030ELNS1_3gpuE2ELNS1_3repE0EEENS1_30default_config_static_selectorELNS0_4arch9wavefront6targetE1EEEvSK_,comdat
	.protected	_ZN7rocprim17ROCPRIM_400000_NS6detail17trampoline_kernelINS0_14default_configENS1_22reduce_config_selectorIsEEZNS1_11reduce_implILb1ES3_N6thrust23THRUST_200600_302600_NS6detail15normal_iteratorINS8_10device_ptrIsEEEEPss9plus_mod3IsEEE10hipError_tPvRmT1_T2_T3_mT4_P12ihipStream_tbEUlT_E1_NS1_11comp_targetILNS1_3genE8ELNS1_11target_archE1030ELNS1_3gpuE2ELNS1_3repE0EEENS1_30default_config_static_selectorELNS0_4arch9wavefront6targetE1EEEvSK_ ; -- Begin function _ZN7rocprim17ROCPRIM_400000_NS6detail17trampoline_kernelINS0_14default_configENS1_22reduce_config_selectorIsEEZNS1_11reduce_implILb1ES3_N6thrust23THRUST_200600_302600_NS6detail15normal_iteratorINS8_10device_ptrIsEEEEPss9plus_mod3IsEEE10hipError_tPvRmT1_T2_T3_mT4_P12ihipStream_tbEUlT_E1_NS1_11comp_targetILNS1_3genE8ELNS1_11target_archE1030ELNS1_3gpuE2ELNS1_3repE0EEENS1_30default_config_static_selectorELNS0_4arch9wavefront6targetE1EEEvSK_
	.globl	_ZN7rocprim17ROCPRIM_400000_NS6detail17trampoline_kernelINS0_14default_configENS1_22reduce_config_selectorIsEEZNS1_11reduce_implILb1ES3_N6thrust23THRUST_200600_302600_NS6detail15normal_iteratorINS8_10device_ptrIsEEEEPss9plus_mod3IsEEE10hipError_tPvRmT1_T2_T3_mT4_P12ihipStream_tbEUlT_E1_NS1_11comp_targetILNS1_3genE8ELNS1_11target_archE1030ELNS1_3gpuE2ELNS1_3repE0EEENS1_30default_config_static_selectorELNS0_4arch9wavefront6targetE1EEEvSK_
	.p2align	8
	.type	_ZN7rocprim17ROCPRIM_400000_NS6detail17trampoline_kernelINS0_14default_configENS1_22reduce_config_selectorIsEEZNS1_11reduce_implILb1ES3_N6thrust23THRUST_200600_302600_NS6detail15normal_iteratorINS8_10device_ptrIsEEEEPss9plus_mod3IsEEE10hipError_tPvRmT1_T2_T3_mT4_P12ihipStream_tbEUlT_E1_NS1_11comp_targetILNS1_3genE8ELNS1_11target_archE1030ELNS1_3gpuE2ELNS1_3repE0EEENS1_30default_config_static_selectorELNS0_4arch9wavefront6targetE1EEEvSK_,@function
_ZN7rocprim17ROCPRIM_400000_NS6detail17trampoline_kernelINS0_14default_configENS1_22reduce_config_selectorIsEEZNS1_11reduce_implILb1ES3_N6thrust23THRUST_200600_302600_NS6detail15normal_iteratorINS8_10device_ptrIsEEEEPss9plus_mod3IsEEE10hipError_tPvRmT1_T2_T3_mT4_P12ihipStream_tbEUlT_E1_NS1_11comp_targetILNS1_3genE8ELNS1_11target_archE1030ELNS1_3gpuE2ELNS1_3repE0EEENS1_30default_config_static_selectorELNS0_4arch9wavefront6targetE1EEEvSK_: ; @_ZN7rocprim17ROCPRIM_400000_NS6detail17trampoline_kernelINS0_14default_configENS1_22reduce_config_selectorIsEEZNS1_11reduce_implILb1ES3_N6thrust23THRUST_200600_302600_NS6detail15normal_iteratorINS8_10device_ptrIsEEEEPss9plus_mod3IsEEE10hipError_tPvRmT1_T2_T3_mT4_P12ihipStream_tbEUlT_E1_NS1_11comp_targetILNS1_3genE8ELNS1_11target_archE1030ELNS1_3gpuE2ELNS1_3repE0EEENS1_30default_config_static_selectorELNS0_4arch9wavefront6targetE1EEEvSK_
; %bb.0:
	.section	.rodata,"a",@progbits
	.p2align	6, 0x0
	.amdhsa_kernel _ZN7rocprim17ROCPRIM_400000_NS6detail17trampoline_kernelINS0_14default_configENS1_22reduce_config_selectorIsEEZNS1_11reduce_implILb1ES3_N6thrust23THRUST_200600_302600_NS6detail15normal_iteratorINS8_10device_ptrIsEEEEPss9plus_mod3IsEEE10hipError_tPvRmT1_T2_T3_mT4_P12ihipStream_tbEUlT_E1_NS1_11comp_targetILNS1_3genE8ELNS1_11target_archE1030ELNS1_3gpuE2ELNS1_3repE0EEENS1_30default_config_static_selectorELNS0_4arch9wavefront6targetE1EEEvSK_
		.amdhsa_group_segment_fixed_size 0
		.amdhsa_private_segment_fixed_size 0
		.amdhsa_kernarg_size 48
		.amdhsa_user_sgpr_count 2
		.amdhsa_user_sgpr_dispatch_ptr 0
		.amdhsa_user_sgpr_queue_ptr 0
		.amdhsa_user_sgpr_kernarg_segment_ptr 1
		.amdhsa_user_sgpr_dispatch_id 0
		.amdhsa_user_sgpr_kernarg_preload_length 0
		.amdhsa_user_sgpr_kernarg_preload_offset 0
		.amdhsa_user_sgpr_private_segment_size 0
		.amdhsa_uses_dynamic_stack 0
		.amdhsa_enable_private_segment 0
		.amdhsa_system_sgpr_workgroup_id_x 1
		.amdhsa_system_sgpr_workgroup_id_y 0
		.amdhsa_system_sgpr_workgroup_id_z 0
		.amdhsa_system_sgpr_workgroup_info 0
		.amdhsa_system_vgpr_workitem_id 0
		.amdhsa_next_free_vgpr 1
		.amdhsa_next_free_sgpr 0
		.amdhsa_accum_offset 4
		.amdhsa_reserve_vcc 0
		.amdhsa_float_round_mode_32 0
		.amdhsa_float_round_mode_16_64 0
		.amdhsa_float_denorm_mode_32 3
		.amdhsa_float_denorm_mode_16_64 3
		.amdhsa_dx10_clamp 1
		.amdhsa_ieee_mode 1
		.amdhsa_fp16_overflow 0
		.amdhsa_tg_split 0
		.amdhsa_exception_fp_ieee_invalid_op 0
		.amdhsa_exception_fp_denorm_src 0
		.amdhsa_exception_fp_ieee_div_zero 0
		.amdhsa_exception_fp_ieee_overflow 0
		.amdhsa_exception_fp_ieee_underflow 0
		.amdhsa_exception_fp_ieee_inexact 0
		.amdhsa_exception_int_div_zero 0
	.end_amdhsa_kernel
	.section	.text._ZN7rocprim17ROCPRIM_400000_NS6detail17trampoline_kernelINS0_14default_configENS1_22reduce_config_selectorIsEEZNS1_11reduce_implILb1ES3_N6thrust23THRUST_200600_302600_NS6detail15normal_iteratorINS8_10device_ptrIsEEEEPss9plus_mod3IsEEE10hipError_tPvRmT1_T2_T3_mT4_P12ihipStream_tbEUlT_E1_NS1_11comp_targetILNS1_3genE8ELNS1_11target_archE1030ELNS1_3gpuE2ELNS1_3repE0EEENS1_30default_config_static_selectorELNS0_4arch9wavefront6targetE1EEEvSK_,"axG",@progbits,_ZN7rocprim17ROCPRIM_400000_NS6detail17trampoline_kernelINS0_14default_configENS1_22reduce_config_selectorIsEEZNS1_11reduce_implILb1ES3_N6thrust23THRUST_200600_302600_NS6detail15normal_iteratorINS8_10device_ptrIsEEEEPss9plus_mod3IsEEE10hipError_tPvRmT1_T2_T3_mT4_P12ihipStream_tbEUlT_E1_NS1_11comp_targetILNS1_3genE8ELNS1_11target_archE1030ELNS1_3gpuE2ELNS1_3repE0EEENS1_30default_config_static_selectorELNS0_4arch9wavefront6targetE1EEEvSK_,comdat
.Lfunc_end982:
	.size	_ZN7rocprim17ROCPRIM_400000_NS6detail17trampoline_kernelINS0_14default_configENS1_22reduce_config_selectorIsEEZNS1_11reduce_implILb1ES3_N6thrust23THRUST_200600_302600_NS6detail15normal_iteratorINS8_10device_ptrIsEEEEPss9plus_mod3IsEEE10hipError_tPvRmT1_T2_T3_mT4_P12ihipStream_tbEUlT_E1_NS1_11comp_targetILNS1_3genE8ELNS1_11target_archE1030ELNS1_3gpuE2ELNS1_3repE0EEENS1_30default_config_static_selectorELNS0_4arch9wavefront6targetE1EEEvSK_, .Lfunc_end982-_ZN7rocprim17ROCPRIM_400000_NS6detail17trampoline_kernelINS0_14default_configENS1_22reduce_config_selectorIsEEZNS1_11reduce_implILb1ES3_N6thrust23THRUST_200600_302600_NS6detail15normal_iteratorINS8_10device_ptrIsEEEEPss9plus_mod3IsEEE10hipError_tPvRmT1_T2_T3_mT4_P12ihipStream_tbEUlT_E1_NS1_11comp_targetILNS1_3genE8ELNS1_11target_archE1030ELNS1_3gpuE2ELNS1_3repE0EEENS1_30default_config_static_selectorELNS0_4arch9wavefront6targetE1EEEvSK_
                                        ; -- End function
	.set _ZN7rocprim17ROCPRIM_400000_NS6detail17trampoline_kernelINS0_14default_configENS1_22reduce_config_selectorIsEEZNS1_11reduce_implILb1ES3_N6thrust23THRUST_200600_302600_NS6detail15normal_iteratorINS8_10device_ptrIsEEEEPss9plus_mod3IsEEE10hipError_tPvRmT1_T2_T3_mT4_P12ihipStream_tbEUlT_E1_NS1_11comp_targetILNS1_3genE8ELNS1_11target_archE1030ELNS1_3gpuE2ELNS1_3repE0EEENS1_30default_config_static_selectorELNS0_4arch9wavefront6targetE1EEEvSK_.num_vgpr, 0
	.set _ZN7rocprim17ROCPRIM_400000_NS6detail17trampoline_kernelINS0_14default_configENS1_22reduce_config_selectorIsEEZNS1_11reduce_implILb1ES3_N6thrust23THRUST_200600_302600_NS6detail15normal_iteratorINS8_10device_ptrIsEEEEPss9plus_mod3IsEEE10hipError_tPvRmT1_T2_T3_mT4_P12ihipStream_tbEUlT_E1_NS1_11comp_targetILNS1_3genE8ELNS1_11target_archE1030ELNS1_3gpuE2ELNS1_3repE0EEENS1_30default_config_static_selectorELNS0_4arch9wavefront6targetE1EEEvSK_.num_agpr, 0
	.set _ZN7rocprim17ROCPRIM_400000_NS6detail17trampoline_kernelINS0_14default_configENS1_22reduce_config_selectorIsEEZNS1_11reduce_implILb1ES3_N6thrust23THRUST_200600_302600_NS6detail15normal_iteratorINS8_10device_ptrIsEEEEPss9plus_mod3IsEEE10hipError_tPvRmT1_T2_T3_mT4_P12ihipStream_tbEUlT_E1_NS1_11comp_targetILNS1_3genE8ELNS1_11target_archE1030ELNS1_3gpuE2ELNS1_3repE0EEENS1_30default_config_static_selectorELNS0_4arch9wavefront6targetE1EEEvSK_.numbered_sgpr, 0
	.set _ZN7rocprim17ROCPRIM_400000_NS6detail17trampoline_kernelINS0_14default_configENS1_22reduce_config_selectorIsEEZNS1_11reduce_implILb1ES3_N6thrust23THRUST_200600_302600_NS6detail15normal_iteratorINS8_10device_ptrIsEEEEPss9plus_mod3IsEEE10hipError_tPvRmT1_T2_T3_mT4_P12ihipStream_tbEUlT_E1_NS1_11comp_targetILNS1_3genE8ELNS1_11target_archE1030ELNS1_3gpuE2ELNS1_3repE0EEENS1_30default_config_static_selectorELNS0_4arch9wavefront6targetE1EEEvSK_.num_named_barrier, 0
	.set _ZN7rocprim17ROCPRIM_400000_NS6detail17trampoline_kernelINS0_14default_configENS1_22reduce_config_selectorIsEEZNS1_11reduce_implILb1ES3_N6thrust23THRUST_200600_302600_NS6detail15normal_iteratorINS8_10device_ptrIsEEEEPss9plus_mod3IsEEE10hipError_tPvRmT1_T2_T3_mT4_P12ihipStream_tbEUlT_E1_NS1_11comp_targetILNS1_3genE8ELNS1_11target_archE1030ELNS1_3gpuE2ELNS1_3repE0EEENS1_30default_config_static_selectorELNS0_4arch9wavefront6targetE1EEEvSK_.private_seg_size, 0
	.set _ZN7rocprim17ROCPRIM_400000_NS6detail17trampoline_kernelINS0_14default_configENS1_22reduce_config_selectorIsEEZNS1_11reduce_implILb1ES3_N6thrust23THRUST_200600_302600_NS6detail15normal_iteratorINS8_10device_ptrIsEEEEPss9plus_mod3IsEEE10hipError_tPvRmT1_T2_T3_mT4_P12ihipStream_tbEUlT_E1_NS1_11comp_targetILNS1_3genE8ELNS1_11target_archE1030ELNS1_3gpuE2ELNS1_3repE0EEENS1_30default_config_static_selectorELNS0_4arch9wavefront6targetE1EEEvSK_.uses_vcc, 0
	.set _ZN7rocprim17ROCPRIM_400000_NS6detail17trampoline_kernelINS0_14default_configENS1_22reduce_config_selectorIsEEZNS1_11reduce_implILb1ES3_N6thrust23THRUST_200600_302600_NS6detail15normal_iteratorINS8_10device_ptrIsEEEEPss9plus_mod3IsEEE10hipError_tPvRmT1_T2_T3_mT4_P12ihipStream_tbEUlT_E1_NS1_11comp_targetILNS1_3genE8ELNS1_11target_archE1030ELNS1_3gpuE2ELNS1_3repE0EEENS1_30default_config_static_selectorELNS0_4arch9wavefront6targetE1EEEvSK_.uses_flat_scratch, 0
	.set _ZN7rocprim17ROCPRIM_400000_NS6detail17trampoline_kernelINS0_14default_configENS1_22reduce_config_selectorIsEEZNS1_11reduce_implILb1ES3_N6thrust23THRUST_200600_302600_NS6detail15normal_iteratorINS8_10device_ptrIsEEEEPss9plus_mod3IsEEE10hipError_tPvRmT1_T2_T3_mT4_P12ihipStream_tbEUlT_E1_NS1_11comp_targetILNS1_3genE8ELNS1_11target_archE1030ELNS1_3gpuE2ELNS1_3repE0EEENS1_30default_config_static_selectorELNS0_4arch9wavefront6targetE1EEEvSK_.has_dyn_sized_stack, 0
	.set _ZN7rocprim17ROCPRIM_400000_NS6detail17trampoline_kernelINS0_14default_configENS1_22reduce_config_selectorIsEEZNS1_11reduce_implILb1ES3_N6thrust23THRUST_200600_302600_NS6detail15normal_iteratorINS8_10device_ptrIsEEEEPss9plus_mod3IsEEE10hipError_tPvRmT1_T2_T3_mT4_P12ihipStream_tbEUlT_E1_NS1_11comp_targetILNS1_3genE8ELNS1_11target_archE1030ELNS1_3gpuE2ELNS1_3repE0EEENS1_30default_config_static_selectorELNS0_4arch9wavefront6targetE1EEEvSK_.has_recursion, 0
	.set _ZN7rocprim17ROCPRIM_400000_NS6detail17trampoline_kernelINS0_14default_configENS1_22reduce_config_selectorIsEEZNS1_11reduce_implILb1ES3_N6thrust23THRUST_200600_302600_NS6detail15normal_iteratorINS8_10device_ptrIsEEEEPss9plus_mod3IsEEE10hipError_tPvRmT1_T2_T3_mT4_P12ihipStream_tbEUlT_E1_NS1_11comp_targetILNS1_3genE8ELNS1_11target_archE1030ELNS1_3gpuE2ELNS1_3repE0EEENS1_30default_config_static_selectorELNS0_4arch9wavefront6targetE1EEEvSK_.has_indirect_call, 0
	.section	.AMDGPU.csdata,"",@progbits
; Kernel info:
; codeLenInByte = 0
; TotalNumSgprs: 6
; NumVgprs: 0
; NumAgprs: 0
; TotalNumVgprs: 0
; ScratchSize: 0
; MemoryBound: 0
; FloatMode: 240
; IeeeMode: 1
; LDSByteSize: 0 bytes/workgroup (compile time only)
; SGPRBlocks: 0
; VGPRBlocks: 0
; NumSGPRsForWavesPerEU: 6
; NumVGPRsForWavesPerEU: 1
; AccumOffset: 4
; Occupancy: 8
; WaveLimiterHint : 0
; COMPUTE_PGM_RSRC2:SCRATCH_EN: 0
; COMPUTE_PGM_RSRC2:USER_SGPR: 2
; COMPUTE_PGM_RSRC2:TRAP_HANDLER: 0
; COMPUTE_PGM_RSRC2:TGID_X_EN: 1
; COMPUTE_PGM_RSRC2:TGID_Y_EN: 0
; COMPUTE_PGM_RSRC2:TGID_Z_EN: 0
; COMPUTE_PGM_RSRC2:TIDIG_COMP_CNT: 0
; COMPUTE_PGM_RSRC3_GFX90A:ACCUM_OFFSET: 0
; COMPUTE_PGM_RSRC3_GFX90A:TG_SPLIT: 0
	.section	.text._ZN7rocprim17ROCPRIM_400000_NS6detail17trampoline_kernelINS0_14default_configENS1_22reduce_config_selectorIdEEZNS1_11reduce_implILb1ES3_N6thrust23THRUST_200600_302600_NS17counting_iteratorIdNS8_11hip_rocprim3tagENS8_11use_defaultESC_EEPddNS8_4plusIdEEEE10hipError_tPvRmT1_T2_T3_mT4_P12ihipStream_tbEUlT_E0_NS1_11comp_targetILNS1_3genE0ELNS1_11target_archE4294967295ELNS1_3gpuE0ELNS1_3repE0EEENS1_30default_config_static_selectorELNS0_4arch9wavefront6targetE1EEEvSK_,"axG",@progbits,_ZN7rocprim17ROCPRIM_400000_NS6detail17trampoline_kernelINS0_14default_configENS1_22reduce_config_selectorIdEEZNS1_11reduce_implILb1ES3_N6thrust23THRUST_200600_302600_NS17counting_iteratorIdNS8_11hip_rocprim3tagENS8_11use_defaultESC_EEPddNS8_4plusIdEEEE10hipError_tPvRmT1_T2_T3_mT4_P12ihipStream_tbEUlT_E0_NS1_11comp_targetILNS1_3genE0ELNS1_11target_archE4294967295ELNS1_3gpuE0ELNS1_3repE0EEENS1_30default_config_static_selectorELNS0_4arch9wavefront6targetE1EEEvSK_,comdat
	.protected	_ZN7rocprim17ROCPRIM_400000_NS6detail17trampoline_kernelINS0_14default_configENS1_22reduce_config_selectorIdEEZNS1_11reduce_implILb1ES3_N6thrust23THRUST_200600_302600_NS17counting_iteratorIdNS8_11hip_rocprim3tagENS8_11use_defaultESC_EEPddNS8_4plusIdEEEE10hipError_tPvRmT1_T2_T3_mT4_P12ihipStream_tbEUlT_E0_NS1_11comp_targetILNS1_3genE0ELNS1_11target_archE4294967295ELNS1_3gpuE0ELNS1_3repE0EEENS1_30default_config_static_selectorELNS0_4arch9wavefront6targetE1EEEvSK_ ; -- Begin function _ZN7rocprim17ROCPRIM_400000_NS6detail17trampoline_kernelINS0_14default_configENS1_22reduce_config_selectorIdEEZNS1_11reduce_implILb1ES3_N6thrust23THRUST_200600_302600_NS17counting_iteratorIdNS8_11hip_rocprim3tagENS8_11use_defaultESC_EEPddNS8_4plusIdEEEE10hipError_tPvRmT1_T2_T3_mT4_P12ihipStream_tbEUlT_E0_NS1_11comp_targetILNS1_3genE0ELNS1_11target_archE4294967295ELNS1_3gpuE0ELNS1_3repE0EEENS1_30default_config_static_selectorELNS0_4arch9wavefront6targetE1EEEvSK_
	.globl	_ZN7rocprim17ROCPRIM_400000_NS6detail17trampoline_kernelINS0_14default_configENS1_22reduce_config_selectorIdEEZNS1_11reduce_implILb1ES3_N6thrust23THRUST_200600_302600_NS17counting_iteratorIdNS8_11hip_rocprim3tagENS8_11use_defaultESC_EEPddNS8_4plusIdEEEE10hipError_tPvRmT1_T2_T3_mT4_P12ihipStream_tbEUlT_E0_NS1_11comp_targetILNS1_3genE0ELNS1_11target_archE4294967295ELNS1_3gpuE0ELNS1_3repE0EEENS1_30default_config_static_selectorELNS0_4arch9wavefront6targetE1EEEvSK_
	.p2align	8
	.type	_ZN7rocprim17ROCPRIM_400000_NS6detail17trampoline_kernelINS0_14default_configENS1_22reduce_config_selectorIdEEZNS1_11reduce_implILb1ES3_N6thrust23THRUST_200600_302600_NS17counting_iteratorIdNS8_11hip_rocprim3tagENS8_11use_defaultESC_EEPddNS8_4plusIdEEEE10hipError_tPvRmT1_T2_T3_mT4_P12ihipStream_tbEUlT_E0_NS1_11comp_targetILNS1_3genE0ELNS1_11target_archE4294967295ELNS1_3gpuE0ELNS1_3repE0EEENS1_30default_config_static_selectorELNS0_4arch9wavefront6targetE1EEEvSK_,@function
_ZN7rocprim17ROCPRIM_400000_NS6detail17trampoline_kernelINS0_14default_configENS1_22reduce_config_selectorIdEEZNS1_11reduce_implILb1ES3_N6thrust23THRUST_200600_302600_NS17counting_iteratorIdNS8_11hip_rocprim3tagENS8_11use_defaultESC_EEPddNS8_4plusIdEEEE10hipError_tPvRmT1_T2_T3_mT4_P12ihipStream_tbEUlT_E0_NS1_11comp_targetILNS1_3genE0ELNS1_11target_archE4294967295ELNS1_3gpuE0ELNS1_3repE0EEENS1_30default_config_static_selectorELNS0_4arch9wavefront6targetE1EEEvSK_: ; @_ZN7rocprim17ROCPRIM_400000_NS6detail17trampoline_kernelINS0_14default_configENS1_22reduce_config_selectorIdEEZNS1_11reduce_implILb1ES3_N6thrust23THRUST_200600_302600_NS17counting_iteratorIdNS8_11hip_rocprim3tagENS8_11use_defaultESC_EEPddNS8_4plusIdEEEE10hipError_tPvRmT1_T2_T3_mT4_P12ihipStream_tbEUlT_E0_NS1_11comp_targetILNS1_3genE0ELNS1_11target_archE4294967295ELNS1_3gpuE0ELNS1_3repE0EEENS1_30default_config_static_selectorELNS0_4arch9wavefront6targetE1EEEvSK_
; %bb.0:
	s_load_dwordx8 s[36:43], s[0:1], 0x0
	s_load_dwordx4 s[44:47], s[0:1], 0x20
	s_load_dwordx2 s[30:31], s[0:1], 0x30
	s_lshl_b32 s4, s2, 12
	s_mov_b32 s3, 0
	s_waitcnt lgkmcnt(0)
	v_cvt_f64_i32_e32 v[2:3], s39
	v_ldexp_f64 v[2:3], v[2:3], 32
	v_cvt_f64_u32_e32 v[4:5], s38
	v_add_f64 v[2:3], v[2:3], v[4:5]
	v_add_f64 v[2:3], s[36:37], v[2:3]
	s_lshr_b64 s[0:1], s[40:41], 12
	v_cvt_f64_u32_e32 v[4:5], s4
	s_cmp_lg_u64 s[0:1], s[2:3]
	v_add_f64 v[2:3], v[2:3], v[4:5]
	v_cvt_f64_u32_e32 v[6:7], v0
	v_mbcnt_lo_u32_b32 v1, -1, 0
	s_cbranch_scc0 .LBB983_6
; %bb.1:
	s_mov_b32 s0, 0
	v_add_f64 v[4:5], v[2:3], v[6:7]
	s_mov_b32 s1, 0x40700000
	v_add_f64 v[8:9], v[4:5], s[0:1]
	s_mov_b32 s0, 0
	s_mov_b32 s1, 4.0
	v_add_f64 v[10:11], v[4:5], s[0:1]
	s_mov_b32 s0, 0
	s_mov_b32 s1, 0x40880000
	v_add_f64 v[12:13], v[4:5], s[0:1]
	s_mov_b32 s0, 0
	s_mov_b32 s1, 0x40900000
	;; [unrolled: 3-line block ×13, first 2 shown]
	v_add_f64 v[36:37], v[4:5], s[0:1]
	v_add_f64 v[4:5], v[4:5], v[8:9]
	;; [unrolled: 1-line block ×16, first 2 shown]
	v_mbcnt_hi_u32_b32 v8, -1, v1
	v_lshlrev_b32_e32 v9, 2, v8
	v_mov_b32_dpp v10, v4 quad_perm:[1,0,3,2] row_mask:0xf bank_mask:0xf bound_ctrl:1
	v_mov_b32_dpp v11, v5 quad_perm:[1,0,3,2] row_mask:0xf bank_mask:0xf bound_ctrl:1
	v_add_f64 v[4:5], v[4:5], v[10:11]
	v_cmp_eq_u32_e32 vcc, 0, v8
	s_nop 0
	v_mov_b32_dpp v10, v4 quad_perm:[2,3,0,1] row_mask:0xf bank_mask:0xf bound_ctrl:1
	v_mov_b32_dpp v11, v5 quad_perm:[2,3,0,1] row_mask:0xf bank_mask:0xf bound_ctrl:1
	v_add_f64 v[4:5], v[4:5], v[10:11]
	s_nop 1
	v_mov_b32_dpp v10, v4 row_ror:4 row_mask:0xf bank_mask:0xf bound_ctrl:1
	v_mov_b32_dpp v11, v5 row_ror:4 row_mask:0xf bank_mask:0xf bound_ctrl:1
	v_add_f64 v[4:5], v[4:5], v[10:11]
	s_nop 1
	v_mov_b32_dpp v10, v4 row_ror:8 row_mask:0xf bank_mask:0xf bound_ctrl:1
	v_mov_b32_dpp v11, v5 row_ror:8 row_mask:0xf bank_mask:0xf bound_ctrl:1
	v_add_f64 v[4:5], v[4:5], v[10:11]
	s_nop 1
	v_mov_b32_dpp v10, v4 row_bcast:15 row_mask:0xf bank_mask:0xf bound_ctrl:1
	v_mov_b32_dpp v11, v5 row_bcast:15 row_mask:0xf bank_mask:0xf bound_ctrl:1
	v_add_f64 v[4:5], v[4:5], v[10:11]
	s_nop 1
	v_mov_b32_dpp v10, v4 row_bcast:31 row_mask:0xf bank_mask:0xf bound_ctrl:1
	v_mov_b32_dpp v11, v5 row_bcast:31 row_mask:0xf bank_mask:0xf bound_ctrl:1
	v_add_f64 v[4:5], v[4:5], v[10:11]
	v_or_b32_e32 v10, 0xfc, v9
	ds_bpermute_b32 v4, v10, v4
	ds_bpermute_b32 v5, v10, v5
	s_and_saveexec_b64 s[0:1], vcc
	s_cbranch_execz .LBB983_3
; %bb.2:
	v_lshrrev_b32_e32 v10, 3, v0
	v_and_b32_e32 v10, 24, v10
	s_waitcnt lgkmcnt(0)
	ds_write_b64 v10, v[4:5]
.LBB983_3:
	s_or_b64 exec, exec, s[0:1]
	v_cmp_gt_u32_e32 vcc, 64, v0
	s_waitcnt lgkmcnt(0)
	s_barrier
	s_and_saveexec_b64 s[0:1], vcc
	s_cbranch_execz .LBB983_5
; %bb.4:
	v_and_b32_e32 v10, 3, v8
	v_lshlrev_b32_e32 v4, 3, v10
	ds_read_b64 v[4:5], v4
	v_cmp_ne_u32_e32 vcc, 3, v10
	v_or_b32_e32 v9, 8, v9
	s_nop 0
	v_addc_co_u32_e32 v8, vcc, 0, v8, vcc
	v_lshlrev_b32_e32 v8, 2, v8
	s_waitcnt lgkmcnt(0)
	ds_bpermute_b32 v10, v8, v4
	ds_bpermute_b32 v11, v8, v5
	s_waitcnt lgkmcnt(0)
	v_add_f64 v[4:5], v[4:5], v[10:11]
	ds_bpermute_b32 v8, v9, v4
	ds_bpermute_b32 v9, v9, v5
	s_waitcnt lgkmcnt(0)
	v_add_f64 v[4:5], v[4:5], v[8:9]
.LBB983_5:
	s_or_b64 exec, exec, s[0:1]
	s_branch .LBB983_16
.LBB983_6:
                                        ; implicit-def: $vgpr4_vgpr5
	s_cbranch_execz .LBB983_16
; %bb.7:
	s_sub_i32 s33, s40, s4
	v_or_b32_e32 v8, 0x100, v0
	v_add_f64 v[4:5], v[2:3], v[6:7]
	v_cmp_gt_u32_e32 vcc, s33, v0
	v_cvt_f64_u32_e32 v[6:7], v8
	v_add_f64 v[6:7], v[2:3], v[6:7]
	v_cndmask_b32_e32 v5, 0, v5, vcc
	v_cndmask_b32_e32 v4, 0, v4, vcc
	v_cmp_gt_u32_e32 vcc, s33, v8
	v_or_b32_e32 v10, 0x200, v0
	v_cvt_f64_u32_e32 v[8:9], v10
	v_cndmask_b32_e32 v7, 0, v7, vcc
	v_cndmask_b32_e32 v6, 0, v6, vcc
	v_add_f64 v[8:9], v[2:3], v[8:9]
	v_cmp_gt_u32_e64 s[0:1], s33, v10
	v_or_b32_e32 v12, 0x300, v0
	v_add_f64 v[6:7], v[4:5], v[6:7]
	v_cndmask_b32_e64 v9, 0, v9, s[0:1]
	v_cndmask_b32_e64 v8, 0, v8, s[0:1]
	v_cvt_f64_u32_e32 v[10:11], v12
	v_cndmask_b32_e32 v5, v5, v7, vcc
	v_cndmask_b32_e32 v4, v4, v6, vcc
	v_add_f64 v[10:11], v[2:3], v[10:11]
	v_cmp_gt_u32_e64 s[4:5], s33, v12
	v_or_b32_e32 v14, 0x400, v0
	v_add_f64 v[6:7], v[8:9], v[4:5]
	v_cndmask_b32_e64 v11, 0, v11, s[4:5]
	v_cndmask_b32_e64 v10, 0, v10, s[4:5]
	v_cvt_f64_u32_e32 v[12:13], v14
	v_cndmask_b32_e64 v5, v5, v7, s[0:1]
	v_cndmask_b32_e64 v4, v4, v6, s[0:1]
	v_add_f64 v[12:13], v[2:3], v[12:13]
	v_cmp_gt_u32_e64 s[6:7], s33, v14
	v_or_b32_e32 v16, 0x500, v0
	v_add_f64 v[6:7], v[10:11], v[4:5]
	v_cndmask_b32_e64 v13, 0, v13, s[6:7]
	v_cndmask_b32_e64 v12, 0, v12, s[6:7]
	v_cvt_f64_u32_e32 v[14:15], v16
	v_cndmask_b32_e64 v5, v5, v7, s[4:5]
	v_cndmask_b32_e64 v4, v4, v6, s[4:5]
	;; [unrolled: 9-line block ×12, first 2 shown]
	v_add_f64 v[2:3], v[2:3], v[34:35]
	v_cmp_gt_u32_e64 s[28:29], s33, v36
	v_add_f64 v[6:7], v[32:33], v[4:5]
	v_mbcnt_hi_u32_b32 v1, -1, v1
	v_cndmask_b32_e64 v3, 0, v3, s[28:29]
	v_cndmask_b32_e64 v2, 0, v2, s[28:29]
	;; [unrolled: 1-line block ×4, first 2 shown]
	v_and_b32_e32 v11, 63, v1
	v_add_f64 v[2:3], v[2:3], v[4:5]
	v_cmp_ne_u32_e32 vcc, 63, v11
	v_cndmask_b32_e64 v4, v4, v2, s[28:29]
	v_cndmask_b32_e64 v5, v5, v3, s[28:29]
	v_addc_co_u32_e32 v2, vcc, 0, v1, vcc
	v_lshlrev_b32_e32 v3, 2, v2
	ds_bpermute_b32 v2, v3, v4
	ds_bpermute_b32 v3, v3, v5
	s_min_u32 s6, s33, 0x100
	v_and_b32_e32 v6, 0xc0, v0
	v_sub_u32_e64 v10, s6, v6 clamp
	v_add_u32_e32 v6, 1, v11
	v_cmp_gt_u32_e32 vcc, 62, v11
	s_waitcnt lgkmcnt(0)
	v_add_f64 v[2:3], v[4:5], v[2:3]
	v_cmp_lt_u32_e64 s[0:1], v6, v10
	v_cndmask_b32_e64 v6, 0, 2, vcc
	v_add_lshl_u32 v7, v6, v1, 2
	v_cndmask_b32_e64 v2, v4, v2, s[0:1]
	v_cndmask_b32_e64 v3, v5, v3, s[0:1]
	ds_bpermute_b32 v6, v7, v2
	ds_bpermute_b32 v7, v7, v3
	v_add_u32_e32 v8, 2, v11
	v_cmp_lt_u32_e32 vcc, v8, v10
	v_add_u32_e32 v8, 4, v11
	v_lshlrev_b32_e32 v12, 2, v1
	s_waitcnt lgkmcnt(0)
	v_add_f64 v[6:7], v[2:3], v[6:7]
	v_cndmask_b32_e32 v2, v2, v6, vcc
	v_cndmask_b32_e32 v3, v3, v7, vcc
	v_cmp_gt_u32_e32 vcc, 60, v11
	v_or_b32_e32 v13, 0x80, v12
	s_nop 0
	v_cndmask_b32_e64 v6, 0, 4, vcc
	v_add_lshl_u32 v7, v6, v1, 2
	ds_bpermute_b32 v6, v7, v2
	ds_bpermute_b32 v7, v7, v3
	v_cmp_lt_u32_e32 vcc, v8, v10
	v_add_u32_e32 v8, 8, v11
	s_waitcnt lgkmcnt(0)
	v_add_f64 v[6:7], v[2:3], v[6:7]
	v_cndmask_b32_e32 v2, v2, v6, vcc
	v_cndmask_b32_e32 v3, v3, v7, vcc
	v_cmp_gt_u32_e32 vcc, 56, v11
	s_nop 1
	v_cndmask_b32_e64 v6, 0, 8, vcc
	v_add_lshl_u32 v7, v6, v1, 2
	ds_bpermute_b32 v6, v7, v2
	ds_bpermute_b32 v7, v7, v3
	v_cmp_lt_u32_e32 vcc, v8, v10
	v_add_u32_e32 v8, 16, v11
	s_waitcnt lgkmcnt(0)
	v_add_f64 v[6:7], v[2:3], v[6:7]
	v_cndmask_b32_e32 v2, v2, v6, vcc
	v_cndmask_b32_e32 v3, v3, v7, vcc
	v_cmp_gt_u32_e32 vcc, 48, v11
	s_nop 1
	v_cndmask_b32_e64 v6, 0, 16, vcc
	v_add_lshl_u32 v7, v6, v1, 2
	ds_bpermute_b32 v6, v7, v2
	ds_bpermute_b32 v7, v7, v3
	v_cmp_lt_u32_e32 vcc, v8, v10
	s_waitcnt lgkmcnt(0)
	v_add_f64 v[6:7], v[2:3], v[6:7]
	v_cndmask_b32_e32 v9, v3, v7, vcc
	v_cndmask_b32_e32 v8, v2, v6, vcc
	ds_bpermute_b32 v8, v13, v8
	ds_bpermute_b32 v9, v13, v9
	s_and_saveexec_b64 s[4:5], s[0:1]
	s_cbranch_execz .LBB983_9
; %bb.8:
	v_add_u32_e32 v11, 32, v11
	v_cndmask_b32_e32 v3, v3, v7, vcc
	v_cndmask_b32_e32 v2, v2, v6, vcc
	s_waitcnt lgkmcnt(0)
	v_add_f64 v[4:5], v[2:3], v[8:9]
	v_cmp_lt_u32_e32 vcc, v11, v10
	s_nop 1
	v_cndmask_b32_e32 v5, v3, v5, vcc
	v_cndmask_b32_e32 v4, v2, v4, vcc
.LBB983_9:
	s_or_b64 exec, exec, s[4:5]
	v_cmp_eq_u32_e32 vcc, 0, v1
	s_and_saveexec_b64 s[0:1], vcc
; %bb.10:
	v_lshrrev_b32_e32 v2, 3, v0
	v_and_b32_e32 v2, 24, v2
	ds_write_b64 v2, v[4:5] offset:32
; %bb.11:
	s_or_b64 exec, exec, s[0:1]
	v_cmp_gt_u32_e32 vcc, 4, v0
	s_waitcnt lgkmcnt(0)
	s_barrier
	s_and_saveexec_b64 s[0:1], vcc
	s_cbranch_execz .LBB983_15
; %bb.12:
	v_lshlrev_b32_e32 v2, 3, v1
	ds_read_b64 v[4:5], v2 offset:32
	v_and_b32_e32 v8, 3, v1
	v_cmp_ne_u32_e32 vcc, 3, v8
	s_add_i32 s6, s6, 63
	s_lshr_b32 s6, s6, 6
	v_addc_co_u32_e32 v1, vcc, 0, v1, vcc
	v_lshlrev_b32_e32 v1, 2, v1
	s_waitcnt lgkmcnt(0)
	ds_bpermute_b32 v2, v1, v4
	ds_bpermute_b32 v3, v1, v5
	v_add_u32_e32 v1, 1, v8
	v_cmp_gt_u32_e32 vcc, s6, v1
	v_or_b32_e32 v7, 8, v12
	s_waitcnt lgkmcnt(0)
	v_add_f64 v[2:3], v[4:5], v[2:3]
	v_cndmask_b32_e32 v1, v5, v3, vcc
	v_cndmask_b32_e32 v6, v4, v2, vcc
	ds_bpermute_b32 v6, v7, v6
	ds_bpermute_b32 v7, v7, v1
	s_and_saveexec_b64 s[4:5], vcc
	s_cbranch_execz .LBB983_14
; %bb.13:
	v_add_u32_e32 v1, 2, v8
	s_waitcnt lgkmcnt(0)
	v_add_f64 v[4:5], v[2:3], v[6:7]
	v_cmp_gt_u32_e32 vcc, s6, v1
	s_nop 1
	v_cndmask_b32_e32 v5, v3, v5, vcc
	v_cndmask_b32_e32 v4, v2, v4, vcc
.LBB983_14:
	s_or_b64 exec, exec, s[4:5]
.LBB983_15:
	s_or_b64 exec, exec, s[0:1]
.LBB983_16:
	v_cmp_eq_u32_e32 vcc, 0, v0
	s_and_saveexec_b64 s[0:1], vcc
	s_cbranch_execnz .LBB983_18
; %bb.17:
	s_endpgm
.LBB983_18:
	s_mul_i32 s0, s46, s45
	s_mul_hi_u32 s1, s46, s44
	s_add_i32 s0, s1, s0
	s_mul_i32 s1, s47, s44
	s_add_i32 s1, s0, s1
	s_mul_i32 s0, s46, s44
	s_lshl_b64 s[0:1], s[0:1], 3
	s_add_u32 s4, s42, s0
	s_addc_u32 s5, s43, s1
	s_cmp_eq_u64 s[40:41], 0
	v_mov_b32_e32 v0, s31
	s_cselect_b64 vcc, -1, 0
	s_lshl_b64 s[0:1], s[2:3], 3
	v_cndmask_b32_e32 v1, v5, v0, vcc
	v_mov_b32_e32 v0, s30
	s_add_u32 s0, s4, s0
	v_cndmask_b32_e32 v0, v4, v0, vcc
	s_addc_u32 s1, s5, s1
	v_mov_b32_e32 v2, 0
	global_store_dwordx2 v2, v[0:1], s[0:1]
	s_endpgm
	.section	.rodata,"a",@progbits
	.p2align	6, 0x0
	.amdhsa_kernel _ZN7rocprim17ROCPRIM_400000_NS6detail17trampoline_kernelINS0_14default_configENS1_22reduce_config_selectorIdEEZNS1_11reduce_implILb1ES3_N6thrust23THRUST_200600_302600_NS17counting_iteratorIdNS8_11hip_rocprim3tagENS8_11use_defaultESC_EEPddNS8_4plusIdEEEE10hipError_tPvRmT1_T2_T3_mT4_P12ihipStream_tbEUlT_E0_NS1_11comp_targetILNS1_3genE0ELNS1_11target_archE4294967295ELNS1_3gpuE0ELNS1_3repE0EEENS1_30default_config_static_selectorELNS0_4arch9wavefront6targetE1EEEvSK_
		.amdhsa_group_segment_fixed_size 64
		.amdhsa_private_segment_fixed_size 0
		.amdhsa_kernarg_size 64
		.amdhsa_user_sgpr_count 2
		.amdhsa_user_sgpr_dispatch_ptr 0
		.amdhsa_user_sgpr_queue_ptr 0
		.amdhsa_user_sgpr_kernarg_segment_ptr 1
		.amdhsa_user_sgpr_dispatch_id 0
		.amdhsa_user_sgpr_kernarg_preload_length 0
		.amdhsa_user_sgpr_kernarg_preload_offset 0
		.amdhsa_user_sgpr_private_segment_size 0
		.amdhsa_uses_dynamic_stack 0
		.amdhsa_enable_private_segment 0
		.amdhsa_system_sgpr_workgroup_id_x 1
		.amdhsa_system_sgpr_workgroup_id_y 0
		.amdhsa_system_sgpr_workgroup_id_z 0
		.amdhsa_system_sgpr_workgroup_info 0
		.amdhsa_system_vgpr_workitem_id 0
		.amdhsa_next_free_vgpr 38
		.amdhsa_next_free_sgpr 48
		.amdhsa_accum_offset 40
		.amdhsa_reserve_vcc 1
		.amdhsa_float_round_mode_32 0
		.amdhsa_float_round_mode_16_64 0
		.amdhsa_float_denorm_mode_32 3
		.amdhsa_float_denorm_mode_16_64 3
		.amdhsa_dx10_clamp 1
		.amdhsa_ieee_mode 1
		.amdhsa_fp16_overflow 0
		.amdhsa_tg_split 0
		.amdhsa_exception_fp_ieee_invalid_op 0
		.amdhsa_exception_fp_denorm_src 0
		.amdhsa_exception_fp_ieee_div_zero 0
		.amdhsa_exception_fp_ieee_overflow 0
		.amdhsa_exception_fp_ieee_underflow 0
		.amdhsa_exception_fp_ieee_inexact 0
		.amdhsa_exception_int_div_zero 0
	.end_amdhsa_kernel
	.section	.text._ZN7rocprim17ROCPRIM_400000_NS6detail17trampoline_kernelINS0_14default_configENS1_22reduce_config_selectorIdEEZNS1_11reduce_implILb1ES3_N6thrust23THRUST_200600_302600_NS17counting_iteratorIdNS8_11hip_rocprim3tagENS8_11use_defaultESC_EEPddNS8_4plusIdEEEE10hipError_tPvRmT1_T2_T3_mT4_P12ihipStream_tbEUlT_E0_NS1_11comp_targetILNS1_3genE0ELNS1_11target_archE4294967295ELNS1_3gpuE0ELNS1_3repE0EEENS1_30default_config_static_selectorELNS0_4arch9wavefront6targetE1EEEvSK_,"axG",@progbits,_ZN7rocprim17ROCPRIM_400000_NS6detail17trampoline_kernelINS0_14default_configENS1_22reduce_config_selectorIdEEZNS1_11reduce_implILb1ES3_N6thrust23THRUST_200600_302600_NS17counting_iteratorIdNS8_11hip_rocprim3tagENS8_11use_defaultESC_EEPddNS8_4plusIdEEEE10hipError_tPvRmT1_T2_T3_mT4_P12ihipStream_tbEUlT_E0_NS1_11comp_targetILNS1_3genE0ELNS1_11target_archE4294967295ELNS1_3gpuE0ELNS1_3repE0EEENS1_30default_config_static_selectorELNS0_4arch9wavefront6targetE1EEEvSK_,comdat
.Lfunc_end983:
	.size	_ZN7rocprim17ROCPRIM_400000_NS6detail17trampoline_kernelINS0_14default_configENS1_22reduce_config_selectorIdEEZNS1_11reduce_implILb1ES3_N6thrust23THRUST_200600_302600_NS17counting_iteratorIdNS8_11hip_rocprim3tagENS8_11use_defaultESC_EEPddNS8_4plusIdEEEE10hipError_tPvRmT1_T2_T3_mT4_P12ihipStream_tbEUlT_E0_NS1_11comp_targetILNS1_3genE0ELNS1_11target_archE4294967295ELNS1_3gpuE0ELNS1_3repE0EEENS1_30default_config_static_selectorELNS0_4arch9wavefront6targetE1EEEvSK_, .Lfunc_end983-_ZN7rocprim17ROCPRIM_400000_NS6detail17trampoline_kernelINS0_14default_configENS1_22reduce_config_selectorIdEEZNS1_11reduce_implILb1ES3_N6thrust23THRUST_200600_302600_NS17counting_iteratorIdNS8_11hip_rocprim3tagENS8_11use_defaultESC_EEPddNS8_4plusIdEEEE10hipError_tPvRmT1_T2_T3_mT4_P12ihipStream_tbEUlT_E0_NS1_11comp_targetILNS1_3genE0ELNS1_11target_archE4294967295ELNS1_3gpuE0ELNS1_3repE0EEENS1_30default_config_static_selectorELNS0_4arch9wavefront6targetE1EEEvSK_
                                        ; -- End function
	.set _ZN7rocprim17ROCPRIM_400000_NS6detail17trampoline_kernelINS0_14default_configENS1_22reduce_config_selectorIdEEZNS1_11reduce_implILb1ES3_N6thrust23THRUST_200600_302600_NS17counting_iteratorIdNS8_11hip_rocprim3tagENS8_11use_defaultESC_EEPddNS8_4plusIdEEEE10hipError_tPvRmT1_T2_T3_mT4_P12ihipStream_tbEUlT_E0_NS1_11comp_targetILNS1_3genE0ELNS1_11target_archE4294967295ELNS1_3gpuE0ELNS1_3repE0EEENS1_30default_config_static_selectorELNS0_4arch9wavefront6targetE1EEEvSK_.num_vgpr, 38
	.set _ZN7rocprim17ROCPRIM_400000_NS6detail17trampoline_kernelINS0_14default_configENS1_22reduce_config_selectorIdEEZNS1_11reduce_implILb1ES3_N6thrust23THRUST_200600_302600_NS17counting_iteratorIdNS8_11hip_rocprim3tagENS8_11use_defaultESC_EEPddNS8_4plusIdEEEE10hipError_tPvRmT1_T2_T3_mT4_P12ihipStream_tbEUlT_E0_NS1_11comp_targetILNS1_3genE0ELNS1_11target_archE4294967295ELNS1_3gpuE0ELNS1_3repE0EEENS1_30default_config_static_selectorELNS0_4arch9wavefront6targetE1EEEvSK_.num_agpr, 0
	.set _ZN7rocprim17ROCPRIM_400000_NS6detail17trampoline_kernelINS0_14default_configENS1_22reduce_config_selectorIdEEZNS1_11reduce_implILb1ES3_N6thrust23THRUST_200600_302600_NS17counting_iteratorIdNS8_11hip_rocprim3tagENS8_11use_defaultESC_EEPddNS8_4plusIdEEEE10hipError_tPvRmT1_T2_T3_mT4_P12ihipStream_tbEUlT_E0_NS1_11comp_targetILNS1_3genE0ELNS1_11target_archE4294967295ELNS1_3gpuE0ELNS1_3repE0EEENS1_30default_config_static_selectorELNS0_4arch9wavefront6targetE1EEEvSK_.numbered_sgpr, 48
	.set _ZN7rocprim17ROCPRIM_400000_NS6detail17trampoline_kernelINS0_14default_configENS1_22reduce_config_selectorIdEEZNS1_11reduce_implILb1ES3_N6thrust23THRUST_200600_302600_NS17counting_iteratorIdNS8_11hip_rocprim3tagENS8_11use_defaultESC_EEPddNS8_4plusIdEEEE10hipError_tPvRmT1_T2_T3_mT4_P12ihipStream_tbEUlT_E0_NS1_11comp_targetILNS1_3genE0ELNS1_11target_archE4294967295ELNS1_3gpuE0ELNS1_3repE0EEENS1_30default_config_static_selectorELNS0_4arch9wavefront6targetE1EEEvSK_.num_named_barrier, 0
	.set _ZN7rocprim17ROCPRIM_400000_NS6detail17trampoline_kernelINS0_14default_configENS1_22reduce_config_selectorIdEEZNS1_11reduce_implILb1ES3_N6thrust23THRUST_200600_302600_NS17counting_iteratorIdNS8_11hip_rocprim3tagENS8_11use_defaultESC_EEPddNS8_4plusIdEEEE10hipError_tPvRmT1_T2_T3_mT4_P12ihipStream_tbEUlT_E0_NS1_11comp_targetILNS1_3genE0ELNS1_11target_archE4294967295ELNS1_3gpuE0ELNS1_3repE0EEENS1_30default_config_static_selectorELNS0_4arch9wavefront6targetE1EEEvSK_.private_seg_size, 0
	.set _ZN7rocprim17ROCPRIM_400000_NS6detail17trampoline_kernelINS0_14default_configENS1_22reduce_config_selectorIdEEZNS1_11reduce_implILb1ES3_N6thrust23THRUST_200600_302600_NS17counting_iteratorIdNS8_11hip_rocprim3tagENS8_11use_defaultESC_EEPddNS8_4plusIdEEEE10hipError_tPvRmT1_T2_T3_mT4_P12ihipStream_tbEUlT_E0_NS1_11comp_targetILNS1_3genE0ELNS1_11target_archE4294967295ELNS1_3gpuE0ELNS1_3repE0EEENS1_30default_config_static_selectorELNS0_4arch9wavefront6targetE1EEEvSK_.uses_vcc, 1
	.set _ZN7rocprim17ROCPRIM_400000_NS6detail17trampoline_kernelINS0_14default_configENS1_22reduce_config_selectorIdEEZNS1_11reduce_implILb1ES3_N6thrust23THRUST_200600_302600_NS17counting_iteratorIdNS8_11hip_rocprim3tagENS8_11use_defaultESC_EEPddNS8_4plusIdEEEE10hipError_tPvRmT1_T2_T3_mT4_P12ihipStream_tbEUlT_E0_NS1_11comp_targetILNS1_3genE0ELNS1_11target_archE4294967295ELNS1_3gpuE0ELNS1_3repE0EEENS1_30default_config_static_selectorELNS0_4arch9wavefront6targetE1EEEvSK_.uses_flat_scratch, 0
	.set _ZN7rocprim17ROCPRIM_400000_NS6detail17trampoline_kernelINS0_14default_configENS1_22reduce_config_selectorIdEEZNS1_11reduce_implILb1ES3_N6thrust23THRUST_200600_302600_NS17counting_iteratorIdNS8_11hip_rocprim3tagENS8_11use_defaultESC_EEPddNS8_4plusIdEEEE10hipError_tPvRmT1_T2_T3_mT4_P12ihipStream_tbEUlT_E0_NS1_11comp_targetILNS1_3genE0ELNS1_11target_archE4294967295ELNS1_3gpuE0ELNS1_3repE0EEENS1_30default_config_static_selectorELNS0_4arch9wavefront6targetE1EEEvSK_.has_dyn_sized_stack, 0
	.set _ZN7rocprim17ROCPRIM_400000_NS6detail17trampoline_kernelINS0_14default_configENS1_22reduce_config_selectorIdEEZNS1_11reduce_implILb1ES3_N6thrust23THRUST_200600_302600_NS17counting_iteratorIdNS8_11hip_rocprim3tagENS8_11use_defaultESC_EEPddNS8_4plusIdEEEE10hipError_tPvRmT1_T2_T3_mT4_P12ihipStream_tbEUlT_E0_NS1_11comp_targetILNS1_3genE0ELNS1_11target_archE4294967295ELNS1_3gpuE0ELNS1_3repE0EEENS1_30default_config_static_selectorELNS0_4arch9wavefront6targetE1EEEvSK_.has_recursion, 0
	.set _ZN7rocprim17ROCPRIM_400000_NS6detail17trampoline_kernelINS0_14default_configENS1_22reduce_config_selectorIdEEZNS1_11reduce_implILb1ES3_N6thrust23THRUST_200600_302600_NS17counting_iteratorIdNS8_11hip_rocprim3tagENS8_11use_defaultESC_EEPddNS8_4plusIdEEEE10hipError_tPvRmT1_T2_T3_mT4_P12ihipStream_tbEUlT_E0_NS1_11comp_targetILNS1_3genE0ELNS1_11target_archE4294967295ELNS1_3gpuE0ELNS1_3repE0EEENS1_30default_config_static_selectorELNS0_4arch9wavefront6targetE1EEEvSK_.has_indirect_call, 0
	.section	.AMDGPU.csdata,"",@progbits
; Kernel info:
; codeLenInByte = 2672
; TotalNumSgprs: 54
; NumVgprs: 38
; NumAgprs: 0
; TotalNumVgprs: 38
; ScratchSize: 0
; MemoryBound: 0
; FloatMode: 240
; IeeeMode: 1
; LDSByteSize: 64 bytes/workgroup (compile time only)
; SGPRBlocks: 6
; VGPRBlocks: 4
; NumSGPRsForWavesPerEU: 54
; NumVGPRsForWavesPerEU: 38
; AccumOffset: 40
; Occupancy: 8
; WaveLimiterHint : 0
; COMPUTE_PGM_RSRC2:SCRATCH_EN: 0
; COMPUTE_PGM_RSRC2:USER_SGPR: 2
; COMPUTE_PGM_RSRC2:TRAP_HANDLER: 0
; COMPUTE_PGM_RSRC2:TGID_X_EN: 1
; COMPUTE_PGM_RSRC2:TGID_Y_EN: 0
; COMPUTE_PGM_RSRC2:TGID_Z_EN: 0
; COMPUTE_PGM_RSRC2:TIDIG_COMP_CNT: 0
; COMPUTE_PGM_RSRC3_GFX90A:ACCUM_OFFSET: 9
; COMPUTE_PGM_RSRC3_GFX90A:TG_SPLIT: 0
	.section	.text._ZN7rocprim17ROCPRIM_400000_NS6detail17trampoline_kernelINS0_14default_configENS1_22reduce_config_selectorIdEEZNS1_11reduce_implILb1ES3_N6thrust23THRUST_200600_302600_NS17counting_iteratorIdNS8_11hip_rocprim3tagENS8_11use_defaultESC_EEPddNS8_4plusIdEEEE10hipError_tPvRmT1_T2_T3_mT4_P12ihipStream_tbEUlT_E0_NS1_11comp_targetILNS1_3genE5ELNS1_11target_archE942ELNS1_3gpuE9ELNS1_3repE0EEENS1_30default_config_static_selectorELNS0_4arch9wavefront6targetE1EEEvSK_,"axG",@progbits,_ZN7rocprim17ROCPRIM_400000_NS6detail17trampoline_kernelINS0_14default_configENS1_22reduce_config_selectorIdEEZNS1_11reduce_implILb1ES3_N6thrust23THRUST_200600_302600_NS17counting_iteratorIdNS8_11hip_rocprim3tagENS8_11use_defaultESC_EEPddNS8_4plusIdEEEE10hipError_tPvRmT1_T2_T3_mT4_P12ihipStream_tbEUlT_E0_NS1_11comp_targetILNS1_3genE5ELNS1_11target_archE942ELNS1_3gpuE9ELNS1_3repE0EEENS1_30default_config_static_selectorELNS0_4arch9wavefront6targetE1EEEvSK_,comdat
	.protected	_ZN7rocprim17ROCPRIM_400000_NS6detail17trampoline_kernelINS0_14default_configENS1_22reduce_config_selectorIdEEZNS1_11reduce_implILb1ES3_N6thrust23THRUST_200600_302600_NS17counting_iteratorIdNS8_11hip_rocprim3tagENS8_11use_defaultESC_EEPddNS8_4plusIdEEEE10hipError_tPvRmT1_T2_T3_mT4_P12ihipStream_tbEUlT_E0_NS1_11comp_targetILNS1_3genE5ELNS1_11target_archE942ELNS1_3gpuE9ELNS1_3repE0EEENS1_30default_config_static_selectorELNS0_4arch9wavefront6targetE1EEEvSK_ ; -- Begin function _ZN7rocprim17ROCPRIM_400000_NS6detail17trampoline_kernelINS0_14default_configENS1_22reduce_config_selectorIdEEZNS1_11reduce_implILb1ES3_N6thrust23THRUST_200600_302600_NS17counting_iteratorIdNS8_11hip_rocprim3tagENS8_11use_defaultESC_EEPddNS8_4plusIdEEEE10hipError_tPvRmT1_T2_T3_mT4_P12ihipStream_tbEUlT_E0_NS1_11comp_targetILNS1_3genE5ELNS1_11target_archE942ELNS1_3gpuE9ELNS1_3repE0EEENS1_30default_config_static_selectorELNS0_4arch9wavefront6targetE1EEEvSK_
	.globl	_ZN7rocprim17ROCPRIM_400000_NS6detail17trampoline_kernelINS0_14default_configENS1_22reduce_config_selectorIdEEZNS1_11reduce_implILb1ES3_N6thrust23THRUST_200600_302600_NS17counting_iteratorIdNS8_11hip_rocprim3tagENS8_11use_defaultESC_EEPddNS8_4plusIdEEEE10hipError_tPvRmT1_T2_T3_mT4_P12ihipStream_tbEUlT_E0_NS1_11comp_targetILNS1_3genE5ELNS1_11target_archE942ELNS1_3gpuE9ELNS1_3repE0EEENS1_30default_config_static_selectorELNS0_4arch9wavefront6targetE1EEEvSK_
	.p2align	8
	.type	_ZN7rocprim17ROCPRIM_400000_NS6detail17trampoline_kernelINS0_14default_configENS1_22reduce_config_selectorIdEEZNS1_11reduce_implILb1ES3_N6thrust23THRUST_200600_302600_NS17counting_iteratorIdNS8_11hip_rocprim3tagENS8_11use_defaultESC_EEPddNS8_4plusIdEEEE10hipError_tPvRmT1_T2_T3_mT4_P12ihipStream_tbEUlT_E0_NS1_11comp_targetILNS1_3genE5ELNS1_11target_archE942ELNS1_3gpuE9ELNS1_3repE0EEENS1_30default_config_static_selectorELNS0_4arch9wavefront6targetE1EEEvSK_,@function
_ZN7rocprim17ROCPRIM_400000_NS6detail17trampoline_kernelINS0_14default_configENS1_22reduce_config_selectorIdEEZNS1_11reduce_implILb1ES3_N6thrust23THRUST_200600_302600_NS17counting_iteratorIdNS8_11hip_rocprim3tagENS8_11use_defaultESC_EEPddNS8_4plusIdEEEE10hipError_tPvRmT1_T2_T3_mT4_P12ihipStream_tbEUlT_E0_NS1_11comp_targetILNS1_3genE5ELNS1_11target_archE942ELNS1_3gpuE9ELNS1_3repE0EEENS1_30default_config_static_selectorELNS0_4arch9wavefront6targetE1EEEvSK_: ; @_ZN7rocprim17ROCPRIM_400000_NS6detail17trampoline_kernelINS0_14default_configENS1_22reduce_config_selectorIdEEZNS1_11reduce_implILb1ES3_N6thrust23THRUST_200600_302600_NS17counting_iteratorIdNS8_11hip_rocprim3tagENS8_11use_defaultESC_EEPddNS8_4plusIdEEEE10hipError_tPvRmT1_T2_T3_mT4_P12ihipStream_tbEUlT_E0_NS1_11comp_targetILNS1_3genE5ELNS1_11target_archE942ELNS1_3gpuE9ELNS1_3repE0EEENS1_30default_config_static_selectorELNS0_4arch9wavefront6targetE1EEEvSK_
; %bb.0:
	.section	.rodata,"a",@progbits
	.p2align	6, 0x0
	.amdhsa_kernel _ZN7rocprim17ROCPRIM_400000_NS6detail17trampoline_kernelINS0_14default_configENS1_22reduce_config_selectorIdEEZNS1_11reduce_implILb1ES3_N6thrust23THRUST_200600_302600_NS17counting_iteratorIdNS8_11hip_rocprim3tagENS8_11use_defaultESC_EEPddNS8_4plusIdEEEE10hipError_tPvRmT1_T2_T3_mT4_P12ihipStream_tbEUlT_E0_NS1_11comp_targetILNS1_3genE5ELNS1_11target_archE942ELNS1_3gpuE9ELNS1_3repE0EEENS1_30default_config_static_selectorELNS0_4arch9wavefront6targetE1EEEvSK_
		.amdhsa_group_segment_fixed_size 0
		.amdhsa_private_segment_fixed_size 0
		.amdhsa_kernarg_size 64
		.amdhsa_user_sgpr_count 2
		.amdhsa_user_sgpr_dispatch_ptr 0
		.amdhsa_user_sgpr_queue_ptr 0
		.amdhsa_user_sgpr_kernarg_segment_ptr 1
		.amdhsa_user_sgpr_dispatch_id 0
		.amdhsa_user_sgpr_kernarg_preload_length 0
		.amdhsa_user_sgpr_kernarg_preload_offset 0
		.amdhsa_user_sgpr_private_segment_size 0
		.amdhsa_uses_dynamic_stack 0
		.amdhsa_enable_private_segment 0
		.amdhsa_system_sgpr_workgroup_id_x 1
		.amdhsa_system_sgpr_workgroup_id_y 0
		.amdhsa_system_sgpr_workgroup_id_z 0
		.amdhsa_system_sgpr_workgroup_info 0
		.amdhsa_system_vgpr_workitem_id 0
		.amdhsa_next_free_vgpr 1
		.amdhsa_next_free_sgpr 0
		.amdhsa_accum_offset 4
		.amdhsa_reserve_vcc 0
		.amdhsa_float_round_mode_32 0
		.amdhsa_float_round_mode_16_64 0
		.amdhsa_float_denorm_mode_32 3
		.amdhsa_float_denorm_mode_16_64 3
		.amdhsa_dx10_clamp 1
		.amdhsa_ieee_mode 1
		.amdhsa_fp16_overflow 0
		.amdhsa_tg_split 0
		.amdhsa_exception_fp_ieee_invalid_op 0
		.amdhsa_exception_fp_denorm_src 0
		.amdhsa_exception_fp_ieee_div_zero 0
		.amdhsa_exception_fp_ieee_overflow 0
		.amdhsa_exception_fp_ieee_underflow 0
		.amdhsa_exception_fp_ieee_inexact 0
		.amdhsa_exception_int_div_zero 0
	.end_amdhsa_kernel
	.section	.text._ZN7rocprim17ROCPRIM_400000_NS6detail17trampoline_kernelINS0_14default_configENS1_22reduce_config_selectorIdEEZNS1_11reduce_implILb1ES3_N6thrust23THRUST_200600_302600_NS17counting_iteratorIdNS8_11hip_rocprim3tagENS8_11use_defaultESC_EEPddNS8_4plusIdEEEE10hipError_tPvRmT1_T2_T3_mT4_P12ihipStream_tbEUlT_E0_NS1_11comp_targetILNS1_3genE5ELNS1_11target_archE942ELNS1_3gpuE9ELNS1_3repE0EEENS1_30default_config_static_selectorELNS0_4arch9wavefront6targetE1EEEvSK_,"axG",@progbits,_ZN7rocprim17ROCPRIM_400000_NS6detail17trampoline_kernelINS0_14default_configENS1_22reduce_config_selectorIdEEZNS1_11reduce_implILb1ES3_N6thrust23THRUST_200600_302600_NS17counting_iteratorIdNS8_11hip_rocprim3tagENS8_11use_defaultESC_EEPddNS8_4plusIdEEEE10hipError_tPvRmT1_T2_T3_mT4_P12ihipStream_tbEUlT_E0_NS1_11comp_targetILNS1_3genE5ELNS1_11target_archE942ELNS1_3gpuE9ELNS1_3repE0EEENS1_30default_config_static_selectorELNS0_4arch9wavefront6targetE1EEEvSK_,comdat
.Lfunc_end984:
	.size	_ZN7rocprim17ROCPRIM_400000_NS6detail17trampoline_kernelINS0_14default_configENS1_22reduce_config_selectorIdEEZNS1_11reduce_implILb1ES3_N6thrust23THRUST_200600_302600_NS17counting_iteratorIdNS8_11hip_rocprim3tagENS8_11use_defaultESC_EEPddNS8_4plusIdEEEE10hipError_tPvRmT1_T2_T3_mT4_P12ihipStream_tbEUlT_E0_NS1_11comp_targetILNS1_3genE5ELNS1_11target_archE942ELNS1_3gpuE9ELNS1_3repE0EEENS1_30default_config_static_selectorELNS0_4arch9wavefront6targetE1EEEvSK_, .Lfunc_end984-_ZN7rocprim17ROCPRIM_400000_NS6detail17trampoline_kernelINS0_14default_configENS1_22reduce_config_selectorIdEEZNS1_11reduce_implILb1ES3_N6thrust23THRUST_200600_302600_NS17counting_iteratorIdNS8_11hip_rocprim3tagENS8_11use_defaultESC_EEPddNS8_4plusIdEEEE10hipError_tPvRmT1_T2_T3_mT4_P12ihipStream_tbEUlT_E0_NS1_11comp_targetILNS1_3genE5ELNS1_11target_archE942ELNS1_3gpuE9ELNS1_3repE0EEENS1_30default_config_static_selectorELNS0_4arch9wavefront6targetE1EEEvSK_
                                        ; -- End function
	.set _ZN7rocprim17ROCPRIM_400000_NS6detail17trampoline_kernelINS0_14default_configENS1_22reduce_config_selectorIdEEZNS1_11reduce_implILb1ES3_N6thrust23THRUST_200600_302600_NS17counting_iteratorIdNS8_11hip_rocprim3tagENS8_11use_defaultESC_EEPddNS8_4plusIdEEEE10hipError_tPvRmT1_T2_T3_mT4_P12ihipStream_tbEUlT_E0_NS1_11comp_targetILNS1_3genE5ELNS1_11target_archE942ELNS1_3gpuE9ELNS1_3repE0EEENS1_30default_config_static_selectorELNS0_4arch9wavefront6targetE1EEEvSK_.num_vgpr, 0
	.set _ZN7rocprim17ROCPRIM_400000_NS6detail17trampoline_kernelINS0_14default_configENS1_22reduce_config_selectorIdEEZNS1_11reduce_implILb1ES3_N6thrust23THRUST_200600_302600_NS17counting_iteratorIdNS8_11hip_rocprim3tagENS8_11use_defaultESC_EEPddNS8_4plusIdEEEE10hipError_tPvRmT1_T2_T3_mT4_P12ihipStream_tbEUlT_E0_NS1_11comp_targetILNS1_3genE5ELNS1_11target_archE942ELNS1_3gpuE9ELNS1_3repE0EEENS1_30default_config_static_selectorELNS0_4arch9wavefront6targetE1EEEvSK_.num_agpr, 0
	.set _ZN7rocprim17ROCPRIM_400000_NS6detail17trampoline_kernelINS0_14default_configENS1_22reduce_config_selectorIdEEZNS1_11reduce_implILb1ES3_N6thrust23THRUST_200600_302600_NS17counting_iteratorIdNS8_11hip_rocprim3tagENS8_11use_defaultESC_EEPddNS8_4plusIdEEEE10hipError_tPvRmT1_T2_T3_mT4_P12ihipStream_tbEUlT_E0_NS1_11comp_targetILNS1_3genE5ELNS1_11target_archE942ELNS1_3gpuE9ELNS1_3repE0EEENS1_30default_config_static_selectorELNS0_4arch9wavefront6targetE1EEEvSK_.numbered_sgpr, 0
	.set _ZN7rocprim17ROCPRIM_400000_NS6detail17trampoline_kernelINS0_14default_configENS1_22reduce_config_selectorIdEEZNS1_11reduce_implILb1ES3_N6thrust23THRUST_200600_302600_NS17counting_iteratorIdNS8_11hip_rocprim3tagENS8_11use_defaultESC_EEPddNS8_4plusIdEEEE10hipError_tPvRmT1_T2_T3_mT4_P12ihipStream_tbEUlT_E0_NS1_11comp_targetILNS1_3genE5ELNS1_11target_archE942ELNS1_3gpuE9ELNS1_3repE0EEENS1_30default_config_static_selectorELNS0_4arch9wavefront6targetE1EEEvSK_.num_named_barrier, 0
	.set _ZN7rocprim17ROCPRIM_400000_NS6detail17trampoline_kernelINS0_14default_configENS1_22reduce_config_selectorIdEEZNS1_11reduce_implILb1ES3_N6thrust23THRUST_200600_302600_NS17counting_iteratorIdNS8_11hip_rocprim3tagENS8_11use_defaultESC_EEPddNS8_4plusIdEEEE10hipError_tPvRmT1_T2_T3_mT4_P12ihipStream_tbEUlT_E0_NS1_11comp_targetILNS1_3genE5ELNS1_11target_archE942ELNS1_3gpuE9ELNS1_3repE0EEENS1_30default_config_static_selectorELNS0_4arch9wavefront6targetE1EEEvSK_.private_seg_size, 0
	.set _ZN7rocprim17ROCPRIM_400000_NS6detail17trampoline_kernelINS0_14default_configENS1_22reduce_config_selectorIdEEZNS1_11reduce_implILb1ES3_N6thrust23THRUST_200600_302600_NS17counting_iteratorIdNS8_11hip_rocprim3tagENS8_11use_defaultESC_EEPddNS8_4plusIdEEEE10hipError_tPvRmT1_T2_T3_mT4_P12ihipStream_tbEUlT_E0_NS1_11comp_targetILNS1_3genE5ELNS1_11target_archE942ELNS1_3gpuE9ELNS1_3repE0EEENS1_30default_config_static_selectorELNS0_4arch9wavefront6targetE1EEEvSK_.uses_vcc, 0
	.set _ZN7rocprim17ROCPRIM_400000_NS6detail17trampoline_kernelINS0_14default_configENS1_22reduce_config_selectorIdEEZNS1_11reduce_implILb1ES3_N6thrust23THRUST_200600_302600_NS17counting_iteratorIdNS8_11hip_rocprim3tagENS8_11use_defaultESC_EEPddNS8_4plusIdEEEE10hipError_tPvRmT1_T2_T3_mT4_P12ihipStream_tbEUlT_E0_NS1_11comp_targetILNS1_3genE5ELNS1_11target_archE942ELNS1_3gpuE9ELNS1_3repE0EEENS1_30default_config_static_selectorELNS0_4arch9wavefront6targetE1EEEvSK_.uses_flat_scratch, 0
	.set _ZN7rocprim17ROCPRIM_400000_NS6detail17trampoline_kernelINS0_14default_configENS1_22reduce_config_selectorIdEEZNS1_11reduce_implILb1ES3_N6thrust23THRUST_200600_302600_NS17counting_iteratorIdNS8_11hip_rocprim3tagENS8_11use_defaultESC_EEPddNS8_4plusIdEEEE10hipError_tPvRmT1_T2_T3_mT4_P12ihipStream_tbEUlT_E0_NS1_11comp_targetILNS1_3genE5ELNS1_11target_archE942ELNS1_3gpuE9ELNS1_3repE0EEENS1_30default_config_static_selectorELNS0_4arch9wavefront6targetE1EEEvSK_.has_dyn_sized_stack, 0
	.set _ZN7rocprim17ROCPRIM_400000_NS6detail17trampoline_kernelINS0_14default_configENS1_22reduce_config_selectorIdEEZNS1_11reduce_implILb1ES3_N6thrust23THRUST_200600_302600_NS17counting_iteratorIdNS8_11hip_rocprim3tagENS8_11use_defaultESC_EEPddNS8_4plusIdEEEE10hipError_tPvRmT1_T2_T3_mT4_P12ihipStream_tbEUlT_E0_NS1_11comp_targetILNS1_3genE5ELNS1_11target_archE942ELNS1_3gpuE9ELNS1_3repE0EEENS1_30default_config_static_selectorELNS0_4arch9wavefront6targetE1EEEvSK_.has_recursion, 0
	.set _ZN7rocprim17ROCPRIM_400000_NS6detail17trampoline_kernelINS0_14default_configENS1_22reduce_config_selectorIdEEZNS1_11reduce_implILb1ES3_N6thrust23THRUST_200600_302600_NS17counting_iteratorIdNS8_11hip_rocprim3tagENS8_11use_defaultESC_EEPddNS8_4plusIdEEEE10hipError_tPvRmT1_T2_T3_mT4_P12ihipStream_tbEUlT_E0_NS1_11comp_targetILNS1_3genE5ELNS1_11target_archE942ELNS1_3gpuE9ELNS1_3repE0EEENS1_30default_config_static_selectorELNS0_4arch9wavefront6targetE1EEEvSK_.has_indirect_call, 0
	.section	.AMDGPU.csdata,"",@progbits
; Kernel info:
; codeLenInByte = 0
; TotalNumSgprs: 6
; NumVgprs: 0
; NumAgprs: 0
; TotalNumVgprs: 0
; ScratchSize: 0
; MemoryBound: 0
; FloatMode: 240
; IeeeMode: 1
; LDSByteSize: 0 bytes/workgroup (compile time only)
; SGPRBlocks: 0
; VGPRBlocks: 0
; NumSGPRsForWavesPerEU: 6
; NumVGPRsForWavesPerEU: 1
; AccumOffset: 4
; Occupancy: 8
; WaveLimiterHint : 0
; COMPUTE_PGM_RSRC2:SCRATCH_EN: 0
; COMPUTE_PGM_RSRC2:USER_SGPR: 2
; COMPUTE_PGM_RSRC2:TRAP_HANDLER: 0
; COMPUTE_PGM_RSRC2:TGID_X_EN: 1
; COMPUTE_PGM_RSRC2:TGID_Y_EN: 0
; COMPUTE_PGM_RSRC2:TGID_Z_EN: 0
; COMPUTE_PGM_RSRC2:TIDIG_COMP_CNT: 0
; COMPUTE_PGM_RSRC3_GFX90A:ACCUM_OFFSET: 0
; COMPUTE_PGM_RSRC3_GFX90A:TG_SPLIT: 0
	.section	.text._ZN7rocprim17ROCPRIM_400000_NS6detail17trampoline_kernelINS0_14default_configENS1_22reduce_config_selectorIdEEZNS1_11reduce_implILb1ES3_N6thrust23THRUST_200600_302600_NS17counting_iteratorIdNS8_11hip_rocprim3tagENS8_11use_defaultESC_EEPddNS8_4plusIdEEEE10hipError_tPvRmT1_T2_T3_mT4_P12ihipStream_tbEUlT_E0_NS1_11comp_targetILNS1_3genE4ELNS1_11target_archE910ELNS1_3gpuE8ELNS1_3repE0EEENS1_30default_config_static_selectorELNS0_4arch9wavefront6targetE1EEEvSK_,"axG",@progbits,_ZN7rocprim17ROCPRIM_400000_NS6detail17trampoline_kernelINS0_14default_configENS1_22reduce_config_selectorIdEEZNS1_11reduce_implILb1ES3_N6thrust23THRUST_200600_302600_NS17counting_iteratorIdNS8_11hip_rocprim3tagENS8_11use_defaultESC_EEPddNS8_4plusIdEEEE10hipError_tPvRmT1_T2_T3_mT4_P12ihipStream_tbEUlT_E0_NS1_11comp_targetILNS1_3genE4ELNS1_11target_archE910ELNS1_3gpuE8ELNS1_3repE0EEENS1_30default_config_static_selectorELNS0_4arch9wavefront6targetE1EEEvSK_,comdat
	.protected	_ZN7rocprim17ROCPRIM_400000_NS6detail17trampoline_kernelINS0_14default_configENS1_22reduce_config_selectorIdEEZNS1_11reduce_implILb1ES3_N6thrust23THRUST_200600_302600_NS17counting_iteratorIdNS8_11hip_rocprim3tagENS8_11use_defaultESC_EEPddNS8_4plusIdEEEE10hipError_tPvRmT1_T2_T3_mT4_P12ihipStream_tbEUlT_E0_NS1_11comp_targetILNS1_3genE4ELNS1_11target_archE910ELNS1_3gpuE8ELNS1_3repE0EEENS1_30default_config_static_selectorELNS0_4arch9wavefront6targetE1EEEvSK_ ; -- Begin function _ZN7rocprim17ROCPRIM_400000_NS6detail17trampoline_kernelINS0_14default_configENS1_22reduce_config_selectorIdEEZNS1_11reduce_implILb1ES3_N6thrust23THRUST_200600_302600_NS17counting_iteratorIdNS8_11hip_rocprim3tagENS8_11use_defaultESC_EEPddNS8_4plusIdEEEE10hipError_tPvRmT1_T2_T3_mT4_P12ihipStream_tbEUlT_E0_NS1_11comp_targetILNS1_3genE4ELNS1_11target_archE910ELNS1_3gpuE8ELNS1_3repE0EEENS1_30default_config_static_selectorELNS0_4arch9wavefront6targetE1EEEvSK_
	.globl	_ZN7rocprim17ROCPRIM_400000_NS6detail17trampoline_kernelINS0_14default_configENS1_22reduce_config_selectorIdEEZNS1_11reduce_implILb1ES3_N6thrust23THRUST_200600_302600_NS17counting_iteratorIdNS8_11hip_rocprim3tagENS8_11use_defaultESC_EEPddNS8_4plusIdEEEE10hipError_tPvRmT1_T2_T3_mT4_P12ihipStream_tbEUlT_E0_NS1_11comp_targetILNS1_3genE4ELNS1_11target_archE910ELNS1_3gpuE8ELNS1_3repE0EEENS1_30default_config_static_selectorELNS0_4arch9wavefront6targetE1EEEvSK_
	.p2align	8
	.type	_ZN7rocprim17ROCPRIM_400000_NS6detail17trampoline_kernelINS0_14default_configENS1_22reduce_config_selectorIdEEZNS1_11reduce_implILb1ES3_N6thrust23THRUST_200600_302600_NS17counting_iteratorIdNS8_11hip_rocprim3tagENS8_11use_defaultESC_EEPddNS8_4plusIdEEEE10hipError_tPvRmT1_T2_T3_mT4_P12ihipStream_tbEUlT_E0_NS1_11comp_targetILNS1_3genE4ELNS1_11target_archE910ELNS1_3gpuE8ELNS1_3repE0EEENS1_30default_config_static_selectorELNS0_4arch9wavefront6targetE1EEEvSK_,@function
_ZN7rocprim17ROCPRIM_400000_NS6detail17trampoline_kernelINS0_14default_configENS1_22reduce_config_selectorIdEEZNS1_11reduce_implILb1ES3_N6thrust23THRUST_200600_302600_NS17counting_iteratorIdNS8_11hip_rocprim3tagENS8_11use_defaultESC_EEPddNS8_4plusIdEEEE10hipError_tPvRmT1_T2_T3_mT4_P12ihipStream_tbEUlT_E0_NS1_11comp_targetILNS1_3genE4ELNS1_11target_archE910ELNS1_3gpuE8ELNS1_3repE0EEENS1_30default_config_static_selectorELNS0_4arch9wavefront6targetE1EEEvSK_: ; @_ZN7rocprim17ROCPRIM_400000_NS6detail17trampoline_kernelINS0_14default_configENS1_22reduce_config_selectorIdEEZNS1_11reduce_implILb1ES3_N6thrust23THRUST_200600_302600_NS17counting_iteratorIdNS8_11hip_rocprim3tagENS8_11use_defaultESC_EEPddNS8_4plusIdEEEE10hipError_tPvRmT1_T2_T3_mT4_P12ihipStream_tbEUlT_E0_NS1_11comp_targetILNS1_3genE4ELNS1_11target_archE910ELNS1_3gpuE8ELNS1_3repE0EEENS1_30default_config_static_selectorELNS0_4arch9wavefront6targetE1EEEvSK_
; %bb.0:
	.section	.rodata,"a",@progbits
	.p2align	6, 0x0
	.amdhsa_kernel _ZN7rocprim17ROCPRIM_400000_NS6detail17trampoline_kernelINS0_14default_configENS1_22reduce_config_selectorIdEEZNS1_11reduce_implILb1ES3_N6thrust23THRUST_200600_302600_NS17counting_iteratorIdNS8_11hip_rocprim3tagENS8_11use_defaultESC_EEPddNS8_4plusIdEEEE10hipError_tPvRmT1_T2_T3_mT4_P12ihipStream_tbEUlT_E0_NS1_11comp_targetILNS1_3genE4ELNS1_11target_archE910ELNS1_3gpuE8ELNS1_3repE0EEENS1_30default_config_static_selectorELNS0_4arch9wavefront6targetE1EEEvSK_
		.amdhsa_group_segment_fixed_size 0
		.amdhsa_private_segment_fixed_size 0
		.amdhsa_kernarg_size 64
		.amdhsa_user_sgpr_count 2
		.amdhsa_user_sgpr_dispatch_ptr 0
		.amdhsa_user_sgpr_queue_ptr 0
		.amdhsa_user_sgpr_kernarg_segment_ptr 1
		.amdhsa_user_sgpr_dispatch_id 0
		.amdhsa_user_sgpr_kernarg_preload_length 0
		.amdhsa_user_sgpr_kernarg_preload_offset 0
		.amdhsa_user_sgpr_private_segment_size 0
		.amdhsa_uses_dynamic_stack 0
		.amdhsa_enable_private_segment 0
		.amdhsa_system_sgpr_workgroup_id_x 1
		.amdhsa_system_sgpr_workgroup_id_y 0
		.amdhsa_system_sgpr_workgroup_id_z 0
		.amdhsa_system_sgpr_workgroup_info 0
		.amdhsa_system_vgpr_workitem_id 0
		.amdhsa_next_free_vgpr 1
		.amdhsa_next_free_sgpr 0
		.amdhsa_accum_offset 4
		.amdhsa_reserve_vcc 0
		.amdhsa_float_round_mode_32 0
		.amdhsa_float_round_mode_16_64 0
		.amdhsa_float_denorm_mode_32 3
		.amdhsa_float_denorm_mode_16_64 3
		.amdhsa_dx10_clamp 1
		.amdhsa_ieee_mode 1
		.amdhsa_fp16_overflow 0
		.amdhsa_tg_split 0
		.amdhsa_exception_fp_ieee_invalid_op 0
		.amdhsa_exception_fp_denorm_src 0
		.amdhsa_exception_fp_ieee_div_zero 0
		.amdhsa_exception_fp_ieee_overflow 0
		.amdhsa_exception_fp_ieee_underflow 0
		.amdhsa_exception_fp_ieee_inexact 0
		.amdhsa_exception_int_div_zero 0
	.end_amdhsa_kernel
	.section	.text._ZN7rocprim17ROCPRIM_400000_NS6detail17trampoline_kernelINS0_14default_configENS1_22reduce_config_selectorIdEEZNS1_11reduce_implILb1ES3_N6thrust23THRUST_200600_302600_NS17counting_iteratorIdNS8_11hip_rocprim3tagENS8_11use_defaultESC_EEPddNS8_4plusIdEEEE10hipError_tPvRmT1_T2_T3_mT4_P12ihipStream_tbEUlT_E0_NS1_11comp_targetILNS1_3genE4ELNS1_11target_archE910ELNS1_3gpuE8ELNS1_3repE0EEENS1_30default_config_static_selectorELNS0_4arch9wavefront6targetE1EEEvSK_,"axG",@progbits,_ZN7rocprim17ROCPRIM_400000_NS6detail17trampoline_kernelINS0_14default_configENS1_22reduce_config_selectorIdEEZNS1_11reduce_implILb1ES3_N6thrust23THRUST_200600_302600_NS17counting_iteratorIdNS8_11hip_rocprim3tagENS8_11use_defaultESC_EEPddNS8_4plusIdEEEE10hipError_tPvRmT1_T2_T3_mT4_P12ihipStream_tbEUlT_E0_NS1_11comp_targetILNS1_3genE4ELNS1_11target_archE910ELNS1_3gpuE8ELNS1_3repE0EEENS1_30default_config_static_selectorELNS0_4arch9wavefront6targetE1EEEvSK_,comdat
.Lfunc_end985:
	.size	_ZN7rocprim17ROCPRIM_400000_NS6detail17trampoline_kernelINS0_14default_configENS1_22reduce_config_selectorIdEEZNS1_11reduce_implILb1ES3_N6thrust23THRUST_200600_302600_NS17counting_iteratorIdNS8_11hip_rocprim3tagENS8_11use_defaultESC_EEPddNS8_4plusIdEEEE10hipError_tPvRmT1_T2_T3_mT4_P12ihipStream_tbEUlT_E0_NS1_11comp_targetILNS1_3genE4ELNS1_11target_archE910ELNS1_3gpuE8ELNS1_3repE0EEENS1_30default_config_static_selectorELNS0_4arch9wavefront6targetE1EEEvSK_, .Lfunc_end985-_ZN7rocprim17ROCPRIM_400000_NS6detail17trampoline_kernelINS0_14default_configENS1_22reduce_config_selectorIdEEZNS1_11reduce_implILb1ES3_N6thrust23THRUST_200600_302600_NS17counting_iteratorIdNS8_11hip_rocprim3tagENS8_11use_defaultESC_EEPddNS8_4plusIdEEEE10hipError_tPvRmT1_T2_T3_mT4_P12ihipStream_tbEUlT_E0_NS1_11comp_targetILNS1_3genE4ELNS1_11target_archE910ELNS1_3gpuE8ELNS1_3repE0EEENS1_30default_config_static_selectorELNS0_4arch9wavefront6targetE1EEEvSK_
                                        ; -- End function
	.set _ZN7rocprim17ROCPRIM_400000_NS6detail17trampoline_kernelINS0_14default_configENS1_22reduce_config_selectorIdEEZNS1_11reduce_implILb1ES3_N6thrust23THRUST_200600_302600_NS17counting_iteratorIdNS8_11hip_rocprim3tagENS8_11use_defaultESC_EEPddNS8_4plusIdEEEE10hipError_tPvRmT1_T2_T3_mT4_P12ihipStream_tbEUlT_E0_NS1_11comp_targetILNS1_3genE4ELNS1_11target_archE910ELNS1_3gpuE8ELNS1_3repE0EEENS1_30default_config_static_selectorELNS0_4arch9wavefront6targetE1EEEvSK_.num_vgpr, 0
	.set _ZN7rocprim17ROCPRIM_400000_NS6detail17trampoline_kernelINS0_14default_configENS1_22reduce_config_selectorIdEEZNS1_11reduce_implILb1ES3_N6thrust23THRUST_200600_302600_NS17counting_iteratorIdNS8_11hip_rocprim3tagENS8_11use_defaultESC_EEPddNS8_4plusIdEEEE10hipError_tPvRmT1_T2_T3_mT4_P12ihipStream_tbEUlT_E0_NS1_11comp_targetILNS1_3genE4ELNS1_11target_archE910ELNS1_3gpuE8ELNS1_3repE0EEENS1_30default_config_static_selectorELNS0_4arch9wavefront6targetE1EEEvSK_.num_agpr, 0
	.set _ZN7rocprim17ROCPRIM_400000_NS6detail17trampoline_kernelINS0_14default_configENS1_22reduce_config_selectorIdEEZNS1_11reduce_implILb1ES3_N6thrust23THRUST_200600_302600_NS17counting_iteratorIdNS8_11hip_rocprim3tagENS8_11use_defaultESC_EEPddNS8_4plusIdEEEE10hipError_tPvRmT1_T2_T3_mT4_P12ihipStream_tbEUlT_E0_NS1_11comp_targetILNS1_3genE4ELNS1_11target_archE910ELNS1_3gpuE8ELNS1_3repE0EEENS1_30default_config_static_selectorELNS0_4arch9wavefront6targetE1EEEvSK_.numbered_sgpr, 0
	.set _ZN7rocprim17ROCPRIM_400000_NS6detail17trampoline_kernelINS0_14default_configENS1_22reduce_config_selectorIdEEZNS1_11reduce_implILb1ES3_N6thrust23THRUST_200600_302600_NS17counting_iteratorIdNS8_11hip_rocprim3tagENS8_11use_defaultESC_EEPddNS8_4plusIdEEEE10hipError_tPvRmT1_T2_T3_mT4_P12ihipStream_tbEUlT_E0_NS1_11comp_targetILNS1_3genE4ELNS1_11target_archE910ELNS1_3gpuE8ELNS1_3repE0EEENS1_30default_config_static_selectorELNS0_4arch9wavefront6targetE1EEEvSK_.num_named_barrier, 0
	.set _ZN7rocprim17ROCPRIM_400000_NS6detail17trampoline_kernelINS0_14default_configENS1_22reduce_config_selectorIdEEZNS1_11reduce_implILb1ES3_N6thrust23THRUST_200600_302600_NS17counting_iteratorIdNS8_11hip_rocprim3tagENS8_11use_defaultESC_EEPddNS8_4plusIdEEEE10hipError_tPvRmT1_T2_T3_mT4_P12ihipStream_tbEUlT_E0_NS1_11comp_targetILNS1_3genE4ELNS1_11target_archE910ELNS1_3gpuE8ELNS1_3repE0EEENS1_30default_config_static_selectorELNS0_4arch9wavefront6targetE1EEEvSK_.private_seg_size, 0
	.set _ZN7rocprim17ROCPRIM_400000_NS6detail17trampoline_kernelINS0_14default_configENS1_22reduce_config_selectorIdEEZNS1_11reduce_implILb1ES3_N6thrust23THRUST_200600_302600_NS17counting_iteratorIdNS8_11hip_rocprim3tagENS8_11use_defaultESC_EEPddNS8_4plusIdEEEE10hipError_tPvRmT1_T2_T3_mT4_P12ihipStream_tbEUlT_E0_NS1_11comp_targetILNS1_3genE4ELNS1_11target_archE910ELNS1_3gpuE8ELNS1_3repE0EEENS1_30default_config_static_selectorELNS0_4arch9wavefront6targetE1EEEvSK_.uses_vcc, 0
	.set _ZN7rocprim17ROCPRIM_400000_NS6detail17trampoline_kernelINS0_14default_configENS1_22reduce_config_selectorIdEEZNS1_11reduce_implILb1ES3_N6thrust23THRUST_200600_302600_NS17counting_iteratorIdNS8_11hip_rocprim3tagENS8_11use_defaultESC_EEPddNS8_4plusIdEEEE10hipError_tPvRmT1_T2_T3_mT4_P12ihipStream_tbEUlT_E0_NS1_11comp_targetILNS1_3genE4ELNS1_11target_archE910ELNS1_3gpuE8ELNS1_3repE0EEENS1_30default_config_static_selectorELNS0_4arch9wavefront6targetE1EEEvSK_.uses_flat_scratch, 0
	.set _ZN7rocprim17ROCPRIM_400000_NS6detail17trampoline_kernelINS0_14default_configENS1_22reduce_config_selectorIdEEZNS1_11reduce_implILb1ES3_N6thrust23THRUST_200600_302600_NS17counting_iteratorIdNS8_11hip_rocprim3tagENS8_11use_defaultESC_EEPddNS8_4plusIdEEEE10hipError_tPvRmT1_T2_T3_mT4_P12ihipStream_tbEUlT_E0_NS1_11comp_targetILNS1_3genE4ELNS1_11target_archE910ELNS1_3gpuE8ELNS1_3repE0EEENS1_30default_config_static_selectorELNS0_4arch9wavefront6targetE1EEEvSK_.has_dyn_sized_stack, 0
	.set _ZN7rocprim17ROCPRIM_400000_NS6detail17trampoline_kernelINS0_14default_configENS1_22reduce_config_selectorIdEEZNS1_11reduce_implILb1ES3_N6thrust23THRUST_200600_302600_NS17counting_iteratorIdNS8_11hip_rocprim3tagENS8_11use_defaultESC_EEPddNS8_4plusIdEEEE10hipError_tPvRmT1_T2_T3_mT4_P12ihipStream_tbEUlT_E0_NS1_11comp_targetILNS1_3genE4ELNS1_11target_archE910ELNS1_3gpuE8ELNS1_3repE0EEENS1_30default_config_static_selectorELNS0_4arch9wavefront6targetE1EEEvSK_.has_recursion, 0
	.set _ZN7rocprim17ROCPRIM_400000_NS6detail17trampoline_kernelINS0_14default_configENS1_22reduce_config_selectorIdEEZNS1_11reduce_implILb1ES3_N6thrust23THRUST_200600_302600_NS17counting_iteratorIdNS8_11hip_rocprim3tagENS8_11use_defaultESC_EEPddNS8_4plusIdEEEE10hipError_tPvRmT1_T2_T3_mT4_P12ihipStream_tbEUlT_E0_NS1_11comp_targetILNS1_3genE4ELNS1_11target_archE910ELNS1_3gpuE8ELNS1_3repE0EEENS1_30default_config_static_selectorELNS0_4arch9wavefront6targetE1EEEvSK_.has_indirect_call, 0
	.section	.AMDGPU.csdata,"",@progbits
; Kernel info:
; codeLenInByte = 0
; TotalNumSgprs: 6
; NumVgprs: 0
; NumAgprs: 0
; TotalNumVgprs: 0
; ScratchSize: 0
; MemoryBound: 0
; FloatMode: 240
; IeeeMode: 1
; LDSByteSize: 0 bytes/workgroup (compile time only)
; SGPRBlocks: 0
; VGPRBlocks: 0
; NumSGPRsForWavesPerEU: 6
; NumVGPRsForWavesPerEU: 1
; AccumOffset: 4
; Occupancy: 8
; WaveLimiterHint : 0
; COMPUTE_PGM_RSRC2:SCRATCH_EN: 0
; COMPUTE_PGM_RSRC2:USER_SGPR: 2
; COMPUTE_PGM_RSRC2:TRAP_HANDLER: 0
; COMPUTE_PGM_RSRC2:TGID_X_EN: 1
; COMPUTE_PGM_RSRC2:TGID_Y_EN: 0
; COMPUTE_PGM_RSRC2:TGID_Z_EN: 0
; COMPUTE_PGM_RSRC2:TIDIG_COMP_CNT: 0
; COMPUTE_PGM_RSRC3_GFX90A:ACCUM_OFFSET: 0
; COMPUTE_PGM_RSRC3_GFX90A:TG_SPLIT: 0
	.section	.text._ZN7rocprim17ROCPRIM_400000_NS6detail17trampoline_kernelINS0_14default_configENS1_22reduce_config_selectorIdEEZNS1_11reduce_implILb1ES3_N6thrust23THRUST_200600_302600_NS17counting_iteratorIdNS8_11hip_rocprim3tagENS8_11use_defaultESC_EEPddNS8_4plusIdEEEE10hipError_tPvRmT1_T2_T3_mT4_P12ihipStream_tbEUlT_E0_NS1_11comp_targetILNS1_3genE3ELNS1_11target_archE908ELNS1_3gpuE7ELNS1_3repE0EEENS1_30default_config_static_selectorELNS0_4arch9wavefront6targetE1EEEvSK_,"axG",@progbits,_ZN7rocprim17ROCPRIM_400000_NS6detail17trampoline_kernelINS0_14default_configENS1_22reduce_config_selectorIdEEZNS1_11reduce_implILb1ES3_N6thrust23THRUST_200600_302600_NS17counting_iteratorIdNS8_11hip_rocprim3tagENS8_11use_defaultESC_EEPddNS8_4plusIdEEEE10hipError_tPvRmT1_T2_T3_mT4_P12ihipStream_tbEUlT_E0_NS1_11comp_targetILNS1_3genE3ELNS1_11target_archE908ELNS1_3gpuE7ELNS1_3repE0EEENS1_30default_config_static_selectorELNS0_4arch9wavefront6targetE1EEEvSK_,comdat
	.protected	_ZN7rocprim17ROCPRIM_400000_NS6detail17trampoline_kernelINS0_14default_configENS1_22reduce_config_selectorIdEEZNS1_11reduce_implILb1ES3_N6thrust23THRUST_200600_302600_NS17counting_iteratorIdNS8_11hip_rocprim3tagENS8_11use_defaultESC_EEPddNS8_4plusIdEEEE10hipError_tPvRmT1_T2_T3_mT4_P12ihipStream_tbEUlT_E0_NS1_11comp_targetILNS1_3genE3ELNS1_11target_archE908ELNS1_3gpuE7ELNS1_3repE0EEENS1_30default_config_static_selectorELNS0_4arch9wavefront6targetE1EEEvSK_ ; -- Begin function _ZN7rocprim17ROCPRIM_400000_NS6detail17trampoline_kernelINS0_14default_configENS1_22reduce_config_selectorIdEEZNS1_11reduce_implILb1ES3_N6thrust23THRUST_200600_302600_NS17counting_iteratorIdNS8_11hip_rocprim3tagENS8_11use_defaultESC_EEPddNS8_4plusIdEEEE10hipError_tPvRmT1_T2_T3_mT4_P12ihipStream_tbEUlT_E0_NS1_11comp_targetILNS1_3genE3ELNS1_11target_archE908ELNS1_3gpuE7ELNS1_3repE0EEENS1_30default_config_static_selectorELNS0_4arch9wavefront6targetE1EEEvSK_
	.globl	_ZN7rocprim17ROCPRIM_400000_NS6detail17trampoline_kernelINS0_14default_configENS1_22reduce_config_selectorIdEEZNS1_11reduce_implILb1ES3_N6thrust23THRUST_200600_302600_NS17counting_iteratorIdNS8_11hip_rocprim3tagENS8_11use_defaultESC_EEPddNS8_4plusIdEEEE10hipError_tPvRmT1_T2_T3_mT4_P12ihipStream_tbEUlT_E0_NS1_11comp_targetILNS1_3genE3ELNS1_11target_archE908ELNS1_3gpuE7ELNS1_3repE0EEENS1_30default_config_static_selectorELNS0_4arch9wavefront6targetE1EEEvSK_
	.p2align	8
	.type	_ZN7rocprim17ROCPRIM_400000_NS6detail17trampoline_kernelINS0_14default_configENS1_22reduce_config_selectorIdEEZNS1_11reduce_implILb1ES3_N6thrust23THRUST_200600_302600_NS17counting_iteratorIdNS8_11hip_rocprim3tagENS8_11use_defaultESC_EEPddNS8_4plusIdEEEE10hipError_tPvRmT1_T2_T3_mT4_P12ihipStream_tbEUlT_E0_NS1_11comp_targetILNS1_3genE3ELNS1_11target_archE908ELNS1_3gpuE7ELNS1_3repE0EEENS1_30default_config_static_selectorELNS0_4arch9wavefront6targetE1EEEvSK_,@function
_ZN7rocprim17ROCPRIM_400000_NS6detail17trampoline_kernelINS0_14default_configENS1_22reduce_config_selectorIdEEZNS1_11reduce_implILb1ES3_N6thrust23THRUST_200600_302600_NS17counting_iteratorIdNS8_11hip_rocprim3tagENS8_11use_defaultESC_EEPddNS8_4plusIdEEEE10hipError_tPvRmT1_T2_T3_mT4_P12ihipStream_tbEUlT_E0_NS1_11comp_targetILNS1_3genE3ELNS1_11target_archE908ELNS1_3gpuE7ELNS1_3repE0EEENS1_30default_config_static_selectorELNS0_4arch9wavefront6targetE1EEEvSK_: ; @_ZN7rocprim17ROCPRIM_400000_NS6detail17trampoline_kernelINS0_14default_configENS1_22reduce_config_selectorIdEEZNS1_11reduce_implILb1ES3_N6thrust23THRUST_200600_302600_NS17counting_iteratorIdNS8_11hip_rocprim3tagENS8_11use_defaultESC_EEPddNS8_4plusIdEEEE10hipError_tPvRmT1_T2_T3_mT4_P12ihipStream_tbEUlT_E0_NS1_11comp_targetILNS1_3genE3ELNS1_11target_archE908ELNS1_3gpuE7ELNS1_3repE0EEENS1_30default_config_static_selectorELNS0_4arch9wavefront6targetE1EEEvSK_
; %bb.0:
	.section	.rodata,"a",@progbits
	.p2align	6, 0x0
	.amdhsa_kernel _ZN7rocprim17ROCPRIM_400000_NS6detail17trampoline_kernelINS0_14default_configENS1_22reduce_config_selectorIdEEZNS1_11reduce_implILb1ES3_N6thrust23THRUST_200600_302600_NS17counting_iteratorIdNS8_11hip_rocprim3tagENS8_11use_defaultESC_EEPddNS8_4plusIdEEEE10hipError_tPvRmT1_T2_T3_mT4_P12ihipStream_tbEUlT_E0_NS1_11comp_targetILNS1_3genE3ELNS1_11target_archE908ELNS1_3gpuE7ELNS1_3repE0EEENS1_30default_config_static_selectorELNS0_4arch9wavefront6targetE1EEEvSK_
		.amdhsa_group_segment_fixed_size 0
		.amdhsa_private_segment_fixed_size 0
		.amdhsa_kernarg_size 64
		.amdhsa_user_sgpr_count 2
		.amdhsa_user_sgpr_dispatch_ptr 0
		.amdhsa_user_sgpr_queue_ptr 0
		.amdhsa_user_sgpr_kernarg_segment_ptr 1
		.amdhsa_user_sgpr_dispatch_id 0
		.amdhsa_user_sgpr_kernarg_preload_length 0
		.amdhsa_user_sgpr_kernarg_preload_offset 0
		.amdhsa_user_sgpr_private_segment_size 0
		.amdhsa_uses_dynamic_stack 0
		.amdhsa_enable_private_segment 0
		.amdhsa_system_sgpr_workgroup_id_x 1
		.amdhsa_system_sgpr_workgroup_id_y 0
		.amdhsa_system_sgpr_workgroup_id_z 0
		.amdhsa_system_sgpr_workgroup_info 0
		.amdhsa_system_vgpr_workitem_id 0
		.amdhsa_next_free_vgpr 1
		.amdhsa_next_free_sgpr 0
		.amdhsa_accum_offset 4
		.amdhsa_reserve_vcc 0
		.amdhsa_float_round_mode_32 0
		.amdhsa_float_round_mode_16_64 0
		.amdhsa_float_denorm_mode_32 3
		.amdhsa_float_denorm_mode_16_64 3
		.amdhsa_dx10_clamp 1
		.amdhsa_ieee_mode 1
		.amdhsa_fp16_overflow 0
		.amdhsa_tg_split 0
		.amdhsa_exception_fp_ieee_invalid_op 0
		.amdhsa_exception_fp_denorm_src 0
		.amdhsa_exception_fp_ieee_div_zero 0
		.amdhsa_exception_fp_ieee_overflow 0
		.amdhsa_exception_fp_ieee_underflow 0
		.amdhsa_exception_fp_ieee_inexact 0
		.amdhsa_exception_int_div_zero 0
	.end_amdhsa_kernel
	.section	.text._ZN7rocprim17ROCPRIM_400000_NS6detail17trampoline_kernelINS0_14default_configENS1_22reduce_config_selectorIdEEZNS1_11reduce_implILb1ES3_N6thrust23THRUST_200600_302600_NS17counting_iteratorIdNS8_11hip_rocprim3tagENS8_11use_defaultESC_EEPddNS8_4plusIdEEEE10hipError_tPvRmT1_T2_T3_mT4_P12ihipStream_tbEUlT_E0_NS1_11comp_targetILNS1_3genE3ELNS1_11target_archE908ELNS1_3gpuE7ELNS1_3repE0EEENS1_30default_config_static_selectorELNS0_4arch9wavefront6targetE1EEEvSK_,"axG",@progbits,_ZN7rocprim17ROCPRIM_400000_NS6detail17trampoline_kernelINS0_14default_configENS1_22reduce_config_selectorIdEEZNS1_11reduce_implILb1ES3_N6thrust23THRUST_200600_302600_NS17counting_iteratorIdNS8_11hip_rocprim3tagENS8_11use_defaultESC_EEPddNS8_4plusIdEEEE10hipError_tPvRmT1_T2_T3_mT4_P12ihipStream_tbEUlT_E0_NS1_11comp_targetILNS1_3genE3ELNS1_11target_archE908ELNS1_3gpuE7ELNS1_3repE0EEENS1_30default_config_static_selectorELNS0_4arch9wavefront6targetE1EEEvSK_,comdat
.Lfunc_end986:
	.size	_ZN7rocprim17ROCPRIM_400000_NS6detail17trampoline_kernelINS0_14default_configENS1_22reduce_config_selectorIdEEZNS1_11reduce_implILb1ES3_N6thrust23THRUST_200600_302600_NS17counting_iteratorIdNS8_11hip_rocprim3tagENS8_11use_defaultESC_EEPddNS8_4plusIdEEEE10hipError_tPvRmT1_T2_T3_mT4_P12ihipStream_tbEUlT_E0_NS1_11comp_targetILNS1_3genE3ELNS1_11target_archE908ELNS1_3gpuE7ELNS1_3repE0EEENS1_30default_config_static_selectorELNS0_4arch9wavefront6targetE1EEEvSK_, .Lfunc_end986-_ZN7rocprim17ROCPRIM_400000_NS6detail17trampoline_kernelINS0_14default_configENS1_22reduce_config_selectorIdEEZNS1_11reduce_implILb1ES3_N6thrust23THRUST_200600_302600_NS17counting_iteratorIdNS8_11hip_rocprim3tagENS8_11use_defaultESC_EEPddNS8_4plusIdEEEE10hipError_tPvRmT1_T2_T3_mT4_P12ihipStream_tbEUlT_E0_NS1_11comp_targetILNS1_3genE3ELNS1_11target_archE908ELNS1_3gpuE7ELNS1_3repE0EEENS1_30default_config_static_selectorELNS0_4arch9wavefront6targetE1EEEvSK_
                                        ; -- End function
	.set _ZN7rocprim17ROCPRIM_400000_NS6detail17trampoline_kernelINS0_14default_configENS1_22reduce_config_selectorIdEEZNS1_11reduce_implILb1ES3_N6thrust23THRUST_200600_302600_NS17counting_iteratorIdNS8_11hip_rocprim3tagENS8_11use_defaultESC_EEPddNS8_4plusIdEEEE10hipError_tPvRmT1_T2_T3_mT4_P12ihipStream_tbEUlT_E0_NS1_11comp_targetILNS1_3genE3ELNS1_11target_archE908ELNS1_3gpuE7ELNS1_3repE0EEENS1_30default_config_static_selectorELNS0_4arch9wavefront6targetE1EEEvSK_.num_vgpr, 0
	.set _ZN7rocprim17ROCPRIM_400000_NS6detail17trampoline_kernelINS0_14default_configENS1_22reduce_config_selectorIdEEZNS1_11reduce_implILb1ES3_N6thrust23THRUST_200600_302600_NS17counting_iteratorIdNS8_11hip_rocprim3tagENS8_11use_defaultESC_EEPddNS8_4plusIdEEEE10hipError_tPvRmT1_T2_T3_mT4_P12ihipStream_tbEUlT_E0_NS1_11comp_targetILNS1_3genE3ELNS1_11target_archE908ELNS1_3gpuE7ELNS1_3repE0EEENS1_30default_config_static_selectorELNS0_4arch9wavefront6targetE1EEEvSK_.num_agpr, 0
	.set _ZN7rocprim17ROCPRIM_400000_NS6detail17trampoline_kernelINS0_14default_configENS1_22reduce_config_selectorIdEEZNS1_11reduce_implILb1ES3_N6thrust23THRUST_200600_302600_NS17counting_iteratorIdNS8_11hip_rocprim3tagENS8_11use_defaultESC_EEPddNS8_4plusIdEEEE10hipError_tPvRmT1_T2_T3_mT4_P12ihipStream_tbEUlT_E0_NS1_11comp_targetILNS1_3genE3ELNS1_11target_archE908ELNS1_3gpuE7ELNS1_3repE0EEENS1_30default_config_static_selectorELNS0_4arch9wavefront6targetE1EEEvSK_.numbered_sgpr, 0
	.set _ZN7rocprim17ROCPRIM_400000_NS6detail17trampoline_kernelINS0_14default_configENS1_22reduce_config_selectorIdEEZNS1_11reduce_implILb1ES3_N6thrust23THRUST_200600_302600_NS17counting_iteratorIdNS8_11hip_rocprim3tagENS8_11use_defaultESC_EEPddNS8_4plusIdEEEE10hipError_tPvRmT1_T2_T3_mT4_P12ihipStream_tbEUlT_E0_NS1_11comp_targetILNS1_3genE3ELNS1_11target_archE908ELNS1_3gpuE7ELNS1_3repE0EEENS1_30default_config_static_selectorELNS0_4arch9wavefront6targetE1EEEvSK_.num_named_barrier, 0
	.set _ZN7rocprim17ROCPRIM_400000_NS6detail17trampoline_kernelINS0_14default_configENS1_22reduce_config_selectorIdEEZNS1_11reduce_implILb1ES3_N6thrust23THRUST_200600_302600_NS17counting_iteratorIdNS8_11hip_rocprim3tagENS8_11use_defaultESC_EEPddNS8_4plusIdEEEE10hipError_tPvRmT1_T2_T3_mT4_P12ihipStream_tbEUlT_E0_NS1_11comp_targetILNS1_3genE3ELNS1_11target_archE908ELNS1_3gpuE7ELNS1_3repE0EEENS1_30default_config_static_selectorELNS0_4arch9wavefront6targetE1EEEvSK_.private_seg_size, 0
	.set _ZN7rocprim17ROCPRIM_400000_NS6detail17trampoline_kernelINS0_14default_configENS1_22reduce_config_selectorIdEEZNS1_11reduce_implILb1ES3_N6thrust23THRUST_200600_302600_NS17counting_iteratorIdNS8_11hip_rocprim3tagENS8_11use_defaultESC_EEPddNS8_4plusIdEEEE10hipError_tPvRmT1_T2_T3_mT4_P12ihipStream_tbEUlT_E0_NS1_11comp_targetILNS1_3genE3ELNS1_11target_archE908ELNS1_3gpuE7ELNS1_3repE0EEENS1_30default_config_static_selectorELNS0_4arch9wavefront6targetE1EEEvSK_.uses_vcc, 0
	.set _ZN7rocprim17ROCPRIM_400000_NS6detail17trampoline_kernelINS0_14default_configENS1_22reduce_config_selectorIdEEZNS1_11reduce_implILb1ES3_N6thrust23THRUST_200600_302600_NS17counting_iteratorIdNS8_11hip_rocprim3tagENS8_11use_defaultESC_EEPddNS8_4plusIdEEEE10hipError_tPvRmT1_T2_T3_mT4_P12ihipStream_tbEUlT_E0_NS1_11comp_targetILNS1_3genE3ELNS1_11target_archE908ELNS1_3gpuE7ELNS1_3repE0EEENS1_30default_config_static_selectorELNS0_4arch9wavefront6targetE1EEEvSK_.uses_flat_scratch, 0
	.set _ZN7rocprim17ROCPRIM_400000_NS6detail17trampoline_kernelINS0_14default_configENS1_22reduce_config_selectorIdEEZNS1_11reduce_implILb1ES3_N6thrust23THRUST_200600_302600_NS17counting_iteratorIdNS8_11hip_rocprim3tagENS8_11use_defaultESC_EEPddNS8_4plusIdEEEE10hipError_tPvRmT1_T2_T3_mT4_P12ihipStream_tbEUlT_E0_NS1_11comp_targetILNS1_3genE3ELNS1_11target_archE908ELNS1_3gpuE7ELNS1_3repE0EEENS1_30default_config_static_selectorELNS0_4arch9wavefront6targetE1EEEvSK_.has_dyn_sized_stack, 0
	.set _ZN7rocprim17ROCPRIM_400000_NS6detail17trampoline_kernelINS0_14default_configENS1_22reduce_config_selectorIdEEZNS1_11reduce_implILb1ES3_N6thrust23THRUST_200600_302600_NS17counting_iteratorIdNS8_11hip_rocprim3tagENS8_11use_defaultESC_EEPddNS8_4plusIdEEEE10hipError_tPvRmT1_T2_T3_mT4_P12ihipStream_tbEUlT_E0_NS1_11comp_targetILNS1_3genE3ELNS1_11target_archE908ELNS1_3gpuE7ELNS1_3repE0EEENS1_30default_config_static_selectorELNS0_4arch9wavefront6targetE1EEEvSK_.has_recursion, 0
	.set _ZN7rocprim17ROCPRIM_400000_NS6detail17trampoline_kernelINS0_14default_configENS1_22reduce_config_selectorIdEEZNS1_11reduce_implILb1ES3_N6thrust23THRUST_200600_302600_NS17counting_iteratorIdNS8_11hip_rocprim3tagENS8_11use_defaultESC_EEPddNS8_4plusIdEEEE10hipError_tPvRmT1_T2_T3_mT4_P12ihipStream_tbEUlT_E0_NS1_11comp_targetILNS1_3genE3ELNS1_11target_archE908ELNS1_3gpuE7ELNS1_3repE0EEENS1_30default_config_static_selectorELNS0_4arch9wavefront6targetE1EEEvSK_.has_indirect_call, 0
	.section	.AMDGPU.csdata,"",@progbits
; Kernel info:
; codeLenInByte = 0
; TotalNumSgprs: 6
; NumVgprs: 0
; NumAgprs: 0
; TotalNumVgprs: 0
; ScratchSize: 0
; MemoryBound: 0
; FloatMode: 240
; IeeeMode: 1
; LDSByteSize: 0 bytes/workgroup (compile time only)
; SGPRBlocks: 0
; VGPRBlocks: 0
; NumSGPRsForWavesPerEU: 6
; NumVGPRsForWavesPerEU: 1
; AccumOffset: 4
; Occupancy: 8
; WaveLimiterHint : 0
; COMPUTE_PGM_RSRC2:SCRATCH_EN: 0
; COMPUTE_PGM_RSRC2:USER_SGPR: 2
; COMPUTE_PGM_RSRC2:TRAP_HANDLER: 0
; COMPUTE_PGM_RSRC2:TGID_X_EN: 1
; COMPUTE_PGM_RSRC2:TGID_Y_EN: 0
; COMPUTE_PGM_RSRC2:TGID_Z_EN: 0
; COMPUTE_PGM_RSRC2:TIDIG_COMP_CNT: 0
; COMPUTE_PGM_RSRC3_GFX90A:ACCUM_OFFSET: 0
; COMPUTE_PGM_RSRC3_GFX90A:TG_SPLIT: 0
	.section	.text._ZN7rocprim17ROCPRIM_400000_NS6detail17trampoline_kernelINS0_14default_configENS1_22reduce_config_selectorIdEEZNS1_11reduce_implILb1ES3_N6thrust23THRUST_200600_302600_NS17counting_iteratorIdNS8_11hip_rocprim3tagENS8_11use_defaultESC_EEPddNS8_4plusIdEEEE10hipError_tPvRmT1_T2_T3_mT4_P12ihipStream_tbEUlT_E0_NS1_11comp_targetILNS1_3genE2ELNS1_11target_archE906ELNS1_3gpuE6ELNS1_3repE0EEENS1_30default_config_static_selectorELNS0_4arch9wavefront6targetE1EEEvSK_,"axG",@progbits,_ZN7rocprim17ROCPRIM_400000_NS6detail17trampoline_kernelINS0_14default_configENS1_22reduce_config_selectorIdEEZNS1_11reduce_implILb1ES3_N6thrust23THRUST_200600_302600_NS17counting_iteratorIdNS8_11hip_rocprim3tagENS8_11use_defaultESC_EEPddNS8_4plusIdEEEE10hipError_tPvRmT1_T2_T3_mT4_P12ihipStream_tbEUlT_E0_NS1_11comp_targetILNS1_3genE2ELNS1_11target_archE906ELNS1_3gpuE6ELNS1_3repE0EEENS1_30default_config_static_selectorELNS0_4arch9wavefront6targetE1EEEvSK_,comdat
	.protected	_ZN7rocprim17ROCPRIM_400000_NS6detail17trampoline_kernelINS0_14default_configENS1_22reduce_config_selectorIdEEZNS1_11reduce_implILb1ES3_N6thrust23THRUST_200600_302600_NS17counting_iteratorIdNS8_11hip_rocprim3tagENS8_11use_defaultESC_EEPddNS8_4plusIdEEEE10hipError_tPvRmT1_T2_T3_mT4_P12ihipStream_tbEUlT_E0_NS1_11comp_targetILNS1_3genE2ELNS1_11target_archE906ELNS1_3gpuE6ELNS1_3repE0EEENS1_30default_config_static_selectorELNS0_4arch9wavefront6targetE1EEEvSK_ ; -- Begin function _ZN7rocprim17ROCPRIM_400000_NS6detail17trampoline_kernelINS0_14default_configENS1_22reduce_config_selectorIdEEZNS1_11reduce_implILb1ES3_N6thrust23THRUST_200600_302600_NS17counting_iteratorIdNS8_11hip_rocprim3tagENS8_11use_defaultESC_EEPddNS8_4plusIdEEEE10hipError_tPvRmT1_T2_T3_mT4_P12ihipStream_tbEUlT_E0_NS1_11comp_targetILNS1_3genE2ELNS1_11target_archE906ELNS1_3gpuE6ELNS1_3repE0EEENS1_30default_config_static_selectorELNS0_4arch9wavefront6targetE1EEEvSK_
	.globl	_ZN7rocprim17ROCPRIM_400000_NS6detail17trampoline_kernelINS0_14default_configENS1_22reduce_config_selectorIdEEZNS1_11reduce_implILb1ES3_N6thrust23THRUST_200600_302600_NS17counting_iteratorIdNS8_11hip_rocprim3tagENS8_11use_defaultESC_EEPddNS8_4plusIdEEEE10hipError_tPvRmT1_T2_T3_mT4_P12ihipStream_tbEUlT_E0_NS1_11comp_targetILNS1_3genE2ELNS1_11target_archE906ELNS1_3gpuE6ELNS1_3repE0EEENS1_30default_config_static_selectorELNS0_4arch9wavefront6targetE1EEEvSK_
	.p2align	8
	.type	_ZN7rocprim17ROCPRIM_400000_NS6detail17trampoline_kernelINS0_14default_configENS1_22reduce_config_selectorIdEEZNS1_11reduce_implILb1ES3_N6thrust23THRUST_200600_302600_NS17counting_iteratorIdNS8_11hip_rocprim3tagENS8_11use_defaultESC_EEPddNS8_4plusIdEEEE10hipError_tPvRmT1_T2_T3_mT4_P12ihipStream_tbEUlT_E0_NS1_11comp_targetILNS1_3genE2ELNS1_11target_archE906ELNS1_3gpuE6ELNS1_3repE0EEENS1_30default_config_static_selectorELNS0_4arch9wavefront6targetE1EEEvSK_,@function
_ZN7rocprim17ROCPRIM_400000_NS6detail17trampoline_kernelINS0_14default_configENS1_22reduce_config_selectorIdEEZNS1_11reduce_implILb1ES3_N6thrust23THRUST_200600_302600_NS17counting_iteratorIdNS8_11hip_rocprim3tagENS8_11use_defaultESC_EEPddNS8_4plusIdEEEE10hipError_tPvRmT1_T2_T3_mT4_P12ihipStream_tbEUlT_E0_NS1_11comp_targetILNS1_3genE2ELNS1_11target_archE906ELNS1_3gpuE6ELNS1_3repE0EEENS1_30default_config_static_selectorELNS0_4arch9wavefront6targetE1EEEvSK_: ; @_ZN7rocprim17ROCPRIM_400000_NS6detail17trampoline_kernelINS0_14default_configENS1_22reduce_config_selectorIdEEZNS1_11reduce_implILb1ES3_N6thrust23THRUST_200600_302600_NS17counting_iteratorIdNS8_11hip_rocprim3tagENS8_11use_defaultESC_EEPddNS8_4plusIdEEEE10hipError_tPvRmT1_T2_T3_mT4_P12ihipStream_tbEUlT_E0_NS1_11comp_targetILNS1_3genE2ELNS1_11target_archE906ELNS1_3gpuE6ELNS1_3repE0EEENS1_30default_config_static_selectorELNS0_4arch9wavefront6targetE1EEEvSK_
; %bb.0:
	.section	.rodata,"a",@progbits
	.p2align	6, 0x0
	.amdhsa_kernel _ZN7rocprim17ROCPRIM_400000_NS6detail17trampoline_kernelINS0_14default_configENS1_22reduce_config_selectorIdEEZNS1_11reduce_implILb1ES3_N6thrust23THRUST_200600_302600_NS17counting_iteratorIdNS8_11hip_rocprim3tagENS8_11use_defaultESC_EEPddNS8_4plusIdEEEE10hipError_tPvRmT1_T2_T3_mT4_P12ihipStream_tbEUlT_E0_NS1_11comp_targetILNS1_3genE2ELNS1_11target_archE906ELNS1_3gpuE6ELNS1_3repE0EEENS1_30default_config_static_selectorELNS0_4arch9wavefront6targetE1EEEvSK_
		.amdhsa_group_segment_fixed_size 0
		.amdhsa_private_segment_fixed_size 0
		.amdhsa_kernarg_size 64
		.amdhsa_user_sgpr_count 2
		.amdhsa_user_sgpr_dispatch_ptr 0
		.amdhsa_user_sgpr_queue_ptr 0
		.amdhsa_user_sgpr_kernarg_segment_ptr 1
		.amdhsa_user_sgpr_dispatch_id 0
		.amdhsa_user_sgpr_kernarg_preload_length 0
		.amdhsa_user_sgpr_kernarg_preload_offset 0
		.amdhsa_user_sgpr_private_segment_size 0
		.amdhsa_uses_dynamic_stack 0
		.amdhsa_enable_private_segment 0
		.amdhsa_system_sgpr_workgroup_id_x 1
		.amdhsa_system_sgpr_workgroup_id_y 0
		.amdhsa_system_sgpr_workgroup_id_z 0
		.amdhsa_system_sgpr_workgroup_info 0
		.amdhsa_system_vgpr_workitem_id 0
		.amdhsa_next_free_vgpr 1
		.amdhsa_next_free_sgpr 0
		.amdhsa_accum_offset 4
		.amdhsa_reserve_vcc 0
		.amdhsa_float_round_mode_32 0
		.amdhsa_float_round_mode_16_64 0
		.amdhsa_float_denorm_mode_32 3
		.amdhsa_float_denorm_mode_16_64 3
		.amdhsa_dx10_clamp 1
		.amdhsa_ieee_mode 1
		.amdhsa_fp16_overflow 0
		.amdhsa_tg_split 0
		.amdhsa_exception_fp_ieee_invalid_op 0
		.amdhsa_exception_fp_denorm_src 0
		.amdhsa_exception_fp_ieee_div_zero 0
		.amdhsa_exception_fp_ieee_overflow 0
		.amdhsa_exception_fp_ieee_underflow 0
		.amdhsa_exception_fp_ieee_inexact 0
		.amdhsa_exception_int_div_zero 0
	.end_amdhsa_kernel
	.section	.text._ZN7rocprim17ROCPRIM_400000_NS6detail17trampoline_kernelINS0_14default_configENS1_22reduce_config_selectorIdEEZNS1_11reduce_implILb1ES3_N6thrust23THRUST_200600_302600_NS17counting_iteratorIdNS8_11hip_rocprim3tagENS8_11use_defaultESC_EEPddNS8_4plusIdEEEE10hipError_tPvRmT1_T2_T3_mT4_P12ihipStream_tbEUlT_E0_NS1_11comp_targetILNS1_3genE2ELNS1_11target_archE906ELNS1_3gpuE6ELNS1_3repE0EEENS1_30default_config_static_selectorELNS0_4arch9wavefront6targetE1EEEvSK_,"axG",@progbits,_ZN7rocprim17ROCPRIM_400000_NS6detail17trampoline_kernelINS0_14default_configENS1_22reduce_config_selectorIdEEZNS1_11reduce_implILb1ES3_N6thrust23THRUST_200600_302600_NS17counting_iteratorIdNS8_11hip_rocprim3tagENS8_11use_defaultESC_EEPddNS8_4plusIdEEEE10hipError_tPvRmT1_T2_T3_mT4_P12ihipStream_tbEUlT_E0_NS1_11comp_targetILNS1_3genE2ELNS1_11target_archE906ELNS1_3gpuE6ELNS1_3repE0EEENS1_30default_config_static_selectorELNS0_4arch9wavefront6targetE1EEEvSK_,comdat
.Lfunc_end987:
	.size	_ZN7rocprim17ROCPRIM_400000_NS6detail17trampoline_kernelINS0_14default_configENS1_22reduce_config_selectorIdEEZNS1_11reduce_implILb1ES3_N6thrust23THRUST_200600_302600_NS17counting_iteratorIdNS8_11hip_rocprim3tagENS8_11use_defaultESC_EEPddNS8_4plusIdEEEE10hipError_tPvRmT1_T2_T3_mT4_P12ihipStream_tbEUlT_E0_NS1_11comp_targetILNS1_3genE2ELNS1_11target_archE906ELNS1_3gpuE6ELNS1_3repE0EEENS1_30default_config_static_selectorELNS0_4arch9wavefront6targetE1EEEvSK_, .Lfunc_end987-_ZN7rocprim17ROCPRIM_400000_NS6detail17trampoline_kernelINS0_14default_configENS1_22reduce_config_selectorIdEEZNS1_11reduce_implILb1ES3_N6thrust23THRUST_200600_302600_NS17counting_iteratorIdNS8_11hip_rocprim3tagENS8_11use_defaultESC_EEPddNS8_4plusIdEEEE10hipError_tPvRmT1_T2_T3_mT4_P12ihipStream_tbEUlT_E0_NS1_11comp_targetILNS1_3genE2ELNS1_11target_archE906ELNS1_3gpuE6ELNS1_3repE0EEENS1_30default_config_static_selectorELNS0_4arch9wavefront6targetE1EEEvSK_
                                        ; -- End function
	.set _ZN7rocprim17ROCPRIM_400000_NS6detail17trampoline_kernelINS0_14default_configENS1_22reduce_config_selectorIdEEZNS1_11reduce_implILb1ES3_N6thrust23THRUST_200600_302600_NS17counting_iteratorIdNS8_11hip_rocprim3tagENS8_11use_defaultESC_EEPddNS8_4plusIdEEEE10hipError_tPvRmT1_T2_T3_mT4_P12ihipStream_tbEUlT_E0_NS1_11comp_targetILNS1_3genE2ELNS1_11target_archE906ELNS1_3gpuE6ELNS1_3repE0EEENS1_30default_config_static_selectorELNS0_4arch9wavefront6targetE1EEEvSK_.num_vgpr, 0
	.set _ZN7rocprim17ROCPRIM_400000_NS6detail17trampoline_kernelINS0_14default_configENS1_22reduce_config_selectorIdEEZNS1_11reduce_implILb1ES3_N6thrust23THRUST_200600_302600_NS17counting_iteratorIdNS8_11hip_rocprim3tagENS8_11use_defaultESC_EEPddNS8_4plusIdEEEE10hipError_tPvRmT1_T2_T3_mT4_P12ihipStream_tbEUlT_E0_NS1_11comp_targetILNS1_3genE2ELNS1_11target_archE906ELNS1_3gpuE6ELNS1_3repE0EEENS1_30default_config_static_selectorELNS0_4arch9wavefront6targetE1EEEvSK_.num_agpr, 0
	.set _ZN7rocprim17ROCPRIM_400000_NS6detail17trampoline_kernelINS0_14default_configENS1_22reduce_config_selectorIdEEZNS1_11reduce_implILb1ES3_N6thrust23THRUST_200600_302600_NS17counting_iteratorIdNS8_11hip_rocprim3tagENS8_11use_defaultESC_EEPddNS8_4plusIdEEEE10hipError_tPvRmT1_T2_T3_mT4_P12ihipStream_tbEUlT_E0_NS1_11comp_targetILNS1_3genE2ELNS1_11target_archE906ELNS1_3gpuE6ELNS1_3repE0EEENS1_30default_config_static_selectorELNS0_4arch9wavefront6targetE1EEEvSK_.numbered_sgpr, 0
	.set _ZN7rocprim17ROCPRIM_400000_NS6detail17trampoline_kernelINS0_14default_configENS1_22reduce_config_selectorIdEEZNS1_11reduce_implILb1ES3_N6thrust23THRUST_200600_302600_NS17counting_iteratorIdNS8_11hip_rocprim3tagENS8_11use_defaultESC_EEPddNS8_4plusIdEEEE10hipError_tPvRmT1_T2_T3_mT4_P12ihipStream_tbEUlT_E0_NS1_11comp_targetILNS1_3genE2ELNS1_11target_archE906ELNS1_3gpuE6ELNS1_3repE0EEENS1_30default_config_static_selectorELNS0_4arch9wavefront6targetE1EEEvSK_.num_named_barrier, 0
	.set _ZN7rocprim17ROCPRIM_400000_NS6detail17trampoline_kernelINS0_14default_configENS1_22reduce_config_selectorIdEEZNS1_11reduce_implILb1ES3_N6thrust23THRUST_200600_302600_NS17counting_iteratorIdNS8_11hip_rocprim3tagENS8_11use_defaultESC_EEPddNS8_4plusIdEEEE10hipError_tPvRmT1_T2_T3_mT4_P12ihipStream_tbEUlT_E0_NS1_11comp_targetILNS1_3genE2ELNS1_11target_archE906ELNS1_3gpuE6ELNS1_3repE0EEENS1_30default_config_static_selectorELNS0_4arch9wavefront6targetE1EEEvSK_.private_seg_size, 0
	.set _ZN7rocprim17ROCPRIM_400000_NS6detail17trampoline_kernelINS0_14default_configENS1_22reduce_config_selectorIdEEZNS1_11reduce_implILb1ES3_N6thrust23THRUST_200600_302600_NS17counting_iteratorIdNS8_11hip_rocprim3tagENS8_11use_defaultESC_EEPddNS8_4plusIdEEEE10hipError_tPvRmT1_T2_T3_mT4_P12ihipStream_tbEUlT_E0_NS1_11comp_targetILNS1_3genE2ELNS1_11target_archE906ELNS1_3gpuE6ELNS1_3repE0EEENS1_30default_config_static_selectorELNS0_4arch9wavefront6targetE1EEEvSK_.uses_vcc, 0
	.set _ZN7rocprim17ROCPRIM_400000_NS6detail17trampoline_kernelINS0_14default_configENS1_22reduce_config_selectorIdEEZNS1_11reduce_implILb1ES3_N6thrust23THRUST_200600_302600_NS17counting_iteratorIdNS8_11hip_rocprim3tagENS8_11use_defaultESC_EEPddNS8_4plusIdEEEE10hipError_tPvRmT1_T2_T3_mT4_P12ihipStream_tbEUlT_E0_NS1_11comp_targetILNS1_3genE2ELNS1_11target_archE906ELNS1_3gpuE6ELNS1_3repE0EEENS1_30default_config_static_selectorELNS0_4arch9wavefront6targetE1EEEvSK_.uses_flat_scratch, 0
	.set _ZN7rocprim17ROCPRIM_400000_NS6detail17trampoline_kernelINS0_14default_configENS1_22reduce_config_selectorIdEEZNS1_11reduce_implILb1ES3_N6thrust23THRUST_200600_302600_NS17counting_iteratorIdNS8_11hip_rocprim3tagENS8_11use_defaultESC_EEPddNS8_4plusIdEEEE10hipError_tPvRmT1_T2_T3_mT4_P12ihipStream_tbEUlT_E0_NS1_11comp_targetILNS1_3genE2ELNS1_11target_archE906ELNS1_3gpuE6ELNS1_3repE0EEENS1_30default_config_static_selectorELNS0_4arch9wavefront6targetE1EEEvSK_.has_dyn_sized_stack, 0
	.set _ZN7rocprim17ROCPRIM_400000_NS6detail17trampoline_kernelINS0_14default_configENS1_22reduce_config_selectorIdEEZNS1_11reduce_implILb1ES3_N6thrust23THRUST_200600_302600_NS17counting_iteratorIdNS8_11hip_rocprim3tagENS8_11use_defaultESC_EEPddNS8_4plusIdEEEE10hipError_tPvRmT1_T2_T3_mT4_P12ihipStream_tbEUlT_E0_NS1_11comp_targetILNS1_3genE2ELNS1_11target_archE906ELNS1_3gpuE6ELNS1_3repE0EEENS1_30default_config_static_selectorELNS0_4arch9wavefront6targetE1EEEvSK_.has_recursion, 0
	.set _ZN7rocprim17ROCPRIM_400000_NS6detail17trampoline_kernelINS0_14default_configENS1_22reduce_config_selectorIdEEZNS1_11reduce_implILb1ES3_N6thrust23THRUST_200600_302600_NS17counting_iteratorIdNS8_11hip_rocprim3tagENS8_11use_defaultESC_EEPddNS8_4plusIdEEEE10hipError_tPvRmT1_T2_T3_mT4_P12ihipStream_tbEUlT_E0_NS1_11comp_targetILNS1_3genE2ELNS1_11target_archE906ELNS1_3gpuE6ELNS1_3repE0EEENS1_30default_config_static_selectorELNS0_4arch9wavefront6targetE1EEEvSK_.has_indirect_call, 0
	.section	.AMDGPU.csdata,"",@progbits
; Kernel info:
; codeLenInByte = 0
; TotalNumSgprs: 6
; NumVgprs: 0
; NumAgprs: 0
; TotalNumVgprs: 0
; ScratchSize: 0
; MemoryBound: 0
; FloatMode: 240
; IeeeMode: 1
; LDSByteSize: 0 bytes/workgroup (compile time only)
; SGPRBlocks: 0
; VGPRBlocks: 0
; NumSGPRsForWavesPerEU: 6
; NumVGPRsForWavesPerEU: 1
; AccumOffset: 4
; Occupancy: 8
; WaveLimiterHint : 0
; COMPUTE_PGM_RSRC2:SCRATCH_EN: 0
; COMPUTE_PGM_RSRC2:USER_SGPR: 2
; COMPUTE_PGM_RSRC2:TRAP_HANDLER: 0
; COMPUTE_PGM_RSRC2:TGID_X_EN: 1
; COMPUTE_PGM_RSRC2:TGID_Y_EN: 0
; COMPUTE_PGM_RSRC2:TGID_Z_EN: 0
; COMPUTE_PGM_RSRC2:TIDIG_COMP_CNT: 0
; COMPUTE_PGM_RSRC3_GFX90A:ACCUM_OFFSET: 0
; COMPUTE_PGM_RSRC3_GFX90A:TG_SPLIT: 0
	.section	.text._ZN7rocprim17ROCPRIM_400000_NS6detail17trampoline_kernelINS0_14default_configENS1_22reduce_config_selectorIdEEZNS1_11reduce_implILb1ES3_N6thrust23THRUST_200600_302600_NS17counting_iteratorIdNS8_11hip_rocprim3tagENS8_11use_defaultESC_EEPddNS8_4plusIdEEEE10hipError_tPvRmT1_T2_T3_mT4_P12ihipStream_tbEUlT_E0_NS1_11comp_targetILNS1_3genE10ELNS1_11target_archE1201ELNS1_3gpuE5ELNS1_3repE0EEENS1_30default_config_static_selectorELNS0_4arch9wavefront6targetE1EEEvSK_,"axG",@progbits,_ZN7rocprim17ROCPRIM_400000_NS6detail17trampoline_kernelINS0_14default_configENS1_22reduce_config_selectorIdEEZNS1_11reduce_implILb1ES3_N6thrust23THRUST_200600_302600_NS17counting_iteratorIdNS8_11hip_rocprim3tagENS8_11use_defaultESC_EEPddNS8_4plusIdEEEE10hipError_tPvRmT1_T2_T3_mT4_P12ihipStream_tbEUlT_E0_NS1_11comp_targetILNS1_3genE10ELNS1_11target_archE1201ELNS1_3gpuE5ELNS1_3repE0EEENS1_30default_config_static_selectorELNS0_4arch9wavefront6targetE1EEEvSK_,comdat
	.protected	_ZN7rocprim17ROCPRIM_400000_NS6detail17trampoline_kernelINS0_14default_configENS1_22reduce_config_selectorIdEEZNS1_11reduce_implILb1ES3_N6thrust23THRUST_200600_302600_NS17counting_iteratorIdNS8_11hip_rocprim3tagENS8_11use_defaultESC_EEPddNS8_4plusIdEEEE10hipError_tPvRmT1_T2_T3_mT4_P12ihipStream_tbEUlT_E0_NS1_11comp_targetILNS1_3genE10ELNS1_11target_archE1201ELNS1_3gpuE5ELNS1_3repE0EEENS1_30default_config_static_selectorELNS0_4arch9wavefront6targetE1EEEvSK_ ; -- Begin function _ZN7rocprim17ROCPRIM_400000_NS6detail17trampoline_kernelINS0_14default_configENS1_22reduce_config_selectorIdEEZNS1_11reduce_implILb1ES3_N6thrust23THRUST_200600_302600_NS17counting_iteratorIdNS8_11hip_rocprim3tagENS8_11use_defaultESC_EEPddNS8_4plusIdEEEE10hipError_tPvRmT1_T2_T3_mT4_P12ihipStream_tbEUlT_E0_NS1_11comp_targetILNS1_3genE10ELNS1_11target_archE1201ELNS1_3gpuE5ELNS1_3repE0EEENS1_30default_config_static_selectorELNS0_4arch9wavefront6targetE1EEEvSK_
	.globl	_ZN7rocprim17ROCPRIM_400000_NS6detail17trampoline_kernelINS0_14default_configENS1_22reduce_config_selectorIdEEZNS1_11reduce_implILb1ES3_N6thrust23THRUST_200600_302600_NS17counting_iteratorIdNS8_11hip_rocprim3tagENS8_11use_defaultESC_EEPddNS8_4plusIdEEEE10hipError_tPvRmT1_T2_T3_mT4_P12ihipStream_tbEUlT_E0_NS1_11comp_targetILNS1_3genE10ELNS1_11target_archE1201ELNS1_3gpuE5ELNS1_3repE0EEENS1_30default_config_static_selectorELNS0_4arch9wavefront6targetE1EEEvSK_
	.p2align	8
	.type	_ZN7rocprim17ROCPRIM_400000_NS6detail17trampoline_kernelINS0_14default_configENS1_22reduce_config_selectorIdEEZNS1_11reduce_implILb1ES3_N6thrust23THRUST_200600_302600_NS17counting_iteratorIdNS8_11hip_rocprim3tagENS8_11use_defaultESC_EEPddNS8_4plusIdEEEE10hipError_tPvRmT1_T2_T3_mT4_P12ihipStream_tbEUlT_E0_NS1_11comp_targetILNS1_3genE10ELNS1_11target_archE1201ELNS1_3gpuE5ELNS1_3repE0EEENS1_30default_config_static_selectorELNS0_4arch9wavefront6targetE1EEEvSK_,@function
_ZN7rocprim17ROCPRIM_400000_NS6detail17trampoline_kernelINS0_14default_configENS1_22reduce_config_selectorIdEEZNS1_11reduce_implILb1ES3_N6thrust23THRUST_200600_302600_NS17counting_iteratorIdNS8_11hip_rocprim3tagENS8_11use_defaultESC_EEPddNS8_4plusIdEEEE10hipError_tPvRmT1_T2_T3_mT4_P12ihipStream_tbEUlT_E0_NS1_11comp_targetILNS1_3genE10ELNS1_11target_archE1201ELNS1_3gpuE5ELNS1_3repE0EEENS1_30default_config_static_selectorELNS0_4arch9wavefront6targetE1EEEvSK_: ; @_ZN7rocprim17ROCPRIM_400000_NS6detail17trampoline_kernelINS0_14default_configENS1_22reduce_config_selectorIdEEZNS1_11reduce_implILb1ES3_N6thrust23THRUST_200600_302600_NS17counting_iteratorIdNS8_11hip_rocprim3tagENS8_11use_defaultESC_EEPddNS8_4plusIdEEEE10hipError_tPvRmT1_T2_T3_mT4_P12ihipStream_tbEUlT_E0_NS1_11comp_targetILNS1_3genE10ELNS1_11target_archE1201ELNS1_3gpuE5ELNS1_3repE0EEENS1_30default_config_static_selectorELNS0_4arch9wavefront6targetE1EEEvSK_
; %bb.0:
	.section	.rodata,"a",@progbits
	.p2align	6, 0x0
	.amdhsa_kernel _ZN7rocprim17ROCPRIM_400000_NS6detail17trampoline_kernelINS0_14default_configENS1_22reduce_config_selectorIdEEZNS1_11reduce_implILb1ES3_N6thrust23THRUST_200600_302600_NS17counting_iteratorIdNS8_11hip_rocprim3tagENS8_11use_defaultESC_EEPddNS8_4plusIdEEEE10hipError_tPvRmT1_T2_T3_mT4_P12ihipStream_tbEUlT_E0_NS1_11comp_targetILNS1_3genE10ELNS1_11target_archE1201ELNS1_3gpuE5ELNS1_3repE0EEENS1_30default_config_static_selectorELNS0_4arch9wavefront6targetE1EEEvSK_
		.amdhsa_group_segment_fixed_size 0
		.amdhsa_private_segment_fixed_size 0
		.amdhsa_kernarg_size 64
		.amdhsa_user_sgpr_count 2
		.amdhsa_user_sgpr_dispatch_ptr 0
		.amdhsa_user_sgpr_queue_ptr 0
		.amdhsa_user_sgpr_kernarg_segment_ptr 1
		.amdhsa_user_sgpr_dispatch_id 0
		.amdhsa_user_sgpr_kernarg_preload_length 0
		.amdhsa_user_sgpr_kernarg_preload_offset 0
		.amdhsa_user_sgpr_private_segment_size 0
		.amdhsa_uses_dynamic_stack 0
		.amdhsa_enable_private_segment 0
		.amdhsa_system_sgpr_workgroup_id_x 1
		.amdhsa_system_sgpr_workgroup_id_y 0
		.amdhsa_system_sgpr_workgroup_id_z 0
		.amdhsa_system_sgpr_workgroup_info 0
		.amdhsa_system_vgpr_workitem_id 0
		.amdhsa_next_free_vgpr 1
		.amdhsa_next_free_sgpr 0
		.amdhsa_accum_offset 4
		.amdhsa_reserve_vcc 0
		.amdhsa_float_round_mode_32 0
		.amdhsa_float_round_mode_16_64 0
		.amdhsa_float_denorm_mode_32 3
		.amdhsa_float_denorm_mode_16_64 3
		.amdhsa_dx10_clamp 1
		.amdhsa_ieee_mode 1
		.amdhsa_fp16_overflow 0
		.amdhsa_tg_split 0
		.amdhsa_exception_fp_ieee_invalid_op 0
		.amdhsa_exception_fp_denorm_src 0
		.amdhsa_exception_fp_ieee_div_zero 0
		.amdhsa_exception_fp_ieee_overflow 0
		.amdhsa_exception_fp_ieee_underflow 0
		.amdhsa_exception_fp_ieee_inexact 0
		.amdhsa_exception_int_div_zero 0
	.end_amdhsa_kernel
	.section	.text._ZN7rocprim17ROCPRIM_400000_NS6detail17trampoline_kernelINS0_14default_configENS1_22reduce_config_selectorIdEEZNS1_11reduce_implILb1ES3_N6thrust23THRUST_200600_302600_NS17counting_iteratorIdNS8_11hip_rocprim3tagENS8_11use_defaultESC_EEPddNS8_4plusIdEEEE10hipError_tPvRmT1_T2_T3_mT4_P12ihipStream_tbEUlT_E0_NS1_11comp_targetILNS1_3genE10ELNS1_11target_archE1201ELNS1_3gpuE5ELNS1_3repE0EEENS1_30default_config_static_selectorELNS0_4arch9wavefront6targetE1EEEvSK_,"axG",@progbits,_ZN7rocprim17ROCPRIM_400000_NS6detail17trampoline_kernelINS0_14default_configENS1_22reduce_config_selectorIdEEZNS1_11reduce_implILb1ES3_N6thrust23THRUST_200600_302600_NS17counting_iteratorIdNS8_11hip_rocprim3tagENS8_11use_defaultESC_EEPddNS8_4plusIdEEEE10hipError_tPvRmT1_T2_T3_mT4_P12ihipStream_tbEUlT_E0_NS1_11comp_targetILNS1_3genE10ELNS1_11target_archE1201ELNS1_3gpuE5ELNS1_3repE0EEENS1_30default_config_static_selectorELNS0_4arch9wavefront6targetE1EEEvSK_,comdat
.Lfunc_end988:
	.size	_ZN7rocprim17ROCPRIM_400000_NS6detail17trampoline_kernelINS0_14default_configENS1_22reduce_config_selectorIdEEZNS1_11reduce_implILb1ES3_N6thrust23THRUST_200600_302600_NS17counting_iteratorIdNS8_11hip_rocprim3tagENS8_11use_defaultESC_EEPddNS8_4plusIdEEEE10hipError_tPvRmT1_T2_T3_mT4_P12ihipStream_tbEUlT_E0_NS1_11comp_targetILNS1_3genE10ELNS1_11target_archE1201ELNS1_3gpuE5ELNS1_3repE0EEENS1_30default_config_static_selectorELNS0_4arch9wavefront6targetE1EEEvSK_, .Lfunc_end988-_ZN7rocprim17ROCPRIM_400000_NS6detail17trampoline_kernelINS0_14default_configENS1_22reduce_config_selectorIdEEZNS1_11reduce_implILb1ES3_N6thrust23THRUST_200600_302600_NS17counting_iteratorIdNS8_11hip_rocprim3tagENS8_11use_defaultESC_EEPddNS8_4plusIdEEEE10hipError_tPvRmT1_T2_T3_mT4_P12ihipStream_tbEUlT_E0_NS1_11comp_targetILNS1_3genE10ELNS1_11target_archE1201ELNS1_3gpuE5ELNS1_3repE0EEENS1_30default_config_static_selectorELNS0_4arch9wavefront6targetE1EEEvSK_
                                        ; -- End function
	.set _ZN7rocprim17ROCPRIM_400000_NS6detail17trampoline_kernelINS0_14default_configENS1_22reduce_config_selectorIdEEZNS1_11reduce_implILb1ES3_N6thrust23THRUST_200600_302600_NS17counting_iteratorIdNS8_11hip_rocprim3tagENS8_11use_defaultESC_EEPddNS8_4plusIdEEEE10hipError_tPvRmT1_T2_T3_mT4_P12ihipStream_tbEUlT_E0_NS1_11comp_targetILNS1_3genE10ELNS1_11target_archE1201ELNS1_3gpuE5ELNS1_3repE0EEENS1_30default_config_static_selectorELNS0_4arch9wavefront6targetE1EEEvSK_.num_vgpr, 0
	.set _ZN7rocprim17ROCPRIM_400000_NS6detail17trampoline_kernelINS0_14default_configENS1_22reduce_config_selectorIdEEZNS1_11reduce_implILb1ES3_N6thrust23THRUST_200600_302600_NS17counting_iteratorIdNS8_11hip_rocprim3tagENS8_11use_defaultESC_EEPddNS8_4plusIdEEEE10hipError_tPvRmT1_T2_T3_mT4_P12ihipStream_tbEUlT_E0_NS1_11comp_targetILNS1_3genE10ELNS1_11target_archE1201ELNS1_3gpuE5ELNS1_3repE0EEENS1_30default_config_static_selectorELNS0_4arch9wavefront6targetE1EEEvSK_.num_agpr, 0
	.set _ZN7rocprim17ROCPRIM_400000_NS6detail17trampoline_kernelINS0_14default_configENS1_22reduce_config_selectorIdEEZNS1_11reduce_implILb1ES3_N6thrust23THRUST_200600_302600_NS17counting_iteratorIdNS8_11hip_rocprim3tagENS8_11use_defaultESC_EEPddNS8_4plusIdEEEE10hipError_tPvRmT1_T2_T3_mT4_P12ihipStream_tbEUlT_E0_NS1_11comp_targetILNS1_3genE10ELNS1_11target_archE1201ELNS1_3gpuE5ELNS1_3repE0EEENS1_30default_config_static_selectorELNS0_4arch9wavefront6targetE1EEEvSK_.numbered_sgpr, 0
	.set _ZN7rocprim17ROCPRIM_400000_NS6detail17trampoline_kernelINS0_14default_configENS1_22reduce_config_selectorIdEEZNS1_11reduce_implILb1ES3_N6thrust23THRUST_200600_302600_NS17counting_iteratorIdNS8_11hip_rocprim3tagENS8_11use_defaultESC_EEPddNS8_4plusIdEEEE10hipError_tPvRmT1_T2_T3_mT4_P12ihipStream_tbEUlT_E0_NS1_11comp_targetILNS1_3genE10ELNS1_11target_archE1201ELNS1_3gpuE5ELNS1_3repE0EEENS1_30default_config_static_selectorELNS0_4arch9wavefront6targetE1EEEvSK_.num_named_barrier, 0
	.set _ZN7rocprim17ROCPRIM_400000_NS6detail17trampoline_kernelINS0_14default_configENS1_22reduce_config_selectorIdEEZNS1_11reduce_implILb1ES3_N6thrust23THRUST_200600_302600_NS17counting_iteratorIdNS8_11hip_rocprim3tagENS8_11use_defaultESC_EEPddNS8_4plusIdEEEE10hipError_tPvRmT1_T2_T3_mT4_P12ihipStream_tbEUlT_E0_NS1_11comp_targetILNS1_3genE10ELNS1_11target_archE1201ELNS1_3gpuE5ELNS1_3repE0EEENS1_30default_config_static_selectorELNS0_4arch9wavefront6targetE1EEEvSK_.private_seg_size, 0
	.set _ZN7rocprim17ROCPRIM_400000_NS6detail17trampoline_kernelINS0_14default_configENS1_22reduce_config_selectorIdEEZNS1_11reduce_implILb1ES3_N6thrust23THRUST_200600_302600_NS17counting_iteratorIdNS8_11hip_rocprim3tagENS8_11use_defaultESC_EEPddNS8_4plusIdEEEE10hipError_tPvRmT1_T2_T3_mT4_P12ihipStream_tbEUlT_E0_NS1_11comp_targetILNS1_3genE10ELNS1_11target_archE1201ELNS1_3gpuE5ELNS1_3repE0EEENS1_30default_config_static_selectorELNS0_4arch9wavefront6targetE1EEEvSK_.uses_vcc, 0
	.set _ZN7rocprim17ROCPRIM_400000_NS6detail17trampoline_kernelINS0_14default_configENS1_22reduce_config_selectorIdEEZNS1_11reduce_implILb1ES3_N6thrust23THRUST_200600_302600_NS17counting_iteratorIdNS8_11hip_rocprim3tagENS8_11use_defaultESC_EEPddNS8_4plusIdEEEE10hipError_tPvRmT1_T2_T3_mT4_P12ihipStream_tbEUlT_E0_NS1_11comp_targetILNS1_3genE10ELNS1_11target_archE1201ELNS1_3gpuE5ELNS1_3repE0EEENS1_30default_config_static_selectorELNS0_4arch9wavefront6targetE1EEEvSK_.uses_flat_scratch, 0
	.set _ZN7rocprim17ROCPRIM_400000_NS6detail17trampoline_kernelINS0_14default_configENS1_22reduce_config_selectorIdEEZNS1_11reduce_implILb1ES3_N6thrust23THRUST_200600_302600_NS17counting_iteratorIdNS8_11hip_rocprim3tagENS8_11use_defaultESC_EEPddNS8_4plusIdEEEE10hipError_tPvRmT1_T2_T3_mT4_P12ihipStream_tbEUlT_E0_NS1_11comp_targetILNS1_3genE10ELNS1_11target_archE1201ELNS1_3gpuE5ELNS1_3repE0EEENS1_30default_config_static_selectorELNS0_4arch9wavefront6targetE1EEEvSK_.has_dyn_sized_stack, 0
	.set _ZN7rocprim17ROCPRIM_400000_NS6detail17trampoline_kernelINS0_14default_configENS1_22reduce_config_selectorIdEEZNS1_11reduce_implILb1ES3_N6thrust23THRUST_200600_302600_NS17counting_iteratorIdNS8_11hip_rocprim3tagENS8_11use_defaultESC_EEPddNS8_4plusIdEEEE10hipError_tPvRmT1_T2_T3_mT4_P12ihipStream_tbEUlT_E0_NS1_11comp_targetILNS1_3genE10ELNS1_11target_archE1201ELNS1_3gpuE5ELNS1_3repE0EEENS1_30default_config_static_selectorELNS0_4arch9wavefront6targetE1EEEvSK_.has_recursion, 0
	.set _ZN7rocprim17ROCPRIM_400000_NS6detail17trampoline_kernelINS0_14default_configENS1_22reduce_config_selectorIdEEZNS1_11reduce_implILb1ES3_N6thrust23THRUST_200600_302600_NS17counting_iteratorIdNS8_11hip_rocprim3tagENS8_11use_defaultESC_EEPddNS8_4plusIdEEEE10hipError_tPvRmT1_T2_T3_mT4_P12ihipStream_tbEUlT_E0_NS1_11comp_targetILNS1_3genE10ELNS1_11target_archE1201ELNS1_3gpuE5ELNS1_3repE0EEENS1_30default_config_static_selectorELNS0_4arch9wavefront6targetE1EEEvSK_.has_indirect_call, 0
	.section	.AMDGPU.csdata,"",@progbits
; Kernel info:
; codeLenInByte = 0
; TotalNumSgprs: 6
; NumVgprs: 0
; NumAgprs: 0
; TotalNumVgprs: 0
; ScratchSize: 0
; MemoryBound: 0
; FloatMode: 240
; IeeeMode: 1
; LDSByteSize: 0 bytes/workgroup (compile time only)
; SGPRBlocks: 0
; VGPRBlocks: 0
; NumSGPRsForWavesPerEU: 6
; NumVGPRsForWavesPerEU: 1
; AccumOffset: 4
; Occupancy: 8
; WaveLimiterHint : 0
; COMPUTE_PGM_RSRC2:SCRATCH_EN: 0
; COMPUTE_PGM_RSRC2:USER_SGPR: 2
; COMPUTE_PGM_RSRC2:TRAP_HANDLER: 0
; COMPUTE_PGM_RSRC2:TGID_X_EN: 1
; COMPUTE_PGM_RSRC2:TGID_Y_EN: 0
; COMPUTE_PGM_RSRC2:TGID_Z_EN: 0
; COMPUTE_PGM_RSRC2:TIDIG_COMP_CNT: 0
; COMPUTE_PGM_RSRC3_GFX90A:ACCUM_OFFSET: 0
; COMPUTE_PGM_RSRC3_GFX90A:TG_SPLIT: 0
	.section	.text._ZN7rocprim17ROCPRIM_400000_NS6detail17trampoline_kernelINS0_14default_configENS1_22reduce_config_selectorIdEEZNS1_11reduce_implILb1ES3_N6thrust23THRUST_200600_302600_NS17counting_iteratorIdNS8_11hip_rocprim3tagENS8_11use_defaultESC_EEPddNS8_4plusIdEEEE10hipError_tPvRmT1_T2_T3_mT4_P12ihipStream_tbEUlT_E0_NS1_11comp_targetILNS1_3genE10ELNS1_11target_archE1200ELNS1_3gpuE4ELNS1_3repE0EEENS1_30default_config_static_selectorELNS0_4arch9wavefront6targetE1EEEvSK_,"axG",@progbits,_ZN7rocprim17ROCPRIM_400000_NS6detail17trampoline_kernelINS0_14default_configENS1_22reduce_config_selectorIdEEZNS1_11reduce_implILb1ES3_N6thrust23THRUST_200600_302600_NS17counting_iteratorIdNS8_11hip_rocprim3tagENS8_11use_defaultESC_EEPddNS8_4plusIdEEEE10hipError_tPvRmT1_T2_T3_mT4_P12ihipStream_tbEUlT_E0_NS1_11comp_targetILNS1_3genE10ELNS1_11target_archE1200ELNS1_3gpuE4ELNS1_3repE0EEENS1_30default_config_static_selectorELNS0_4arch9wavefront6targetE1EEEvSK_,comdat
	.protected	_ZN7rocprim17ROCPRIM_400000_NS6detail17trampoline_kernelINS0_14default_configENS1_22reduce_config_selectorIdEEZNS1_11reduce_implILb1ES3_N6thrust23THRUST_200600_302600_NS17counting_iteratorIdNS8_11hip_rocprim3tagENS8_11use_defaultESC_EEPddNS8_4plusIdEEEE10hipError_tPvRmT1_T2_T3_mT4_P12ihipStream_tbEUlT_E0_NS1_11comp_targetILNS1_3genE10ELNS1_11target_archE1200ELNS1_3gpuE4ELNS1_3repE0EEENS1_30default_config_static_selectorELNS0_4arch9wavefront6targetE1EEEvSK_ ; -- Begin function _ZN7rocprim17ROCPRIM_400000_NS6detail17trampoline_kernelINS0_14default_configENS1_22reduce_config_selectorIdEEZNS1_11reduce_implILb1ES3_N6thrust23THRUST_200600_302600_NS17counting_iteratorIdNS8_11hip_rocprim3tagENS8_11use_defaultESC_EEPddNS8_4plusIdEEEE10hipError_tPvRmT1_T2_T3_mT4_P12ihipStream_tbEUlT_E0_NS1_11comp_targetILNS1_3genE10ELNS1_11target_archE1200ELNS1_3gpuE4ELNS1_3repE0EEENS1_30default_config_static_selectorELNS0_4arch9wavefront6targetE1EEEvSK_
	.globl	_ZN7rocprim17ROCPRIM_400000_NS6detail17trampoline_kernelINS0_14default_configENS1_22reduce_config_selectorIdEEZNS1_11reduce_implILb1ES3_N6thrust23THRUST_200600_302600_NS17counting_iteratorIdNS8_11hip_rocprim3tagENS8_11use_defaultESC_EEPddNS8_4plusIdEEEE10hipError_tPvRmT1_T2_T3_mT4_P12ihipStream_tbEUlT_E0_NS1_11comp_targetILNS1_3genE10ELNS1_11target_archE1200ELNS1_3gpuE4ELNS1_3repE0EEENS1_30default_config_static_selectorELNS0_4arch9wavefront6targetE1EEEvSK_
	.p2align	8
	.type	_ZN7rocprim17ROCPRIM_400000_NS6detail17trampoline_kernelINS0_14default_configENS1_22reduce_config_selectorIdEEZNS1_11reduce_implILb1ES3_N6thrust23THRUST_200600_302600_NS17counting_iteratorIdNS8_11hip_rocprim3tagENS8_11use_defaultESC_EEPddNS8_4plusIdEEEE10hipError_tPvRmT1_T2_T3_mT4_P12ihipStream_tbEUlT_E0_NS1_11comp_targetILNS1_3genE10ELNS1_11target_archE1200ELNS1_3gpuE4ELNS1_3repE0EEENS1_30default_config_static_selectorELNS0_4arch9wavefront6targetE1EEEvSK_,@function
_ZN7rocprim17ROCPRIM_400000_NS6detail17trampoline_kernelINS0_14default_configENS1_22reduce_config_selectorIdEEZNS1_11reduce_implILb1ES3_N6thrust23THRUST_200600_302600_NS17counting_iteratorIdNS8_11hip_rocprim3tagENS8_11use_defaultESC_EEPddNS8_4plusIdEEEE10hipError_tPvRmT1_T2_T3_mT4_P12ihipStream_tbEUlT_E0_NS1_11comp_targetILNS1_3genE10ELNS1_11target_archE1200ELNS1_3gpuE4ELNS1_3repE0EEENS1_30default_config_static_selectorELNS0_4arch9wavefront6targetE1EEEvSK_: ; @_ZN7rocprim17ROCPRIM_400000_NS6detail17trampoline_kernelINS0_14default_configENS1_22reduce_config_selectorIdEEZNS1_11reduce_implILb1ES3_N6thrust23THRUST_200600_302600_NS17counting_iteratorIdNS8_11hip_rocprim3tagENS8_11use_defaultESC_EEPddNS8_4plusIdEEEE10hipError_tPvRmT1_T2_T3_mT4_P12ihipStream_tbEUlT_E0_NS1_11comp_targetILNS1_3genE10ELNS1_11target_archE1200ELNS1_3gpuE4ELNS1_3repE0EEENS1_30default_config_static_selectorELNS0_4arch9wavefront6targetE1EEEvSK_
; %bb.0:
	.section	.rodata,"a",@progbits
	.p2align	6, 0x0
	.amdhsa_kernel _ZN7rocprim17ROCPRIM_400000_NS6detail17trampoline_kernelINS0_14default_configENS1_22reduce_config_selectorIdEEZNS1_11reduce_implILb1ES3_N6thrust23THRUST_200600_302600_NS17counting_iteratorIdNS8_11hip_rocprim3tagENS8_11use_defaultESC_EEPddNS8_4plusIdEEEE10hipError_tPvRmT1_T2_T3_mT4_P12ihipStream_tbEUlT_E0_NS1_11comp_targetILNS1_3genE10ELNS1_11target_archE1200ELNS1_3gpuE4ELNS1_3repE0EEENS1_30default_config_static_selectorELNS0_4arch9wavefront6targetE1EEEvSK_
		.amdhsa_group_segment_fixed_size 0
		.amdhsa_private_segment_fixed_size 0
		.amdhsa_kernarg_size 64
		.amdhsa_user_sgpr_count 2
		.amdhsa_user_sgpr_dispatch_ptr 0
		.amdhsa_user_sgpr_queue_ptr 0
		.amdhsa_user_sgpr_kernarg_segment_ptr 1
		.amdhsa_user_sgpr_dispatch_id 0
		.amdhsa_user_sgpr_kernarg_preload_length 0
		.amdhsa_user_sgpr_kernarg_preload_offset 0
		.amdhsa_user_sgpr_private_segment_size 0
		.amdhsa_uses_dynamic_stack 0
		.amdhsa_enable_private_segment 0
		.amdhsa_system_sgpr_workgroup_id_x 1
		.amdhsa_system_sgpr_workgroup_id_y 0
		.amdhsa_system_sgpr_workgroup_id_z 0
		.amdhsa_system_sgpr_workgroup_info 0
		.amdhsa_system_vgpr_workitem_id 0
		.amdhsa_next_free_vgpr 1
		.amdhsa_next_free_sgpr 0
		.amdhsa_accum_offset 4
		.amdhsa_reserve_vcc 0
		.amdhsa_float_round_mode_32 0
		.amdhsa_float_round_mode_16_64 0
		.amdhsa_float_denorm_mode_32 3
		.amdhsa_float_denorm_mode_16_64 3
		.amdhsa_dx10_clamp 1
		.amdhsa_ieee_mode 1
		.amdhsa_fp16_overflow 0
		.amdhsa_tg_split 0
		.amdhsa_exception_fp_ieee_invalid_op 0
		.amdhsa_exception_fp_denorm_src 0
		.amdhsa_exception_fp_ieee_div_zero 0
		.amdhsa_exception_fp_ieee_overflow 0
		.amdhsa_exception_fp_ieee_underflow 0
		.amdhsa_exception_fp_ieee_inexact 0
		.amdhsa_exception_int_div_zero 0
	.end_amdhsa_kernel
	.section	.text._ZN7rocprim17ROCPRIM_400000_NS6detail17trampoline_kernelINS0_14default_configENS1_22reduce_config_selectorIdEEZNS1_11reduce_implILb1ES3_N6thrust23THRUST_200600_302600_NS17counting_iteratorIdNS8_11hip_rocprim3tagENS8_11use_defaultESC_EEPddNS8_4plusIdEEEE10hipError_tPvRmT1_T2_T3_mT4_P12ihipStream_tbEUlT_E0_NS1_11comp_targetILNS1_3genE10ELNS1_11target_archE1200ELNS1_3gpuE4ELNS1_3repE0EEENS1_30default_config_static_selectorELNS0_4arch9wavefront6targetE1EEEvSK_,"axG",@progbits,_ZN7rocprim17ROCPRIM_400000_NS6detail17trampoline_kernelINS0_14default_configENS1_22reduce_config_selectorIdEEZNS1_11reduce_implILb1ES3_N6thrust23THRUST_200600_302600_NS17counting_iteratorIdNS8_11hip_rocprim3tagENS8_11use_defaultESC_EEPddNS8_4plusIdEEEE10hipError_tPvRmT1_T2_T3_mT4_P12ihipStream_tbEUlT_E0_NS1_11comp_targetILNS1_3genE10ELNS1_11target_archE1200ELNS1_3gpuE4ELNS1_3repE0EEENS1_30default_config_static_selectorELNS0_4arch9wavefront6targetE1EEEvSK_,comdat
.Lfunc_end989:
	.size	_ZN7rocprim17ROCPRIM_400000_NS6detail17trampoline_kernelINS0_14default_configENS1_22reduce_config_selectorIdEEZNS1_11reduce_implILb1ES3_N6thrust23THRUST_200600_302600_NS17counting_iteratorIdNS8_11hip_rocprim3tagENS8_11use_defaultESC_EEPddNS8_4plusIdEEEE10hipError_tPvRmT1_T2_T3_mT4_P12ihipStream_tbEUlT_E0_NS1_11comp_targetILNS1_3genE10ELNS1_11target_archE1200ELNS1_3gpuE4ELNS1_3repE0EEENS1_30default_config_static_selectorELNS0_4arch9wavefront6targetE1EEEvSK_, .Lfunc_end989-_ZN7rocprim17ROCPRIM_400000_NS6detail17trampoline_kernelINS0_14default_configENS1_22reduce_config_selectorIdEEZNS1_11reduce_implILb1ES3_N6thrust23THRUST_200600_302600_NS17counting_iteratorIdNS8_11hip_rocprim3tagENS8_11use_defaultESC_EEPddNS8_4plusIdEEEE10hipError_tPvRmT1_T2_T3_mT4_P12ihipStream_tbEUlT_E0_NS1_11comp_targetILNS1_3genE10ELNS1_11target_archE1200ELNS1_3gpuE4ELNS1_3repE0EEENS1_30default_config_static_selectorELNS0_4arch9wavefront6targetE1EEEvSK_
                                        ; -- End function
	.set _ZN7rocprim17ROCPRIM_400000_NS6detail17trampoline_kernelINS0_14default_configENS1_22reduce_config_selectorIdEEZNS1_11reduce_implILb1ES3_N6thrust23THRUST_200600_302600_NS17counting_iteratorIdNS8_11hip_rocprim3tagENS8_11use_defaultESC_EEPddNS8_4plusIdEEEE10hipError_tPvRmT1_T2_T3_mT4_P12ihipStream_tbEUlT_E0_NS1_11comp_targetILNS1_3genE10ELNS1_11target_archE1200ELNS1_3gpuE4ELNS1_3repE0EEENS1_30default_config_static_selectorELNS0_4arch9wavefront6targetE1EEEvSK_.num_vgpr, 0
	.set _ZN7rocprim17ROCPRIM_400000_NS6detail17trampoline_kernelINS0_14default_configENS1_22reduce_config_selectorIdEEZNS1_11reduce_implILb1ES3_N6thrust23THRUST_200600_302600_NS17counting_iteratorIdNS8_11hip_rocprim3tagENS8_11use_defaultESC_EEPddNS8_4plusIdEEEE10hipError_tPvRmT1_T2_T3_mT4_P12ihipStream_tbEUlT_E0_NS1_11comp_targetILNS1_3genE10ELNS1_11target_archE1200ELNS1_3gpuE4ELNS1_3repE0EEENS1_30default_config_static_selectorELNS0_4arch9wavefront6targetE1EEEvSK_.num_agpr, 0
	.set _ZN7rocprim17ROCPRIM_400000_NS6detail17trampoline_kernelINS0_14default_configENS1_22reduce_config_selectorIdEEZNS1_11reduce_implILb1ES3_N6thrust23THRUST_200600_302600_NS17counting_iteratorIdNS8_11hip_rocprim3tagENS8_11use_defaultESC_EEPddNS8_4plusIdEEEE10hipError_tPvRmT1_T2_T3_mT4_P12ihipStream_tbEUlT_E0_NS1_11comp_targetILNS1_3genE10ELNS1_11target_archE1200ELNS1_3gpuE4ELNS1_3repE0EEENS1_30default_config_static_selectorELNS0_4arch9wavefront6targetE1EEEvSK_.numbered_sgpr, 0
	.set _ZN7rocprim17ROCPRIM_400000_NS6detail17trampoline_kernelINS0_14default_configENS1_22reduce_config_selectorIdEEZNS1_11reduce_implILb1ES3_N6thrust23THRUST_200600_302600_NS17counting_iteratorIdNS8_11hip_rocprim3tagENS8_11use_defaultESC_EEPddNS8_4plusIdEEEE10hipError_tPvRmT1_T2_T3_mT4_P12ihipStream_tbEUlT_E0_NS1_11comp_targetILNS1_3genE10ELNS1_11target_archE1200ELNS1_3gpuE4ELNS1_3repE0EEENS1_30default_config_static_selectorELNS0_4arch9wavefront6targetE1EEEvSK_.num_named_barrier, 0
	.set _ZN7rocprim17ROCPRIM_400000_NS6detail17trampoline_kernelINS0_14default_configENS1_22reduce_config_selectorIdEEZNS1_11reduce_implILb1ES3_N6thrust23THRUST_200600_302600_NS17counting_iteratorIdNS8_11hip_rocprim3tagENS8_11use_defaultESC_EEPddNS8_4plusIdEEEE10hipError_tPvRmT1_T2_T3_mT4_P12ihipStream_tbEUlT_E0_NS1_11comp_targetILNS1_3genE10ELNS1_11target_archE1200ELNS1_3gpuE4ELNS1_3repE0EEENS1_30default_config_static_selectorELNS0_4arch9wavefront6targetE1EEEvSK_.private_seg_size, 0
	.set _ZN7rocprim17ROCPRIM_400000_NS6detail17trampoline_kernelINS0_14default_configENS1_22reduce_config_selectorIdEEZNS1_11reduce_implILb1ES3_N6thrust23THRUST_200600_302600_NS17counting_iteratorIdNS8_11hip_rocprim3tagENS8_11use_defaultESC_EEPddNS8_4plusIdEEEE10hipError_tPvRmT1_T2_T3_mT4_P12ihipStream_tbEUlT_E0_NS1_11comp_targetILNS1_3genE10ELNS1_11target_archE1200ELNS1_3gpuE4ELNS1_3repE0EEENS1_30default_config_static_selectorELNS0_4arch9wavefront6targetE1EEEvSK_.uses_vcc, 0
	.set _ZN7rocprim17ROCPRIM_400000_NS6detail17trampoline_kernelINS0_14default_configENS1_22reduce_config_selectorIdEEZNS1_11reduce_implILb1ES3_N6thrust23THRUST_200600_302600_NS17counting_iteratorIdNS8_11hip_rocprim3tagENS8_11use_defaultESC_EEPddNS8_4plusIdEEEE10hipError_tPvRmT1_T2_T3_mT4_P12ihipStream_tbEUlT_E0_NS1_11comp_targetILNS1_3genE10ELNS1_11target_archE1200ELNS1_3gpuE4ELNS1_3repE0EEENS1_30default_config_static_selectorELNS0_4arch9wavefront6targetE1EEEvSK_.uses_flat_scratch, 0
	.set _ZN7rocprim17ROCPRIM_400000_NS6detail17trampoline_kernelINS0_14default_configENS1_22reduce_config_selectorIdEEZNS1_11reduce_implILb1ES3_N6thrust23THRUST_200600_302600_NS17counting_iteratorIdNS8_11hip_rocprim3tagENS8_11use_defaultESC_EEPddNS8_4plusIdEEEE10hipError_tPvRmT1_T2_T3_mT4_P12ihipStream_tbEUlT_E0_NS1_11comp_targetILNS1_3genE10ELNS1_11target_archE1200ELNS1_3gpuE4ELNS1_3repE0EEENS1_30default_config_static_selectorELNS0_4arch9wavefront6targetE1EEEvSK_.has_dyn_sized_stack, 0
	.set _ZN7rocprim17ROCPRIM_400000_NS6detail17trampoline_kernelINS0_14default_configENS1_22reduce_config_selectorIdEEZNS1_11reduce_implILb1ES3_N6thrust23THRUST_200600_302600_NS17counting_iteratorIdNS8_11hip_rocprim3tagENS8_11use_defaultESC_EEPddNS8_4plusIdEEEE10hipError_tPvRmT1_T2_T3_mT4_P12ihipStream_tbEUlT_E0_NS1_11comp_targetILNS1_3genE10ELNS1_11target_archE1200ELNS1_3gpuE4ELNS1_3repE0EEENS1_30default_config_static_selectorELNS0_4arch9wavefront6targetE1EEEvSK_.has_recursion, 0
	.set _ZN7rocprim17ROCPRIM_400000_NS6detail17trampoline_kernelINS0_14default_configENS1_22reduce_config_selectorIdEEZNS1_11reduce_implILb1ES3_N6thrust23THRUST_200600_302600_NS17counting_iteratorIdNS8_11hip_rocprim3tagENS8_11use_defaultESC_EEPddNS8_4plusIdEEEE10hipError_tPvRmT1_T2_T3_mT4_P12ihipStream_tbEUlT_E0_NS1_11comp_targetILNS1_3genE10ELNS1_11target_archE1200ELNS1_3gpuE4ELNS1_3repE0EEENS1_30default_config_static_selectorELNS0_4arch9wavefront6targetE1EEEvSK_.has_indirect_call, 0
	.section	.AMDGPU.csdata,"",@progbits
; Kernel info:
; codeLenInByte = 0
; TotalNumSgprs: 6
; NumVgprs: 0
; NumAgprs: 0
; TotalNumVgprs: 0
; ScratchSize: 0
; MemoryBound: 0
; FloatMode: 240
; IeeeMode: 1
; LDSByteSize: 0 bytes/workgroup (compile time only)
; SGPRBlocks: 0
; VGPRBlocks: 0
; NumSGPRsForWavesPerEU: 6
; NumVGPRsForWavesPerEU: 1
; AccumOffset: 4
; Occupancy: 8
; WaveLimiterHint : 0
; COMPUTE_PGM_RSRC2:SCRATCH_EN: 0
; COMPUTE_PGM_RSRC2:USER_SGPR: 2
; COMPUTE_PGM_RSRC2:TRAP_HANDLER: 0
; COMPUTE_PGM_RSRC2:TGID_X_EN: 1
; COMPUTE_PGM_RSRC2:TGID_Y_EN: 0
; COMPUTE_PGM_RSRC2:TGID_Z_EN: 0
; COMPUTE_PGM_RSRC2:TIDIG_COMP_CNT: 0
; COMPUTE_PGM_RSRC3_GFX90A:ACCUM_OFFSET: 0
; COMPUTE_PGM_RSRC3_GFX90A:TG_SPLIT: 0
	.section	.text._ZN7rocprim17ROCPRIM_400000_NS6detail17trampoline_kernelINS0_14default_configENS1_22reduce_config_selectorIdEEZNS1_11reduce_implILb1ES3_N6thrust23THRUST_200600_302600_NS17counting_iteratorIdNS8_11hip_rocprim3tagENS8_11use_defaultESC_EEPddNS8_4plusIdEEEE10hipError_tPvRmT1_T2_T3_mT4_P12ihipStream_tbEUlT_E0_NS1_11comp_targetILNS1_3genE9ELNS1_11target_archE1100ELNS1_3gpuE3ELNS1_3repE0EEENS1_30default_config_static_selectorELNS0_4arch9wavefront6targetE1EEEvSK_,"axG",@progbits,_ZN7rocprim17ROCPRIM_400000_NS6detail17trampoline_kernelINS0_14default_configENS1_22reduce_config_selectorIdEEZNS1_11reduce_implILb1ES3_N6thrust23THRUST_200600_302600_NS17counting_iteratorIdNS8_11hip_rocprim3tagENS8_11use_defaultESC_EEPddNS8_4plusIdEEEE10hipError_tPvRmT1_T2_T3_mT4_P12ihipStream_tbEUlT_E0_NS1_11comp_targetILNS1_3genE9ELNS1_11target_archE1100ELNS1_3gpuE3ELNS1_3repE0EEENS1_30default_config_static_selectorELNS0_4arch9wavefront6targetE1EEEvSK_,comdat
	.protected	_ZN7rocprim17ROCPRIM_400000_NS6detail17trampoline_kernelINS0_14default_configENS1_22reduce_config_selectorIdEEZNS1_11reduce_implILb1ES3_N6thrust23THRUST_200600_302600_NS17counting_iteratorIdNS8_11hip_rocprim3tagENS8_11use_defaultESC_EEPddNS8_4plusIdEEEE10hipError_tPvRmT1_T2_T3_mT4_P12ihipStream_tbEUlT_E0_NS1_11comp_targetILNS1_3genE9ELNS1_11target_archE1100ELNS1_3gpuE3ELNS1_3repE0EEENS1_30default_config_static_selectorELNS0_4arch9wavefront6targetE1EEEvSK_ ; -- Begin function _ZN7rocprim17ROCPRIM_400000_NS6detail17trampoline_kernelINS0_14default_configENS1_22reduce_config_selectorIdEEZNS1_11reduce_implILb1ES3_N6thrust23THRUST_200600_302600_NS17counting_iteratorIdNS8_11hip_rocprim3tagENS8_11use_defaultESC_EEPddNS8_4plusIdEEEE10hipError_tPvRmT1_T2_T3_mT4_P12ihipStream_tbEUlT_E0_NS1_11comp_targetILNS1_3genE9ELNS1_11target_archE1100ELNS1_3gpuE3ELNS1_3repE0EEENS1_30default_config_static_selectorELNS0_4arch9wavefront6targetE1EEEvSK_
	.globl	_ZN7rocprim17ROCPRIM_400000_NS6detail17trampoline_kernelINS0_14default_configENS1_22reduce_config_selectorIdEEZNS1_11reduce_implILb1ES3_N6thrust23THRUST_200600_302600_NS17counting_iteratorIdNS8_11hip_rocprim3tagENS8_11use_defaultESC_EEPddNS8_4plusIdEEEE10hipError_tPvRmT1_T2_T3_mT4_P12ihipStream_tbEUlT_E0_NS1_11comp_targetILNS1_3genE9ELNS1_11target_archE1100ELNS1_3gpuE3ELNS1_3repE0EEENS1_30default_config_static_selectorELNS0_4arch9wavefront6targetE1EEEvSK_
	.p2align	8
	.type	_ZN7rocprim17ROCPRIM_400000_NS6detail17trampoline_kernelINS0_14default_configENS1_22reduce_config_selectorIdEEZNS1_11reduce_implILb1ES3_N6thrust23THRUST_200600_302600_NS17counting_iteratorIdNS8_11hip_rocprim3tagENS8_11use_defaultESC_EEPddNS8_4plusIdEEEE10hipError_tPvRmT1_T2_T3_mT4_P12ihipStream_tbEUlT_E0_NS1_11comp_targetILNS1_3genE9ELNS1_11target_archE1100ELNS1_3gpuE3ELNS1_3repE0EEENS1_30default_config_static_selectorELNS0_4arch9wavefront6targetE1EEEvSK_,@function
_ZN7rocprim17ROCPRIM_400000_NS6detail17trampoline_kernelINS0_14default_configENS1_22reduce_config_selectorIdEEZNS1_11reduce_implILb1ES3_N6thrust23THRUST_200600_302600_NS17counting_iteratorIdNS8_11hip_rocprim3tagENS8_11use_defaultESC_EEPddNS8_4plusIdEEEE10hipError_tPvRmT1_T2_T3_mT4_P12ihipStream_tbEUlT_E0_NS1_11comp_targetILNS1_3genE9ELNS1_11target_archE1100ELNS1_3gpuE3ELNS1_3repE0EEENS1_30default_config_static_selectorELNS0_4arch9wavefront6targetE1EEEvSK_: ; @_ZN7rocprim17ROCPRIM_400000_NS6detail17trampoline_kernelINS0_14default_configENS1_22reduce_config_selectorIdEEZNS1_11reduce_implILb1ES3_N6thrust23THRUST_200600_302600_NS17counting_iteratorIdNS8_11hip_rocprim3tagENS8_11use_defaultESC_EEPddNS8_4plusIdEEEE10hipError_tPvRmT1_T2_T3_mT4_P12ihipStream_tbEUlT_E0_NS1_11comp_targetILNS1_3genE9ELNS1_11target_archE1100ELNS1_3gpuE3ELNS1_3repE0EEENS1_30default_config_static_selectorELNS0_4arch9wavefront6targetE1EEEvSK_
; %bb.0:
	.section	.rodata,"a",@progbits
	.p2align	6, 0x0
	.amdhsa_kernel _ZN7rocprim17ROCPRIM_400000_NS6detail17trampoline_kernelINS0_14default_configENS1_22reduce_config_selectorIdEEZNS1_11reduce_implILb1ES3_N6thrust23THRUST_200600_302600_NS17counting_iteratorIdNS8_11hip_rocprim3tagENS8_11use_defaultESC_EEPddNS8_4plusIdEEEE10hipError_tPvRmT1_T2_T3_mT4_P12ihipStream_tbEUlT_E0_NS1_11comp_targetILNS1_3genE9ELNS1_11target_archE1100ELNS1_3gpuE3ELNS1_3repE0EEENS1_30default_config_static_selectorELNS0_4arch9wavefront6targetE1EEEvSK_
		.amdhsa_group_segment_fixed_size 0
		.amdhsa_private_segment_fixed_size 0
		.amdhsa_kernarg_size 64
		.amdhsa_user_sgpr_count 2
		.amdhsa_user_sgpr_dispatch_ptr 0
		.amdhsa_user_sgpr_queue_ptr 0
		.amdhsa_user_sgpr_kernarg_segment_ptr 1
		.amdhsa_user_sgpr_dispatch_id 0
		.amdhsa_user_sgpr_kernarg_preload_length 0
		.amdhsa_user_sgpr_kernarg_preload_offset 0
		.amdhsa_user_sgpr_private_segment_size 0
		.amdhsa_uses_dynamic_stack 0
		.amdhsa_enable_private_segment 0
		.amdhsa_system_sgpr_workgroup_id_x 1
		.amdhsa_system_sgpr_workgroup_id_y 0
		.amdhsa_system_sgpr_workgroup_id_z 0
		.amdhsa_system_sgpr_workgroup_info 0
		.amdhsa_system_vgpr_workitem_id 0
		.amdhsa_next_free_vgpr 1
		.amdhsa_next_free_sgpr 0
		.amdhsa_accum_offset 4
		.amdhsa_reserve_vcc 0
		.amdhsa_float_round_mode_32 0
		.amdhsa_float_round_mode_16_64 0
		.amdhsa_float_denorm_mode_32 3
		.amdhsa_float_denorm_mode_16_64 3
		.amdhsa_dx10_clamp 1
		.amdhsa_ieee_mode 1
		.amdhsa_fp16_overflow 0
		.amdhsa_tg_split 0
		.amdhsa_exception_fp_ieee_invalid_op 0
		.amdhsa_exception_fp_denorm_src 0
		.amdhsa_exception_fp_ieee_div_zero 0
		.amdhsa_exception_fp_ieee_overflow 0
		.amdhsa_exception_fp_ieee_underflow 0
		.amdhsa_exception_fp_ieee_inexact 0
		.amdhsa_exception_int_div_zero 0
	.end_amdhsa_kernel
	.section	.text._ZN7rocprim17ROCPRIM_400000_NS6detail17trampoline_kernelINS0_14default_configENS1_22reduce_config_selectorIdEEZNS1_11reduce_implILb1ES3_N6thrust23THRUST_200600_302600_NS17counting_iteratorIdNS8_11hip_rocprim3tagENS8_11use_defaultESC_EEPddNS8_4plusIdEEEE10hipError_tPvRmT1_T2_T3_mT4_P12ihipStream_tbEUlT_E0_NS1_11comp_targetILNS1_3genE9ELNS1_11target_archE1100ELNS1_3gpuE3ELNS1_3repE0EEENS1_30default_config_static_selectorELNS0_4arch9wavefront6targetE1EEEvSK_,"axG",@progbits,_ZN7rocprim17ROCPRIM_400000_NS6detail17trampoline_kernelINS0_14default_configENS1_22reduce_config_selectorIdEEZNS1_11reduce_implILb1ES3_N6thrust23THRUST_200600_302600_NS17counting_iteratorIdNS8_11hip_rocprim3tagENS8_11use_defaultESC_EEPddNS8_4plusIdEEEE10hipError_tPvRmT1_T2_T3_mT4_P12ihipStream_tbEUlT_E0_NS1_11comp_targetILNS1_3genE9ELNS1_11target_archE1100ELNS1_3gpuE3ELNS1_3repE0EEENS1_30default_config_static_selectorELNS0_4arch9wavefront6targetE1EEEvSK_,comdat
.Lfunc_end990:
	.size	_ZN7rocprim17ROCPRIM_400000_NS6detail17trampoline_kernelINS0_14default_configENS1_22reduce_config_selectorIdEEZNS1_11reduce_implILb1ES3_N6thrust23THRUST_200600_302600_NS17counting_iteratorIdNS8_11hip_rocprim3tagENS8_11use_defaultESC_EEPddNS8_4plusIdEEEE10hipError_tPvRmT1_T2_T3_mT4_P12ihipStream_tbEUlT_E0_NS1_11comp_targetILNS1_3genE9ELNS1_11target_archE1100ELNS1_3gpuE3ELNS1_3repE0EEENS1_30default_config_static_selectorELNS0_4arch9wavefront6targetE1EEEvSK_, .Lfunc_end990-_ZN7rocprim17ROCPRIM_400000_NS6detail17trampoline_kernelINS0_14default_configENS1_22reduce_config_selectorIdEEZNS1_11reduce_implILb1ES3_N6thrust23THRUST_200600_302600_NS17counting_iteratorIdNS8_11hip_rocprim3tagENS8_11use_defaultESC_EEPddNS8_4plusIdEEEE10hipError_tPvRmT1_T2_T3_mT4_P12ihipStream_tbEUlT_E0_NS1_11comp_targetILNS1_3genE9ELNS1_11target_archE1100ELNS1_3gpuE3ELNS1_3repE0EEENS1_30default_config_static_selectorELNS0_4arch9wavefront6targetE1EEEvSK_
                                        ; -- End function
	.set _ZN7rocprim17ROCPRIM_400000_NS6detail17trampoline_kernelINS0_14default_configENS1_22reduce_config_selectorIdEEZNS1_11reduce_implILb1ES3_N6thrust23THRUST_200600_302600_NS17counting_iteratorIdNS8_11hip_rocprim3tagENS8_11use_defaultESC_EEPddNS8_4plusIdEEEE10hipError_tPvRmT1_T2_T3_mT4_P12ihipStream_tbEUlT_E0_NS1_11comp_targetILNS1_3genE9ELNS1_11target_archE1100ELNS1_3gpuE3ELNS1_3repE0EEENS1_30default_config_static_selectorELNS0_4arch9wavefront6targetE1EEEvSK_.num_vgpr, 0
	.set _ZN7rocprim17ROCPRIM_400000_NS6detail17trampoline_kernelINS0_14default_configENS1_22reduce_config_selectorIdEEZNS1_11reduce_implILb1ES3_N6thrust23THRUST_200600_302600_NS17counting_iteratorIdNS8_11hip_rocprim3tagENS8_11use_defaultESC_EEPddNS8_4plusIdEEEE10hipError_tPvRmT1_T2_T3_mT4_P12ihipStream_tbEUlT_E0_NS1_11comp_targetILNS1_3genE9ELNS1_11target_archE1100ELNS1_3gpuE3ELNS1_3repE0EEENS1_30default_config_static_selectorELNS0_4arch9wavefront6targetE1EEEvSK_.num_agpr, 0
	.set _ZN7rocprim17ROCPRIM_400000_NS6detail17trampoline_kernelINS0_14default_configENS1_22reduce_config_selectorIdEEZNS1_11reduce_implILb1ES3_N6thrust23THRUST_200600_302600_NS17counting_iteratorIdNS8_11hip_rocprim3tagENS8_11use_defaultESC_EEPddNS8_4plusIdEEEE10hipError_tPvRmT1_T2_T3_mT4_P12ihipStream_tbEUlT_E0_NS1_11comp_targetILNS1_3genE9ELNS1_11target_archE1100ELNS1_3gpuE3ELNS1_3repE0EEENS1_30default_config_static_selectorELNS0_4arch9wavefront6targetE1EEEvSK_.numbered_sgpr, 0
	.set _ZN7rocprim17ROCPRIM_400000_NS6detail17trampoline_kernelINS0_14default_configENS1_22reduce_config_selectorIdEEZNS1_11reduce_implILb1ES3_N6thrust23THRUST_200600_302600_NS17counting_iteratorIdNS8_11hip_rocprim3tagENS8_11use_defaultESC_EEPddNS8_4plusIdEEEE10hipError_tPvRmT1_T2_T3_mT4_P12ihipStream_tbEUlT_E0_NS1_11comp_targetILNS1_3genE9ELNS1_11target_archE1100ELNS1_3gpuE3ELNS1_3repE0EEENS1_30default_config_static_selectorELNS0_4arch9wavefront6targetE1EEEvSK_.num_named_barrier, 0
	.set _ZN7rocprim17ROCPRIM_400000_NS6detail17trampoline_kernelINS0_14default_configENS1_22reduce_config_selectorIdEEZNS1_11reduce_implILb1ES3_N6thrust23THRUST_200600_302600_NS17counting_iteratorIdNS8_11hip_rocprim3tagENS8_11use_defaultESC_EEPddNS8_4plusIdEEEE10hipError_tPvRmT1_T2_T3_mT4_P12ihipStream_tbEUlT_E0_NS1_11comp_targetILNS1_3genE9ELNS1_11target_archE1100ELNS1_3gpuE3ELNS1_3repE0EEENS1_30default_config_static_selectorELNS0_4arch9wavefront6targetE1EEEvSK_.private_seg_size, 0
	.set _ZN7rocprim17ROCPRIM_400000_NS6detail17trampoline_kernelINS0_14default_configENS1_22reduce_config_selectorIdEEZNS1_11reduce_implILb1ES3_N6thrust23THRUST_200600_302600_NS17counting_iteratorIdNS8_11hip_rocprim3tagENS8_11use_defaultESC_EEPddNS8_4plusIdEEEE10hipError_tPvRmT1_T2_T3_mT4_P12ihipStream_tbEUlT_E0_NS1_11comp_targetILNS1_3genE9ELNS1_11target_archE1100ELNS1_3gpuE3ELNS1_3repE0EEENS1_30default_config_static_selectorELNS0_4arch9wavefront6targetE1EEEvSK_.uses_vcc, 0
	.set _ZN7rocprim17ROCPRIM_400000_NS6detail17trampoline_kernelINS0_14default_configENS1_22reduce_config_selectorIdEEZNS1_11reduce_implILb1ES3_N6thrust23THRUST_200600_302600_NS17counting_iteratorIdNS8_11hip_rocprim3tagENS8_11use_defaultESC_EEPddNS8_4plusIdEEEE10hipError_tPvRmT1_T2_T3_mT4_P12ihipStream_tbEUlT_E0_NS1_11comp_targetILNS1_3genE9ELNS1_11target_archE1100ELNS1_3gpuE3ELNS1_3repE0EEENS1_30default_config_static_selectorELNS0_4arch9wavefront6targetE1EEEvSK_.uses_flat_scratch, 0
	.set _ZN7rocprim17ROCPRIM_400000_NS6detail17trampoline_kernelINS0_14default_configENS1_22reduce_config_selectorIdEEZNS1_11reduce_implILb1ES3_N6thrust23THRUST_200600_302600_NS17counting_iteratorIdNS8_11hip_rocprim3tagENS8_11use_defaultESC_EEPddNS8_4plusIdEEEE10hipError_tPvRmT1_T2_T3_mT4_P12ihipStream_tbEUlT_E0_NS1_11comp_targetILNS1_3genE9ELNS1_11target_archE1100ELNS1_3gpuE3ELNS1_3repE0EEENS1_30default_config_static_selectorELNS0_4arch9wavefront6targetE1EEEvSK_.has_dyn_sized_stack, 0
	.set _ZN7rocprim17ROCPRIM_400000_NS6detail17trampoline_kernelINS0_14default_configENS1_22reduce_config_selectorIdEEZNS1_11reduce_implILb1ES3_N6thrust23THRUST_200600_302600_NS17counting_iteratorIdNS8_11hip_rocprim3tagENS8_11use_defaultESC_EEPddNS8_4plusIdEEEE10hipError_tPvRmT1_T2_T3_mT4_P12ihipStream_tbEUlT_E0_NS1_11comp_targetILNS1_3genE9ELNS1_11target_archE1100ELNS1_3gpuE3ELNS1_3repE0EEENS1_30default_config_static_selectorELNS0_4arch9wavefront6targetE1EEEvSK_.has_recursion, 0
	.set _ZN7rocprim17ROCPRIM_400000_NS6detail17trampoline_kernelINS0_14default_configENS1_22reduce_config_selectorIdEEZNS1_11reduce_implILb1ES3_N6thrust23THRUST_200600_302600_NS17counting_iteratorIdNS8_11hip_rocprim3tagENS8_11use_defaultESC_EEPddNS8_4plusIdEEEE10hipError_tPvRmT1_T2_T3_mT4_P12ihipStream_tbEUlT_E0_NS1_11comp_targetILNS1_3genE9ELNS1_11target_archE1100ELNS1_3gpuE3ELNS1_3repE0EEENS1_30default_config_static_selectorELNS0_4arch9wavefront6targetE1EEEvSK_.has_indirect_call, 0
	.section	.AMDGPU.csdata,"",@progbits
; Kernel info:
; codeLenInByte = 0
; TotalNumSgprs: 6
; NumVgprs: 0
; NumAgprs: 0
; TotalNumVgprs: 0
; ScratchSize: 0
; MemoryBound: 0
; FloatMode: 240
; IeeeMode: 1
; LDSByteSize: 0 bytes/workgroup (compile time only)
; SGPRBlocks: 0
; VGPRBlocks: 0
; NumSGPRsForWavesPerEU: 6
; NumVGPRsForWavesPerEU: 1
; AccumOffset: 4
; Occupancy: 8
; WaveLimiterHint : 0
; COMPUTE_PGM_RSRC2:SCRATCH_EN: 0
; COMPUTE_PGM_RSRC2:USER_SGPR: 2
; COMPUTE_PGM_RSRC2:TRAP_HANDLER: 0
; COMPUTE_PGM_RSRC2:TGID_X_EN: 1
; COMPUTE_PGM_RSRC2:TGID_Y_EN: 0
; COMPUTE_PGM_RSRC2:TGID_Z_EN: 0
; COMPUTE_PGM_RSRC2:TIDIG_COMP_CNT: 0
; COMPUTE_PGM_RSRC3_GFX90A:ACCUM_OFFSET: 0
; COMPUTE_PGM_RSRC3_GFX90A:TG_SPLIT: 0
	.section	.text._ZN7rocprim17ROCPRIM_400000_NS6detail17trampoline_kernelINS0_14default_configENS1_22reduce_config_selectorIdEEZNS1_11reduce_implILb1ES3_N6thrust23THRUST_200600_302600_NS17counting_iteratorIdNS8_11hip_rocprim3tagENS8_11use_defaultESC_EEPddNS8_4plusIdEEEE10hipError_tPvRmT1_T2_T3_mT4_P12ihipStream_tbEUlT_E0_NS1_11comp_targetILNS1_3genE8ELNS1_11target_archE1030ELNS1_3gpuE2ELNS1_3repE0EEENS1_30default_config_static_selectorELNS0_4arch9wavefront6targetE1EEEvSK_,"axG",@progbits,_ZN7rocprim17ROCPRIM_400000_NS6detail17trampoline_kernelINS0_14default_configENS1_22reduce_config_selectorIdEEZNS1_11reduce_implILb1ES3_N6thrust23THRUST_200600_302600_NS17counting_iteratorIdNS8_11hip_rocprim3tagENS8_11use_defaultESC_EEPddNS8_4plusIdEEEE10hipError_tPvRmT1_T2_T3_mT4_P12ihipStream_tbEUlT_E0_NS1_11comp_targetILNS1_3genE8ELNS1_11target_archE1030ELNS1_3gpuE2ELNS1_3repE0EEENS1_30default_config_static_selectorELNS0_4arch9wavefront6targetE1EEEvSK_,comdat
	.protected	_ZN7rocprim17ROCPRIM_400000_NS6detail17trampoline_kernelINS0_14default_configENS1_22reduce_config_selectorIdEEZNS1_11reduce_implILb1ES3_N6thrust23THRUST_200600_302600_NS17counting_iteratorIdNS8_11hip_rocprim3tagENS8_11use_defaultESC_EEPddNS8_4plusIdEEEE10hipError_tPvRmT1_T2_T3_mT4_P12ihipStream_tbEUlT_E0_NS1_11comp_targetILNS1_3genE8ELNS1_11target_archE1030ELNS1_3gpuE2ELNS1_3repE0EEENS1_30default_config_static_selectorELNS0_4arch9wavefront6targetE1EEEvSK_ ; -- Begin function _ZN7rocprim17ROCPRIM_400000_NS6detail17trampoline_kernelINS0_14default_configENS1_22reduce_config_selectorIdEEZNS1_11reduce_implILb1ES3_N6thrust23THRUST_200600_302600_NS17counting_iteratorIdNS8_11hip_rocprim3tagENS8_11use_defaultESC_EEPddNS8_4plusIdEEEE10hipError_tPvRmT1_T2_T3_mT4_P12ihipStream_tbEUlT_E0_NS1_11comp_targetILNS1_3genE8ELNS1_11target_archE1030ELNS1_3gpuE2ELNS1_3repE0EEENS1_30default_config_static_selectorELNS0_4arch9wavefront6targetE1EEEvSK_
	.globl	_ZN7rocprim17ROCPRIM_400000_NS6detail17trampoline_kernelINS0_14default_configENS1_22reduce_config_selectorIdEEZNS1_11reduce_implILb1ES3_N6thrust23THRUST_200600_302600_NS17counting_iteratorIdNS8_11hip_rocprim3tagENS8_11use_defaultESC_EEPddNS8_4plusIdEEEE10hipError_tPvRmT1_T2_T3_mT4_P12ihipStream_tbEUlT_E0_NS1_11comp_targetILNS1_3genE8ELNS1_11target_archE1030ELNS1_3gpuE2ELNS1_3repE0EEENS1_30default_config_static_selectorELNS0_4arch9wavefront6targetE1EEEvSK_
	.p2align	8
	.type	_ZN7rocprim17ROCPRIM_400000_NS6detail17trampoline_kernelINS0_14default_configENS1_22reduce_config_selectorIdEEZNS1_11reduce_implILb1ES3_N6thrust23THRUST_200600_302600_NS17counting_iteratorIdNS8_11hip_rocprim3tagENS8_11use_defaultESC_EEPddNS8_4plusIdEEEE10hipError_tPvRmT1_T2_T3_mT4_P12ihipStream_tbEUlT_E0_NS1_11comp_targetILNS1_3genE8ELNS1_11target_archE1030ELNS1_3gpuE2ELNS1_3repE0EEENS1_30default_config_static_selectorELNS0_4arch9wavefront6targetE1EEEvSK_,@function
_ZN7rocprim17ROCPRIM_400000_NS6detail17trampoline_kernelINS0_14default_configENS1_22reduce_config_selectorIdEEZNS1_11reduce_implILb1ES3_N6thrust23THRUST_200600_302600_NS17counting_iteratorIdNS8_11hip_rocprim3tagENS8_11use_defaultESC_EEPddNS8_4plusIdEEEE10hipError_tPvRmT1_T2_T3_mT4_P12ihipStream_tbEUlT_E0_NS1_11comp_targetILNS1_3genE8ELNS1_11target_archE1030ELNS1_3gpuE2ELNS1_3repE0EEENS1_30default_config_static_selectorELNS0_4arch9wavefront6targetE1EEEvSK_: ; @_ZN7rocprim17ROCPRIM_400000_NS6detail17trampoline_kernelINS0_14default_configENS1_22reduce_config_selectorIdEEZNS1_11reduce_implILb1ES3_N6thrust23THRUST_200600_302600_NS17counting_iteratorIdNS8_11hip_rocprim3tagENS8_11use_defaultESC_EEPddNS8_4plusIdEEEE10hipError_tPvRmT1_T2_T3_mT4_P12ihipStream_tbEUlT_E0_NS1_11comp_targetILNS1_3genE8ELNS1_11target_archE1030ELNS1_3gpuE2ELNS1_3repE0EEENS1_30default_config_static_selectorELNS0_4arch9wavefront6targetE1EEEvSK_
; %bb.0:
	.section	.rodata,"a",@progbits
	.p2align	6, 0x0
	.amdhsa_kernel _ZN7rocprim17ROCPRIM_400000_NS6detail17trampoline_kernelINS0_14default_configENS1_22reduce_config_selectorIdEEZNS1_11reduce_implILb1ES3_N6thrust23THRUST_200600_302600_NS17counting_iteratorIdNS8_11hip_rocprim3tagENS8_11use_defaultESC_EEPddNS8_4plusIdEEEE10hipError_tPvRmT1_T2_T3_mT4_P12ihipStream_tbEUlT_E0_NS1_11comp_targetILNS1_3genE8ELNS1_11target_archE1030ELNS1_3gpuE2ELNS1_3repE0EEENS1_30default_config_static_selectorELNS0_4arch9wavefront6targetE1EEEvSK_
		.amdhsa_group_segment_fixed_size 0
		.amdhsa_private_segment_fixed_size 0
		.amdhsa_kernarg_size 64
		.amdhsa_user_sgpr_count 2
		.amdhsa_user_sgpr_dispatch_ptr 0
		.amdhsa_user_sgpr_queue_ptr 0
		.amdhsa_user_sgpr_kernarg_segment_ptr 1
		.amdhsa_user_sgpr_dispatch_id 0
		.amdhsa_user_sgpr_kernarg_preload_length 0
		.amdhsa_user_sgpr_kernarg_preload_offset 0
		.amdhsa_user_sgpr_private_segment_size 0
		.amdhsa_uses_dynamic_stack 0
		.amdhsa_enable_private_segment 0
		.amdhsa_system_sgpr_workgroup_id_x 1
		.amdhsa_system_sgpr_workgroup_id_y 0
		.amdhsa_system_sgpr_workgroup_id_z 0
		.amdhsa_system_sgpr_workgroup_info 0
		.amdhsa_system_vgpr_workitem_id 0
		.amdhsa_next_free_vgpr 1
		.amdhsa_next_free_sgpr 0
		.amdhsa_accum_offset 4
		.amdhsa_reserve_vcc 0
		.amdhsa_float_round_mode_32 0
		.amdhsa_float_round_mode_16_64 0
		.amdhsa_float_denorm_mode_32 3
		.amdhsa_float_denorm_mode_16_64 3
		.amdhsa_dx10_clamp 1
		.amdhsa_ieee_mode 1
		.amdhsa_fp16_overflow 0
		.amdhsa_tg_split 0
		.amdhsa_exception_fp_ieee_invalid_op 0
		.amdhsa_exception_fp_denorm_src 0
		.amdhsa_exception_fp_ieee_div_zero 0
		.amdhsa_exception_fp_ieee_overflow 0
		.amdhsa_exception_fp_ieee_underflow 0
		.amdhsa_exception_fp_ieee_inexact 0
		.amdhsa_exception_int_div_zero 0
	.end_amdhsa_kernel
	.section	.text._ZN7rocprim17ROCPRIM_400000_NS6detail17trampoline_kernelINS0_14default_configENS1_22reduce_config_selectorIdEEZNS1_11reduce_implILb1ES3_N6thrust23THRUST_200600_302600_NS17counting_iteratorIdNS8_11hip_rocprim3tagENS8_11use_defaultESC_EEPddNS8_4plusIdEEEE10hipError_tPvRmT1_T2_T3_mT4_P12ihipStream_tbEUlT_E0_NS1_11comp_targetILNS1_3genE8ELNS1_11target_archE1030ELNS1_3gpuE2ELNS1_3repE0EEENS1_30default_config_static_selectorELNS0_4arch9wavefront6targetE1EEEvSK_,"axG",@progbits,_ZN7rocprim17ROCPRIM_400000_NS6detail17trampoline_kernelINS0_14default_configENS1_22reduce_config_selectorIdEEZNS1_11reduce_implILb1ES3_N6thrust23THRUST_200600_302600_NS17counting_iteratorIdNS8_11hip_rocprim3tagENS8_11use_defaultESC_EEPddNS8_4plusIdEEEE10hipError_tPvRmT1_T2_T3_mT4_P12ihipStream_tbEUlT_E0_NS1_11comp_targetILNS1_3genE8ELNS1_11target_archE1030ELNS1_3gpuE2ELNS1_3repE0EEENS1_30default_config_static_selectorELNS0_4arch9wavefront6targetE1EEEvSK_,comdat
.Lfunc_end991:
	.size	_ZN7rocprim17ROCPRIM_400000_NS6detail17trampoline_kernelINS0_14default_configENS1_22reduce_config_selectorIdEEZNS1_11reduce_implILb1ES3_N6thrust23THRUST_200600_302600_NS17counting_iteratorIdNS8_11hip_rocprim3tagENS8_11use_defaultESC_EEPddNS8_4plusIdEEEE10hipError_tPvRmT1_T2_T3_mT4_P12ihipStream_tbEUlT_E0_NS1_11comp_targetILNS1_3genE8ELNS1_11target_archE1030ELNS1_3gpuE2ELNS1_3repE0EEENS1_30default_config_static_selectorELNS0_4arch9wavefront6targetE1EEEvSK_, .Lfunc_end991-_ZN7rocprim17ROCPRIM_400000_NS6detail17trampoline_kernelINS0_14default_configENS1_22reduce_config_selectorIdEEZNS1_11reduce_implILb1ES3_N6thrust23THRUST_200600_302600_NS17counting_iteratorIdNS8_11hip_rocprim3tagENS8_11use_defaultESC_EEPddNS8_4plusIdEEEE10hipError_tPvRmT1_T2_T3_mT4_P12ihipStream_tbEUlT_E0_NS1_11comp_targetILNS1_3genE8ELNS1_11target_archE1030ELNS1_3gpuE2ELNS1_3repE0EEENS1_30default_config_static_selectorELNS0_4arch9wavefront6targetE1EEEvSK_
                                        ; -- End function
	.set _ZN7rocprim17ROCPRIM_400000_NS6detail17trampoline_kernelINS0_14default_configENS1_22reduce_config_selectorIdEEZNS1_11reduce_implILb1ES3_N6thrust23THRUST_200600_302600_NS17counting_iteratorIdNS8_11hip_rocprim3tagENS8_11use_defaultESC_EEPddNS8_4plusIdEEEE10hipError_tPvRmT1_T2_T3_mT4_P12ihipStream_tbEUlT_E0_NS1_11comp_targetILNS1_3genE8ELNS1_11target_archE1030ELNS1_3gpuE2ELNS1_3repE0EEENS1_30default_config_static_selectorELNS0_4arch9wavefront6targetE1EEEvSK_.num_vgpr, 0
	.set _ZN7rocprim17ROCPRIM_400000_NS6detail17trampoline_kernelINS0_14default_configENS1_22reduce_config_selectorIdEEZNS1_11reduce_implILb1ES3_N6thrust23THRUST_200600_302600_NS17counting_iteratorIdNS8_11hip_rocprim3tagENS8_11use_defaultESC_EEPddNS8_4plusIdEEEE10hipError_tPvRmT1_T2_T3_mT4_P12ihipStream_tbEUlT_E0_NS1_11comp_targetILNS1_3genE8ELNS1_11target_archE1030ELNS1_3gpuE2ELNS1_3repE0EEENS1_30default_config_static_selectorELNS0_4arch9wavefront6targetE1EEEvSK_.num_agpr, 0
	.set _ZN7rocprim17ROCPRIM_400000_NS6detail17trampoline_kernelINS0_14default_configENS1_22reduce_config_selectorIdEEZNS1_11reduce_implILb1ES3_N6thrust23THRUST_200600_302600_NS17counting_iteratorIdNS8_11hip_rocprim3tagENS8_11use_defaultESC_EEPddNS8_4plusIdEEEE10hipError_tPvRmT1_T2_T3_mT4_P12ihipStream_tbEUlT_E0_NS1_11comp_targetILNS1_3genE8ELNS1_11target_archE1030ELNS1_3gpuE2ELNS1_3repE0EEENS1_30default_config_static_selectorELNS0_4arch9wavefront6targetE1EEEvSK_.numbered_sgpr, 0
	.set _ZN7rocprim17ROCPRIM_400000_NS6detail17trampoline_kernelINS0_14default_configENS1_22reduce_config_selectorIdEEZNS1_11reduce_implILb1ES3_N6thrust23THRUST_200600_302600_NS17counting_iteratorIdNS8_11hip_rocprim3tagENS8_11use_defaultESC_EEPddNS8_4plusIdEEEE10hipError_tPvRmT1_T2_T3_mT4_P12ihipStream_tbEUlT_E0_NS1_11comp_targetILNS1_3genE8ELNS1_11target_archE1030ELNS1_3gpuE2ELNS1_3repE0EEENS1_30default_config_static_selectorELNS0_4arch9wavefront6targetE1EEEvSK_.num_named_barrier, 0
	.set _ZN7rocprim17ROCPRIM_400000_NS6detail17trampoline_kernelINS0_14default_configENS1_22reduce_config_selectorIdEEZNS1_11reduce_implILb1ES3_N6thrust23THRUST_200600_302600_NS17counting_iteratorIdNS8_11hip_rocprim3tagENS8_11use_defaultESC_EEPddNS8_4plusIdEEEE10hipError_tPvRmT1_T2_T3_mT4_P12ihipStream_tbEUlT_E0_NS1_11comp_targetILNS1_3genE8ELNS1_11target_archE1030ELNS1_3gpuE2ELNS1_3repE0EEENS1_30default_config_static_selectorELNS0_4arch9wavefront6targetE1EEEvSK_.private_seg_size, 0
	.set _ZN7rocprim17ROCPRIM_400000_NS6detail17trampoline_kernelINS0_14default_configENS1_22reduce_config_selectorIdEEZNS1_11reduce_implILb1ES3_N6thrust23THRUST_200600_302600_NS17counting_iteratorIdNS8_11hip_rocprim3tagENS8_11use_defaultESC_EEPddNS8_4plusIdEEEE10hipError_tPvRmT1_T2_T3_mT4_P12ihipStream_tbEUlT_E0_NS1_11comp_targetILNS1_3genE8ELNS1_11target_archE1030ELNS1_3gpuE2ELNS1_3repE0EEENS1_30default_config_static_selectorELNS0_4arch9wavefront6targetE1EEEvSK_.uses_vcc, 0
	.set _ZN7rocprim17ROCPRIM_400000_NS6detail17trampoline_kernelINS0_14default_configENS1_22reduce_config_selectorIdEEZNS1_11reduce_implILb1ES3_N6thrust23THRUST_200600_302600_NS17counting_iteratorIdNS8_11hip_rocprim3tagENS8_11use_defaultESC_EEPddNS8_4plusIdEEEE10hipError_tPvRmT1_T2_T3_mT4_P12ihipStream_tbEUlT_E0_NS1_11comp_targetILNS1_3genE8ELNS1_11target_archE1030ELNS1_3gpuE2ELNS1_3repE0EEENS1_30default_config_static_selectorELNS0_4arch9wavefront6targetE1EEEvSK_.uses_flat_scratch, 0
	.set _ZN7rocprim17ROCPRIM_400000_NS6detail17trampoline_kernelINS0_14default_configENS1_22reduce_config_selectorIdEEZNS1_11reduce_implILb1ES3_N6thrust23THRUST_200600_302600_NS17counting_iteratorIdNS8_11hip_rocprim3tagENS8_11use_defaultESC_EEPddNS8_4plusIdEEEE10hipError_tPvRmT1_T2_T3_mT4_P12ihipStream_tbEUlT_E0_NS1_11comp_targetILNS1_3genE8ELNS1_11target_archE1030ELNS1_3gpuE2ELNS1_3repE0EEENS1_30default_config_static_selectorELNS0_4arch9wavefront6targetE1EEEvSK_.has_dyn_sized_stack, 0
	.set _ZN7rocprim17ROCPRIM_400000_NS6detail17trampoline_kernelINS0_14default_configENS1_22reduce_config_selectorIdEEZNS1_11reduce_implILb1ES3_N6thrust23THRUST_200600_302600_NS17counting_iteratorIdNS8_11hip_rocprim3tagENS8_11use_defaultESC_EEPddNS8_4plusIdEEEE10hipError_tPvRmT1_T2_T3_mT4_P12ihipStream_tbEUlT_E0_NS1_11comp_targetILNS1_3genE8ELNS1_11target_archE1030ELNS1_3gpuE2ELNS1_3repE0EEENS1_30default_config_static_selectorELNS0_4arch9wavefront6targetE1EEEvSK_.has_recursion, 0
	.set _ZN7rocprim17ROCPRIM_400000_NS6detail17trampoline_kernelINS0_14default_configENS1_22reduce_config_selectorIdEEZNS1_11reduce_implILb1ES3_N6thrust23THRUST_200600_302600_NS17counting_iteratorIdNS8_11hip_rocprim3tagENS8_11use_defaultESC_EEPddNS8_4plusIdEEEE10hipError_tPvRmT1_T2_T3_mT4_P12ihipStream_tbEUlT_E0_NS1_11comp_targetILNS1_3genE8ELNS1_11target_archE1030ELNS1_3gpuE2ELNS1_3repE0EEENS1_30default_config_static_selectorELNS0_4arch9wavefront6targetE1EEEvSK_.has_indirect_call, 0
	.section	.AMDGPU.csdata,"",@progbits
; Kernel info:
; codeLenInByte = 0
; TotalNumSgprs: 6
; NumVgprs: 0
; NumAgprs: 0
; TotalNumVgprs: 0
; ScratchSize: 0
; MemoryBound: 0
; FloatMode: 240
; IeeeMode: 1
; LDSByteSize: 0 bytes/workgroup (compile time only)
; SGPRBlocks: 0
; VGPRBlocks: 0
; NumSGPRsForWavesPerEU: 6
; NumVGPRsForWavesPerEU: 1
; AccumOffset: 4
; Occupancy: 8
; WaveLimiterHint : 0
; COMPUTE_PGM_RSRC2:SCRATCH_EN: 0
; COMPUTE_PGM_RSRC2:USER_SGPR: 2
; COMPUTE_PGM_RSRC2:TRAP_HANDLER: 0
; COMPUTE_PGM_RSRC2:TGID_X_EN: 1
; COMPUTE_PGM_RSRC2:TGID_Y_EN: 0
; COMPUTE_PGM_RSRC2:TGID_Z_EN: 0
; COMPUTE_PGM_RSRC2:TIDIG_COMP_CNT: 0
; COMPUTE_PGM_RSRC3_GFX90A:ACCUM_OFFSET: 0
; COMPUTE_PGM_RSRC3_GFX90A:TG_SPLIT: 0
	.section	.text._ZN7rocprim17ROCPRIM_400000_NS6detail17trampoline_kernelINS0_14default_configENS1_22reduce_config_selectorIdEEZNS1_11reduce_implILb1ES3_N6thrust23THRUST_200600_302600_NS17counting_iteratorIdNS8_11hip_rocprim3tagENS8_11use_defaultESC_EEPddNS8_4plusIdEEEE10hipError_tPvRmT1_T2_T3_mT4_P12ihipStream_tbEUlT_E1_NS1_11comp_targetILNS1_3genE0ELNS1_11target_archE4294967295ELNS1_3gpuE0ELNS1_3repE0EEENS1_30default_config_static_selectorELNS0_4arch9wavefront6targetE1EEEvSK_,"axG",@progbits,_ZN7rocprim17ROCPRIM_400000_NS6detail17trampoline_kernelINS0_14default_configENS1_22reduce_config_selectorIdEEZNS1_11reduce_implILb1ES3_N6thrust23THRUST_200600_302600_NS17counting_iteratorIdNS8_11hip_rocprim3tagENS8_11use_defaultESC_EEPddNS8_4plusIdEEEE10hipError_tPvRmT1_T2_T3_mT4_P12ihipStream_tbEUlT_E1_NS1_11comp_targetILNS1_3genE0ELNS1_11target_archE4294967295ELNS1_3gpuE0ELNS1_3repE0EEENS1_30default_config_static_selectorELNS0_4arch9wavefront6targetE1EEEvSK_,comdat
	.protected	_ZN7rocprim17ROCPRIM_400000_NS6detail17trampoline_kernelINS0_14default_configENS1_22reduce_config_selectorIdEEZNS1_11reduce_implILb1ES3_N6thrust23THRUST_200600_302600_NS17counting_iteratorIdNS8_11hip_rocprim3tagENS8_11use_defaultESC_EEPddNS8_4plusIdEEEE10hipError_tPvRmT1_T2_T3_mT4_P12ihipStream_tbEUlT_E1_NS1_11comp_targetILNS1_3genE0ELNS1_11target_archE4294967295ELNS1_3gpuE0ELNS1_3repE0EEENS1_30default_config_static_selectorELNS0_4arch9wavefront6targetE1EEEvSK_ ; -- Begin function _ZN7rocprim17ROCPRIM_400000_NS6detail17trampoline_kernelINS0_14default_configENS1_22reduce_config_selectorIdEEZNS1_11reduce_implILb1ES3_N6thrust23THRUST_200600_302600_NS17counting_iteratorIdNS8_11hip_rocprim3tagENS8_11use_defaultESC_EEPddNS8_4plusIdEEEE10hipError_tPvRmT1_T2_T3_mT4_P12ihipStream_tbEUlT_E1_NS1_11comp_targetILNS1_3genE0ELNS1_11target_archE4294967295ELNS1_3gpuE0ELNS1_3repE0EEENS1_30default_config_static_selectorELNS0_4arch9wavefront6targetE1EEEvSK_
	.globl	_ZN7rocprim17ROCPRIM_400000_NS6detail17trampoline_kernelINS0_14default_configENS1_22reduce_config_selectorIdEEZNS1_11reduce_implILb1ES3_N6thrust23THRUST_200600_302600_NS17counting_iteratorIdNS8_11hip_rocprim3tagENS8_11use_defaultESC_EEPddNS8_4plusIdEEEE10hipError_tPvRmT1_T2_T3_mT4_P12ihipStream_tbEUlT_E1_NS1_11comp_targetILNS1_3genE0ELNS1_11target_archE4294967295ELNS1_3gpuE0ELNS1_3repE0EEENS1_30default_config_static_selectorELNS0_4arch9wavefront6targetE1EEEvSK_
	.p2align	8
	.type	_ZN7rocprim17ROCPRIM_400000_NS6detail17trampoline_kernelINS0_14default_configENS1_22reduce_config_selectorIdEEZNS1_11reduce_implILb1ES3_N6thrust23THRUST_200600_302600_NS17counting_iteratorIdNS8_11hip_rocprim3tagENS8_11use_defaultESC_EEPddNS8_4plusIdEEEE10hipError_tPvRmT1_T2_T3_mT4_P12ihipStream_tbEUlT_E1_NS1_11comp_targetILNS1_3genE0ELNS1_11target_archE4294967295ELNS1_3gpuE0ELNS1_3repE0EEENS1_30default_config_static_selectorELNS0_4arch9wavefront6targetE1EEEvSK_,@function
_ZN7rocprim17ROCPRIM_400000_NS6detail17trampoline_kernelINS0_14default_configENS1_22reduce_config_selectorIdEEZNS1_11reduce_implILb1ES3_N6thrust23THRUST_200600_302600_NS17counting_iteratorIdNS8_11hip_rocprim3tagENS8_11use_defaultESC_EEPddNS8_4plusIdEEEE10hipError_tPvRmT1_T2_T3_mT4_P12ihipStream_tbEUlT_E1_NS1_11comp_targetILNS1_3genE0ELNS1_11target_archE4294967295ELNS1_3gpuE0ELNS1_3repE0EEENS1_30default_config_static_selectorELNS0_4arch9wavefront6targetE1EEEvSK_: ; @_ZN7rocprim17ROCPRIM_400000_NS6detail17trampoline_kernelINS0_14default_configENS1_22reduce_config_selectorIdEEZNS1_11reduce_implILb1ES3_N6thrust23THRUST_200600_302600_NS17counting_iteratorIdNS8_11hip_rocprim3tagENS8_11use_defaultESC_EEPddNS8_4plusIdEEEE10hipError_tPvRmT1_T2_T3_mT4_P12ihipStream_tbEUlT_E1_NS1_11comp_targetILNS1_3genE0ELNS1_11target_archE4294967295ELNS1_3gpuE0ELNS1_3repE0EEENS1_30default_config_static_selectorELNS0_4arch9wavefront6targetE1EEEvSK_
; %bb.0:
	s_load_dword s33, s[0:1], 0x4
	s_load_dwordx8 s[36:43], s[0:1], 0x8
	s_waitcnt lgkmcnt(0)
	s_cmp_lt_i32 s33, 4
	s_cbranch_scc1 .LBB992_11
; %bb.1:
	s_cmp_gt_i32 s33, 7
	s_cbranch_scc0 .LBB992_12
; %bb.2:
	s_cmp_gt_i32 s33, 15
	s_cbranch_scc0 .LBB992_13
; %bb.3:
	s_cmp_eq_u32 s33, 16
	s_mov_b64 s[30:31], 0
	s_cbranch_scc0 .LBB992_14
; %bb.4:
	s_lshl_b32 s4, s2, 12
	s_mov_b32 s3, 0
	s_lshr_b64 s[0:1], s[38:39], 12
	v_cvt_f64_u32_e32 v[2:3], s4
	s_cmp_lg_u64 s[0:1], s[2:3]
	v_add_f64 v[4:5], s[36:37], v[2:3]
	s_cbranch_scc0 .LBB992_23
; %bb.5:
	v_cvt_f64_u32_e32 v[2:3], v0
	s_mov_b32 s0, 0
	v_add_f64 v[2:3], v[4:5], v[2:3]
	s_mov_b32 s1, 0x40700000
	v_add_f64 v[6:7], v[2:3], s[0:1]
	s_mov_b32 s0, 0
	s_mov_b32 s1, 4.0
	v_add_f64 v[8:9], v[2:3], s[0:1]
	s_mov_b32 s0, 0
	s_mov_b32 s1, 0x40880000
	v_add_f64 v[10:11], v[2:3], s[0:1]
	s_mov_b32 s0, 0
	s_mov_b32 s1, 0x40900000
	;; [unrolled: 3-line block ×13, first 2 shown]
	v_add_f64 v[34:35], v[2:3], s[0:1]
	v_add_f64 v[2:3], v[2:3], v[6:7]
	;; [unrolled: 1-line block ×16, first 2 shown]
	v_mbcnt_lo_u32_b32 v1, -1, 0
	v_mbcnt_hi_u32_b32 v1, -1, v1
	v_mov_b32_dpp v6, v2 quad_perm:[1,0,3,2] row_mask:0xf bank_mask:0xf bound_ctrl:1
	v_mov_b32_dpp v7, v3 quad_perm:[1,0,3,2] row_mask:0xf bank_mask:0xf bound_ctrl:1
	v_add_f64 v[2:3], v[2:3], v[6:7]
	v_cmp_eq_u32_e32 vcc, 0, v1
	s_nop 0
	v_mov_b32_dpp v6, v2 quad_perm:[2,3,0,1] row_mask:0xf bank_mask:0xf bound_ctrl:1
	v_mov_b32_dpp v7, v3 quad_perm:[2,3,0,1] row_mask:0xf bank_mask:0xf bound_ctrl:1
	v_add_f64 v[2:3], v[2:3], v[6:7]
	s_nop 1
	v_mov_b32_dpp v6, v2 row_ror:4 row_mask:0xf bank_mask:0xf bound_ctrl:1
	v_mov_b32_dpp v7, v3 row_ror:4 row_mask:0xf bank_mask:0xf bound_ctrl:1
	v_add_f64 v[2:3], v[2:3], v[6:7]
	s_nop 1
	v_mov_b32_dpp v6, v2 row_ror:8 row_mask:0xf bank_mask:0xf bound_ctrl:1
	v_mov_b32_dpp v7, v3 row_ror:8 row_mask:0xf bank_mask:0xf bound_ctrl:1
	v_add_f64 v[2:3], v[2:3], v[6:7]
	s_nop 1
	v_mov_b32_dpp v6, v2 row_bcast:15 row_mask:0xf bank_mask:0xf bound_ctrl:1
	v_mov_b32_dpp v7, v3 row_bcast:15 row_mask:0xf bank_mask:0xf bound_ctrl:1
	v_add_f64 v[2:3], v[2:3], v[6:7]
	s_nop 1
	v_mov_b32_dpp v6, v2 row_bcast:31 row_mask:0xf bank_mask:0xf bound_ctrl:1
	v_mov_b32_dpp v7, v3 row_bcast:31 row_mask:0xf bank_mask:0xf bound_ctrl:1
	v_add_f64 v[2:3], v[2:3], v[6:7]
	v_lshlrev_b32_e32 v6, 2, v1
	v_or_b32_e32 v7, 0xfc, v6
	ds_bpermute_b32 v2, v7, v2
	ds_bpermute_b32 v3, v7, v3
	s_and_saveexec_b64 s[0:1], vcc
	s_cbranch_execz .LBB992_7
; %bb.6:
	v_lshrrev_b32_e32 v7, 3, v0
	v_and_b32_e32 v7, 24, v7
	s_waitcnt lgkmcnt(0)
	ds_write_b64 v7, v[2:3]
.LBB992_7:
	s_or_b64 exec, exec, s[0:1]
	v_cmp_gt_u32_e32 vcc, 64, v0
	s_waitcnt lgkmcnt(0)
	s_barrier
	s_and_saveexec_b64 s[0:1], vcc
	s_cbranch_execz .LBB992_9
; %bb.8:
	v_and_b32_e32 v7, 3, v1
	v_lshlrev_b32_e32 v2, 3, v7
	ds_read_b64 v[2:3], v2
	v_cmp_ne_u32_e32 vcc, 3, v7
	s_nop 1
	v_addc_co_u32_e32 v1, vcc, 0, v1, vcc
	v_lshlrev_b32_e32 v1, 2, v1
	s_waitcnt lgkmcnt(0)
	ds_bpermute_b32 v8, v1, v2
	ds_bpermute_b32 v9, v1, v3
	v_or_b32_e32 v1, 8, v6
	s_waitcnt lgkmcnt(0)
	v_add_f64 v[2:3], v[2:3], v[8:9]
	ds_bpermute_b32 v6, v1, v2
	ds_bpermute_b32 v7, v1, v3
	s_waitcnt lgkmcnt(0)
	v_add_f64 v[2:3], v[2:3], v[6:7]
.LBB992_9:
	s_or_b64 exec, exec, s[0:1]
.LBB992_10:
	v_cmp_eq_u32_e64 s[0:1], 0, v0
	s_and_b64 vcc, exec, s[30:31]
	s_cbranch_vccnz .LBB992_15
	s_branch .LBB992_33
.LBB992_11:
	s_mov_b64 s[0:1], 0
                                        ; implicit-def: $vgpr2_vgpr3
	s_cbranch_execnz .LBB992_66
	s_branch .LBB992_96
.LBB992_12:
	s_mov_b64 s[0:1], 0
                                        ; implicit-def: $vgpr2_vgpr3
	s_cbranch_execnz .LBB992_46
	s_branch .LBB992_54
.LBB992_13:
	s_mov_b64 s[30:31], -1
.LBB992_14:
	s_mov_b64 s[0:1], 0
                                        ; implicit-def: $vgpr2_vgpr3
	s_and_b64 vcc, exec, s[30:31]
	s_cbranch_vccz .LBB992_33
.LBB992_15:
	s_cmp_eq_u32 s33, 8
	s_cbranch_scc0 .LBB992_22
; %bb.16:
	s_lshl_b32 s4, s2, 11
	s_mov_b32 s3, 0
	s_lshr_b64 s[0:1], s[38:39], 11
	v_cvt_f64_u32_e32 v[2:3], s4
	s_cmp_lg_u64 s[0:1], s[2:3]
	v_add_f64 v[4:5], s[36:37], v[2:3]
	s_cbranch_scc0 .LBB992_34
; %bb.17:
	v_cvt_f64_u32_e32 v[2:3], v0
	s_mov_b32 s0, 0
	v_add_f64 v[2:3], v[4:5], v[2:3]
	s_mov_b32 s1, 0x40700000
	s_waitcnt lgkmcnt(0)
	v_add_f64 v[6:7], v[2:3], s[0:1]
	s_mov_b32 s0, 0
	s_mov_b32 s1, 4.0
	v_add_f64 v[8:9], v[2:3], s[0:1]
	s_mov_b32 s0, 0
	s_mov_b32 s1, 0x40880000
	v_add_f64 v[10:11], v[2:3], s[0:1]
	s_mov_b32 s0, 0
	s_mov_b32 s1, 0x40900000
	;; [unrolled: 3-line block ×5, first 2 shown]
	v_add_f64 v[18:19], v[2:3], s[0:1]
	v_add_f64 v[2:3], v[2:3], v[6:7]
	;; [unrolled: 1-line block ×8, first 2 shown]
	v_mbcnt_lo_u32_b32 v1, -1, 0
	v_mbcnt_hi_u32_b32 v1, -1, v1
	v_mov_b32_dpp v6, v2 quad_perm:[1,0,3,2] row_mask:0xf bank_mask:0xf bound_ctrl:1
	v_mov_b32_dpp v7, v3 quad_perm:[1,0,3,2] row_mask:0xf bank_mask:0xf bound_ctrl:1
	v_add_f64 v[2:3], v[2:3], v[6:7]
	v_cmp_eq_u32_e32 vcc, 0, v1
	s_nop 0
	v_mov_b32_dpp v6, v2 quad_perm:[2,3,0,1] row_mask:0xf bank_mask:0xf bound_ctrl:1
	v_mov_b32_dpp v7, v3 quad_perm:[2,3,0,1] row_mask:0xf bank_mask:0xf bound_ctrl:1
	v_add_f64 v[2:3], v[2:3], v[6:7]
	s_nop 1
	v_mov_b32_dpp v6, v2 row_ror:4 row_mask:0xf bank_mask:0xf bound_ctrl:1
	v_mov_b32_dpp v7, v3 row_ror:4 row_mask:0xf bank_mask:0xf bound_ctrl:1
	v_add_f64 v[2:3], v[2:3], v[6:7]
	s_nop 1
	v_mov_b32_dpp v6, v2 row_ror:8 row_mask:0xf bank_mask:0xf bound_ctrl:1
	v_mov_b32_dpp v7, v3 row_ror:8 row_mask:0xf bank_mask:0xf bound_ctrl:1
	v_add_f64 v[2:3], v[2:3], v[6:7]
	s_nop 1
	v_mov_b32_dpp v6, v2 row_bcast:15 row_mask:0xf bank_mask:0xf bound_ctrl:1
	v_mov_b32_dpp v7, v3 row_bcast:15 row_mask:0xf bank_mask:0xf bound_ctrl:1
	v_add_f64 v[2:3], v[2:3], v[6:7]
	s_nop 1
	v_mov_b32_dpp v6, v2 row_bcast:31 row_mask:0xf bank_mask:0xf bound_ctrl:1
	v_mov_b32_dpp v7, v3 row_bcast:31 row_mask:0xf bank_mask:0xf bound_ctrl:1
	v_add_f64 v[2:3], v[2:3], v[6:7]
	v_lshlrev_b32_e32 v6, 2, v1
	v_or_b32_e32 v7, 0xfc, v6
	ds_bpermute_b32 v2, v7, v2
	ds_bpermute_b32 v3, v7, v3
	s_and_saveexec_b64 s[0:1], vcc
	s_cbranch_execz .LBB992_19
; %bb.18:
	v_lshrrev_b32_e32 v7, 3, v0
	v_and_b32_e32 v7, 24, v7
	s_waitcnt lgkmcnt(0)
	ds_write_b64 v7, v[2:3] offset:128
.LBB992_19:
	s_or_b64 exec, exec, s[0:1]
	v_cmp_gt_u32_e32 vcc, 64, v0
	s_waitcnt lgkmcnt(0)
	s_barrier
	s_and_saveexec_b64 s[0:1], vcc
	s_cbranch_execz .LBB992_21
; %bb.20:
	v_and_b32_e32 v7, 3, v1
	v_lshlrev_b32_e32 v2, 3, v7
	ds_read_b64 v[2:3], v2 offset:128
	v_cmp_ne_u32_e32 vcc, 3, v7
	s_nop 1
	v_addc_co_u32_e32 v1, vcc, 0, v1, vcc
	v_lshlrev_b32_e32 v1, 2, v1
	s_waitcnt lgkmcnt(0)
	ds_bpermute_b32 v8, v1, v2
	ds_bpermute_b32 v9, v1, v3
	v_or_b32_e32 v1, 8, v6
	s_waitcnt lgkmcnt(0)
	v_add_f64 v[2:3], v[2:3], v[8:9]
	ds_bpermute_b32 v6, v1, v2
	ds_bpermute_b32 v7, v1, v3
	s_waitcnt lgkmcnt(0)
	v_add_f64 v[2:3], v[2:3], v[6:7]
.LBB992_21:
	s_or_b64 exec, exec, s[0:1]
	s_mov_b64 s[0:1], 0
	s_branch .LBB992_35
.LBB992_22:
                                        ; implicit-def: $vgpr2_vgpr3
	s_branch .LBB992_54
.LBB992_23:
                                        ; implicit-def: $vgpr2_vgpr3
	s_cbranch_execz .LBB992_10
; %bb.24:
	s_sub_i32 s34, s38, s4
	v_cvt_f64_u32_e32 v[2:3], v0
	v_or_b32_e32 v1, 0x100, v0
	v_add_f64 v[2:3], v[4:5], v[2:3]
	v_cmp_gt_u32_e32 vcc, s34, v0
	v_cvt_f64_u32_e32 v[6:7], v1
	v_add_f64 v[6:7], v[4:5], v[6:7]
	v_cndmask_b32_e32 v3, 0, v3, vcc
	v_cndmask_b32_e32 v2, 0, v2, vcc
	v_cmp_gt_u32_e32 vcc, s34, v1
	v_or_b32_e32 v1, 0x200, v0
	v_cvt_f64_u32_e32 v[8:9], v1
	v_cndmask_b32_e32 v7, 0, v7, vcc
	v_cndmask_b32_e32 v6, 0, v6, vcc
	v_add_f64 v[8:9], v[4:5], v[8:9]
	v_cmp_gt_u32_e64 s[0:1], s34, v1
	v_or_b32_e32 v1, 0x300, v0
	v_add_f64 v[6:7], v[2:3], v[6:7]
	v_cndmask_b32_e64 v9, 0, v9, s[0:1]
	v_cndmask_b32_e64 v8, 0, v8, s[0:1]
	v_cvt_f64_u32_e32 v[10:11], v1
	v_cndmask_b32_e32 v3, v3, v7, vcc
	v_cndmask_b32_e32 v2, v2, v6, vcc
	v_add_f64 v[10:11], v[4:5], v[10:11]
	v_cmp_gt_u32_e64 s[4:5], s34, v1
	v_or_b32_e32 v1, 0x400, v0
	v_add_f64 v[6:7], v[8:9], v[2:3]
	v_cndmask_b32_e64 v11, 0, v11, s[4:5]
	v_cndmask_b32_e64 v10, 0, v10, s[4:5]
	v_cvt_f64_u32_e32 v[12:13], v1
	v_cndmask_b32_e64 v3, v3, v7, s[0:1]
	v_cndmask_b32_e64 v2, v2, v6, s[0:1]
	v_add_f64 v[12:13], v[4:5], v[12:13]
	v_cmp_gt_u32_e64 s[6:7], s34, v1
	v_or_b32_e32 v1, 0x500, v0
	v_add_f64 v[6:7], v[10:11], v[2:3]
	v_cndmask_b32_e64 v13, 0, v13, s[6:7]
	v_cndmask_b32_e64 v12, 0, v12, s[6:7]
	v_cvt_f64_u32_e32 v[14:15], v1
	v_cndmask_b32_e64 v3, v3, v7, s[4:5]
	v_cndmask_b32_e64 v2, v2, v6, s[4:5]
	v_add_f64 v[14:15], v[4:5], v[14:15]
	v_cmp_gt_u32_e64 s[8:9], s34, v1
	v_or_b32_e32 v1, 0x600, v0
	v_add_f64 v[6:7], v[12:13], v[2:3]
	v_cndmask_b32_e64 v15, 0, v15, s[8:9]
	v_cndmask_b32_e64 v14, 0, v14, s[8:9]
	v_cvt_f64_u32_e32 v[16:17], v1
	v_cndmask_b32_e64 v3, v3, v7, s[6:7]
	v_cndmask_b32_e64 v2, v2, v6, s[6:7]
	v_add_f64 v[16:17], v[4:5], v[16:17]
	v_cmp_gt_u32_e64 s[10:11], s34, v1
	v_or_b32_e32 v1, 0x700, v0
	v_add_f64 v[6:7], v[14:15], v[2:3]
	v_cndmask_b32_e64 v17, 0, v17, s[10:11]
	v_cndmask_b32_e64 v16, 0, v16, s[10:11]
	v_cvt_f64_u32_e32 v[18:19], v1
	v_cndmask_b32_e64 v3, v3, v7, s[8:9]
	v_cndmask_b32_e64 v2, v2, v6, s[8:9]
	v_add_f64 v[18:19], v[4:5], v[18:19]
	v_cmp_gt_u32_e64 s[12:13], s34, v1
	v_or_b32_e32 v1, 0x800, v0
	v_add_f64 v[6:7], v[16:17], v[2:3]
	v_cndmask_b32_e64 v19, 0, v19, s[12:13]
	v_cndmask_b32_e64 v18, 0, v18, s[12:13]
	v_cvt_f64_u32_e32 v[20:21], v1
	v_cndmask_b32_e64 v3, v3, v7, s[10:11]
	v_cndmask_b32_e64 v2, v2, v6, s[10:11]
	v_add_f64 v[20:21], v[4:5], v[20:21]
	v_cmp_gt_u32_e64 s[14:15], s34, v1
	v_or_b32_e32 v1, 0x900, v0
	v_add_f64 v[6:7], v[18:19], v[2:3]
	v_cndmask_b32_e64 v21, 0, v21, s[14:15]
	v_cndmask_b32_e64 v20, 0, v20, s[14:15]
	v_cvt_f64_u32_e32 v[22:23], v1
	v_cndmask_b32_e64 v3, v3, v7, s[12:13]
	v_cndmask_b32_e64 v2, v2, v6, s[12:13]
	v_add_f64 v[22:23], v[4:5], v[22:23]
	v_cmp_gt_u32_e64 s[16:17], s34, v1
	v_or_b32_e32 v1, 0xa00, v0
	v_add_f64 v[6:7], v[20:21], v[2:3]
	v_cndmask_b32_e64 v23, 0, v23, s[16:17]
	v_cndmask_b32_e64 v22, 0, v22, s[16:17]
	v_cvt_f64_u32_e32 v[24:25], v1
	v_cndmask_b32_e64 v3, v3, v7, s[14:15]
	v_cndmask_b32_e64 v2, v2, v6, s[14:15]
	v_add_f64 v[24:25], v[4:5], v[24:25]
	v_cmp_gt_u32_e64 s[18:19], s34, v1
	v_or_b32_e32 v1, 0xb00, v0
	v_add_f64 v[6:7], v[22:23], v[2:3]
	v_cndmask_b32_e64 v25, 0, v25, s[18:19]
	v_cndmask_b32_e64 v24, 0, v24, s[18:19]
	v_cvt_f64_u32_e32 v[26:27], v1
	v_cndmask_b32_e64 v3, v3, v7, s[16:17]
	v_cndmask_b32_e64 v2, v2, v6, s[16:17]
	v_add_f64 v[26:27], v[4:5], v[26:27]
	v_cmp_gt_u32_e64 s[20:21], s34, v1
	v_or_b32_e32 v1, 0xc00, v0
	v_add_f64 v[6:7], v[24:25], v[2:3]
	v_cndmask_b32_e64 v27, 0, v27, s[20:21]
	v_cndmask_b32_e64 v26, 0, v26, s[20:21]
	v_cvt_f64_u32_e32 v[28:29], v1
	v_cndmask_b32_e64 v3, v3, v7, s[18:19]
	v_cndmask_b32_e64 v2, v2, v6, s[18:19]
	v_add_f64 v[28:29], v[4:5], v[28:29]
	v_cmp_gt_u32_e64 s[22:23], s34, v1
	v_or_b32_e32 v1, 0xd00, v0
	v_add_f64 v[6:7], v[26:27], v[2:3]
	v_cndmask_b32_e64 v29, 0, v29, s[22:23]
	v_cndmask_b32_e64 v28, 0, v28, s[22:23]
	v_cvt_f64_u32_e32 v[30:31], v1
	v_cndmask_b32_e64 v3, v3, v7, s[20:21]
	v_cndmask_b32_e64 v2, v2, v6, s[20:21]
	v_add_f64 v[30:31], v[4:5], v[30:31]
	v_cmp_gt_u32_e64 s[24:25], s34, v1
	v_or_b32_e32 v1, 0xe00, v0
	v_add_f64 v[6:7], v[28:29], v[2:3]
	v_cndmask_b32_e64 v31, 0, v31, s[24:25]
	v_cndmask_b32_e64 v30, 0, v30, s[24:25]
	v_cvt_f64_u32_e32 v[32:33], v1
	v_cndmask_b32_e64 v3, v3, v7, s[22:23]
	v_cndmask_b32_e64 v2, v2, v6, s[22:23]
	v_add_f64 v[32:33], v[4:5], v[32:33]
	v_cmp_gt_u32_e64 s[26:27], s34, v1
	v_or_b32_e32 v1, 0xf00, v0
	v_add_f64 v[6:7], v[30:31], v[2:3]
	v_cndmask_b32_e64 v33, 0, v33, s[26:27]
	v_cndmask_b32_e64 v32, 0, v32, s[26:27]
	v_cvt_f64_u32_e32 v[34:35], v1
	v_cmp_gt_u32_e64 s[28:29], s34, v1
	v_cndmask_b32_e64 v3, v3, v7, s[24:25]
	v_cndmask_b32_e64 v2, v2, v6, s[24:25]
	v_mbcnt_lo_u32_b32 v1, -1, 0
	v_add_f64 v[4:5], v[4:5], v[34:35]
	v_add_f64 v[6:7], v[32:33], v[2:3]
	v_mbcnt_hi_u32_b32 v1, -1, v1
	v_cndmask_b32_e64 v5, 0, v5, s[28:29]
	v_cndmask_b32_e64 v4, 0, v4, s[28:29]
	;; [unrolled: 1-line block ×4, first 2 shown]
	v_and_b32_e32 v11, 63, v1
	v_add_f64 v[4:5], v[4:5], v[2:3]
	v_cmp_ne_u32_e32 vcc, 63, v11
	v_cndmask_b32_e64 v2, v2, v4, s[28:29]
	v_cndmask_b32_e64 v3, v3, v5, s[28:29]
	v_addc_co_u32_e32 v4, vcc, 0, v1, vcc
	v_lshlrev_b32_e32 v5, 2, v4
	ds_bpermute_b32 v4, v5, v2
	ds_bpermute_b32 v5, v5, v3
	s_min_u32 s6, s34, 0x100
	v_and_b32_e32 v6, 0xc0, v0
	v_sub_u32_e64 v10, s6, v6 clamp
	v_add_u32_e32 v6, 1, v11
	v_cmp_gt_u32_e32 vcc, 62, v11
	s_waitcnt lgkmcnt(0)
	v_add_f64 v[4:5], v[2:3], v[4:5]
	v_cmp_lt_u32_e64 s[0:1], v6, v10
	v_cndmask_b32_e64 v6, 0, 2, vcc
	v_add_lshl_u32 v7, v6, v1, 2
	v_cndmask_b32_e64 v4, v2, v4, s[0:1]
	v_cndmask_b32_e64 v5, v3, v5, s[0:1]
	ds_bpermute_b32 v6, v7, v4
	ds_bpermute_b32 v7, v7, v5
	v_add_u32_e32 v8, 2, v11
	v_cmp_lt_u32_e32 vcc, v8, v10
	v_add_u32_e32 v8, 4, v11
	v_lshlrev_b32_e32 v12, 2, v1
	s_waitcnt lgkmcnt(0)
	v_add_f64 v[6:7], v[4:5], v[6:7]
	v_cndmask_b32_e32 v4, v4, v6, vcc
	v_cndmask_b32_e32 v5, v5, v7, vcc
	v_cmp_gt_u32_e32 vcc, 60, v11
	v_or_b32_e32 v13, 0x80, v12
	s_nop 0
	v_cndmask_b32_e64 v6, 0, 4, vcc
	v_add_lshl_u32 v7, v6, v1, 2
	ds_bpermute_b32 v6, v7, v4
	ds_bpermute_b32 v7, v7, v5
	v_cmp_lt_u32_e32 vcc, v8, v10
	v_add_u32_e32 v8, 8, v11
	s_waitcnt lgkmcnt(0)
	v_add_f64 v[6:7], v[4:5], v[6:7]
	v_cndmask_b32_e32 v4, v4, v6, vcc
	v_cndmask_b32_e32 v5, v5, v7, vcc
	v_cmp_gt_u32_e32 vcc, 56, v11
	s_nop 1
	v_cndmask_b32_e64 v6, 0, 8, vcc
	v_add_lshl_u32 v7, v6, v1, 2
	ds_bpermute_b32 v6, v7, v4
	ds_bpermute_b32 v7, v7, v5
	v_cmp_lt_u32_e32 vcc, v8, v10
	v_add_u32_e32 v8, 16, v11
	s_waitcnt lgkmcnt(0)
	v_add_f64 v[6:7], v[4:5], v[6:7]
	v_cndmask_b32_e32 v4, v4, v6, vcc
	v_cndmask_b32_e32 v5, v5, v7, vcc
	v_cmp_gt_u32_e32 vcc, 48, v11
	s_nop 1
	v_cndmask_b32_e64 v6, 0, 16, vcc
	v_add_lshl_u32 v7, v6, v1, 2
	ds_bpermute_b32 v6, v7, v4
	ds_bpermute_b32 v7, v7, v5
	v_cmp_lt_u32_e32 vcc, v8, v10
	s_waitcnt lgkmcnt(0)
	v_add_f64 v[6:7], v[4:5], v[6:7]
	v_cndmask_b32_e32 v9, v5, v7, vcc
	v_cndmask_b32_e32 v8, v4, v6, vcc
	ds_bpermute_b32 v8, v13, v8
	ds_bpermute_b32 v9, v13, v9
	s_and_saveexec_b64 s[4:5], s[0:1]
	s_cbranch_execz .LBB992_26
; %bb.25:
	v_add_u32_e32 v11, 32, v11
	v_cndmask_b32_e32 v3, v5, v7, vcc
	v_cndmask_b32_e32 v2, v4, v6, vcc
	s_waitcnt lgkmcnt(0)
	v_add_f64 v[4:5], v[2:3], v[8:9]
	v_cmp_lt_u32_e32 vcc, v11, v10
	s_nop 1
	v_cndmask_b32_e32 v3, v3, v5, vcc
	v_cndmask_b32_e32 v2, v2, v4, vcc
.LBB992_26:
	s_or_b64 exec, exec, s[4:5]
	v_cmp_eq_u32_e32 vcc, 0, v1
	s_and_saveexec_b64 s[0:1], vcc
; %bb.27:
	v_lshrrev_b32_e32 v4, 3, v0
	v_and_b32_e32 v4, 24, v4
	ds_write_b64 v4, v[2:3] offset:160
; %bb.28:
	s_or_b64 exec, exec, s[0:1]
	v_cmp_gt_u32_e32 vcc, 4, v0
	s_waitcnt lgkmcnt(0)
	s_barrier
	s_and_saveexec_b64 s[0:1], vcc
	s_cbranch_execz .LBB992_32
; %bb.29:
	v_lshlrev_b32_e32 v2, 3, v1
	ds_read_b64 v[2:3], v2 offset:160
	v_and_b32_e32 v8, 3, v1
	v_cmp_ne_u32_e32 vcc, 3, v8
	s_add_i32 s6, s6, 63
	s_lshr_b32 s6, s6, 6
	v_addc_co_u32_e32 v1, vcc, 0, v1, vcc
	v_lshlrev_b32_e32 v1, 2, v1
	s_waitcnt lgkmcnt(0)
	ds_bpermute_b32 v4, v1, v2
	ds_bpermute_b32 v5, v1, v3
	v_add_u32_e32 v1, 1, v8
	v_cmp_gt_u32_e32 vcc, s6, v1
	v_or_b32_e32 v7, 8, v12
	s_waitcnt lgkmcnt(0)
	v_add_f64 v[4:5], v[2:3], v[4:5]
	v_cndmask_b32_e32 v1, v3, v5, vcc
	v_cndmask_b32_e32 v6, v2, v4, vcc
	ds_bpermute_b32 v6, v7, v6
	ds_bpermute_b32 v7, v7, v1
	s_and_saveexec_b64 s[4:5], vcc
	s_cbranch_execz .LBB992_31
; %bb.30:
	v_add_u32_e32 v1, 2, v8
	s_waitcnt lgkmcnt(0)
	v_add_f64 v[2:3], v[4:5], v[6:7]
	v_cmp_gt_u32_e32 vcc, s6, v1
	s_nop 1
	v_cndmask_b32_e32 v3, v5, v3, vcc
	v_cndmask_b32_e32 v2, v4, v2, vcc
.LBB992_31:
	s_or_b64 exec, exec, s[4:5]
.LBB992_32:
	s_or_b64 exec, exec, s[0:1]
	v_cmp_eq_u32_e64 s[0:1], 0, v0
	s_and_b64 vcc, exec, s[30:31]
	s_cbranch_vccnz .LBB992_15
.LBB992_33:
	s_branch .LBB992_54
.LBB992_34:
	s_mov_b64 s[0:1], -1
                                        ; implicit-def: $vgpr2_vgpr3
.LBB992_35:
	s_and_b64 vcc, exec, s[0:1]
	s_cbranch_vccz .LBB992_45
; %bb.36:
	s_sub_i32 s14, s38, s4
	v_cvt_f64_u32_e32 v[2:3], v0
	v_or_b32_e32 v1, 0x100, v0
	v_add_f64 v[2:3], v[4:5], v[2:3]
	v_cmp_gt_u32_e32 vcc, s14, v0
	s_waitcnt lgkmcnt(0)
	v_cvt_f64_u32_e32 v[6:7], v1
	v_add_f64 v[6:7], v[4:5], v[6:7]
	v_cndmask_b32_e32 v3, 0, v3, vcc
	v_cndmask_b32_e32 v2, 0, v2, vcc
	v_cmp_gt_u32_e32 vcc, s14, v1
	v_or_b32_e32 v1, 0x200, v0
	v_cvt_f64_u32_e32 v[8:9], v1
	v_cndmask_b32_e32 v7, 0, v7, vcc
	v_cndmask_b32_e32 v6, 0, v6, vcc
	v_add_f64 v[8:9], v[4:5], v[8:9]
	v_cmp_gt_u32_e64 s[0:1], s14, v1
	v_or_b32_e32 v1, 0x300, v0
	v_add_f64 v[6:7], v[2:3], v[6:7]
	v_cndmask_b32_e64 v9, 0, v9, s[0:1]
	v_cndmask_b32_e64 v8, 0, v8, s[0:1]
	v_cvt_f64_u32_e32 v[10:11], v1
	v_cndmask_b32_e32 v3, v3, v7, vcc
	v_cndmask_b32_e32 v2, v2, v6, vcc
	v_add_f64 v[10:11], v[4:5], v[10:11]
	v_cmp_gt_u32_e64 s[4:5], s14, v1
	v_or_b32_e32 v1, 0x400, v0
	v_add_f64 v[6:7], v[8:9], v[2:3]
	v_cndmask_b32_e64 v11, 0, v11, s[4:5]
	v_cndmask_b32_e64 v10, 0, v10, s[4:5]
	v_cvt_f64_u32_e32 v[12:13], v1
	v_cndmask_b32_e64 v3, v3, v7, s[0:1]
	v_cndmask_b32_e64 v2, v2, v6, s[0:1]
	v_add_f64 v[12:13], v[4:5], v[12:13]
	v_cmp_gt_u32_e64 s[6:7], s14, v1
	v_or_b32_e32 v1, 0x500, v0
	v_add_f64 v[6:7], v[10:11], v[2:3]
	v_cndmask_b32_e64 v13, 0, v13, s[6:7]
	v_cndmask_b32_e64 v12, 0, v12, s[6:7]
	v_cvt_f64_u32_e32 v[14:15], v1
	v_cndmask_b32_e64 v3, v3, v7, s[4:5]
	v_cndmask_b32_e64 v2, v2, v6, s[4:5]
	;; [unrolled: 9-line block ×3, first 2 shown]
	v_add_f64 v[16:17], v[4:5], v[16:17]
	v_cmp_gt_u32_e64 s[10:11], s14, v1
	v_or_b32_e32 v1, 0x700, v0
	v_add_f64 v[6:7], v[14:15], v[2:3]
	v_cndmask_b32_e64 v17, 0, v17, s[10:11]
	v_cndmask_b32_e64 v16, 0, v16, s[10:11]
	v_cvt_f64_u32_e32 v[18:19], v1
	v_cmp_gt_u32_e64 s[12:13], s14, v1
	v_cndmask_b32_e64 v3, v3, v7, s[8:9]
	v_cndmask_b32_e64 v2, v2, v6, s[8:9]
	v_mbcnt_lo_u32_b32 v1, -1, 0
	v_add_f64 v[4:5], v[4:5], v[18:19]
	v_add_f64 v[6:7], v[16:17], v[2:3]
	v_mbcnt_hi_u32_b32 v1, -1, v1
	v_cndmask_b32_e64 v5, 0, v5, s[12:13]
	v_cndmask_b32_e64 v4, 0, v4, s[12:13]
	;; [unrolled: 1-line block ×4, first 2 shown]
	v_and_b32_e32 v11, 63, v1
	v_add_f64 v[4:5], v[4:5], v[2:3]
	v_cmp_ne_u32_e32 vcc, 63, v11
	v_cndmask_b32_e64 v2, v2, v4, s[12:13]
	v_cndmask_b32_e64 v3, v3, v5, s[12:13]
	v_addc_co_u32_e32 v4, vcc, 0, v1, vcc
	v_lshlrev_b32_e32 v5, 2, v4
	ds_bpermute_b32 v4, v5, v2
	ds_bpermute_b32 v5, v5, v3
	s_min_u32 s6, s14, 0x100
	v_and_b32_e32 v6, 0xc0, v0
	v_sub_u32_e64 v10, s6, v6 clamp
	v_add_u32_e32 v6, 1, v11
	v_cmp_gt_u32_e32 vcc, 62, v11
	s_waitcnt lgkmcnt(0)
	v_add_f64 v[4:5], v[2:3], v[4:5]
	v_cmp_lt_u32_e64 s[0:1], v6, v10
	v_cndmask_b32_e64 v6, 0, 2, vcc
	v_add_lshl_u32 v7, v6, v1, 2
	v_cndmask_b32_e64 v4, v2, v4, s[0:1]
	v_cndmask_b32_e64 v5, v3, v5, s[0:1]
	ds_bpermute_b32 v6, v7, v4
	ds_bpermute_b32 v7, v7, v5
	v_add_u32_e32 v8, 2, v11
	v_cmp_lt_u32_e32 vcc, v8, v10
	v_add_u32_e32 v8, 4, v11
	v_lshlrev_b32_e32 v12, 2, v1
	s_waitcnt lgkmcnt(0)
	v_add_f64 v[6:7], v[4:5], v[6:7]
	v_cndmask_b32_e32 v4, v4, v6, vcc
	v_cndmask_b32_e32 v5, v5, v7, vcc
	v_cmp_gt_u32_e32 vcc, 60, v11
	v_or_b32_e32 v13, 0x80, v12
	s_nop 0
	v_cndmask_b32_e64 v6, 0, 4, vcc
	v_add_lshl_u32 v7, v6, v1, 2
	ds_bpermute_b32 v6, v7, v4
	ds_bpermute_b32 v7, v7, v5
	v_cmp_lt_u32_e32 vcc, v8, v10
	v_add_u32_e32 v8, 8, v11
	s_waitcnt lgkmcnt(0)
	v_add_f64 v[6:7], v[4:5], v[6:7]
	v_cndmask_b32_e32 v4, v4, v6, vcc
	v_cndmask_b32_e32 v5, v5, v7, vcc
	v_cmp_gt_u32_e32 vcc, 56, v11
	s_nop 1
	v_cndmask_b32_e64 v6, 0, 8, vcc
	v_add_lshl_u32 v7, v6, v1, 2
	ds_bpermute_b32 v6, v7, v4
	ds_bpermute_b32 v7, v7, v5
	v_cmp_lt_u32_e32 vcc, v8, v10
	v_add_u32_e32 v8, 16, v11
	s_waitcnt lgkmcnt(0)
	v_add_f64 v[6:7], v[4:5], v[6:7]
	v_cndmask_b32_e32 v4, v4, v6, vcc
	v_cndmask_b32_e32 v5, v5, v7, vcc
	v_cmp_gt_u32_e32 vcc, 48, v11
	s_nop 1
	v_cndmask_b32_e64 v6, 0, 16, vcc
	v_add_lshl_u32 v7, v6, v1, 2
	ds_bpermute_b32 v6, v7, v4
	ds_bpermute_b32 v7, v7, v5
	v_cmp_lt_u32_e32 vcc, v8, v10
	s_waitcnt lgkmcnt(0)
	v_add_f64 v[6:7], v[4:5], v[6:7]
	v_cndmask_b32_e32 v9, v5, v7, vcc
	v_cndmask_b32_e32 v8, v4, v6, vcc
	ds_bpermute_b32 v8, v13, v8
	ds_bpermute_b32 v9, v13, v9
	s_and_saveexec_b64 s[4:5], s[0:1]
	s_cbranch_execz .LBB992_38
; %bb.37:
	v_add_u32_e32 v11, 32, v11
	v_cndmask_b32_e32 v3, v5, v7, vcc
	v_cndmask_b32_e32 v2, v4, v6, vcc
	s_waitcnt lgkmcnt(0)
	v_add_f64 v[4:5], v[2:3], v[8:9]
	v_cmp_lt_u32_e32 vcc, v11, v10
	s_nop 1
	v_cndmask_b32_e32 v3, v3, v5, vcc
	v_cndmask_b32_e32 v2, v2, v4, vcc
.LBB992_38:
	s_or_b64 exec, exec, s[4:5]
	v_cmp_eq_u32_e32 vcc, 0, v1
	s_and_saveexec_b64 s[0:1], vcc
; %bb.39:
	v_lshrrev_b32_e32 v4, 3, v0
	v_and_b32_e32 v4, 24, v4
	ds_write_b64 v4, v[2:3] offset:160
; %bb.40:
	s_or_b64 exec, exec, s[0:1]
	v_cmp_gt_u32_e32 vcc, 4, v0
	s_waitcnt lgkmcnt(0)
	s_barrier
	s_and_saveexec_b64 s[0:1], vcc
	s_cbranch_execz .LBB992_44
; %bb.41:
	v_lshlrev_b32_e32 v2, 3, v1
	ds_read_b64 v[2:3], v2 offset:160
	v_and_b32_e32 v8, 3, v1
	v_cmp_ne_u32_e32 vcc, 3, v8
	s_add_i32 s6, s6, 63
	s_lshr_b32 s6, s6, 6
	v_addc_co_u32_e32 v1, vcc, 0, v1, vcc
	v_lshlrev_b32_e32 v1, 2, v1
	s_waitcnt lgkmcnt(0)
	ds_bpermute_b32 v4, v1, v2
	ds_bpermute_b32 v5, v1, v3
	v_add_u32_e32 v1, 1, v8
	v_cmp_gt_u32_e32 vcc, s6, v1
	v_or_b32_e32 v7, 8, v12
	s_waitcnt lgkmcnt(0)
	v_add_f64 v[4:5], v[2:3], v[4:5]
	v_cndmask_b32_e32 v1, v3, v5, vcc
	v_cndmask_b32_e32 v6, v2, v4, vcc
	ds_bpermute_b32 v6, v7, v6
	ds_bpermute_b32 v7, v7, v1
	s_and_saveexec_b64 s[4:5], vcc
	s_cbranch_execz .LBB992_43
; %bb.42:
	v_add_u32_e32 v1, 2, v8
	s_waitcnt lgkmcnt(0)
	v_add_f64 v[2:3], v[4:5], v[6:7]
	v_cmp_gt_u32_e32 vcc, s6, v1
	s_nop 1
	v_cndmask_b32_e32 v3, v5, v3, vcc
	v_cndmask_b32_e32 v2, v4, v2, vcc
.LBB992_43:
	s_or_b64 exec, exec, s[4:5]
.LBB992_44:
	s_or_b64 exec, exec, s[0:1]
.LBB992_45:
	v_cmp_eq_u32_e64 s[0:1], 0, v0
	s_branch .LBB992_54
.LBB992_46:
	s_cmp_eq_u32 s33, 4
	s_cbranch_scc0 .LBB992_53
; %bb.47:
	s_lshl_b32 s4, s2, 10
	s_mov_b32 s3, 0
	s_lshr_b64 s[0:1], s[38:39], 10
	v_cvt_f64_u32_e32 v[2:3], s4
	s_cmp_lg_u64 s[0:1], s[2:3]
	v_add_f64 v[4:5], s[36:37], v[2:3]
	s_cbranch_scc0 .LBB992_55
; %bb.48:
	v_cvt_f64_u32_e32 v[2:3], v0
	s_mov_b32 s0, 0
	v_add_f64 v[2:3], v[4:5], v[2:3]
	s_mov_b32 s1, 0x40700000
	s_waitcnt lgkmcnt(0)
	v_add_f64 v[6:7], v[2:3], s[0:1]
	s_mov_b32 s0, 0
	s_mov_b32 s1, 4.0
	v_add_f64 v[8:9], v[2:3], s[0:1]
	s_mov_b32 s0, 0
	s_mov_b32 s1, 0x40880000
	v_add_f64 v[10:11], v[2:3], s[0:1]
	v_add_f64 v[2:3], v[2:3], v[6:7]
	;; [unrolled: 1-line block ×4, first 2 shown]
	v_mbcnt_lo_u32_b32 v1, -1, 0
	v_mbcnt_hi_u32_b32 v1, -1, v1
	v_mov_b32_dpp v6, v2 quad_perm:[1,0,3,2] row_mask:0xf bank_mask:0xf bound_ctrl:1
	v_mov_b32_dpp v7, v3 quad_perm:[1,0,3,2] row_mask:0xf bank_mask:0xf bound_ctrl:1
	v_add_f64 v[2:3], v[2:3], v[6:7]
	v_cmp_eq_u32_e32 vcc, 0, v1
	s_nop 0
	v_mov_b32_dpp v6, v2 quad_perm:[2,3,0,1] row_mask:0xf bank_mask:0xf bound_ctrl:1
	v_mov_b32_dpp v7, v3 quad_perm:[2,3,0,1] row_mask:0xf bank_mask:0xf bound_ctrl:1
	v_add_f64 v[2:3], v[2:3], v[6:7]
	s_nop 1
	v_mov_b32_dpp v6, v2 row_ror:4 row_mask:0xf bank_mask:0xf bound_ctrl:1
	v_mov_b32_dpp v7, v3 row_ror:4 row_mask:0xf bank_mask:0xf bound_ctrl:1
	v_add_f64 v[2:3], v[2:3], v[6:7]
	s_nop 1
	v_mov_b32_dpp v6, v2 row_ror:8 row_mask:0xf bank_mask:0xf bound_ctrl:1
	v_mov_b32_dpp v7, v3 row_ror:8 row_mask:0xf bank_mask:0xf bound_ctrl:1
	v_add_f64 v[2:3], v[2:3], v[6:7]
	s_nop 1
	v_mov_b32_dpp v6, v2 row_bcast:15 row_mask:0xf bank_mask:0xf bound_ctrl:1
	v_mov_b32_dpp v7, v3 row_bcast:15 row_mask:0xf bank_mask:0xf bound_ctrl:1
	v_add_f64 v[2:3], v[2:3], v[6:7]
	s_nop 1
	v_mov_b32_dpp v6, v2 row_bcast:31 row_mask:0xf bank_mask:0xf bound_ctrl:1
	v_mov_b32_dpp v7, v3 row_bcast:31 row_mask:0xf bank_mask:0xf bound_ctrl:1
	v_add_f64 v[2:3], v[2:3], v[6:7]
	v_lshlrev_b32_e32 v6, 2, v1
	v_or_b32_e32 v7, 0xfc, v6
	ds_bpermute_b32 v2, v7, v2
	ds_bpermute_b32 v3, v7, v3
	s_and_saveexec_b64 s[0:1], vcc
	s_cbranch_execz .LBB992_50
; %bb.49:
	v_lshrrev_b32_e32 v7, 3, v0
	v_and_b32_e32 v7, 24, v7
	s_waitcnt lgkmcnt(0)
	ds_write_b64 v7, v[2:3] offset:96
.LBB992_50:
	s_or_b64 exec, exec, s[0:1]
	v_cmp_gt_u32_e32 vcc, 64, v0
	s_waitcnt lgkmcnt(0)
	s_barrier
	s_and_saveexec_b64 s[0:1], vcc
	s_cbranch_execz .LBB992_52
; %bb.51:
	v_and_b32_e32 v7, 3, v1
	v_lshlrev_b32_e32 v2, 3, v7
	ds_read_b64 v[2:3], v2 offset:96
	v_cmp_ne_u32_e32 vcc, 3, v7
	s_nop 1
	v_addc_co_u32_e32 v1, vcc, 0, v1, vcc
	v_lshlrev_b32_e32 v1, 2, v1
	s_waitcnt lgkmcnt(0)
	ds_bpermute_b32 v8, v1, v2
	ds_bpermute_b32 v9, v1, v3
	v_or_b32_e32 v1, 8, v6
	s_waitcnt lgkmcnt(0)
	v_add_f64 v[2:3], v[2:3], v[8:9]
	ds_bpermute_b32 v6, v1, v2
	ds_bpermute_b32 v7, v1, v3
	s_waitcnt lgkmcnt(0)
	v_add_f64 v[2:3], v[2:3], v[6:7]
.LBB992_52:
	s_or_b64 exec, exec, s[0:1]
	s_branch .LBB992_65
.LBB992_53:
                                        ; implicit-def: $vgpr2_vgpr3
.LBB992_54:
	s_branch .LBB992_96
.LBB992_55:
                                        ; implicit-def: $vgpr2_vgpr3
	s_cbranch_execz .LBB992_65
; %bb.56:
	s_sub_i32 s6, s38, s4
	v_cvt_f64_u32_e32 v[2:3], v0
	v_or_b32_e32 v1, 0x100, v0
	v_add_f64 v[2:3], v[4:5], v[2:3]
	v_cmp_gt_u32_e32 vcc, s6, v0
	s_waitcnt lgkmcnt(0)
	v_cvt_f64_u32_e32 v[6:7], v1
	v_add_f64 v[6:7], v[4:5], v[6:7]
	v_cndmask_b32_e32 v3, 0, v3, vcc
	v_cndmask_b32_e32 v2, 0, v2, vcc
	v_cmp_gt_u32_e32 vcc, s6, v1
	v_or_b32_e32 v1, 0x200, v0
	v_cvt_f64_u32_e32 v[8:9], v1
	v_cndmask_b32_e32 v7, 0, v7, vcc
	v_cndmask_b32_e32 v6, 0, v6, vcc
	v_add_f64 v[8:9], v[4:5], v[8:9]
	v_cmp_gt_u32_e64 s[0:1], s6, v1
	v_or_b32_e32 v1, 0x300, v0
	v_add_f64 v[6:7], v[2:3], v[6:7]
	v_cndmask_b32_e64 v9, 0, v9, s[0:1]
	v_cndmask_b32_e64 v8, 0, v8, s[0:1]
	v_cvt_f64_u32_e32 v[10:11], v1
	v_cmp_gt_u32_e64 s[4:5], s6, v1
	v_cndmask_b32_e32 v3, v3, v7, vcc
	v_cndmask_b32_e32 v2, v2, v6, vcc
	v_mbcnt_lo_u32_b32 v1, -1, 0
	v_add_f64 v[4:5], v[4:5], v[10:11]
	v_add_f64 v[6:7], v[8:9], v[2:3]
	v_mbcnt_hi_u32_b32 v1, -1, v1
	v_cndmask_b32_e64 v5, 0, v5, s[4:5]
	v_cndmask_b32_e64 v4, 0, v4, s[4:5]
	;; [unrolled: 1-line block ×4, first 2 shown]
	v_and_b32_e32 v11, 63, v1
	v_add_f64 v[4:5], v[4:5], v[2:3]
	v_cmp_ne_u32_e32 vcc, 63, v11
	v_cndmask_b32_e64 v2, v2, v4, s[4:5]
	v_cndmask_b32_e64 v3, v3, v5, s[4:5]
	v_addc_co_u32_e32 v4, vcc, 0, v1, vcc
	v_lshlrev_b32_e32 v5, 2, v4
	ds_bpermute_b32 v4, v5, v2
	ds_bpermute_b32 v5, v5, v3
	s_min_u32 s6, s6, 0x100
	v_and_b32_e32 v6, 0xc0, v0
	v_sub_u32_e64 v10, s6, v6 clamp
	v_add_u32_e32 v6, 1, v11
	v_cmp_gt_u32_e32 vcc, 62, v11
	s_waitcnt lgkmcnt(0)
	v_add_f64 v[4:5], v[2:3], v[4:5]
	v_cmp_lt_u32_e64 s[0:1], v6, v10
	v_cndmask_b32_e64 v6, 0, 2, vcc
	v_add_lshl_u32 v7, v6, v1, 2
	v_cndmask_b32_e64 v4, v2, v4, s[0:1]
	v_cndmask_b32_e64 v5, v3, v5, s[0:1]
	ds_bpermute_b32 v6, v7, v4
	ds_bpermute_b32 v7, v7, v5
	v_add_u32_e32 v8, 2, v11
	v_cmp_lt_u32_e32 vcc, v8, v10
	v_add_u32_e32 v8, 4, v11
	v_lshlrev_b32_e32 v12, 2, v1
	s_waitcnt lgkmcnt(0)
	v_add_f64 v[6:7], v[4:5], v[6:7]
	v_cndmask_b32_e32 v4, v4, v6, vcc
	v_cndmask_b32_e32 v5, v5, v7, vcc
	v_cmp_gt_u32_e32 vcc, 60, v11
	v_or_b32_e32 v13, 0x80, v12
	s_nop 0
	v_cndmask_b32_e64 v6, 0, 4, vcc
	v_add_lshl_u32 v7, v6, v1, 2
	ds_bpermute_b32 v6, v7, v4
	ds_bpermute_b32 v7, v7, v5
	v_cmp_lt_u32_e32 vcc, v8, v10
	v_add_u32_e32 v8, 8, v11
	s_waitcnt lgkmcnt(0)
	v_add_f64 v[6:7], v[4:5], v[6:7]
	v_cndmask_b32_e32 v4, v4, v6, vcc
	v_cndmask_b32_e32 v5, v5, v7, vcc
	v_cmp_gt_u32_e32 vcc, 56, v11
	s_nop 1
	v_cndmask_b32_e64 v6, 0, 8, vcc
	v_add_lshl_u32 v7, v6, v1, 2
	ds_bpermute_b32 v6, v7, v4
	ds_bpermute_b32 v7, v7, v5
	v_cmp_lt_u32_e32 vcc, v8, v10
	v_add_u32_e32 v8, 16, v11
	s_waitcnt lgkmcnt(0)
	v_add_f64 v[6:7], v[4:5], v[6:7]
	v_cndmask_b32_e32 v4, v4, v6, vcc
	v_cndmask_b32_e32 v5, v5, v7, vcc
	v_cmp_gt_u32_e32 vcc, 48, v11
	s_nop 1
	v_cndmask_b32_e64 v6, 0, 16, vcc
	v_add_lshl_u32 v7, v6, v1, 2
	ds_bpermute_b32 v6, v7, v4
	ds_bpermute_b32 v7, v7, v5
	v_cmp_lt_u32_e32 vcc, v8, v10
	s_waitcnt lgkmcnt(0)
	v_add_f64 v[6:7], v[4:5], v[6:7]
	v_cndmask_b32_e32 v9, v5, v7, vcc
	v_cndmask_b32_e32 v8, v4, v6, vcc
	ds_bpermute_b32 v8, v13, v8
	ds_bpermute_b32 v9, v13, v9
	s_and_saveexec_b64 s[4:5], s[0:1]
	s_cbranch_execz .LBB992_58
; %bb.57:
	v_add_u32_e32 v11, 32, v11
	v_cndmask_b32_e32 v3, v5, v7, vcc
	v_cndmask_b32_e32 v2, v4, v6, vcc
	s_waitcnt lgkmcnt(0)
	v_add_f64 v[4:5], v[2:3], v[8:9]
	v_cmp_lt_u32_e32 vcc, v11, v10
	s_nop 1
	v_cndmask_b32_e32 v3, v3, v5, vcc
	v_cndmask_b32_e32 v2, v2, v4, vcc
.LBB992_58:
	s_or_b64 exec, exec, s[4:5]
	v_cmp_eq_u32_e32 vcc, 0, v1
	s_and_saveexec_b64 s[0:1], vcc
; %bb.59:
	v_lshrrev_b32_e32 v4, 3, v0
	v_and_b32_e32 v4, 24, v4
	ds_write_b64 v4, v[2:3] offset:160
; %bb.60:
	s_or_b64 exec, exec, s[0:1]
	v_cmp_gt_u32_e32 vcc, 4, v0
	s_waitcnt lgkmcnt(0)
	s_barrier
	s_and_saveexec_b64 s[0:1], vcc
	s_cbranch_execz .LBB992_64
; %bb.61:
	v_lshlrev_b32_e32 v2, 3, v1
	ds_read_b64 v[2:3], v2 offset:160
	v_and_b32_e32 v8, 3, v1
	v_cmp_ne_u32_e32 vcc, 3, v8
	s_add_i32 s6, s6, 63
	s_lshr_b32 s6, s6, 6
	v_addc_co_u32_e32 v1, vcc, 0, v1, vcc
	v_lshlrev_b32_e32 v1, 2, v1
	s_waitcnt lgkmcnt(0)
	ds_bpermute_b32 v4, v1, v2
	ds_bpermute_b32 v5, v1, v3
	v_add_u32_e32 v1, 1, v8
	v_cmp_gt_u32_e32 vcc, s6, v1
	v_or_b32_e32 v7, 8, v12
	s_waitcnt lgkmcnt(0)
	v_add_f64 v[4:5], v[2:3], v[4:5]
	v_cndmask_b32_e32 v1, v3, v5, vcc
	v_cndmask_b32_e32 v6, v2, v4, vcc
	ds_bpermute_b32 v6, v7, v6
	ds_bpermute_b32 v7, v7, v1
	s_and_saveexec_b64 s[4:5], vcc
	s_cbranch_execz .LBB992_63
; %bb.62:
	v_add_u32_e32 v1, 2, v8
	s_waitcnt lgkmcnt(0)
	v_add_f64 v[2:3], v[4:5], v[6:7]
	v_cmp_gt_u32_e32 vcc, s6, v1
	s_nop 1
	v_cndmask_b32_e32 v3, v5, v3, vcc
	v_cndmask_b32_e32 v2, v4, v2, vcc
.LBB992_63:
	s_or_b64 exec, exec, s[4:5]
.LBB992_64:
	s_or_b64 exec, exec, s[0:1]
.LBB992_65:
	v_cmp_eq_u32_e64 s[0:1], 0, v0
	s_branch .LBB992_96
.LBB992_66:
	s_cmp_gt_i32 s33, 1
	s_cbranch_scc0 .LBB992_74
; %bb.67:
	s_cmp_eq_u32 s33, 2
	s_cbranch_scc0 .LBB992_75
; %bb.68:
	s_lshl_b32 s4, s2, 9
	s_mov_b32 s3, 0
	s_lshr_b64 s[0:1], s[38:39], 9
	v_cvt_f64_u32_e32 v[2:3], s4
	s_cmp_lg_u64 s[0:1], s[2:3]
	v_add_f64 v[4:5], s[36:37], v[2:3]
	s_cbranch_scc0 .LBB992_76
; %bb.69:
	v_cvt_f64_u32_e32 v[2:3], v0
	s_mov_b32 s0, 0
	v_add_f64 v[2:3], v[4:5], v[2:3]
	s_mov_b32 s1, 0x40700000
	s_waitcnt lgkmcnt(0)
	v_add_f64 v[6:7], v[2:3], s[0:1]
	v_add_f64 v[2:3], v[2:3], v[6:7]
	v_mbcnt_lo_u32_b32 v1, -1, 0
	v_mbcnt_hi_u32_b32 v1, -1, v1
	v_mov_b32_dpp v6, v2 quad_perm:[1,0,3,2] row_mask:0xf bank_mask:0xf bound_ctrl:1
	v_mov_b32_dpp v7, v3 quad_perm:[1,0,3,2] row_mask:0xf bank_mask:0xf bound_ctrl:1
	v_add_f64 v[2:3], v[2:3], v[6:7]
	v_cmp_eq_u32_e32 vcc, 0, v1
	s_nop 0
	v_mov_b32_dpp v6, v2 quad_perm:[2,3,0,1] row_mask:0xf bank_mask:0xf bound_ctrl:1
	v_mov_b32_dpp v7, v3 quad_perm:[2,3,0,1] row_mask:0xf bank_mask:0xf bound_ctrl:1
	v_add_f64 v[2:3], v[2:3], v[6:7]
	s_nop 1
	v_mov_b32_dpp v6, v2 row_ror:4 row_mask:0xf bank_mask:0xf bound_ctrl:1
	v_mov_b32_dpp v7, v3 row_ror:4 row_mask:0xf bank_mask:0xf bound_ctrl:1
	v_add_f64 v[2:3], v[2:3], v[6:7]
	s_nop 1
	v_mov_b32_dpp v6, v2 row_ror:8 row_mask:0xf bank_mask:0xf bound_ctrl:1
	v_mov_b32_dpp v7, v3 row_ror:8 row_mask:0xf bank_mask:0xf bound_ctrl:1
	v_add_f64 v[2:3], v[2:3], v[6:7]
	s_nop 1
	v_mov_b32_dpp v6, v2 row_bcast:15 row_mask:0xf bank_mask:0xf bound_ctrl:1
	v_mov_b32_dpp v7, v3 row_bcast:15 row_mask:0xf bank_mask:0xf bound_ctrl:1
	v_add_f64 v[2:3], v[2:3], v[6:7]
	s_nop 1
	v_mov_b32_dpp v6, v2 row_bcast:31 row_mask:0xf bank_mask:0xf bound_ctrl:1
	v_mov_b32_dpp v7, v3 row_bcast:31 row_mask:0xf bank_mask:0xf bound_ctrl:1
	v_add_f64 v[2:3], v[2:3], v[6:7]
	v_lshlrev_b32_e32 v6, 2, v1
	v_or_b32_e32 v7, 0xfc, v6
	ds_bpermute_b32 v2, v7, v2
	ds_bpermute_b32 v3, v7, v3
	s_and_saveexec_b64 s[0:1], vcc
	s_cbranch_execz .LBB992_71
; %bb.70:
	v_lshrrev_b32_e32 v7, 3, v0
	v_and_b32_e32 v7, 24, v7
	s_waitcnt lgkmcnt(0)
	ds_write_b64 v7, v[2:3] offset:64
.LBB992_71:
	s_or_b64 exec, exec, s[0:1]
	v_cmp_gt_u32_e32 vcc, 64, v0
	s_waitcnt lgkmcnt(0)
	s_barrier
	s_and_saveexec_b64 s[0:1], vcc
	s_cbranch_execz .LBB992_73
; %bb.72:
	v_and_b32_e32 v7, 3, v1
	v_lshlrev_b32_e32 v2, 3, v7
	ds_read_b64 v[2:3], v2 offset:64
	v_cmp_ne_u32_e32 vcc, 3, v7
	s_nop 1
	v_addc_co_u32_e32 v1, vcc, 0, v1, vcc
	v_lshlrev_b32_e32 v1, 2, v1
	s_waitcnt lgkmcnt(0)
	ds_bpermute_b32 v8, v1, v2
	ds_bpermute_b32 v9, v1, v3
	v_or_b32_e32 v1, 8, v6
	s_waitcnt lgkmcnt(0)
	v_add_f64 v[2:3], v[2:3], v[8:9]
	ds_bpermute_b32 v6, v1, v2
	ds_bpermute_b32 v7, v1, v3
	s_waitcnt lgkmcnt(0)
	v_add_f64 v[2:3], v[2:3], v[6:7]
.LBB992_73:
	s_or_b64 exec, exec, s[0:1]
	s_branch .LBB992_86
.LBB992_74:
                                        ; implicit-def: $vgpr2_vgpr3
	s_cbranch_execnz .LBB992_87
	s_branch .LBB992_96
.LBB992_75:
                                        ; implicit-def: $vgpr2_vgpr3
	s_branch .LBB992_96
.LBB992_76:
                                        ; implicit-def: $vgpr2_vgpr3
	s_cbranch_execz .LBB992_86
; %bb.77:
	s_sub_i32 s0, s38, s4
	v_cvt_f64_u32_e32 v[2:3], v0
	v_or_b32_e32 v1, 0x100, v0
	v_add_f64 v[2:3], v[4:5], v[2:3]
	v_cmp_gt_u32_e32 vcc, s0, v0
	s_waitcnt lgkmcnt(0)
	v_cvt_f64_u32_e32 v[6:7], v1
	v_add_f64 v[4:5], v[4:5], v[6:7]
	v_cndmask_b32_e32 v3, 0, v3, vcc
	v_cndmask_b32_e32 v2, 0, v2, vcc
	v_cmp_gt_u32_e32 vcc, s0, v1
	v_mbcnt_lo_u32_b32 v1, -1, 0
	v_mbcnt_hi_u32_b32 v1, -1, v1
	v_cndmask_b32_e32 v5, 0, v5, vcc
	v_cndmask_b32_e32 v4, 0, v4, vcc
	v_add_f64 v[4:5], v[4:5], v[2:3]
	v_and_b32_e32 v11, 63, v1
	v_cndmask_b32_e32 v3, v3, v5, vcc
	v_cndmask_b32_e32 v2, v2, v4, vcc
	v_cmp_ne_u32_e32 vcc, 63, v11
	s_min_u32 s6, s0, 0x100
	v_and_b32_e32 v6, 0xc0, v0
	v_addc_co_u32_e32 v4, vcc, 0, v1, vcc
	v_lshlrev_b32_e32 v5, 2, v4
	ds_bpermute_b32 v4, v5, v2
	ds_bpermute_b32 v5, v5, v3
	v_sub_u32_e64 v10, s6, v6 clamp
	v_add_u32_e32 v6, 1, v11
	v_cmp_gt_u32_e32 vcc, 62, v11
	v_cmp_lt_u32_e64 s[0:1], v6, v10
	s_waitcnt lgkmcnt(0)
	v_add_f64 v[4:5], v[2:3], v[4:5]
	v_cndmask_b32_e64 v6, 0, 2, vcc
	v_cndmask_b32_e64 v4, v2, v4, s[0:1]
	v_cndmask_b32_e64 v5, v3, v5, s[0:1]
	v_add_lshl_u32 v7, v6, v1, 2
	ds_bpermute_b32 v6, v7, v4
	ds_bpermute_b32 v7, v7, v5
	v_add_u32_e32 v8, 2, v11
	v_cmp_lt_u32_e32 vcc, v8, v10
	v_add_u32_e32 v8, 4, v11
	v_lshlrev_b32_e32 v12, 2, v1
	s_waitcnt lgkmcnt(0)
	v_add_f64 v[6:7], v[4:5], v[6:7]
	v_cndmask_b32_e32 v4, v4, v6, vcc
	v_cndmask_b32_e32 v5, v5, v7, vcc
	v_cmp_gt_u32_e32 vcc, 60, v11
	v_or_b32_e32 v13, 0x80, v12
	s_nop 0
	v_cndmask_b32_e64 v6, 0, 4, vcc
	v_add_lshl_u32 v7, v6, v1, 2
	ds_bpermute_b32 v6, v7, v4
	ds_bpermute_b32 v7, v7, v5
	v_cmp_lt_u32_e32 vcc, v8, v10
	v_add_u32_e32 v8, 8, v11
	s_waitcnt lgkmcnt(0)
	v_add_f64 v[6:7], v[4:5], v[6:7]
	v_cndmask_b32_e32 v4, v4, v6, vcc
	v_cndmask_b32_e32 v5, v5, v7, vcc
	v_cmp_gt_u32_e32 vcc, 56, v11
	s_nop 1
	v_cndmask_b32_e64 v6, 0, 8, vcc
	v_add_lshl_u32 v7, v6, v1, 2
	ds_bpermute_b32 v6, v7, v4
	ds_bpermute_b32 v7, v7, v5
	v_cmp_lt_u32_e32 vcc, v8, v10
	v_add_u32_e32 v8, 16, v11
	s_waitcnt lgkmcnt(0)
	v_add_f64 v[6:7], v[4:5], v[6:7]
	v_cndmask_b32_e32 v4, v4, v6, vcc
	v_cndmask_b32_e32 v5, v5, v7, vcc
	v_cmp_gt_u32_e32 vcc, 48, v11
	s_nop 1
	v_cndmask_b32_e64 v6, 0, 16, vcc
	v_add_lshl_u32 v7, v6, v1, 2
	ds_bpermute_b32 v6, v7, v4
	ds_bpermute_b32 v7, v7, v5
	v_cmp_lt_u32_e32 vcc, v8, v10
	s_waitcnt lgkmcnt(0)
	v_add_f64 v[6:7], v[4:5], v[6:7]
	v_cndmask_b32_e32 v9, v5, v7, vcc
	v_cndmask_b32_e32 v8, v4, v6, vcc
	ds_bpermute_b32 v8, v13, v8
	ds_bpermute_b32 v9, v13, v9
	s_and_saveexec_b64 s[4:5], s[0:1]
	s_cbranch_execz .LBB992_79
; %bb.78:
	v_add_u32_e32 v11, 32, v11
	v_cndmask_b32_e32 v3, v5, v7, vcc
	v_cndmask_b32_e32 v2, v4, v6, vcc
	s_waitcnt lgkmcnt(0)
	v_add_f64 v[4:5], v[2:3], v[8:9]
	v_cmp_lt_u32_e32 vcc, v11, v10
	s_nop 1
	v_cndmask_b32_e32 v3, v3, v5, vcc
	v_cndmask_b32_e32 v2, v2, v4, vcc
.LBB992_79:
	s_or_b64 exec, exec, s[4:5]
	v_cmp_eq_u32_e32 vcc, 0, v1
	s_and_saveexec_b64 s[0:1], vcc
; %bb.80:
	v_lshrrev_b32_e32 v4, 3, v0
	v_and_b32_e32 v4, 24, v4
	ds_write_b64 v4, v[2:3] offset:160
; %bb.81:
	s_or_b64 exec, exec, s[0:1]
	v_cmp_gt_u32_e32 vcc, 4, v0
	s_waitcnt lgkmcnt(0)
	s_barrier
	s_and_saveexec_b64 s[0:1], vcc
	s_cbranch_execz .LBB992_85
; %bb.82:
	v_lshlrev_b32_e32 v2, 3, v1
	ds_read_b64 v[2:3], v2 offset:160
	v_and_b32_e32 v8, 3, v1
	v_cmp_ne_u32_e32 vcc, 3, v8
	s_add_i32 s6, s6, 63
	s_lshr_b32 s6, s6, 6
	v_addc_co_u32_e32 v1, vcc, 0, v1, vcc
	v_lshlrev_b32_e32 v1, 2, v1
	s_waitcnt lgkmcnt(0)
	ds_bpermute_b32 v4, v1, v2
	ds_bpermute_b32 v5, v1, v3
	v_add_u32_e32 v1, 1, v8
	v_cmp_gt_u32_e32 vcc, s6, v1
	v_or_b32_e32 v7, 8, v12
	s_waitcnt lgkmcnt(0)
	v_add_f64 v[4:5], v[2:3], v[4:5]
	v_cndmask_b32_e32 v1, v3, v5, vcc
	v_cndmask_b32_e32 v6, v2, v4, vcc
	ds_bpermute_b32 v6, v7, v6
	ds_bpermute_b32 v7, v7, v1
	s_and_saveexec_b64 s[4:5], vcc
	s_cbranch_execz .LBB992_84
; %bb.83:
	v_add_u32_e32 v1, 2, v8
	s_waitcnt lgkmcnt(0)
	v_add_f64 v[2:3], v[4:5], v[6:7]
	v_cmp_gt_u32_e32 vcc, s6, v1
	s_nop 1
	v_cndmask_b32_e32 v3, v5, v3, vcc
	v_cndmask_b32_e32 v2, v4, v2, vcc
.LBB992_84:
	s_or_b64 exec, exec, s[4:5]
.LBB992_85:
	s_or_b64 exec, exec, s[0:1]
.LBB992_86:
	v_cmp_eq_u32_e64 s[0:1], 0, v0
	s_branch .LBB992_96
.LBB992_87:
	s_cmp_eq_u32 s33, 1
	s_cbranch_scc0 .LBB992_95
; %bb.88:
	s_lshl_b32 s4, s2, 8
	s_mov_b32 s3, 0
	s_lshr_b64 s[0:1], s[38:39], 8
	v_cvt_f64_u32_e32 v[2:3], s4
	s_cmp_lg_u64 s[0:1], s[2:3]
	v_cvt_f64_u32_e32 v[4:5], v0
	s_waitcnt lgkmcnt(0)
	v_add_f64 v[6:7], s[36:37], v[2:3]
	v_mbcnt_lo_u32_b32 v1, -1, 0
	s_cbranch_scc0 .LBB992_99
; %bb.89:
	v_add_f64 v[2:3], v[6:7], v[4:5]
	v_mbcnt_hi_u32_b32 v8, -1, v1
	v_lshlrev_b32_e32 v9, 2, v8
	v_mov_b32_dpp v10, v2 quad_perm:[1,0,3,2] row_mask:0xf bank_mask:0xf bound_ctrl:1
	v_mov_b32_dpp v11, v3 quad_perm:[1,0,3,2] row_mask:0xf bank_mask:0xf bound_ctrl:1
	v_add_f64 v[2:3], v[2:3], v[10:11]
	v_cmp_eq_u32_e32 vcc, 0, v8
	s_nop 0
	v_mov_b32_dpp v10, v2 quad_perm:[2,3,0,1] row_mask:0xf bank_mask:0xf bound_ctrl:1
	v_mov_b32_dpp v11, v3 quad_perm:[2,3,0,1] row_mask:0xf bank_mask:0xf bound_ctrl:1
	v_add_f64 v[2:3], v[2:3], v[10:11]
	s_nop 1
	v_mov_b32_dpp v10, v2 row_ror:4 row_mask:0xf bank_mask:0xf bound_ctrl:1
	v_mov_b32_dpp v11, v3 row_ror:4 row_mask:0xf bank_mask:0xf bound_ctrl:1
	v_add_f64 v[2:3], v[2:3], v[10:11]
	s_nop 1
	v_mov_b32_dpp v10, v2 row_ror:8 row_mask:0xf bank_mask:0xf bound_ctrl:1
	v_mov_b32_dpp v11, v3 row_ror:8 row_mask:0xf bank_mask:0xf bound_ctrl:1
	v_add_f64 v[2:3], v[2:3], v[10:11]
	s_nop 1
	v_mov_b32_dpp v10, v2 row_bcast:15 row_mask:0xf bank_mask:0xf bound_ctrl:1
	v_mov_b32_dpp v11, v3 row_bcast:15 row_mask:0xf bank_mask:0xf bound_ctrl:1
	v_add_f64 v[2:3], v[2:3], v[10:11]
	s_nop 1
	v_mov_b32_dpp v10, v2 row_bcast:31 row_mask:0xf bank_mask:0xf bound_ctrl:1
	v_mov_b32_dpp v11, v3 row_bcast:31 row_mask:0xf bank_mask:0xf bound_ctrl:1
	v_add_f64 v[2:3], v[2:3], v[10:11]
	v_or_b32_e32 v10, 0xfc, v9
	ds_bpermute_b32 v2, v10, v2
	ds_bpermute_b32 v3, v10, v3
	s_and_saveexec_b64 s[0:1], vcc
	s_cbranch_execz .LBB992_91
; %bb.90:
	v_lshrrev_b32_e32 v10, 3, v0
	v_and_b32_e32 v10, 24, v10
	s_waitcnt lgkmcnt(0)
	ds_write_b64 v10, v[2:3] offset:32
.LBB992_91:
	s_or_b64 exec, exec, s[0:1]
	v_cmp_gt_u32_e32 vcc, 64, v0
	s_waitcnt lgkmcnt(0)
	s_barrier
	s_and_saveexec_b64 s[0:1], vcc
	s_cbranch_execz .LBB992_93
; %bb.92:
	v_and_b32_e32 v10, 3, v8
	v_lshlrev_b32_e32 v2, 3, v10
	ds_read_b64 v[2:3], v2 offset:32
	v_cmp_ne_u32_e32 vcc, 3, v10
	v_or_b32_e32 v9, 8, v9
	s_nop 0
	v_addc_co_u32_e32 v8, vcc, 0, v8, vcc
	v_lshlrev_b32_e32 v8, 2, v8
	s_waitcnt lgkmcnt(0)
	ds_bpermute_b32 v10, v8, v2
	ds_bpermute_b32 v11, v8, v3
	s_waitcnt lgkmcnt(0)
	v_add_f64 v[2:3], v[2:3], v[10:11]
	ds_bpermute_b32 v8, v9, v2
	ds_bpermute_b32 v9, v9, v3
	s_waitcnt lgkmcnt(0)
	v_add_f64 v[2:3], v[2:3], v[8:9]
.LBB992_93:
	s_or_b64 exec, exec, s[0:1]
.LBB992_94:
	v_cmp_eq_u32_e64 s[0:1], 0, v0
	s_and_saveexec_b64 s[4:5], s[0:1]
	s_cbranch_execnz .LBB992_97
	s_branch .LBB992_98
.LBB992_95:
                                        ; implicit-def: $vgpr2_vgpr3
                                        ; implicit-def: $sgpr2_sgpr3
.LBB992_96:
	s_and_saveexec_b64 s[4:5], s[0:1]
	s_cbranch_execz .LBB992_98
.LBB992_97:
	s_lshl_b64 s[0:1], s[2:3], 3
	s_add_u32 s0, s40, s0
	s_addc_u32 s1, s41, s1
	s_cmp_eq_u64 s[38:39], 0
	v_add_f64 v[0:1], s[42:43], v[2:3]
	v_mov_b32_e32 v2, s43
	s_cselect_b64 vcc, -1, 0
	v_cndmask_b32_e32 v1, v1, v2, vcc
	v_mov_b32_e32 v2, s42
	v_mov_b32_e32 v4, 0
	v_cndmask_b32_e32 v0, v0, v2, vcc
	global_store_dwordx2 v4, v[0:1], s[0:1]
.LBB992_98:
	s_endpgm
.LBB992_99:
                                        ; implicit-def: $vgpr2_vgpr3
	s_cbranch_execz .LBB992_94
; %bb.100:
	v_mbcnt_hi_u32_b32 v1, -1, v1
	v_and_b32_e32 v11, 63, v1
	v_cmp_ne_u32_e32 vcc, 63, v11
	v_add_f64 v[2:3], v[6:7], v[4:5]
	s_sub_i32 s0, s38, s4
	v_addc_co_u32_e32 v4, vcc, 0, v1, vcc
	v_lshlrev_b32_e32 v5, 2, v4
	ds_bpermute_b32 v4, v5, v2
	ds_bpermute_b32 v5, v5, v3
	s_min_u32 s6, s0, 0x100
	v_and_b32_e32 v6, 0xc0, v0
	v_sub_u32_e64 v10, s6, v6 clamp
	v_add_u32_e32 v6, 1, v11
	v_cmp_gt_u32_e32 vcc, 62, v11
	s_waitcnt lgkmcnt(0)
	v_add_f64 v[4:5], v[2:3], v[4:5]
	v_cmp_lt_u32_e64 s[0:1], v6, v10
	v_cndmask_b32_e64 v6, 0, 2, vcc
	v_add_lshl_u32 v7, v6, v1, 2
	v_cndmask_b32_e64 v4, v2, v4, s[0:1]
	v_cndmask_b32_e64 v5, v3, v5, s[0:1]
	ds_bpermute_b32 v6, v7, v4
	ds_bpermute_b32 v7, v7, v5
	v_add_u32_e32 v8, 2, v11
	v_cmp_lt_u32_e32 vcc, v8, v10
	v_add_u32_e32 v8, 4, v11
	v_lshlrev_b32_e32 v12, 2, v1
	s_waitcnt lgkmcnt(0)
	v_add_f64 v[6:7], v[4:5], v[6:7]
	v_cndmask_b32_e32 v4, v4, v6, vcc
	v_cndmask_b32_e32 v5, v5, v7, vcc
	v_cmp_gt_u32_e32 vcc, 60, v11
	v_or_b32_e32 v13, 0x80, v12
	s_nop 0
	v_cndmask_b32_e64 v6, 0, 4, vcc
	v_add_lshl_u32 v7, v6, v1, 2
	ds_bpermute_b32 v6, v7, v4
	ds_bpermute_b32 v7, v7, v5
	v_cmp_lt_u32_e32 vcc, v8, v10
	v_add_u32_e32 v8, 8, v11
	s_waitcnt lgkmcnt(0)
	v_add_f64 v[6:7], v[4:5], v[6:7]
	v_cndmask_b32_e32 v4, v4, v6, vcc
	v_cndmask_b32_e32 v5, v5, v7, vcc
	v_cmp_gt_u32_e32 vcc, 56, v11
	s_nop 1
	v_cndmask_b32_e64 v6, 0, 8, vcc
	v_add_lshl_u32 v7, v6, v1, 2
	ds_bpermute_b32 v6, v7, v4
	ds_bpermute_b32 v7, v7, v5
	v_cmp_lt_u32_e32 vcc, v8, v10
	v_add_u32_e32 v8, 16, v11
	s_waitcnt lgkmcnt(0)
	v_add_f64 v[6:7], v[4:5], v[6:7]
	v_cndmask_b32_e32 v4, v4, v6, vcc
	v_cndmask_b32_e32 v5, v5, v7, vcc
	v_cmp_gt_u32_e32 vcc, 48, v11
	s_nop 1
	v_cndmask_b32_e64 v6, 0, 16, vcc
	v_add_lshl_u32 v7, v6, v1, 2
	ds_bpermute_b32 v6, v7, v4
	ds_bpermute_b32 v7, v7, v5
	v_cmp_lt_u32_e32 vcc, v8, v10
	s_waitcnt lgkmcnt(0)
	v_add_f64 v[6:7], v[4:5], v[6:7]
	v_cndmask_b32_e32 v9, v5, v7, vcc
	v_cndmask_b32_e32 v8, v4, v6, vcc
	ds_bpermute_b32 v8, v13, v8
	ds_bpermute_b32 v9, v13, v9
	s_and_saveexec_b64 s[4:5], s[0:1]
	s_cbranch_execz .LBB992_102
; %bb.101:
	v_add_u32_e32 v11, 32, v11
	v_cndmask_b32_e32 v3, v5, v7, vcc
	v_cndmask_b32_e32 v2, v4, v6, vcc
	s_waitcnt lgkmcnt(0)
	v_add_f64 v[4:5], v[2:3], v[8:9]
	v_cmp_lt_u32_e32 vcc, v11, v10
	s_nop 1
	v_cndmask_b32_e32 v3, v3, v5, vcc
	v_cndmask_b32_e32 v2, v2, v4, vcc
.LBB992_102:
	s_or_b64 exec, exec, s[4:5]
	v_cmp_eq_u32_e32 vcc, 0, v1
	s_and_saveexec_b64 s[0:1], vcc
; %bb.103:
	v_lshrrev_b32_e32 v4, 3, v0
	v_and_b32_e32 v4, 24, v4
	ds_write_b64 v4, v[2:3] offset:160
; %bb.104:
	s_or_b64 exec, exec, s[0:1]
	v_cmp_gt_u32_e32 vcc, 4, v0
	s_waitcnt lgkmcnt(0)
	s_barrier
	s_and_saveexec_b64 s[0:1], vcc
	s_cbranch_execz .LBB992_108
; %bb.105:
	v_lshlrev_b32_e32 v2, 3, v1
	ds_read_b64 v[2:3], v2 offset:160
	v_and_b32_e32 v8, 3, v1
	v_cmp_ne_u32_e32 vcc, 3, v8
	s_add_i32 s6, s6, 63
	s_lshr_b32 s6, s6, 6
	v_addc_co_u32_e32 v1, vcc, 0, v1, vcc
	v_lshlrev_b32_e32 v1, 2, v1
	s_waitcnt lgkmcnt(0)
	ds_bpermute_b32 v4, v1, v2
	ds_bpermute_b32 v5, v1, v3
	v_add_u32_e32 v1, 1, v8
	v_cmp_gt_u32_e32 vcc, s6, v1
	v_or_b32_e32 v7, 8, v12
	s_waitcnt lgkmcnt(0)
	v_add_f64 v[4:5], v[2:3], v[4:5]
	v_cndmask_b32_e32 v1, v3, v5, vcc
	v_cndmask_b32_e32 v6, v2, v4, vcc
	ds_bpermute_b32 v6, v7, v6
	ds_bpermute_b32 v7, v7, v1
	s_and_saveexec_b64 s[4:5], vcc
	s_cbranch_execz .LBB992_107
; %bb.106:
	v_add_u32_e32 v1, 2, v8
	s_waitcnt lgkmcnt(0)
	v_add_f64 v[2:3], v[4:5], v[6:7]
	v_cmp_gt_u32_e32 vcc, s6, v1
	s_nop 1
	v_cndmask_b32_e32 v3, v5, v3, vcc
	v_cndmask_b32_e32 v2, v4, v2, vcc
.LBB992_107:
	s_or_b64 exec, exec, s[4:5]
.LBB992_108:
	s_or_b64 exec, exec, s[0:1]
	v_cmp_eq_u32_e64 s[0:1], 0, v0
	s_and_saveexec_b64 s[4:5], s[0:1]
	s_cbranch_execnz .LBB992_97
	s_branch .LBB992_98
	.section	.rodata,"a",@progbits
	.p2align	6, 0x0
	.amdhsa_kernel _ZN7rocprim17ROCPRIM_400000_NS6detail17trampoline_kernelINS0_14default_configENS1_22reduce_config_selectorIdEEZNS1_11reduce_implILb1ES3_N6thrust23THRUST_200600_302600_NS17counting_iteratorIdNS8_11hip_rocprim3tagENS8_11use_defaultESC_EEPddNS8_4plusIdEEEE10hipError_tPvRmT1_T2_T3_mT4_P12ihipStream_tbEUlT_E1_NS1_11comp_targetILNS1_3genE0ELNS1_11target_archE4294967295ELNS1_3gpuE0ELNS1_3repE0EEENS1_30default_config_static_selectorELNS0_4arch9wavefront6targetE1EEEvSK_
		.amdhsa_group_segment_fixed_size 192
		.amdhsa_private_segment_fixed_size 0
		.amdhsa_kernarg_size 48
		.amdhsa_user_sgpr_count 2
		.amdhsa_user_sgpr_dispatch_ptr 0
		.amdhsa_user_sgpr_queue_ptr 0
		.amdhsa_user_sgpr_kernarg_segment_ptr 1
		.amdhsa_user_sgpr_dispatch_id 0
		.amdhsa_user_sgpr_kernarg_preload_length 0
		.amdhsa_user_sgpr_kernarg_preload_offset 0
		.amdhsa_user_sgpr_private_segment_size 0
		.amdhsa_uses_dynamic_stack 0
		.amdhsa_enable_private_segment 0
		.amdhsa_system_sgpr_workgroup_id_x 1
		.amdhsa_system_sgpr_workgroup_id_y 0
		.amdhsa_system_sgpr_workgroup_id_z 0
		.amdhsa_system_sgpr_workgroup_info 0
		.amdhsa_system_vgpr_workitem_id 0
		.amdhsa_next_free_vgpr 36
		.amdhsa_next_free_sgpr 44
		.amdhsa_accum_offset 36
		.amdhsa_reserve_vcc 1
		.amdhsa_float_round_mode_32 0
		.amdhsa_float_round_mode_16_64 0
		.amdhsa_float_denorm_mode_32 3
		.amdhsa_float_denorm_mode_16_64 3
		.amdhsa_dx10_clamp 1
		.amdhsa_ieee_mode 1
		.amdhsa_fp16_overflow 0
		.amdhsa_tg_split 0
		.amdhsa_exception_fp_ieee_invalid_op 0
		.amdhsa_exception_fp_denorm_src 0
		.amdhsa_exception_fp_ieee_div_zero 0
		.amdhsa_exception_fp_ieee_overflow 0
		.amdhsa_exception_fp_ieee_underflow 0
		.amdhsa_exception_fp_ieee_inexact 0
		.amdhsa_exception_int_div_zero 0
	.end_amdhsa_kernel
	.section	.text._ZN7rocprim17ROCPRIM_400000_NS6detail17trampoline_kernelINS0_14default_configENS1_22reduce_config_selectorIdEEZNS1_11reduce_implILb1ES3_N6thrust23THRUST_200600_302600_NS17counting_iteratorIdNS8_11hip_rocprim3tagENS8_11use_defaultESC_EEPddNS8_4plusIdEEEE10hipError_tPvRmT1_T2_T3_mT4_P12ihipStream_tbEUlT_E1_NS1_11comp_targetILNS1_3genE0ELNS1_11target_archE4294967295ELNS1_3gpuE0ELNS1_3repE0EEENS1_30default_config_static_selectorELNS0_4arch9wavefront6targetE1EEEvSK_,"axG",@progbits,_ZN7rocprim17ROCPRIM_400000_NS6detail17trampoline_kernelINS0_14default_configENS1_22reduce_config_selectorIdEEZNS1_11reduce_implILb1ES3_N6thrust23THRUST_200600_302600_NS17counting_iteratorIdNS8_11hip_rocprim3tagENS8_11use_defaultESC_EEPddNS8_4plusIdEEEE10hipError_tPvRmT1_T2_T3_mT4_P12ihipStream_tbEUlT_E1_NS1_11comp_targetILNS1_3genE0ELNS1_11target_archE4294967295ELNS1_3gpuE0ELNS1_3repE0EEENS1_30default_config_static_selectorELNS0_4arch9wavefront6targetE1EEEvSK_,comdat
.Lfunc_end992:
	.size	_ZN7rocprim17ROCPRIM_400000_NS6detail17trampoline_kernelINS0_14default_configENS1_22reduce_config_selectorIdEEZNS1_11reduce_implILb1ES3_N6thrust23THRUST_200600_302600_NS17counting_iteratorIdNS8_11hip_rocprim3tagENS8_11use_defaultESC_EEPddNS8_4plusIdEEEE10hipError_tPvRmT1_T2_T3_mT4_P12ihipStream_tbEUlT_E1_NS1_11comp_targetILNS1_3genE0ELNS1_11target_archE4294967295ELNS1_3gpuE0ELNS1_3repE0EEENS1_30default_config_static_selectorELNS0_4arch9wavefront6targetE1EEEvSK_, .Lfunc_end992-_ZN7rocprim17ROCPRIM_400000_NS6detail17trampoline_kernelINS0_14default_configENS1_22reduce_config_selectorIdEEZNS1_11reduce_implILb1ES3_N6thrust23THRUST_200600_302600_NS17counting_iteratorIdNS8_11hip_rocprim3tagENS8_11use_defaultESC_EEPddNS8_4plusIdEEEE10hipError_tPvRmT1_T2_T3_mT4_P12ihipStream_tbEUlT_E1_NS1_11comp_targetILNS1_3genE0ELNS1_11target_archE4294967295ELNS1_3gpuE0ELNS1_3repE0EEENS1_30default_config_static_selectorELNS0_4arch9wavefront6targetE1EEEvSK_
                                        ; -- End function
	.set _ZN7rocprim17ROCPRIM_400000_NS6detail17trampoline_kernelINS0_14default_configENS1_22reduce_config_selectorIdEEZNS1_11reduce_implILb1ES3_N6thrust23THRUST_200600_302600_NS17counting_iteratorIdNS8_11hip_rocprim3tagENS8_11use_defaultESC_EEPddNS8_4plusIdEEEE10hipError_tPvRmT1_T2_T3_mT4_P12ihipStream_tbEUlT_E1_NS1_11comp_targetILNS1_3genE0ELNS1_11target_archE4294967295ELNS1_3gpuE0ELNS1_3repE0EEENS1_30default_config_static_selectorELNS0_4arch9wavefront6targetE1EEEvSK_.num_vgpr, 36
	.set _ZN7rocprim17ROCPRIM_400000_NS6detail17trampoline_kernelINS0_14default_configENS1_22reduce_config_selectorIdEEZNS1_11reduce_implILb1ES3_N6thrust23THRUST_200600_302600_NS17counting_iteratorIdNS8_11hip_rocprim3tagENS8_11use_defaultESC_EEPddNS8_4plusIdEEEE10hipError_tPvRmT1_T2_T3_mT4_P12ihipStream_tbEUlT_E1_NS1_11comp_targetILNS1_3genE0ELNS1_11target_archE4294967295ELNS1_3gpuE0ELNS1_3repE0EEENS1_30default_config_static_selectorELNS0_4arch9wavefront6targetE1EEEvSK_.num_agpr, 0
	.set _ZN7rocprim17ROCPRIM_400000_NS6detail17trampoline_kernelINS0_14default_configENS1_22reduce_config_selectorIdEEZNS1_11reduce_implILb1ES3_N6thrust23THRUST_200600_302600_NS17counting_iteratorIdNS8_11hip_rocprim3tagENS8_11use_defaultESC_EEPddNS8_4plusIdEEEE10hipError_tPvRmT1_T2_T3_mT4_P12ihipStream_tbEUlT_E1_NS1_11comp_targetILNS1_3genE0ELNS1_11target_archE4294967295ELNS1_3gpuE0ELNS1_3repE0EEENS1_30default_config_static_selectorELNS0_4arch9wavefront6targetE1EEEvSK_.numbered_sgpr, 44
	.set _ZN7rocprim17ROCPRIM_400000_NS6detail17trampoline_kernelINS0_14default_configENS1_22reduce_config_selectorIdEEZNS1_11reduce_implILb1ES3_N6thrust23THRUST_200600_302600_NS17counting_iteratorIdNS8_11hip_rocprim3tagENS8_11use_defaultESC_EEPddNS8_4plusIdEEEE10hipError_tPvRmT1_T2_T3_mT4_P12ihipStream_tbEUlT_E1_NS1_11comp_targetILNS1_3genE0ELNS1_11target_archE4294967295ELNS1_3gpuE0ELNS1_3repE0EEENS1_30default_config_static_selectorELNS0_4arch9wavefront6targetE1EEEvSK_.num_named_barrier, 0
	.set _ZN7rocprim17ROCPRIM_400000_NS6detail17trampoline_kernelINS0_14default_configENS1_22reduce_config_selectorIdEEZNS1_11reduce_implILb1ES3_N6thrust23THRUST_200600_302600_NS17counting_iteratorIdNS8_11hip_rocprim3tagENS8_11use_defaultESC_EEPddNS8_4plusIdEEEE10hipError_tPvRmT1_T2_T3_mT4_P12ihipStream_tbEUlT_E1_NS1_11comp_targetILNS1_3genE0ELNS1_11target_archE4294967295ELNS1_3gpuE0ELNS1_3repE0EEENS1_30default_config_static_selectorELNS0_4arch9wavefront6targetE1EEEvSK_.private_seg_size, 0
	.set _ZN7rocprim17ROCPRIM_400000_NS6detail17trampoline_kernelINS0_14default_configENS1_22reduce_config_selectorIdEEZNS1_11reduce_implILb1ES3_N6thrust23THRUST_200600_302600_NS17counting_iteratorIdNS8_11hip_rocprim3tagENS8_11use_defaultESC_EEPddNS8_4plusIdEEEE10hipError_tPvRmT1_T2_T3_mT4_P12ihipStream_tbEUlT_E1_NS1_11comp_targetILNS1_3genE0ELNS1_11target_archE4294967295ELNS1_3gpuE0ELNS1_3repE0EEENS1_30default_config_static_selectorELNS0_4arch9wavefront6targetE1EEEvSK_.uses_vcc, 1
	.set _ZN7rocprim17ROCPRIM_400000_NS6detail17trampoline_kernelINS0_14default_configENS1_22reduce_config_selectorIdEEZNS1_11reduce_implILb1ES3_N6thrust23THRUST_200600_302600_NS17counting_iteratorIdNS8_11hip_rocprim3tagENS8_11use_defaultESC_EEPddNS8_4plusIdEEEE10hipError_tPvRmT1_T2_T3_mT4_P12ihipStream_tbEUlT_E1_NS1_11comp_targetILNS1_3genE0ELNS1_11target_archE4294967295ELNS1_3gpuE0ELNS1_3repE0EEENS1_30default_config_static_selectorELNS0_4arch9wavefront6targetE1EEEvSK_.uses_flat_scratch, 0
	.set _ZN7rocprim17ROCPRIM_400000_NS6detail17trampoline_kernelINS0_14default_configENS1_22reduce_config_selectorIdEEZNS1_11reduce_implILb1ES3_N6thrust23THRUST_200600_302600_NS17counting_iteratorIdNS8_11hip_rocprim3tagENS8_11use_defaultESC_EEPddNS8_4plusIdEEEE10hipError_tPvRmT1_T2_T3_mT4_P12ihipStream_tbEUlT_E1_NS1_11comp_targetILNS1_3genE0ELNS1_11target_archE4294967295ELNS1_3gpuE0ELNS1_3repE0EEENS1_30default_config_static_selectorELNS0_4arch9wavefront6targetE1EEEvSK_.has_dyn_sized_stack, 0
	.set _ZN7rocprim17ROCPRIM_400000_NS6detail17trampoline_kernelINS0_14default_configENS1_22reduce_config_selectorIdEEZNS1_11reduce_implILb1ES3_N6thrust23THRUST_200600_302600_NS17counting_iteratorIdNS8_11hip_rocprim3tagENS8_11use_defaultESC_EEPddNS8_4plusIdEEEE10hipError_tPvRmT1_T2_T3_mT4_P12ihipStream_tbEUlT_E1_NS1_11comp_targetILNS1_3genE0ELNS1_11target_archE4294967295ELNS1_3gpuE0ELNS1_3repE0EEENS1_30default_config_static_selectorELNS0_4arch9wavefront6targetE1EEEvSK_.has_recursion, 0
	.set _ZN7rocprim17ROCPRIM_400000_NS6detail17trampoline_kernelINS0_14default_configENS1_22reduce_config_selectorIdEEZNS1_11reduce_implILb1ES3_N6thrust23THRUST_200600_302600_NS17counting_iteratorIdNS8_11hip_rocprim3tagENS8_11use_defaultESC_EEPddNS8_4plusIdEEEE10hipError_tPvRmT1_T2_T3_mT4_P12ihipStream_tbEUlT_E1_NS1_11comp_targetILNS1_3genE0ELNS1_11target_archE4294967295ELNS1_3gpuE0ELNS1_3repE0EEENS1_30default_config_static_selectorELNS0_4arch9wavefront6targetE1EEEvSK_.has_indirect_call, 0
	.section	.AMDGPU.csdata,"",@progbits
; Kernel info:
; codeLenInByte = 8272
; TotalNumSgprs: 50
; NumVgprs: 36
; NumAgprs: 0
; TotalNumVgprs: 36
; ScratchSize: 0
; MemoryBound: 0
; FloatMode: 240
; IeeeMode: 1
; LDSByteSize: 192 bytes/workgroup (compile time only)
; SGPRBlocks: 6
; VGPRBlocks: 4
; NumSGPRsForWavesPerEU: 50
; NumVGPRsForWavesPerEU: 36
; AccumOffset: 36
; Occupancy: 8
; WaveLimiterHint : 0
; COMPUTE_PGM_RSRC2:SCRATCH_EN: 0
; COMPUTE_PGM_RSRC2:USER_SGPR: 2
; COMPUTE_PGM_RSRC2:TRAP_HANDLER: 0
; COMPUTE_PGM_RSRC2:TGID_X_EN: 1
; COMPUTE_PGM_RSRC2:TGID_Y_EN: 0
; COMPUTE_PGM_RSRC2:TGID_Z_EN: 0
; COMPUTE_PGM_RSRC2:TIDIG_COMP_CNT: 0
; COMPUTE_PGM_RSRC3_GFX90A:ACCUM_OFFSET: 8
; COMPUTE_PGM_RSRC3_GFX90A:TG_SPLIT: 0
	.section	.text._ZN7rocprim17ROCPRIM_400000_NS6detail17trampoline_kernelINS0_14default_configENS1_22reduce_config_selectorIdEEZNS1_11reduce_implILb1ES3_N6thrust23THRUST_200600_302600_NS17counting_iteratorIdNS8_11hip_rocprim3tagENS8_11use_defaultESC_EEPddNS8_4plusIdEEEE10hipError_tPvRmT1_T2_T3_mT4_P12ihipStream_tbEUlT_E1_NS1_11comp_targetILNS1_3genE5ELNS1_11target_archE942ELNS1_3gpuE9ELNS1_3repE0EEENS1_30default_config_static_selectorELNS0_4arch9wavefront6targetE1EEEvSK_,"axG",@progbits,_ZN7rocprim17ROCPRIM_400000_NS6detail17trampoline_kernelINS0_14default_configENS1_22reduce_config_selectorIdEEZNS1_11reduce_implILb1ES3_N6thrust23THRUST_200600_302600_NS17counting_iteratorIdNS8_11hip_rocprim3tagENS8_11use_defaultESC_EEPddNS8_4plusIdEEEE10hipError_tPvRmT1_T2_T3_mT4_P12ihipStream_tbEUlT_E1_NS1_11comp_targetILNS1_3genE5ELNS1_11target_archE942ELNS1_3gpuE9ELNS1_3repE0EEENS1_30default_config_static_selectorELNS0_4arch9wavefront6targetE1EEEvSK_,comdat
	.protected	_ZN7rocprim17ROCPRIM_400000_NS6detail17trampoline_kernelINS0_14default_configENS1_22reduce_config_selectorIdEEZNS1_11reduce_implILb1ES3_N6thrust23THRUST_200600_302600_NS17counting_iteratorIdNS8_11hip_rocprim3tagENS8_11use_defaultESC_EEPddNS8_4plusIdEEEE10hipError_tPvRmT1_T2_T3_mT4_P12ihipStream_tbEUlT_E1_NS1_11comp_targetILNS1_3genE5ELNS1_11target_archE942ELNS1_3gpuE9ELNS1_3repE0EEENS1_30default_config_static_selectorELNS0_4arch9wavefront6targetE1EEEvSK_ ; -- Begin function _ZN7rocprim17ROCPRIM_400000_NS6detail17trampoline_kernelINS0_14default_configENS1_22reduce_config_selectorIdEEZNS1_11reduce_implILb1ES3_N6thrust23THRUST_200600_302600_NS17counting_iteratorIdNS8_11hip_rocprim3tagENS8_11use_defaultESC_EEPddNS8_4plusIdEEEE10hipError_tPvRmT1_T2_T3_mT4_P12ihipStream_tbEUlT_E1_NS1_11comp_targetILNS1_3genE5ELNS1_11target_archE942ELNS1_3gpuE9ELNS1_3repE0EEENS1_30default_config_static_selectorELNS0_4arch9wavefront6targetE1EEEvSK_
	.globl	_ZN7rocprim17ROCPRIM_400000_NS6detail17trampoline_kernelINS0_14default_configENS1_22reduce_config_selectorIdEEZNS1_11reduce_implILb1ES3_N6thrust23THRUST_200600_302600_NS17counting_iteratorIdNS8_11hip_rocprim3tagENS8_11use_defaultESC_EEPddNS8_4plusIdEEEE10hipError_tPvRmT1_T2_T3_mT4_P12ihipStream_tbEUlT_E1_NS1_11comp_targetILNS1_3genE5ELNS1_11target_archE942ELNS1_3gpuE9ELNS1_3repE0EEENS1_30default_config_static_selectorELNS0_4arch9wavefront6targetE1EEEvSK_
	.p2align	8
	.type	_ZN7rocprim17ROCPRIM_400000_NS6detail17trampoline_kernelINS0_14default_configENS1_22reduce_config_selectorIdEEZNS1_11reduce_implILb1ES3_N6thrust23THRUST_200600_302600_NS17counting_iteratorIdNS8_11hip_rocprim3tagENS8_11use_defaultESC_EEPddNS8_4plusIdEEEE10hipError_tPvRmT1_T2_T3_mT4_P12ihipStream_tbEUlT_E1_NS1_11comp_targetILNS1_3genE5ELNS1_11target_archE942ELNS1_3gpuE9ELNS1_3repE0EEENS1_30default_config_static_selectorELNS0_4arch9wavefront6targetE1EEEvSK_,@function
_ZN7rocprim17ROCPRIM_400000_NS6detail17trampoline_kernelINS0_14default_configENS1_22reduce_config_selectorIdEEZNS1_11reduce_implILb1ES3_N6thrust23THRUST_200600_302600_NS17counting_iteratorIdNS8_11hip_rocprim3tagENS8_11use_defaultESC_EEPddNS8_4plusIdEEEE10hipError_tPvRmT1_T2_T3_mT4_P12ihipStream_tbEUlT_E1_NS1_11comp_targetILNS1_3genE5ELNS1_11target_archE942ELNS1_3gpuE9ELNS1_3repE0EEENS1_30default_config_static_selectorELNS0_4arch9wavefront6targetE1EEEvSK_: ; @_ZN7rocprim17ROCPRIM_400000_NS6detail17trampoline_kernelINS0_14default_configENS1_22reduce_config_selectorIdEEZNS1_11reduce_implILb1ES3_N6thrust23THRUST_200600_302600_NS17counting_iteratorIdNS8_11hip_rocprim3tagENS8_11use_defaultESC_EEPddNS8_4plusIdEEEE10hipError_tPvRmT1_T2_T3_mT4_P12ihipStream_tbEUlT_E1_NS1_11comp_targetILNS1_3genE5ELNS1_11target_archE942ELNS1_3gpuE9ELNS1_3repE0EEENS1_30default_config_static_selectorELNS0_4arch9wavefront6targetE1EEEvSK_
; %bb.0:
	.section	.rodata,"a",@progbits
	.p2align	6, 0x0
	.amdhsa_kernel _ZN7rocprim17ROCPRIM_400000_NS6detail17trampoline_kernelINS0_14default_configENS1_22reduce_config_selectorIdEEZNS1_11reduce_implILb1ES3_N6thrust23THRUST_200600_302600_NS17counting_iteratorIdNS8_11hip_rocprim3tagENS8_11use_defaultESC_EEPddNS8_4plusIdEEEE10hipError_tPvRmT1_T2_T3_mT4_P12ihipStream_tbEUlT_E1_NS1_11comp_targetILNS1_3genE5ELNS1_11target_archE942ELNS1_3gpuE9ELNS1_3repE0EEENS1_30default_config_static_selectorELNS0_4arch9wavefront6targetE1EEEvSK_
		.amdhsa_group_segment_fixed_size 0
		.amdhsa_private_segment_fixed_size 0
		.amdhsa_kernarg_size 48
		.amdhsa_user_sgpr_count 2
		.amdhsa_user_sgpr_dispatch_ptr 0
		.amdhsa_user_sgpr_queue_ptr 0
		.amdhsa_user_sgpr_kernarg_segment_ptr 1
		.amdhsa_user_sgpr_dispatch_id 0
		.amdhsa_user_sgpr_kernarg_preload_length 0
		.amdhsa_user_sgpr_kernarg_preload_offset 0
		.amdhsa_user_sgpr_private_segment_size 0
		.amdhsa_uses_dynamic_stack 0
		.amdhsa_enable_private_segment 0
		.amdhsa_system_sgpr_workgroup_id_x 1
		.amdhsa_system_sgpr_workgroup_id_y 0
		.amdhsa_system_sgpr_workgroup_id_z 0
		.amdhsa_system_sgpr_workgroup_info 0
		.amdhsa_system_vgpr_workitem_id 0
		.amdhsa_next_free_vgpr 1
		.amdhsa_next_free_sgpr 0
		.amdhsa_accum_offset 4
		.amdhsa_reserve_vcc 0
		.amdhsa_float_round_mode_32 0
		.amdhsa_float_round_mode_16_64 0
		.amdhsa_float_denorm_mode_32 3
		.amdhsa_float_denorm_mode_16_64 3
		.amdhsa_dx10_clamp 1
		.amdhsa_ieee_mode 1
		.amdhsa_fp16_overflow 0
		.amdhsa_tg_split 0
		.amdhsa_exception_fp_ieee_invalid_op 0
		.amdhsa_exception_fp_denorm_src 0
		.amdhsa_exception_fp_ieee_div_zero 0
		.amdhsa_exception_fp_ieee_overflow 0
		.amdhsa_exception_fp_ieee_underflow 0
		.amdhsa_exception_fp_ieee_inexact 0
		.amdhsa_exception_int_div_zero 0
	.end_amdhsa_kernel
	.section	.text._ZN7rocprim17ROCPRIM_400000_NS6detail17trampoline_kernelINS0_14default_configENS1_22reduce_config_selectorIdEEZNS1_11reduce_implILb1ES3_N6thrust23THRUST_200600_302600_NS17counting_iteratorIdNS8_11hip_rocprim3tagENS8_11use_defaultESC_EEPddNS8_4plusIdEEEE10hipError_tPvRmT1_T2_T3_mT4_P12ihipStream_tbEUlT_E1_NS1_11comp_targetILNS1_3genE5ELNS1_11target_archE942ELNS1_3gpuE9ELNS1_3repE0EEENS1_30default_config_static_selectorELNS0_4arch9wavefront6targetE1EEEvSK_,"axG",@progbits,_ZN7rocprim17ROCPRIM_400000_NS6detail17trampoline_kernelINS0_14default_configENS1_22reduce_config_selectorIdEEZNS1_11reduce_implILb1ES3_N6thrust23THRUST_200600_302600_NS17counting_iteratorIdNS8_11hip_rocprim3tagENS8_11use_defaultESC_EEPddNS8_4plusIdEEEE10hipError_tPvRmT1_T2_T3_mT4_P12ihipStream_tbEUlT_E1_NS1_11comp_targetILNS1_3genE5ELNS1_11target_archE942ELNS1_3gpuE9ELNS1_3repE0EEENS1_30default_config_static_selectorELNS0_4arch9wavefront6targetE1EEEvSK_,comdat
.Lfunc_end993:
	.size	_ZN7rocprim17ROCPRIM_400000_NS6detail17trampoline_kernelINS0_14default_configENS1_22reduce_config_selectorIdEEZNS1_11reduce_implILb1ES3_N6thrust23THRUST_200600_302600_NS17counting_iteratorIdNS8_11hip_rocprim3tagENS8_11use_defaultESC_EEPddNS8_4plusIdEEEE10hipError_tPvRmT1_T2_T3_mT4_P12ihipStream_tbEUlT_E1_NS1_11comp_targetILNS1_3genE5ELNS1_11target_archE942ELNS1_3gpuE9ELNS1_3repE0EEENS1_30default_config_static_selectorELNS0_4arch9wavefront6targetE1EEEvSK_, .Lfunc_end993-_ZN7rocprim17ROCPRIM_400000_NS6detail17trampoline_kernelINS0_14default_configENS1_22reduce_config_selectorIdEEZNS1_11reduce_implILb1ES3_N6thrust23THRUST_200600_302600_NS17counting_iteratorIdNS8_11hip_rocprim3tagENS8_11use_defaultESC_EEPddNS8_4plusIdEEEE10hipError_tPvRmT1_T2_T3_mT4_P12ihipStream_tbEUlT_E1_NS1_11comp_targetILNS1_3genE5ELNS1_11target_archE942ELNS1_3gpuE9ELNS1_3repE0EEENS1_30default_config_static_selectorELNS0_4arch9wavefront6targetE1EEEvSK_
                                        ; -- End function
	.set _ZN7rocprim17ROCPRIM_400000_NS6detail17trampoline_kernelINS0_14default_configENS1_22reduce_config_selectorIdEEZNS1_11reduce_implILb1ES3_N6thrust23THRUST_200600_302600_NS17counting_iteratorIdNS8_11hip_rocprim3tagENS8_11use_defaultESC_EEPddNS8_4plusIdEEEE10hipError_tPvRmT1_T2_T3_mT4_P12ihipStream_tbEUlT_E1_NS1_11comp_targetILNS1_3genE5ELNS1_11target_archE942ELNS1_3gpuE9ELNS1_3repE0EEENS1_30default_config_static_selectorELNS0_4arch9wavefront6targetE1EEEvSK_.num_vgpr, 0
	.set _ZN7rocprim17ROCPRIM_400000_NS6detail17trampoline_kernelINS0_14default_configENS1_22reduce_config_selectorIdEEZNS1_11reduce_implILb1ES3_N6thrust23THRUST_200600_302600_NS17counting_iteratorIdNS8_11hip_rocprim3tagENS8_11use_defaultESC_EEPddNS8_4plusIdEEEE10hipError_tPvRmT1_T2_T3_mT4_P12ihipStream_tbEUlT_E1_NS1_11comp_targetILNS1_3genE5ELNS1_11target_archE942ELNS1_3gpuE9ELNS1_3repE0EEENS1_30default_config_static_selectorELNS0_4arch9wavefront6targetE1EEEvSK_.num_agpr, 0
	.set _ZN7rocprim17ROCPRIM_400000_NS6detail17trampoline_kernelINS0_14default_configENS1_22reduce_config_selectorIdEEZNS1_11reduce_implILb1ES3_N6thrust23THRUST_200600_302600_NS17counting_iteratorIdNS8_11hip_rocprim3tagENS8_11use_defaultESC_EEPddNS8_4plusIdEEEE10hipError_tPvRmT1_T2_T3_mT4_P12ihipStream_tbEUlT_E1_NS1_11comp_targetILNS1_3genE5ELNS1_11target_archE942ELNS1_3gpuE9ELNS1_3repE0EEENS1_30default_config_static_selectorELNS0_4arch9wavefront6targetE1EEEvSK_.numbered_sgpr, 0
	.set _ZN7rocprim17ROCPRIM_400000_NS6detail17trampoline_kernelINS0_14default_configENS1_22reduce_config_selectorIdEEZNS1_11reduce_implILb1ES3_N6thrust23THRUST_200600_302600_NS17counting_iteratorIdNS8_11hip_rocprim3tagENS8_11use_defaultESC_EEPddNS8_4plusIdEEEE10hipError_tPvRmT1_T2_T3_mT4_P12ihipStream_tbEUlT_E1_NS1_11comp_targetILNS1_3genE5ELNS1_11target_archE942ELNS1_3gpuE9ELNS1_3repE0EEENS1_30default_config_static_selectorELNS0_4arch9wavefront6targetE1EEEvSK_.num_named_barrier, 0
	.set _ZN7rocprim17ROCPRIM_400000_NS6detail17trampoline_kernelINS0_14default_configENS1_22reduce_config_selectorIdEEZNS1_11reduce_implILb1ES3_N6thrust23THRUST_200600_302600_NS17counting_iteratorIdNS8_11hip_rocprim3tagENS8_11use_defaultESC_EEPddNS8_4plusIdEEEE10hipError_tPvRmT1_T2_T3_mT4_P12ihipStream_tbEUlT_E1_NS1_11comp_targetILNS1_3genE5ELNS1_11target_archE942ELNS1_3gpuE9ELNS1_3repE0EEENS1_30default_config_static_selectorELNS0_4arch9wavefront6targetE1EEEvSK_.private_seg_size, 0
	.set _ZN7rocprim17ROCPRIM_400000_NS6detail17trampoline_kernelINS0_14default_configENS1_22reduce_config_selectorIdEEZNS1_11reduce_implILb1ES3_N6thrust23THRUST_200600_302600_NS17counting_iteratorIdNS8_11hip_rocprim3tagENS8_11use_defaultESC_EEPddNS8_4plusIdEEEE10hipError_tPvRmT1_T2_T3_mT4_P12ihipStream_tbEUlT_E1_NS1_11comp_targetILNS1_3genE5ELNS1_11target_archE942ELNS1_3gpuE9ELNS1_3repE0EEENS1_30default_config_static_selectorELNS0_4arch9wavefront6targetE1EEEvSK_.uses_vcc, 0
	.set _ZN7rocprim17ROCPRIM_400000_NS6detail17trampoline_kernelINS0_14default_configENS1_22reduce_config_selectorIdEEZNS1_11reduce_implILb1ES3_N6thrust23THRUST_200600_302600_NS17counting_iteratorIdNS8_11hip_rocprim3tagENS8_11use_defaultESC_EEPddNS8_4plusIdEEEE10hipError_tPvRmT1_T2_T3_mT4_P12ihipStream_tbEUlT_E1_NS1_11comp_targetILNS1_3genE5ELNS1_11target_archE942ELNS1_3gpuE9ELNS1_3repE0EEENS1_30default_config_static_selectorELNS0_4arch9wavefront6targetE1EEEvSK_.uses_flat_scratch, 0
	.set _ZN7rocprim17ROCPRIM_400000_NS6detail17trampoline_kernelINS0_14default_configENS1_22reduce_config_selectorIdEEZNS1_11reduce_implILb1ES3_N6thrust23THRUST_200600_302600_NS17counting_iteratorIdNS8_11hip_rocprim3tagENS8_11use_defaultESC_EEPddNS8_4plusIdEEEE10hipError_tPvRmT1_T2_T3_mT4_P12ihipStream_tbEUlT_E1_NS1_11comp_targetILNS1_3genE5ELNS1_11target_archE942ELNS1_3gpuE9ELNS1_3repE0EEENS1_30default_config_static_selectorELNS0_4arch9wavefront6targetE1EEEvSK_.has_dyn_sized_stack, 0
	.set _ZN7rocprim17ROCPRIM_400000_NS6detail17trampoline_kernelINS0_14default_configENS1_22reduce_config_selectorIdEEZNS1_11reduce_implILb1ES3_N6thrust23THRUST_200600_302600_NS17counting_iteratorIdNS8_11hip_rocprim3tagENS8_11use_defaultESC_EEPddNS8_4plusIdEEEE10hipError_tPvRmT1_T2_T3_mT4_P12ihipStream_tbEUlT_E1_NS1_11comp_targetILNS1_3genE5ELNS1_11target_archE942ELNS1_3gpuE9ELNS1_3repE0EEENS1_30default_config_static_selectorELNS0_4arch9wavefront6targetE1EEEvSK_.has_recursion, 0
	.set _ZN7rocprim17ROCPRIM_400000_NS6detail17trampoline_kernelINS0_14default_configENS1_22reduce_config_selectorIdEEZNS1_11reduce_implILb1ES3_N6thrust23THRUST_200600_302600_NS17counting_iteratorIdNS8_11hip_rocprim3tagENS8_11use_defaultESC_EEPddNS8_4plusIdEEEE10hipError_tPvRmT1_T2_T3_mT4_P12ihipStream_tbEUlT_E1_NS1_11comp_targetILNS1_3genE5ELNS1_11target_archE942ELNS1_3gpuE9ELNS1_3repE0EEENS1_30default_config_static_selectorELNS0_4arch9wavefront6targetE1EEEvSK_.has_indirect_call, 0
	.section	.AMDGPU.csdata,"",@progbits
; Kernel info:
; codeLenInByte = 0
; TotalNumSgprs: 6
; NumVgprs: 0
; NumAgprs: 0
; TotalNumVgprs: 0
; ScratchSize: 0
; MemoryBound: 0
; FloatMode: 240
; IeeeMode: 1
; LDSByteSize: 0 bytes/workgroup (compile time only)
; SGPRBlocks: 0
; VGPRBlocks: 0
; NumSGPRsForWavesPerEU: 6
; NumVGPRsForWavesPerEU: 1
; AccumOffset: 4
; Occupancy: 8
; WaveLimiterHint : 0
; COMPUTE_PGM_RSRC2:SCRATCH_EN: 0
; COMPUTE_PGM_RSRC2:USER_SGPR: 2
; COMPUTE_PGM_RSRC2:TRAP_HANDLER: 0
; COMPUTE_PGM_RSRC2:TGID_X_EN: 1
; COMPUTE_PGM_RSRC2:TGID_Y_EN: 0
; COMPUTE_PGM_RSRC2:TGID_Z_EN: 0
; COMPUTE_PGM_RSRC2:TIDIG_COMP_CNT: 0
; COMPUTE_PGM_RSRC3_GFX90A:ACCUM_OFFSET: 0
; COMPUTE_PGM_RSRC3_GFX90A:TG_SPLIT: 0
	.section	.text._ZN7rocprim17ROCPRIM_400000_NS6detail17trampoline_kernelINS0_14default_configENS1_22reduce_config_selectorIdEEZNS1_11reduce_implILb1ES3_N6thrust23THRUST_200600_302600_NS17counting_iteratorIdNS8_11hip_rocprim3tagENS8_11use_defaultESC_EEPddNS8_4plusIdEEEE10hipError_tPvRmT1_T2_T3_mT4_P12ihipStream_tbEUlT_E1_NS1_11comp_targetILNS1_3genE4ELNS1_11target_archE910ELNS1_3gpuE8ELNS1_3repE0EEENS1_30default_config_static_selectorELNS0_4arch9wavefront6targetE1EEEvSK_,"axG",@progbits,_ZN7rocprim17ROCPRIM_400000_NS6detail17trampoline_kernelINS0_14default_configENS1_22reduce_config_selectorIdEEZNS1_11reduce_implILb1ES3_N6thrust23THRUST_200600_302600_NS17counting_iteratorIdNS8_11hip_rocprim3tagENS8_11use_defaultESC_EEPddNS8_4plusIdEEEE10hipError_tPvRmT1_T2_T3_mT4_P12ihipStream_tbEUlT_E1_NS1_11comp_targetILNS1_3genE4ELNS1_11target_archE910ELNS1_3gpuE8ELNS1_3repE0EEENS1_30default_config_static_selectorELNS0_4arch9wavefront6targetE1EEEvSK_,comdat
	.protected	_ZN7rocprim17ROCPRIM_400000_NS6detail17trampoline_kernelINS0_14default_configENS1_22reduce_config_selectorIdEEZNS1_11reduce_implILb1ES3_N6thrust23THRUST_200600_302600_NS17counting_iteratorIdNS8_11hip_rocprim3tagENS8_11use_defaultESC_EEPddNS8_4plusIdEEEE10hipError_tPvRmT1_T2_T3_mT4_P12ihipStream_tbEUlT_E1_NS1_11comp_targetILNS1_3genE4ELNS1_11target_archE910ELNS1_3gpuE8ELNS1_3repE0EEENS1_30default_config_static_selectorELNS0_4arch9wavefront6targetE1EEEvSK_ ; -- Begin function _ZN7rocprim17ROCPRIM_400000_NS6detail17trampoline_kernelINS0_14default_configENS1_22reduce_config_selectorIdEEZNS1_11reduce_implILb1ES3_N6thrust23THRUST_200600_302600_NS17counting_iteratorIdNS8_11hip_rocprim3tagENS8_11use_defaultESC_EEPddNS8_4plusIdEEEE10hipError_tPvRmT1_T2_T3_mT4_P12ihipStream_tbEUlT_E1_NS1_11comp_targetILNS1_3genE4ELNS1_11target_archE910ELNS1_3gpuE8ELNS1_3repE0EEENS1_30default_config_static_selectorELNS0_4arch9wavefront6targetE1EEEvSK_
	.globl	_ZN7rocprim17ROCPRIM_400000_NS6detail17trampoline_kernelINS0_14default_configENS1_22reduce_config_selectorIdEEZNS1_11reduce_implILb1ES3_N6thrust23THRUST_200600_302600_NS17counting_iteratorIdNS8_11hip_rocprim3tagENS8_11use_defaultESC_EEPddNS8_4plusIdEEEE10hipError_tPvRmT1_T2_T3_mT4_P12ihipStream_tbEUlT_E1_NS1_11comp_targetILNS1_3genE4ELNS1_11target_archE910ELNS1_3gpuE8ELNS1_3repE0EEENS1_30default_config_static_selectorELNS0_4arch9wavefront6targetE1EEEvSK_
	.p2align	8
	.type	_ZN7rocprim17ROCPRIM_400000_NS6detail17trampoline_kernelINS0_14default_configENS1_22reduce_config_selectorIdEEZNS1_11reduce_implILb1ES3_N6thrust23THRUST_200600_302600_NS17counting_iteratorIdNS8_11hip_rocprim3tagENS8_11use_defaultESC_EEPddNS8_4plusIdEEEE10hipError_tPvRmT1_T2_T3_mT4_P12ihipStream_tbEUlT_E1_NS1_11comp_targetILNS1_3genE4ELNS1_11target_archE910ELNS1_3gpuE8ELNS1_3repE0EEENS1_30default_config_static_selectorELNS0_4arch9wavefront6targetE1EEEvSK_,@function
_ZN7rocprim17ROCPRIM_400000_NS6detail17trampoline_kernelINS0_14default_configENS1_22reduce_config_selectorIdEEZNS1_11reduce_implILb1ES3_N6thrust23THRUST_200600_302600_NS17counting_iteratorIdNS8_11hip_rocprim3tagENS8_11use_defaultESC_EEPddNS8_4plusIdEEEE10hipError_tPvRmT1_T2_T3_mT4_P12ihipStream_tbEUlT_E1_NS1_11comp_targetILNS1_3genE4ELNS1_11target_archE910ELNS1_3gpuE8ELNS1_3repE0EEENS1_30default_config_static_selectorELNS0_4arch9wavefront6targetE1EEEvSK_: ; @_ZN7rocprim17ROCPRIM_400000_NS6detail17trampoline_kernelINS0_14default_configENS1_22reduce_config_selectorIdEEZNS1_11reduce_implILb1ES3_N6thrust23THRUST_200600_302600_NS17counting_iteratorIdNS8_11hip_rocprim3tagENS8_11use_defaultESC_EEPddNS8_4plusIdEEEE10hipError_tPvRmT1_T2_T3_mT4_P12ihipStream_tbEUlT_E1_NS1_11comp_targetILNS1_3genE4ELNS1_11target_archE910ELNS1_3gpuE8ELNS1_3repE0EEENS1_30default_config_static_selectorELNS0_4arch9wavefront6targetE1EEEvSK_
; %bb.0:
	.section	.rodata,"a",@progbits
	.p2align	6, 0x0
	.amdhsa_kernel _ZN7rocprim17ROCPRIM_400000_NS6detail17trampoline_kernelINS0_14default_configENS1_22reduce_config_selectorIdEEZNS1_11reduce_implILb1ES3_N6thrust23THRUST_200600_302600_NS17counting_iteratorIdNS8_11hip_rocprim3tagENS8_11use_defaultESC_EEPddNS8_4plusIdEEEE10hipError_tPvRmT1_T2_T3_mT4_P12ihipStream_tbEUlT_E1_NS1_11comp_targetILNS1_3genE4ELNS1_11target_archE910ELNS1_3gpuE8ELNS1_3repE0EEENS1_30default_config_static_selectorELNS0_4arch9wavefront6targetE1EEEvSK_
		.amdhsa_group_segment_fixed_size 0
		.amdhsa_private_segment_fixed_size 0
		.amdhsa_kernarg_size 48
		.amdhsa_user_sgpr_count 2
		.amdhsa_user_sgpr_dispatch_ptr 0
		.amdhsa_user_sgpr_queue_ptr 0
		.amdhsa_user_sgpr_kernarg_segment_ptr 1
		.amdhsa_user_sgpr_dispatch_id 0
		.amdhsa_user_sgpr_kernarg_preload_length 0
		.amdhsa_user_sgpr_kernarg_preload_offset 0
		.amdhsa_user_sgpr_private_segment_size 0
		.amdhsa_uses_dynamic_stack 0
		.amdhsa_enable_private_segment 0
		.amdhsa_system_sgpr_workgroup_id_x 1
		.amdhsa_system_sgpr_workgroup_id_y 0
		.amdhsa_system_sgpr_workgroup_id_z 0
		.amdhsa_system_sgpr_workgroup_info 0
		.amdhsa_system_vgpr_workitem_id 0
		.amdhsa_next_free_vgpr 1
		.amdhsa_next_free_sgpr 0
		.amdhsa_accum_offset 4
		.amdhsa_reserve_vcc 0
		.amdhsa_float_round_mode_32 0
		.amdhsa_float_round_mode_16_64 0
		.amdhsa_float_denorm_mode_32 3
		.amdhsa_float_denorm_mode_16_64 3
		.amdhsa_dx10_clamp 1
		.amdhsa_ieee_mode 1
		.amdhsa_fp16_overflow 0
		.amdhsa_tg_split 0
		.amdhsa_exception_fp_ieee_invalid_op 0
		.amdhsa_exception_fp_denorm_src 0
		.amdhsa_exception_fp_ieee_div_zero 0
		.amdhsa_exception_fp_ieee_overflow 0
		.amdhsa_exception_fp_ieee_underflow 0
		.amdhsa_exception_fp_ieee_inexact 0
		.amdhsa_exception_int_div_zero 0
	.end_amdhsa_kernel
	.section	.text._ZN7rocprim17ROCPRIM_400000_NS6detail17trampoline_kernelINS0_14default_configENS1_22reduce_config_selectorIdEEZNS1_11reduce_implILb1ES3_N6thrust23THRUST_200600_302600_NS17counting_iteratorIdNS8_11hip_rocprim3tagENS8_11use_defaultESC_EEPddNS8_4plusIdEEEE10hipError_tPvRmT1_T2_T3_mT4_P12ihipStream_tbEUlT_E1_NS1_11comp_targetILNS1_3genE4ELNS1_11target_archE910ELNS1_3gpuE8ELNS1_3repE0EEENS1_30default_config_static_selectorELNS0_4arch9wavefront6targetE1EEEvSK_,"axG",@progbits,_ZN7rocprim17ROCPRIM_400000_NS6detail17trampoline_kernelINS0_14default_configENS1_22reduce_config_selectorIdEEZNS1_11reduce_implILb1ES3_N6thrust23THRUST_200600_302600_NS17counting_iteratorIdNS8_11hip_rocprim3tagENS8_11use_defaultESC_EEPddNS8_4plusIdEEEE10hipError_tPvRmT1_T2_T3_mT4_P12ihipStream_tbEUlT_E1_NS1_11comp_targetILNS1_3genE4ELNS1_11target_archE910ELNS1_3gpuE8ELNS1_3repE0EEENS1_30default_config_static_selectorELNS0_4arch9wavefront6targetE1EEEvSK_,comdat
.Lfunc_end994:
	.size	_ZN7rocprim17ROCPRIM_400000_NS6detail17trampoline_kernelINS0_14default_configENS1_22reduce_config_selectorIdEEZNS1_11reduce_implILb1ES3_N6thrust23THRUST_200600_302600_NS17counting_iteratorIdNS8_11hip_rocprim3tagENS8_11use_defaultESC_EEPddNS8_4plusIdEEEE10hipError_tPvRmT1_T2_T3_mT4_P12ihipStream_tbEUlT_E1_NS1_11comp_targetILNS1_3genE4ELNS1_11target_archE910ELNS1_3gpuE8ELNS1_3repE0EEENS1_30default_config_static_selectorELNS0_4arch9wavefront6targetE1EEEvSK_, .Lfunc_end994-_ZN7rocprim17ROCPRIM_400000_NS6detail17trampoline_kernelINS0_14default_configENS1_22reduce_config_selectorIdEEZNS1_11reduce_implILb1ES3_N6thrust23THRUST_200600_302600_NS17counting_iteratorIdNS8_11hip_rocprim3tagENS8_11use_defaultESC_EEPddNS8_4plusIdEEEE10hipError_tPvRmT1_T2_T3_mT4_P12ihipStream_tbEUlT_E1_NS1_11comp_targetILNS1_3genE4ELNS1_11target_archE910ELNS1_3gpuE8ELNS1_3repE0EEENS1_30default_config_static_selectorELNS0_4arch9wavefront6targetE1EEEvSK_
                                        ; -- End function
	.set _ZN7rocprim17ROCPRIM_400000_NS6detail17trampoline_kernelINS0_14default_configENS1_22reduce_config_selectorIdEEZNS1_11reduce_implILb1ES3_N6thrust23THRUST_200600_302600_NS17counting_iteratorIdNS8_11hip_rocprim3tagENS8_11use_defaultESC_EEPddNS8_4plusIdEEEE10hipError_tPvRmT1_T2_T3_mT4_P12ihipStream_tbEUlT_E1_NS1_11comp_targetILNS1_3genE4ELNS1_11target_archE910ELNS1_3gpuE8ELNS1_3repE0EEENS1_30default_config_static_selectorELNS0_4arch9wavefront6targetE1EEEvSK_.num_vgpr, 0
	.set _ZN7rocprim17ROCPRIM_400000_NS6detail17trampoline_kernelINS0_14default_configENS1_22reduce_config_selectorIdEEZNS1_11reduce_implILb1ES3_N6thrust23THRUST_200600_302600_NS17counting_iteratorIdNS8_11hip_rocprim3tagENS8_11use_defaultESC_EEPddNS8_4plusIdEEEE10hipError_tPvRmT1_T2_T3_mT4_P12ihipStream_tbEUlT_E1_NS1_11comp_targetILNS1_3genE4ELNS1_11target_archE910ELNS1_3gpuE8ELNS1_3repE0EEENS1_30default_config_static_selectorELNS0_4arch9wavefront6targetE1EEEvSK_.num_agpr, 0
	.set _ZN7rocprim17ROCPRIM_400000_NS6detail17trampoline_kernelINS0_14default_configENS1_22reduce_config_selectorIdEEZNS1_11reduce_implILb1ES3_N6thrust23THRUST_200600_302600_NS17counting_iteratorIdNS8_11hip_rocprim3tagENS8_11use_defaultESC_EEPddNS8_4plusIdEEEE10hipError_tPvRmT1_T2_T3_mT4_P12ihipStream_tbEUlT_E1_NS1_11comp_targetILNS1_3genE4ELNS1_11target_archE910ELNS1_3gpuE8ELNS1_3repE0EEENS1_30default_config_static_selectorELNS0_4arch9wavefront6targetE1EEEvSK_.numbered_sgpr, 0
	.set _ZN7rocprim17ROCPRIM_400000_NS6detail17trampoline_kernelINS0_14default_configENS1_22reduce_config_selectorIdEEZNS1_11reduce_implILb1ES3_N6thrust23THRUST_200600_302600_NS17counting_iteratorIdNS8_11hip_rocprim3tagENS8_11use_defaultESC_EEPddNS8_4plusIdEEEE10hipError_tPvRmT1_T2_T3_mT4_P12ihipStream_tbEUlT_E1_NS1_11comp_targetILNS1_3genE4ELNS1_11target_archE910ELNS1_3gpuE8ELNS1_3repE0EEENS1_30default_config_static_selectorELNS0_4arch9wavefront6targetE1EEEvSK_.num_named_barrier, 0
	.set _ZN7rocprim17ROCPRIM_400000_NS6detail17trampoline_kernelINS0_14default_configENS1_22reduce_config_selectorIdEEZNS1_11reduce_implILb1ES3_N6thrust23THRUST_200600_302600_NS17counting_iteratorIdNS8_11hip_rocprim3tagENS8_11use_defaultESC_EEPddNS8_4plusIdEEEE10hipError_tPvRmT1_T2_T3_mT4_P12ihipStream_tbEUlT_E1_NS1_11comp_targetILNS1_3genE4ELNS1_11target_archE910ELNS1_3gpuE8ELNS1_3repE0EEENS1_30default_config_static_selectorELNS0_4arch9wavefront6targetE1EEEvSK_.private_seg_size, 0
	.set _ZN7rocprim17ROCPRIM_400000_NS6detail17trampoline_kernelINS0_14default_configENS1_22reduce_config_selectorIdEEZNS1_11reduce_implILb1ES3_N6thrust23THRUST_200600_302600_NS17counting_iteratorIdNS8_11hip_rocprim3tagENS8_11use_defaultESC_EEPddNS8_4plusIdEEEE10hipError_tPvRmT1_T2_T3_mT4_P12ihipStream_tbEUlT_E1_NS1_11comp_targetILNS1_3genE4ELNS1_11target_archE910ELNS1_3gpuE8ELNS1_3repE0EEENS1_30default_config_static_selectorELNS0_4arch9wavefront6targetE1EEEvSK_.uses_vcc, 0
	.set _ZN7rocprim17ROCPRIM_400000_NS6detail17trampoline_kernelINS0_14default_configENS1_22reduce_config_selectorIdEEZNS1_11reduce_implILb1ES3_N6thrust23THRUST_200600_302600_NS17counting_iteratorIdNS8_11hip_rocprim3tagENS8_11use_defaultESC_EEPddNS8_4plusIdEEEE10hipError_tPvRmT1_T2_T3_mT4_P12ihipStream_tbEUlT_E1_NS1_11comp_targetILNS1_3genE4ELNS1_11target_archE910ELNS1_3gpuE8ELNS1_3repE0EEENS1_30default_config_static_selectorELNS0_4arch9wavefront6targetE1EEEvSK_.uses_flat_scratch, 0
	.set _ZN7rocprim17ROCPRIM_400000_NS6detail17trampoline_kernelINS0_14default_configENS1_22reduce_config_selectorIdEEZNS1_11reduce_implILb1ES3_N6thrust23THRUST_200600_302600_NS17counting_iteratorIdNS8_11hip_rocprim3tagENS8_11use_defaultESC_EEPddNS8_4plusIdEEEE10hipError_tPvRmT1_T2_T3_mT4_P12ihipStream_tbEUlT_E1_NS1_11comp_targetILNS1_3genE4ELNS1_11target_archE910ELNS1_3gpuE8ELNS1_3repE0EEENS1_30default_config_static_selectorELNS0_4arch9wavefront6targetE1EEEvSK_.has_dyn_sized_stack, 0
	.set _ZN7rocprim17ROCPRIM_400000_NS6detail17trampoline_kernelINS0_14default_configENS1_22reduce_config_selectorIdEEZNS1_11reduce_implILb1ES3_N6thrust23THRUST_200600_302600_NS17counting_iteratorIdNS8_11hip_rocprim3tagENS8_11use_defaultESC_EEPddNS8_4plusIdEEEE10hipError_tPvRmT1_T2_T3_mT4_P12ihipStream_tbEUlT_E1_NS1_11comp_targetILNS1_3genE4ELNS1_11target_archE910ELNS1_3gpuE8ELNS1_3repE0EEENS1_30default_config_static_selectorELNS0_4arch9wavefront6targetE1EEEvSK_.has_recursion, 0
	.set _ZN7rocprim17ROCPRIM_400000_NS6detail17trampoline_kernelINS0_14default_configENS1_22reduce_config_selectorIdEEZNS1_11reduce_implILb1ES3_N6thrust23THRUST_200600_302600_NS17counting_iteratorIdNS8_11hip_rocprim3tagENS8_11use_defaultESC_EEPddNS8_4plusIdEEEE10hipError_tPvRmT1_T2_T3_mT4_P12ihipStream_tbEUlT_E1_NS1_11comp_targetILNS1_3genE4ELNS1_11target_archE910ELNS1_3gpuE8ELNS1_3repE0EEENS1_30default_config_static_selectorELNS0_4arch9wavefront6targetE1EEEvSK_.has_indirect_call, 0
	.section	.AMDGPU.csdata,"",@progbits
; Kernel info:
; codeLenInByte = 0
; TotalNumSgprs: 6
; NumVgprs: 0
; NumAgprs: 0
; TotalNumVgprs: 0
; ScratchSize: 0
; MemoryBound: 0
; FloatMode: 240
; IeeeMode: 1
; LDSByteSize: 0 bytes/workgroup (compile time only)
; SGPRBlocks: 0
; VGPRBlocks: 0
; NumSGPRsForWavesPerEU: 6
; NumVGPRsForWavesPerEU: 1
; AccumOffset: 4
; Occupancy: 8
; WaveLimiterHint : 0
; COMPUTE_PGM_RSRC2:SCRATCH_EN: 0
; COMPUTE_PGM_RSRC2:USER_SGPR: 2
; COMPUTE_PGM_RSRC2:TRAP_HANDLER: 0
; COMPUTE_PGM_RSRC2:TGID_X_EN: 1
; COMPUTE_PGM_RSRC2:TGID_Y_EN: 0
; COMPUTE_PGM_RSRC2:TGID_Z_EN: 0
; COMPUTE_PGM_RSRC2:TIDIG_COMP_CNT: 0
; COMPUTE_PGM_RSRC3_GFX90A:ACCUM_OFFSET: 0
; COMPUTE_PGM_RSRC3_GFX90A:TG_SPLIT: 0
	.section	.text._ZN7rocprim17ROCPRIM_400000_NS6detail17trampoline_kernelINS0_14default_configENS1_22reduce_config_selectorIdEEZNS1_11reduce_implILb1ES3_N6thrust23THRUST_200600_302600_NS17counting_iteratorIdNS8_11hip_rocprim3tagENS8_11use_defaultESC_EEPddNS8_4plusIdEEEE10hipError_tPvRmT1_T2_T3_mT4_P12ihipStream_tbEUlT_E1_NS1_11comp_targetILNS1_3genE3ELNS1_11target_archE908ELNS1_3gpuE7ELNS1_3repE0EEENS1_30default_config_static_selectorELNS0_4arch9wavefront6targetE1EEEvSK_,"axG",@progbits,_ZN7rocprim17ROCPRIM_400000_NS6detail17trampoline_kernelINS0_14default_configENS1_22reduce_config_selectorIdEEZNS1_11reduce_implILb1ES3_N6thrust23THRUST_200600_302600_NS17counting_iteratorIdNS8_11hip_rocprim3tagENS8_11use_defaultESC_EEPddNS8_4plusIdEEEE10hipError_tPvRmT1_T2_T3_mT4_P12ihipStream_tbEUlT_E1_NS1_11comp_targetILNS1_3genE3ELNS1_11target_archE908ELNS1_3gpuE7ELNS1_3repE0EEENS1_30default_config_static_selectorELNS0_4arch9wavefront6targetE1EEEvSK_,comdat
	.protected	_ZN7rocprim17ROCPRIM_400000_NS6detail17trampoline_kernelINS0_14default_configENS1_22reduce_config_selectorIdEEZNS1_11reduce_implILb1ES3_N6thrust23THRUST_200600_302600_NS17counting_iteratorIdNS8_11hip_rocprim3tagENS8_11use_defaultESC_EEPddNS8_4plusIdEEEE10hipError_tPvRmT1_T2_T3_mT4_P12ihipStream_tbEUlT_E1_NS1_11comp_targetILNS1_3genE3ELNS1_11target_archE908ELNS1_3gpuE7ELNS1_3repE0EEENS1_30default_config_static_selectorELNS0_4arch9wavefront6targetE1EEEvSK_ ; -- Begin function _ZN7rocprim17ROCPRIM_400000_NS6detail17trampoline_kernelINS0_14default_configENS1_22reduce_config_selectorIdEEZNS1_11reduce_implILb1ES3_N6thrust23THRUST_200600_302600_NS17counting_iteratorIdNS8_11hip_rocprim3tagENS8_11use_defaultESC_EEPddNS8_4plusIdEEEE10hipError_tPvRmT1_T2_T3_mT4_P12ihipStream_tbEUlT_E1_NS1_11comp_targetILNS1_3genE3ELNS1_11target_archE908ELNS1_3gpuE7ELNS1_3repE0EEENS1_30default_config_static_selectorELNS0_4arch9wavefront6targetE1EEEvSK_
	.globl	_ZN7rocprim17ROCPRIM_400000_NS6detail17trampoline_kernelINS0_14default_configENS1_22reduce_config_selectorIdEEZNS1_11reduce_implILb1ES3_N6thrust23THRUST_200600_302600_NS17counting_iteratorIdNS8_11hip_rocprim3tagENS8_11use_defaultESC_EEPddNS8_4plusIdEEEE10hipError_tPvRmT1_T2_T3_mT4_P12ihipStream_tbEUlT_E1_NS1_11comp_targetILNS1_3genE3ELNS1_11target_archE908ELNS1_3gpuE7ELNS1_3repE0EEENS1_30default_config_static_selectorELNS0_4arch9wavefront6targetE1EEEvSK_
	.p2align	8
	.type	_ZN7rocprim17ROCPRIM_400000_NS6detail17trampoline_kernelINS0_14default_configENS1_22reduce_config_selectorIdEEZNS1_11reduce_implILb1ES3_N6thrust23THRUST_200600_302600_NS17counting_iteratorIdNS8_11hip_rocprim3tagENS8_11use_defaultESC_EEPddNS8_4plusIdEEEE10hipError_tPvRmT1_T2_T3_mT4_P12ihipStream_tbEUlT_E1_NS1_11comp_targetILNS1_3genE3ELNS1_11target_archE908ELNS1_3gpuE7ELNS1_3repE0EEENS1_30default_config_static_selectorELNS0_4arch9wavefront6targetE1EEEvSK_,@function
_ZN7rocprim17ROCPRIM_400000_NS6detail17trampoline_kernelINS0_14default_configENS1_22reduce_config_selectorIdEEZNS1_11reduce_implILb1ES3_N6thrust23THRUST_200600_302600_NS17counting_iteratorIdNS8_11hip_rocprim3tagENS8_11use_defaultESC_EEPddNS8_4plusIdEEEE10hipError_tPvRmT1_T2_T3_mT4_P12ihipStream_tbEUlT_E1_NS1_11comp_targetILNS1_3genE3ELNS1_11target_archE908ELNS1_3gpuE7ELNS1_3repE0EEENS1_30default_config_static_selectorELNS0_4arch9wavefront6targetE1EEEvSK_: ; @_ZN7rocprim17ROCPRIM_400000_NS6detail17trampoline_kernelINS0_14default_configENS1_22reduce_config_selectorIdEEZNS1_11reduce_implILb1ES3_N6thrust23THRUST_200600_302600_NS17counting_iteratorIdNS8_11hip_rocprim3tagENS8_11use_defaultESC_EEPddNS8_4plusIdEEEE10hipError_tPvRmT1_T2_T3_mT4_P12ihipStream_tbEUlT_E1_NS1_11comp_targetILNS1_3genE3ELNS1_11target_archE908ELNS1_3gpuE7ELNS1_3repE0EEENS1_30default_config_static_selectorELNS0_4arch9wavefront6targetE1EEEvSK_
; %bb.0:
	.section	.rodata,"a",@progbits
	.p2align	6, 0x0
	.amdhsa_kernel _ZN7rocprim17ROCPRIM_400000_NS6detail17trampoline_kernelINS0_14default_configENS1_22reduce_config_selectorIdEEZNS1_11reduce_implILb1ES3_N6thrust23THRUST_200600_302600_NS17counting_iteratorIdNS8_11hip_rocprim3tagENS8_11use_defaultESC_EEPddNS8_4plusIdEEEE10hipError_tPvRmT1_T2_T3_mT4_P12ihipStream_tbEUlT_E1_NS1_11comp_targetILNS1_3genE3ELNS1_11target_archE908ELNS1_3gpuE7ELNS1_3repE0EEENS1_30default_config_static_selectorELNS0_4arch9wavefront6targetE1EEEvSK_
		.amdhsa_group_segment_fixed_size 0
		.amdhsa_private_segment_fixed_size 0
		.amdhsa_kernarg_size 48
		.amdhsa_user_sgpr_count 2
		.amdhsa_user_sgpr_dispatch_ptr 0
		.amdhsa_user_sgpr_queue_ptr 0
		.amdhsa_user_sgpr_kernarg_segment_ptr 1
		.amdhsa_user_sgpr_dispatch_id 0
		.amdhsa_user_sgpr_kernarg_preload_length 0
		.amdhsa_user_sgpr_kernarg_preload_offset 0
		.amdhsa_user_sgpr_private_segment_size 0
		.amdhsa_uses_dynamic_stack 0
		.amdhsa_enable_private_segment 0
		.amdhsa_system_sgpr_workgroup_id_x 1
		.amdhsa_system_sgpr_workgroup_id_y 0
		.amdhsa_system_sgpr_workgroup_id_z 0
		.amdhsa_system_sgpr_workgroup_info 0
		.amdhsa_system_vgpr_workitem_id 0
		.amdhsa_next_free_vgpr 1
		.amdhsa_next_free_sgpr 0
		.amdhsa_accum_offset 4
		.amdhsa_reserve_vcc 0
		.amdhsa_float_round_mode_32 0
		.amdhsa_float_round_mode_16_64 0
		.amdhsa_float_denorm_mode_32 3
		.amdhsa_float_denorm_mode_16_64 3
		.amdhsa_dx10_clamp 1
		.amdhsa_ieee_mode 1
		.amdhsa_fp16_overflow 0
		.amdhsa_tg_split 0
		.amdhsa_exception_fp_ieee_invalid_op 0
		.amdhsa_exception_fp_denorm_src 0
		.amdhsa_exception_fp_ieee_div_zero 0
		.amdhsa_exception_fp_ieee_overflow 0
		.amdhsa_exception_fp_ieee_underflow 0
		.amdhsa_exception_fp_ieee_inexact 0
		.amdhsa_exception_int_div_zero 0
	.end_amdhsa_kernel
	.section	.text._ZN7rocprim17ROCPRIM_400000_NS6detail17trampoline_kernelINS0_14default_configENS1_22reduce_config_selectorIdEEZNS1_11reduce_implILb1ES3_N6thrust23THRUST_200600_302600_NS17counting_iteratorIdNS8_11hip_rocprim3tagENS8_11use_defaultESC_EEPddNS8_4plusIdEEEE10hipError_tPvRmT1_T2_T3_mT4_P12ihipStream_tbEUlT_E1_NS1_11comp_targetILNS1_3genE3ELNS1_11target_archE908ELNS1_3gpuE7ELNS1_3repE0EEENS1_30default_config_static_selectorELNS0_4arch9wavefront6targetE1EEEvSK_,"axG",@progbits,_ZN7rocprim17ROCPRIM_400000_NS6detail17trampoline_kernelINS0_14default_configENS1_22reduce_config_selectorIdEEZNS1_11reduce_implILb1ES3_N6thrust23THRUST_200600_302600_NS17counting_iteratorIdNS8_11hip_rocprim3tagENS8_11use_defaultESC_EEPddNS8_4plusIdEEEE10hipError_tPvRmT1_T2_T3_mT4_P12ihipStream_tbEUlT_E1_NS1_11comp_targetILNS1_3genE3ELNS1_11target_archE908ELNS1_3gpuE7ELNS1_3repE0EEENS1_30default_config_static_selectorELNS0_4arch9wavefront6targetE1EEEvSK_,comdat
.Lfunc_end995:
	.size	_ZN7rocprim17ROCPRIM_400000_NS6detail17trampoline_kernelINS0_14default_configENS1_22reduce_config_selectorIdEEZNS1_11reduce_implILb1ES3_N6thrust23THRUST_200600_302600_NS17counting_iteratorIdNS8_11hip_rocprim3tagENS8_11use_defaultESC_EEPddNS8_4plusIdEEEE10hipError_tPvRmT1_T2_T3_mT4_P12ihipStream_tbEUlT_E1_NS1_11comp_targetILNS1_3genE3ELNS1_11target_archE908ELNS1_3gpuE7ELNS1_3repE0EEENS1_30default_config_static_selectorELNS0_4arch9wavefront6targetE1EEEvSK_, .Lfunc_end995-_ZN7rocprim17ROCPRIM_400000_NS6detail17trampoline_kernelINS0_14default_configENS1_22reduce_config_selectorIdEEZNS1_11reduce_implILb1ES3_N6thrust23THRUST_200600_302600_NS17counting_iteratorIdNS8_11hip_rocprim3tagENS8_11use_defaultESC_EEPddNS8_4plusIdEEEE10hipError_tPvRmT1_T2_T3_mT4_P12ihipStream_tbEUlT_E1_NS1_11comp_targetILNS1_3genE3ELNS1_11target_archE908ELNS1_3gpuE7ELNS1_3repE0EEENS1_30default_config_static_selectorELNS0_4arch9wavefront6targetE1EEEvSK_
                                        ; -- End function
	.set _ZN7rocprim17ROCPRIM_400000_NS6detail17trampoline_kernelINS0_14default_configENS1_22reduce_config_selectorIdEEZNS1_11reduce_implILb1ES3_N6thrust23THRUST_200600_302600_NS17counting_iteratorIdNS8_11hip_rocprim3tagENS8_11use_defaultESC_EEPddNS8_4plusIdEEEE10hipError_tPvRmT1_T2_T3_mT4_P12ihipStream_tbEUlT_E1_NS1_11comp_targetILNS1_3genE3ELNS1_11target_archE908ELNS1_3gpuE7ELNS1_3repE0EEENS1_30default_config_static_selectorELNS0_4arch9wavefront6targetE1EEEvSK_.num_vgpr, 0
	.set _ZN7rocprim17ROCPRIM_400000_NS6detail17trampoline_kernelINS0_14default_configENS1_22reduce_config_selectorIdEEZNS1_11reduce_implILb1ES3_N6thrust23THRUST_200600_302600_NS17counting_iteratorIdNS8_11hip_rocprim3tagENS8_11use_defaultESC_EEPddNS8_4plusIdEEEE10hipError_tPvRmT1_T2_T3_mT4_P12ihipStream_tbEUlT_E1_NS1_11comp_targetILNS1_3genE3ELNS1_11target_archE908ELNS1_3gpuE7ELNS1_3repE0EEENS1_30default_config_static_selectorELNS0_4arch9wavefront6targetE1EEEvSK_.num_agpr, 0
	.set _ZN7rocprim17ROCPRIM_400000_NS6detail17trampoline_kernelINS0_14default_configENS1_22reduce_config_selectorIdEEZNS1_11reduce_implILb1ES3_N6thrust23THRUST_200600_302600_NS17counting_iteratorIdNS8_11hip_rocprim3tagENS8_11use_defaultESC_EEPddNS8_4plusIdEEEE10hipError_tPvRmT1_T2_T3_mT4_P12ihipStream_tbEUlT_E1_NS1_11comp_targetILNS1_3genE3ELNS1_11target_archE908ELNS1_3gpuE7ELNS1_3repE0EEENS1_30default_config_static_selectorELNS0_4arch9wavefront6targetE1EEEvSK_.numbered_sgpr, 0
	.set _ZN7rocprim17ROCPRIM_400000_NS6detail17trampoline_kernelINS0_14default_configENS1_22reduce_config_selectorIdEEZNS1_11reduce_implILb1ES3_N6thrust23THRUST_200600_302600_NS17counting_iteratorIdNS8_11hip_rocprim3tagENS8_11use_defaultESC_EEPddNS8_4plusIdEEEE10hipError_tPvRmT1_T2_T3_mT4_P12ihipStream_tbEUlT_E1_NS1_11comp_targetILNS1_3genE3ELNS1_11target_archE908ELNS1_3gpuE7ELNS1_3repE0EEENS1_30default_config_static_selectorELNS0_4arch9wavefront6targetE1EEEvSK_.num_named_barrier, 0
	.set _ZN7rocprim17ROCPRIM_400000_NS6detail17trampoline_kernelINS0_14default_configENS1_22reduce_config_selectorIdEEZNS1_11reduce_implILb1ES3_N6thrust23THRUST_200600_302600_NS17counting_iteratorIdNS8_11hip_rocprim3tagENS8_11use_defaultESC_EEPddNS8_4plusIdEEEE10hipError_tPvRmT1_T2_T3_mT4_P12ihipStream_tbEUlT_E1_NS1_11comp_targetILNS1_3genE3ELNS1_11target_archE908ELNS1_3gpuE7ELNS1_3repE0EEENS1_30default_config_static_selectorELNS0_4arch9wavefront6targetE1EEEvSK_.private_seg_size, 0
	.set _ZN7rocprim17ROCPRIM_400000_NS6detail17trampoline_kernelINS0_14default_configENS1_22reduce_config_selectorIdEEZNS1_11reduce_implILb1ES3_N6thrust23THRUST_200600_302600_NS17counting_iteratorIdNS8_11hip_rocprim3tagENS8_11use_defaultESC_EEPddNS8_4plusIdEEEE10hipError_tPvRmT1_T2_T3_mT4_P12ihipStream_tbEUlT_E1_NS1_11comp_targetILNS1_3genE3ELNS1_11target_archE908ELNS1_3gpuE7ELNS1_3repE0EEENS1_30default_config_static_selectorELNS0_4arch9wavefront6targetE1EEEvSK_.uses_vcc, 0
	.set _ZN7rocprim17ROCPRIM_400000_NS6detail17trampoline_kernelINS0_14default_configENS1_22reduce_config_selectorIdEEZNS1_11reduce_implILb1ES3_N6thrust23THRUST_200600_302600_NS17counting_iteratorIdNS8_11hip_rocprim3tagENS8_11use_defaultESC_EEPddNS8_4plusIdEEEE10hipError_tPvRmT1_T2_T3_mT4_P12ihipStream_tbEUlT_E1_NS1_11comp_targetILNS1_3genE3ELNS1_11target_archE908ELNS1_3gpuE7ELNS1_3repE0EEENS1_30default_config_static_selectorELNS0_4arch9wavefront6targetE1EEEvSK_.uses_flat_scratch, 0
	.set _ZN7rocprim17ROCPRIM_400000_NS6detail17trampoline_kernelINS0_14default_configENS1_22reduce_config_selectorIdEEZNS1_11reduce_implILb1ES3_N6thrust23THRUST_200600_302600_NS17counting_iteratorIdNS8_11hip_rocprim3tagENS8_11use_defaultESC_EEPddNS8_4plusIdEEEE10hipError_tPvRmT1_T2_T3_mT4_P12ihipStream_tbEUlT_E1_NS1_11comp_targetILNS1_3genE3ELNS1_11target_archE908ELNS1_3gpuE7ELNS1_3repE0EEENS1_30default_config_static_selectorELNS0_4arch9wavefront6targetE1EEEvSK_.has_dyn_sized_stack, 0
	.set _ZN7rocprim17ROCPRIM_400000_NS6detail17trampoline_kernelINS0_14default_configENS1_22reduce_config_selectorIdEEZNS1_11reduce_implILb1ES3_N6thrust23THRUST_200600_302600_NS17counting_iteratorIdNS8_11hip_rocprim3tagENS8_11use_defaultESC_EEPddNS8_4plusIdEEEE10hipError_tPvRmT1_T2_T3_mT4_P12ihipStream_tbEUlT_E1_NS1_11comp_targetILNS1_3genE3ELNS1_11target_archE908ELNS1_3gpuE7ELNS1_3repE0EEENS1_30default_config_static_selectorELNS0_4arch9wavefront6targetE1EEEvSK_.has_recursion, 0
	.set _ZN7rocprim17ROCPRIM_400000_NS6detail17trampoline_kernelINS0_14default_configENS1_22reduce_config_selectorIdEEZNS1_11reduce_implILb1ES3_N6thrust23THRUST_200600_302600_NS17counting_iteratorIdNS8_11hip_rocprim3tagENS8_11use_defaultESC_EEPddNS8_4plusIdEEEE10hipError_tPvRmT1_T2_T3_mT4_P12ihipStream_tbEUlT_E1_NS1_11comp_targetILNS1_3genE3ELNS1_11target_archE908ELNS1_3gpuE7ELNS1_3repE0EEENS1_30default_config_static_selectorELNS0_4arch9wavefront6targetE1EEEvSK_.has_indirect_call, 0
	.section	.AMDGPU.csdata,"",@progbits
; Kernel info:
; codeLenInByte = 0
; TotalNumSgprs: 6
; NumVgprs: 0
; NumAgprs: 0
; TotalNumVgprs: 0
; ScratchSize: 0
; MemoryBound: 0
; FloatMode: 240
; IeeeMode: 1
; LDSByteSize: 0 bytes/workgroup (compile time only)
; SGPRBlocks: 0
; VGPRBlocks: 0
; NumSGPRsForWavesPerEU: 6
; NumVGPRsForWavesPerEU: 1
; AccumOffset: 4
; Occupancy: 8
; WaveLimiterHint : 0
; COMPUTE_PGM_RSRC2:SCRATCH_EN: 0
; COMPUTE_PGM_RSRC2:USER_SGPR: 2
; COMPUTE_PGM_RSRC2:TRAP_HANDLER: 0
; COMPUTE_PGM_RSRC2:TGID_X_EN: 1
; COMPUTE_PGM_RSRC2:TGID_Y_EN: 0
; COMPUTE_PGM_RSRC2:TGID_Z_EN: 0
; COMPUTE_PGM_RSRC2:TIDIG_COMP_CNT: 0
; COMPUTE_PGM_RSRC3_GFX90A:ACCUM_OFFSET: 0
; COMPUTE_PGM_RSRC3_GFX90A:TG_SPLIT: 0
	.section	.text._ZN7rocprim17ROCPRIM_400000_NS6detail17trampoline_kernelINS0_14default_configENS1_22reduce_config_selectorIdEEZNS1_11reduce_implILb1ES3_N6thrust23THRUST_200600_302600_NS17counting_iteratorIdNS8_11hip_rocprim3tagENS8_11use_defaultESC_EEPddNS8_4plusIdEEEE10hipError_tPvRmT1_T2_T3_mT4_P12ihipStream_tbEUlT_E1_NS1_11comp_targetILNS1_3genE2ELNS1_11target_archE906ELNS1_3gpuE6ELNS1_3repE0EEENS1_30default_config_static_selectorELNS0_4arch9wavefront6targetE1EEEvSK_,"axG",@progbits,_ZN7rocprim17ROCPRIM_400000_NS6detail17trampoline_kernelINS0_14default_configENS1_22reduce_config_selectorIdEEZNS1_11reduce_implILb1ES3_N6thrust23THRUST_200600_302600_NS17counting_iteratorIdNS8_11hip_rocprim3tagENS8_11use_defaultESC_EEPddNS8_4plusIdEEEE10hipError_tPvRmT1_T2_T3_mT4_P12ihipStream_tbEUlT_E1_NS1_11comp_targetILNS1_3genE2ELNS1_11target_archE906ELNS1_3gpuE6ELNS1_3repE0EEENS1_30default_config_static_selectorELNS0_4arch9wavefront6targetE1EEEvSK_,comdat
	.protected	_ZN7rocprim17ROCPRIM_400000_NS6detail17trampoline_kernelINS0_14default_configENS1_22reduce_config_selectorIdEEZNS1_11reduce_implILb1ES3_N6thrust23THRUST_200600_302600_NS17counting_iteratorIdNS8_11hip_rocprim3tagENS8_11use_defaultESC_EEPddNS8_4plusIdEEEE10hipError_tPvRmT1_T2_T3_mT4_P12ihipStream_tbEUlT_E1_NS1_11comp_targetILNS1_3genE2ELNS1_11target_archE906ELNS1_3gpuE6ELNS1_3repE0EEENS1_30default_config_static_selectorELNS0_4arch9wavefront6targetE1EEEvSK_ ; -- Begin function _ZN7rocprim17ROCPRIM_400000_NS6detail17trampoline_kernelINS0_14default_configENS1_22reduce_config_selectorIdEEZNS1_11reduce_implILb1ES3_N6thrust23THRUST_200600_302600_NS17counting_iteratorIdNS8_11hip_rocprim3tagENS8_11use_defaultESC_EEPddNS8_4plusIdEEEE10hipError_tPvRmT1_T2_T3_mT4_P12ihipStream_tbEUlT_E1_NS1_11comp_targetILNS1_3genE2ELNS1_11target_archE906ELNS1_3gpuE6ELNS1_3repE0EEENS1_30default_config_static_selectorELNS0_4arch9wavefront6targetE1EEEvSK_
	.globl	_ZN7rocprim17ROCPRIM_400000_NS6detail17trampoline_kernelINS0_14default_configENS1_22reduce_config_selectorIdEEZNS1_11reduce_implILb1ES3_N6thrust23THRUST_200600_302600_NS17counting_iteratorIdNS8_11hip_rocprim3tagENS8_11use_defaultESC_EEPddNS8_4plusIdEEEE10hipError_tPvRmT1_T2_T3_mT4_P12ihipStream_tbEUlT_E1_NS1_11comp_targetILNS1_3genE2ELNS1_11target_archE906ELNS1_3gpuE6ELNS1_3repE0EEENS1_30default_config_static_selectorELNS0_4arch9wavefront6targetE1EEEvSK_
	.p2align	8
	.type	_ZN7rocprim17ROCPRIM_400000_NS6detail17trampoline_kernelINS0_14default_configENS1_22reduce_config_selectorIdEEZNS1_11reduce_implILb1ES3_N6thrust23THRUST_200600_302600_NS17counting_iteratorIdNS8_11hip_rocprim3tagENS8_11use_defaultESC_EEPddNS8_4plusIdEEEE10hipError_tPvRmT1_T2_T3_mT4_P12ihipStream_tbEUlT_E1_NS1_11comp_targetILNS1_3genE2ELNS1_11target_archE906ELNS1_3gpuE6ELNS1_3repE0EEENS1_30default_config_static_selectorELNS0_4arch9wavefront6targetE1EEEvSK_,@function
_ZN7rocprim17ROCPRIM_400000_NS6detail17trampoline_kernelINS0_14default_configENS1_22reduce_config_selectorIdEEZNS1_11reduce_implILb1ES3_N6thrust23THRUST_200600_302600_NS17counting_iteratorIdNS8_11hip_rocprim3tagENS8_11use_defaultESC_EEPddNS8_4plusIdEEEE10hipError_tPvRmT1_T2_T3_mT4_P12ihipStream_tbEUlT_E1_NS1_11comp_targetILNS1_3genE2ELNS1_11target_archE906ELNS1_3gpuE6ELNS1_3repE0EEENS1_30default_config_static_selectorELNS0_4arch9wavefront6targetE1EEEvSK_: ; @_ZN7rocprim17ROCPRIM_400000_NS6detail17trampoline_kernelINS0_14default_configENS1_22reduce_config_selectorIdEEZNS1_11reduce_implILb1ES3_N6thrust23THRUST_200600_302600_NS17counting_iteratorIdNS8_11hip_rocprim3tagENS8_11use_defaultESC_EEPddNS8_4plusIdEEEE10hipError_tPvRmT1_T2_T3_mT4_P12ihipStream_tbEUlT_E1_NS1_11comp_targetILNS1_3genE2ELNS1_11target_archE906ELNS1_3gpuE6ELNS1_3repE0EEENS1_30default_config_static_selectorELNS0_4arch9wavefront6targetE1EEEvSK_
; %bb.0:
	.section	.rodata,"a",@progbits
	.p2align	6, 0x0
	.amdhsa_kernel _ZN7rocprim17ROCPRIM_400000_NS6detail17trampoline_kernelINS0_14default_configENS1_22reduce_config_selectorIdEEZNS1_11reduce_implILb1ES3_N6thrust23THRUST_200600_302600_NS17counting_iteratorIdNS8_11hip_rocprim3tagENS8_11use_defaultESC_EEPddNS8_4plusIdEEEE10hipError_tPvRmT1_T2_T3_mT4_P12ihipStream_tbEUlT_E1_NS1_11comp_targetILNS1_3genE2ELNS1_11target_archE906ELNS1_3gpuE6ELNS1_3repE0EEENS1_30default_config_static_selectorELNS0_4arch9wavefront6targetE1EEEvSK_
		.amdhsa_group_segment_fixed_size 0
		.amdhsa_private_segment_fixed_size 0
		.amdhsa_kernarg_size 48
		.amdhsa_user_sgpr_count 2
		.amdhsa_user_sgpr_dispatch_ptr 0
		.amdhsa_user_sgpr_queue_ptr 0
		.amdhsa_user_sgpr_kernarg_segment_ptr 1
		.amdhsa_user_sgpr_dispatch_id 0
		.amdhsa_user_sgpr_kernarg_preload_length 0
		.amdhsa_user_sgpr_kernarg_preload_offset 0
		.amdhsa_user_sgpr_private_segment_size 0
		.amdhsa_uses_dynamic_stack 0
		.amdhsa_enable_private_segment 0
		.amdhsa_system_sgpr_workgroup_id_x 1
		.amdhsa_system_sgpr_workgroup_id_y 0
		.amdhsa_system_sgpr_workgroup_id_z 0
		.amdhsa_system_sgpr_workgroup_info 0
		.amdhsa_system_vgpr_workitem_id 0
		.amdhsa_next_free_vgpr 1
		.amdhsa_next_free_sgpr 0
		.amdhsa_accum_offset 4
		.amdhsa_reserve_vcc 0
		.amdhsa_float_round_mode_32 0
		.amdhsa_float_round_mode_16_64 0
		.amdhsa_float_denorm_mode_32 3
		.amdhsa_float_denorm_mode_16_64 3
		.amdhsa_dx10_clamp 1
		.amdhsa_ieee_mode 1
		.amdhsa_fp16_overflow 0
		.amdhsa_tg_split 0
		.amdhsa_exception_fp_ieee_invalid_op 0
		.amdhsa_exception_fp_denorm_src 0
		.amdhsa_exception_fp_ieee_div_zero 0
		.amdhsa_exception_fp_ieee_overflow 0
		.amdhsa_exception_fp_ieee_underflow 0
		.amdhsa_exception_fp_ieee_inexact 0
		.amdhsa_exception_int_div_zero 0
	.end_amdhsa_kernel
	.section	.text._ZN7rocprim17ROCPRIM_400000_NS6detail17trampoline_kernelINS0_14default_configENS1_22reduce_config_selectorIdEEZNS1_11reduce_implILb1ES3_N6thrust23THRUST_200600_302600_NS17counting_iteratorIdNS8_11hip_rocprim3tagENS8_11use_defaultESC_EEPddNS8_4plusIdEEEE10hipError_tPvRmT1_T2_T3_mT4_P12ihipStream_tbEUlT_E1_NS1_11comp_targetILNS1_3genE2ELNS1_11target_archE906ELNS1_3gpuE6ELNS1_3repE0EEENS1_30default_config_static_selectorELNS0_4arch9wavefront6targetE1EEEvSK_,"axG",@progbits,_ZN7rocprim17ROCPRIM_400000_NS6detail17trampoline_kernelINS0_14default_configENS1_22reduce_config_selectorIdEEZNS1_11reduce_implILb1ES3_N6thrust23THRUST_200600_302600_NS17counting_iteratorIdNS8_11hip_rocprim3tagENS8_11use_defaultESC_EEPddNS8_4plusIdEEEE10hipError_tPvRmT1_T2_T3_mT4_P12ihipStream_tbEUlT_E1_NS1_11comp_targetILNS1_3genE2ELNS1_11target_archE906ELNS1_3gpuE6ELNS1_3repE0EEENS1_30default_config_static_selectorELNS0_4arch9wavefront6targetE1EEEvSK_,comdat
.Lfunc_end996:
	.size	_ZN7rocprim17ROCPRIM_400000_NS6detail17trampoline_kernelINS0_14default_configENS1_22reduce_config_selectorIdEEZNS1_11reduce_implILb1ES3_N6thrust23THRUST_200600_302600_NS17counting_iteratorIdNS8_11hip_rocprim3tagENS8_11use_defaultESC_EEPddNS8_4plusIdEEEE10hipError_tPvRmT1_T2_T3_mT4_P12ihipStream_tbEUlT_E1_NS1_11comp_targetILNS1_3genE2ELNS1_11target_archE906ELNS1_3gpuE6ELNS1_3repE0EEENS1_30default_config_static_selectorELNS0_4arch9wavefront6targetE1EEEvSK_, .Lfunc_end996-_ZN7rocprim17ROCPRIM_400000_NS6detail17trampoline_kernelINS0_14default_configENS1_22reduce_config_selectorIdEEZNS1_11reduce_implILb1ES3_N6thrust23THRUST_200600_302600_NS17counting_iteratorIdNS8_11hip_rocprim3tagENS8_11use_defaultESC_EEPddNS8_4plusIdEEEE10hipError_tPvRmT1_T2_T3_mT4_P12ihipStream_tbEUlT_E1_NS1_11comp_targetILNS1_3genE2ELNS1_11target_archE906ELNS1_3gpuE6ELNS1_3repE0EEENS1_30default_config_static_selectorELNS0_4arch9wavefront6targetE1EEEvSK_
                                        ; -- End function
	.set _ZN7rocprim17ROCPRIM_400000_NS6detail17trampoline_kernelINS0_14default_configENS1_22reduce_config_selectorIdEEZNS1_11reduce_implILb1ES3_N6thrust23THRUST_200600_302600_NS17counting_iteratorIdNS8_11hip_rocprim3tagENS8_11use_defaultESC_EEPddNS8_4plusIdEEEE10hipError_tPvRmT1_T2_T3_mT4_P12ihipStream_tbEUlT_E1_NS1_11comp_targetILNS1_3genE2ELNS1_11target_archE906ELNS1_3gpuE6ELNS1_3repE0EEENS1_30default_config_static_selectorELNS0_4arch9wavefront6targetE1EEEvSK_.num_vgpr, 0
	.set _ZN7rocprim17ROCPRIM_400000_NS6detail17trampoline_kernelINS0_14default_configENS1_22reduce_config_selectorIdEEZNS1_11reduce_implILb1ES3_N6thrust23THRUST_200600_302600_NS17counting_iteratorIdNS8_11hip_rocprim3tagENS8_11use_defaultESC_EEPddNS8_4plusIdEEEE10hipError_tPvRmT1_T2_T3_mT4_P12ihipStream_tbEUlT_E1_NS1_11comp_targetILNS1_3genE2ELNS1_11target_archE906ELNS1_3gpuE6ELNS1_3repE0EEENS1_30default_config_static_selectorELNS0_4arch9wavefront6targetE1EEEvSK_.num_agpr, 0
	.set _ZN7rocprim17ROCPRIM_400000_NS6detail17trampoline_kernelINS0_14default_configENS1_22reduce_config_selectorIdEEZNS1_11reduce_implILb1ES3_N6thrust23THRUST_200600_302600_NS17counting_iteratorIdNS8_11hip_rocprim3tagENS8_11use_defaultESC_EEPddNS8_4plusIdEEEE10hipError_tPvRmT1_T2_T3_mT4_P12ihipStream_tbEUlT_E1_NS1_11comp_targetILNS1_3genE2ELNS1_11target_archE906ELNS1_3gpuE6ELNS1_3repE0EEENS1_30default_config_static_selectorELNS0_4arch9wavefront6targetE1EEEvSK_.numbered_sgpr, 0
	.set _ZN7rocprim17ROCPRIM_400000_NS6detail17trampoline_kernelINS0_14default_configENS1_22reduce_config_selectorIdEEZNS1_11reduce_implILb1ES3_N6thrust23THRUST_200600_302600_NS17counting_iteratorIdNS8_11hip_rocprim3tagENS8_11use_defaultESC_EEPddNS8_4plusIdEEEE10hipError_tPvRmT1_T2_T3_mT4_P12ihipStream_tbEUlT_E1_NS1_11comp_targetILNS1_3genE2ELNS1_11target_archE906ELNS1_3gpuE6ELNS1_3repE0EEENS1_30default_config_static_selectorELNS0_4arch9wavefront6targetE1EEEvSK_.num_named_barrier, 0
	.set _ZN7rocprim17ROCPRIM_400000_NS6detail17trampoline_kernelINS0_14default_configENS1_22reduce_config_selectorIdEEZNS1_11reduce_implILb1ES3_N6thrust23THRUST_200600_302600_NS17counting_iteratorIdNS8_11hip_rocprim3tagENS8_11use_defaultESC_EEPddNS8_4plusIdEEEE10hipError_tPvRmT1_T2_T3_mT4_P12ihipStream_tbEUlT_E1_NS1_11comp_targetILNS1_3genE2ELNS1_11target_archE906ELNS1_3gpuE6ELNS1_3repE0EEENS1_30default_config_static_selectorELNS0_4arch9wavefront6targetE1EEEvSK_.private_seg_size, 0
	.set _ZN7rocprim17ROCPRIM_400000_NS6detail17trampoline_kernelINS0_14default_configENS1_22reduce_config_selectorIdEEZNS1_11reduce_implILb1ES3_N6thrust23THRUST_200600_302600_NS17counting_iteratorIdNS8_11hip_rocprim3tagENS8_11use_defaultESC_EEPddNS8_4plusIdEEEE10hipError_tPvRmT1_T2_T3_mT4_P12ihipStream_tbEUlT_E1_NS1_11comp_targetILNS1_3genE2ELNS1_11target_archE906ELNS1_3gpuE6ELNS1_3repE0EEENS1_30default_config_static_selectorELNS0_4arch9wavefront6targetE1EEEvSK_.uses_vcc, 0
	.set _ZN7rocprim17ROCPRIM_400000_NS6detail17trampoline_kernelINS0_14default_configENS1_22reduce_config_selectorIdEEZNS1_11reduce_implILb1ES3_N6thrust23THRUST_200600_302600_NS17counting_iteratorIdNS8_11hip_rocprim3tagENS8_11use_defaultESC_EEPddNS8_4plusIdEEEE10hipError_tPvRmT1_T2_T3_mT4_P12ihipStream_tbEUlT_E1_NS1_11comp_targetILNS1_3genE2ELNS1_11target_archE906ELNS1_3gpuE6ELNS1_3repE0EEENS1_30default_config_static_selectorELNS0_4arch9wavefront6targetE1EEEvSK_.uses_flat_scratch, 0
	.set _ZN7rocprim17ROCPRIM_400000_NS6detail17trampoline_kernelINS0_14default_configENS1_22reduce_config_selectorIdEEZNS1_11reduce_implILb1ES3_N6thrust23THRUST_200600_302600_NS17counting_iteratorIdNS8_11hip_rocprim3tagENS8_11use_defaultESC_EEPddNS8_4plusIdEEEE10hipError_tPvRmT1_T2_T3_mT4_P12ihipStream_tbEUlT_E1_NS1_11comp_targetILNS1_3genE2ELNS1_11target_archE906ELNS1_3gpuE6ELNS1_3repE0EEENS1_30default_config_static_selectorELNS0_4arch9wavefront6targetE1EEEvSK_.has_dyn_sized_stack, 0
	.set _ZN7rocprim17ROCPRIM_400000_NS6detail17trampoline_kernelINS0_14default_configENS1_22reduce_config_selectorIdEEZNS1_11reduce_implILb1ES3_N6thrust23THRUST_200600_302600_NS17counting_iteratorIdNS8_11hip_rocprim3tagENS8_11use_defaultESC_EEPddNS8_4plusIdEEEE10hipError_tPvRmT1_T2_T3_mT4_P12ihipStream_tbEUlT_E1_NS1_11comp_targetILNS1_3genE2ELNS1_11target_archE906ELNS1_3gpuE6ELNS1_3repE0EEENS1_30default_config_static_selectorELNS0_4arch9wavefront6targetE1EEEvSK_.has_recursion, 0
	.set _ZN7rocprim17ROCPRIM_400000_NS6detail17trampoline_kernelINS0_14default_configENS1_22reduce_config_selectorIdEEZNS1_11reduce_implILb1ES3_N6thrust23THRUST_200600_302600_NS17counting_iteratorIdNS8_11hip_rocprim3tagENS8_11use_defaultESC_EEPddNS8_4plusIdEEEE10hipError_tPvRmT1_T2_T3_mT4_P12ihipStream_tbEUlT_E1_NS1_11comp_targetILNS1_3genE2ELNS1_11target_archE906ELNS1_3gpuE6ELNS1_3repE0EEENS1_30default_config_static_selectorELNS0_4arch9wavefront6targetE1EEEvSK_.has_indirect_call, 0
	.section	.AMDGPU.csdata,"",@progbits
; Kernel info:
; codeLenInByte = 0
; TotalNumSgprs: 6
; NumVgprs: 0
; NumAgprs: 0
; TotalNumVgprs: 0
; ScratchSize: 0
; MemoryBound: 0
; FloatMode: 240
; IeeeMode: 1
; LDSByteSize: 0 bytes/workgroup (compile time only)
; SGPRBlocks: 0
; VGPRBlocks: 0
; NumSGPRsForWavesPerEU: 6
; NumVGPRsForWavesPerEU: 1
; AccumOffset: 4
; Occupancy: 8
; WaveLimiterHint : 0
; COMPUTE_PGM_RSRC2:SCRATCH_EN: 0
; COMPUTE_PGM_RSRC2:USER_SGPR: 2
; COMPUTE_PGM_RSRC2:TRAP_HANDLER: 0
; COMPUTE_PGM_RSRC2:TGID_X_EN: 1
; COMPUTE_PGM_RSRC2:TGID_Y_EN: 0
; COMPUTE_PGM_RSRC2:TGID_Z_EN: 0
; COMPUTE_PGM_RSRC2:TIDIG_COMP_CNT: 0
; COMPUTE_PGM_RSRC3_GFX90A:ACCUM_OFFSET: 0
; COMPUTE_PGM_RSRC3_GFX90A:TG_SPLIT: 0
	.section	.text._ZN7rocprim17ROCPRIM_400000_NS6detail17trampoline_kernelINS0_14default_configENS1_22reduce_config_selectorIdEEZNS1_11reduce_implILb1ES3_N6thrust23THRUST_200600_302600_NS17counting_iteratorIdNS8_11hip_rocprim3tagENS8_11use_defaultESC_EEPddNS8_4plusIdEEEE10hipError_tPvRmT1_T2_T3_mT4_P12ihipStream_tbEUlT_E1_NS1_11comp_targetILNS1_3genE10ELNS1_11target_archE1201ELNS1_3gpuE5ELNS1_3repE0EEENS1_30default_config_static_selectorELNS0_4arch9wavefront6targetE1EEEvSK_,"axG",@progbits,_ZN7rocprim17ROCPRIM_400000_NS6detail17trampoline_kernelINS0_14default_configENS1_22reduce_config_selectorIdEEZNS1_11reduce_implILb1ES3_N6thrust23THRUST_200600_302600_NS17counting_iteratorIdNS8_11hip_rocprim3tagENS8_11use_defaultESC_EEPddNS8_4plusIdEEEE10hipError_tPvRmT1_T2_T3_mT4_P12ihipStream_tbEUlT_E1_NS1_11comp_targetILNS1_3genE10ELNS1_11target_archE1201ELNS1_3gpuE5ELNS1_3repE0EEENS1_30default_config_static_selectorELNS0_4arch9wavefront6targetE1EEEvSK_,comdat
	.protected	_ZN7rocprim17ROCPRIM_400000_NS6detail17trampoline_kernelINS0_14default_configENS1_22reduce_config_selectorIdEEZNS1_11reduce_implILb1ES3_N6thrust23THRUST_200600_302600_NS17counting_iteratorIdNS8_11hip_rocprim3tagENS8_11use_defaultESC_EEPddNS8_4plusIdEEEE10hipError_tPvRmT1_T2_T3_mT4_P12ihipStream_tbEUlT_E1_NS1_11comp_targetILNS1_3genE10ELNS1_11target_archE1201ELNS1_3gpuE5ELNS1_3repE0EEENS1_30default_config_static_selectorELNS0_4arch9wavefront6targetE1EEEvSK_ ; -- Begin function _ZN7rocprim17ROCPRIM_400000_NS6detail17trampoline_kernelINS0_14default_configENS1_22reduce_config_selectorIdEEZNS1_11reduce_implILb1ES3_N6thrust23THRUST_200600_302600_NS17counting_iteratorIdNS8_11hip_rocprim3tagENS8_11use_defaultESC_EEPddNS8_4plusIdEEEE10hipError_tPvRmT1_T2_T3_mT4_P12ihipStream_tbEUlT_E1_NS1_11comp_targetILNS1_3genE10ELNS1_11target_archE1201ELNS1_3gpuE5ELNS1_3repE0EEENS1_30default_config_static_selectorELNS0_4arch9wavefront6targetE1EEEvSK_
	.globl	_ZN7rocprim17ROCPRIM_400000_NS6detail17trampoline_kernelINS0_14default_configENS1_22reduce_config_selectorIdEEZNS1_11reduce_implILb1ES3_N6thrust23THRUST_200600_302600_NS17counting_iteratorIdNS8_11hip_rocprim3tagENS8_11use_defaultESC_EEPddNS8_4plusIdEEEE10hipError_tPvRmT1_T2_T3_mT4_P12ihipStream_tbEUlT_E1_NS1_11comp_targetILNS1_3genE10ELNS1_11target_archE1201ELNS1_3gpuE5ELNS1_3repE0EEENS1_30default_config_static_selectorELNS0_4arch9wavefront6targetE1EEEvSK_
	.p2align	8
	.type	_ZN7rocprim17ROCPRIM_400000_NS6detail17trampoline_kernelINS0_14default_configENS1_22reduce_config_selectorIdEEZNS1_11reduce_implILb1ES3_N6thrust23THRUST_200600_302600_NS17counting_iteratorIdNS8_11hip_rocprim3tagENS8_11use_defaultESC_EEPddNS8_4plusIdEEEE10hipError_tPvRmT1_T2_T3_mT4_P12ihipStream_tbEUlT_E1_NS1_11comp_targetILNS1_3genE10ELNS1_11target_archE1201ELNS1_3gpuE5ELNS1_3repE0EEENS1_30default_config_static_selectorELNS0_4arch9wavefront6targetE1EEEvSK_,@function
_ZN7rocprim17ROCPRIM_400000_NS6detail17trampoline_kernelINS0_14default_configENS1_22reduce_config_selectorIdEEZNS1_11reduce_implILb1ES3_N6thrust23THRUST_200600_302600_NS17counting_iteratorIdNS8_11hip_rocprim3tagENS8_11use_defaultESC_EEPddNS8_4plusIdEEEE10hipError_tPvRmT1_T2_T3_mT4_P12ihipStream_tbEUlT_E1_NS1_11comp_targetILNS1_3genE10ELNS1_11target_archE1201ELNS1_3gpuE5ELNS1_3repE0EEENS1_30default_config_static_selectorELNS0_4arch9wavefront6targetE1EEEvSK_: ; @_ZN7rocprim17ROCPRIM_400000_NS6detail17trampoline_kernelINS0_14default_configENS1_22reduce_config_selectorIdEEZNS1_11reduce_implILb1ES3_N6thrust23THRUST_200600_302600_NS17counting_iteratorIdNS8_11hip_rocprim3tagENS8_11use_defaultESC_EEPddNS8_4plusIdEEEE10hipError_tPvRmT1_T2_T3_mT4_P12ihipStream_tbEUlT_E1_NS1_11comp_targetILNS1_3genE10ELNS1_11target_archE1201ELNS1_3gpuE5ELNS1_3repE0EEENS1_30default_config_static_selectorELNS0_4arch9wavefront6targetE1EEEvSK_
; %bb.0:
	.section	.rodata,"a",@progbits
	.p2align	6, 0x0
	.amdhsa_kernel _ZN7rocprim17ROCPRIM_400000_NS6detail17trampoline_kernelINS0_14default_configENS1_22reduce_config_selectorIdEEZNS1_11reduce_implILb1ES3_N6thrust23THRUST_200600_302600_NS17counting_iteratorIdNS8_11hip_rocprim3tagENS8_11use_defaultESC_EEPddNS8_4plusIdEEEE10hipError_tPvRmT1_T2_T3_mT4_P12ihipStream_tbEUlT_E1_NS1_11comp_targetILNS1_3genE10ELNS1_11target_archE1201ELNS1_3gpuE5ELNS1_3repE0EEENS1_30default_config_static_selectorELNS0_4arch9wavefront6targetE1EEEvSK_
		.amdhsa_group_segment_fixed_size 0
		.amdhsa_private_segment_fixed_size 0
		.amdhsa_kernarg_size 48
		.amdhsa_user_sgpr_count 2
		.amdhsa_user_sgpr_dispatch_ptr 0
		.amdhsa_user_sgpr_queue_ptr 0
		.amdhsa_user_sgpr_kernarg_segment_ptr 1
		.amdhsa_user_sgpr_dispatch_id 0
		.amdhsa_user_sgpr_kernarg_preload_length 0
		.amdhsa_user_sgpr_kernarg_preload_offset 0
		.amdhsa_user_sgpr_private_segment_size 0
		.amdhsa_uses_dynamic_stack 0
		.amdhsa_enable_private_segment 0
		.amdhsa_system_sgpr_workgroup_id_x 1
		.amdhsa_system_sgpr_workgroup_id_y 0
		.amdhsa_system_sgpr_workgroup_id_z 0
		.amdhsa_system_sgpr_workgroup_info 0
		.amdhsa_system_vgpr_workitem_id 0
		.amdhsa_next_free_vgpr 1
		.amdhsa_next_free_sgpr 0
		.amdhsa_accum_offset 4
		.amdhsa_reserve_vcc 0
		.amdhsa_float_round_mode_32 0
		.amdhsa_float_round_mode_16_64 0
		.amdhsa_float_denorm_mode_32 3
		.amdhsa_float_denorm_mode_16_64 3
		.amdhsa_dx10_clamp 1
		.amdhsa_ieee_mode 1
		.amdhsa_fp16_overflow 0
		.amdhsa_tg_split 0
		.amdhsa_exception_fp_ieee_invalid_op 0
		.amdhsa_exception_fp_denorm_src 0
		.amdhsa_exception_fp_ieee_div_zero 0
		.amdhsa_exception_fp_ieee_overflow 0
		.amdhsa_exception_fp_ieee_underflow 0
		.amdhsa_exception_fp_ieee_inexact 0
		.amdhsa_exception_int_div_zero 0
	.end_amdhsa_kernel
	.section	.text._ZN7rocprim17ROCPRIM_400000_NS6detail17trampoline_kernelINS0_14default_configENS1_22reduce_config_selectorIdEEZNS1_11reduce_implILb1ES3_N6thrust23THRUST_200600_302600_NS17counting_iteratorIdNS8_11hip_rocprim3tagENS8_11use_defaultESC_EEPddNS8_4plusIdEEEE10hipError_tPvRmT1_T2_T3_mT4_P12ihipStream_tbEUlT_E1_NS1_11comp_targetILNS1_3genE10ELNS1_11target_archE1201ELNS1_3gpuE5ELNS1_3repE0EEENS1_30default_config_static_selectorELNS0_4arch9wavefront6targetE1EEEvSK_,"axG",@progbits,_ZN7rocprim17ROCPRIM_400000_NS6detail17trampoline_kernelINS0_14default_configENS1_22reduce_config_selectorIdEEZNS1_11reduce_implILb1ES3_N6thrust23THRUST_200600_302600_NS17counting_iteratorIdNS8_11hip_rocprim3tagENS8_11use_defaultESC_EEPddNS8_4plusIdEEEE10hipError_tPvRmT1_T2_T3_mT4_P12ihipStream_tbEUlT_E1_NS1_11comp_targetILNS1_3genE10ELNS1_11target_archE1201ELNS1_3gpuE5ELNS1_3repE0EEENS1_30default_config_static_selectorELNS0_4arch9wavefront6targetE1EEEvSK_,comdat
.Lfunc_end997:
	.size	_ZN7rocprim17ROCPRIM_400000_NS6detail17trampoline_kernelINS0_14default_configENS1_22reduce_config_selectorIdEEZNS1_11reduce_implILb1ES3_N6thrust23THRUST_200600_302600_NS17counting_iteratorIdNS8_11hip_rocprim3tagENS8_11use_defaultESC_EEPddNS8_4plusIdEEEE10hipError_tPvRmT1_T2_T3_mT4_P12ihipStream_tbEUlT_E1_NS1_11comp_targetILNS1_3genE10ELNS1_11target_archE1201ELNS1_3gpuE5ELNS1_3repE0EEENS1_30default_config_static_selectorELNS0_4arch9wavefront6targetE1EEEvSK_, .Lfunc_end997-_ZN7rocprim17ROCPRIM_400000_NS6detail17trampoline_kernelINS0_14default_configENS1_22reduce_config_selectorIdEEZNS1_11reduce_implILb1ES3_N6thrust23THRUST_200600_302600_NS17counting_iteratorIdNS8_11hip_rocprim3tagENS8_11use_defaultESC_EEPddNS8_4plusIdEEEE10hipError_tPvRmT1_T2_T3_mT4_P12ihipStream_tbEUlT_E1_NS1_11comp_targetILNS1_3genE10ELNS1_11target_archE1201ELNS1_3gpuE5ELNS1_3repE0EEENS1_30default_config_static_selectorELNS0_4arch9wavefront6targetE1EEEvSK_
                                        ; -- End function
	.set _ZN7rocprim17ROCPRIM_400000_NS6detail17trampoline_kernelINS0_14default_configENS1_22reduce_config_selectorIdEEZNS1_11reduce_implILb1ES3_N6thrust23THRUST_200600_302600_NS17counting_iteratorIdNS8_11hip_rocprim3tagENS8_11use_defaultESC_EEPddNS8_4plusIdEEEE10hipError_tPvRmT1_T2_T3_mT4_P12ihipStream_tbEUlT_E1_NS1_11comp_targetILNS1_3genE10ELNS1_11target_archE1201ELNS1_3gpuE5ELNS1_3repE0EEENS1_30default_config_static_selectorELNS0_4arch9wavefront6targetE1EEEvSK_.num_vgpr, 0
	.set _ZN7rocprim17ROCPRIM_400000_NS6detail17trampoline_kernelINS0_14default_configENS1_22reduce_config_selectorIdEEZNS1_11reduce_implILb1ES3_N6thrust23THRUST_200600_302600_NS17counting_iteratorIdNS8_11hip_rocprim3tagENS8_11use_defaultESC_EEPddNS8_4plusIdEEEE10hipError_tPvRmT1_T2_T3_mT4_P12ihipStream_tbEUlT_E1_NS1_11comp_targetILNS1_3genE10ELNS1_11target_archE1201ELNS1_3gpuE5ELNS1_3repE0EEENS1_30default_config_static_selectorELNS0_4arch9wavefront6targetE1EEEvSK_.num_agpr, 0
	.set _ZN7rocprim17ROCPRIM_400000_NS6detail17trampoline_kernelINS0_14default_configENS1_22reduce_config_selectorIdEEZNS1_11reduce_implILb1ES3_N6thrust23THRUST_200600_302600_NS17counting_iteratorIdNS8_11hip_rocprim3tagENS8_11use_defaultESC_EEPddNS8_4plusIdEEEE10hipError_tPvRmT1_T2_T3_mT4_P12ihipStream_tbEUlT_E1_NS1_11comp_targetILNS1_3genE10ELNS1_11target_archE1201ELNS1_3gpuE5ELNS1_3repE0EEENS1_30default_config_static_selectorELNS0_4arch9wavefront6targetE1EEEvSK_.numbered_sgpr, 0
	.set _ZN7rocprim17ROCPRIM_400000_NS6detail17trampoline_kernelINS0_14default_configENS1_22reduce_config_selectorIdEEZNS1_11reduce_implILb1ES3_N6thrust23THRUST_200600_302600_NS17counting_iteratorIdNS8_11hip_rocprim3tagENS8_11use_defaultESC_EEPddNS8_4plusIdEEEE10hipError_tPvRmT1_T2_T3_mT4_P12ihipStream_tbEUlT_E1_NS1_11comp_targetILNS1_3genE10ELNS1_11target_archE1201ELNS1_3gpuE5ELNS1_3repE0EEENS1_30default_config_static_selectorELNS0_4arch9wavefront6targetE1EEEvSK_.num_named_barrier, 0
	.set _ZN7rocprim17ROCPRIM_400000_NS6detail17trampoline_kernelINS0_14default_configENS1_22reduce_config_selectorIdEEZNS1_11reduce_implILb1ES3_N6thrust23THRUST_200600_302600_NS17counting_iteratorIdNS8_11hip_rocprim3tagENS8_11use_defaultESC_EEPddNS8_4plusIdEEEE10hipError_tPvRmT1_T2_T3_mT4_P12ihipStream_tbEUlT_E1_NS1_11comp_targetILNS1_3genE10ELNS1_11target_archE1201ELNS1_3gpuE5ELNS1_3repE0EEENS1_30default_config_static_selectorELNS0_4arch9wavefront6targetE1EEEvSK_.private_seg_size, 0
	.set _ZN7rocprim17ROCPRIM_400000_NS6detail17trampoline_kernelINS0_14default_configENS1_22reduce_config_selectorIdEEZNS1_11reduce_implILb1ES3_N6thrust23THRUST_200600_302600_NS17counting_iteratorIdNS8_11hip_rocprim3tagENS8_11use_defaultESC_EEPddNS8_4plusIdEEEE10hipError_tPvRmT1_T2_T3_mT4_P12ihipStream_tbEUlT_E1_NS1_11comp_targetILNS1_3genE10ELNS1_11target_archE1201ELNS1_3gpuE5ELNS1_3repE0EEENS1_30default_config_static_selectorELNS0_4arch9wavefront6targetE1EEEvSK_.uses_vcc, 0
	.set _ZN7rocprim17ROCPRIM_400000_NS6detail17trampoline_kernelINS0_14default_configENS1_22reduce_config_selectorIdEEZNS1_11reduce_implILb1ES3_N6thrust23THRUST_200600_302600_NS17counting_iteratorIdNS8_11hip_rocprim3tagENS8_11use_defaultESC_EEPddNS8_4plusIdEEEE10hipError_tPvRmT1_T2_T3_mT4_P12ihipStream_tbEUlT_E1_NS1_11comp_targetILNS1_3genE10ELNS1_11target_archE1201ELNS1_3gpuE5ELNS1_3repE0EEENS1_30default_config_static_selectorELNS0_4arch9wavefront6targetE1EEEvSK_.uses_flat_scratch, 0
	.set _ZN7rocprim17ROCPRIM_400000_NS6detail17trampoline_kernelINS0_14default_configENS1_22reduce_config_selectorIdEEZNS1_11reduce_implILb1ES3_N6thrust23THRUST_200600_302600_NS17counting_iteratorIdNS8_11hip_rocprim3tagENS8_11use_defaultESC_EEPddNS8_4plusIdEEEE10hipError_tPvRmT1_T2_T3_mT4_P12ihipStream_tbEUlT_E1_NS1_11comp_targetILNS1_3genE10ELNS1_11target_archE1201ELNS1_3gpuE5ELNS1_3repE0EEENS1_30default_config_static_selectorELNS0_4arch9wavefront6targetE1EEEvSK_.has_dyn_sized_stack, 0
	.set _ZN7rocprim17ROCPRIM_400000_NS6detail17trampoline_kernelINS0_14default_configENS1_22reduce_config_selectorIdEEZNS1_11reduce_implILb1ES3_N6thrust23THRUST_200600_302600_NS17counting_iteratorIdNS8_11hip_rocprim3tagENS8_11use_defaultESC_EEPddNS8_4plusIdEEEE10hipError_tPvRmT1_T2_T3_mT4_P12ihipStream_tbEUlT_E1_NS1_11comp_targetILNS1_3genE10ELNS1_11target_archE1201ELNS1_3gpuE5ELNS1_3repE0EEENS1_30default_config_static_selectorELNS0_4arch9wavefront6targetE1EEEvSK_.has_recursion, 0
	.set _ZN7rocprim17ROCPRIM_400000_NS6detail17trampoline_kernelINS0_14default_configENS1_22reduce_config_selectorIdEEZNS1_11reduce_implILb1ES3_N6thrust23THRUST_200600_302600_NS17counting_iteratorIdNS8_11hip_rocprim3tagENS8_11use_defaultESC_EEPddNS8_4plusIdEEEE10hipError_tPvRmT1_T2_T3_mT4_P12ihipStream_tbEUlT_E1_NS1_11comp_targetILNS1_3genE10ELNS1_11target_archE1201ELNS1_3gpuE5ELNS1_3repE0EEENS1_30default_config_static_selectorELNS0_4arch9wavefront6targetE1EEEvSK_.has_indirect_call, 0
	.section	.AMDGPU.csdata,"",@progbits
; Kernel info:
; codeLenInByte = 0
; TotalNumSgprs: 6
; NumVgprs: 0
; NumAgprs: 0
; TotalNumVgprs: 0
; ScratchSize: 0
; MemoryBound: 0
; FloatMode: 240
; IeeeMode: 1
; LDSByteSize: 0 bytes/workgroup (compile time only)
; SGPRBlocks: 0
; VGPRBlocks: 0
; NumSGPRsForWavesPerEU: 6
; NumVGPRsForWavesPerEU: 1
; AccumOffset: 4
; Occupancy: 8
; WaveLimiterHint : 0
; COMPUTE_PGM_RSRC2:SCRATCH_EN: 0
; COMPUTE_PGM_RSRC2:USER_SGPR: 2
; COMPUTE_PGM_RSRC2:TRAP_HANDLER: 0
; COMPUTE_PGM_RSRC2:TGID_X_EN: 1
; COMPUTE_PGM_RSRC2:TGID_Y_EN: 0
; COMPUTE_PGM_RSRC2:TGID_Z_EN: 0
; COMPUTE_PGM_RSRC2:TIDIG_COMP_CNT: 0
; COMPUTE_PGM_RSRC3_GFX90A:ACCUM_OFFSET: 0
; COMPUTE_PGM_RSRC3_GFX90A:TG_SPLIT: 0
	.section	.text._ZN7rocprim17ROCPRIM_400000_NS6detail17trampoline_kernelINS0_14default_configENS1_22reduce_config_selectorIdEEZNS1_11reduce_implILb1ES3_N6thrust23THRUST_200600_302600_NS17counting_iteratorIdNS8_11hip_rocprim3tagENS8_11use_defaultESC_EEPddNS8_4plusIdEEEE10hipError_tPvRmT1_T2_T3_mT4_P12ihipStream_tbEUlT_E1_NS1_11comp_targetILNS1_3genE10ELNS1_11target_archE1200ELNS1_3gpuE4ELNS1_3repE0EEENS1_30default_config_static_selectorELNS0_4arch9wavefront6targetE1EEEvSK_,"axG",@progbits,_ZN7rocprim17ROCPRIM_400000_NS6detail17trampoline_kernelINS0_14default_configENS1_22reduce_config_selectorIdEEZNS1_11reduce_implILb1ES3_N6thrust23THRUST_200600_302600_NS17counting_iteratorIdNS8_11hip_rocprim3tagENS8_11use_defaultESC_EEPddNS8_4plusIdEEEE10hipError_tPvRmT1_T2_T3_mT4_P12ihipStream_tbEUlT_E1_NS1_11comp_targetILNS1_3genE10ELNS1_11target_archE1200ELNS1_3gpuE4ELNS1_3repE0EEENS1_30default_config_static_selectorELNS0_4arch9wavefront6targetE1EEEvSK_,comdat
	.protected	_ZN7rocprim17ROCPRIM_400000_NS6detail17trampoline_kernelINS0_14default_configENS1_22reduce_config_selectorIdEEZNS1_11reduce_implILb1ES3_N6thrust23THRUST_200600_302600_NS17counting_iteratorIdNS8_11hip_rocprim3tagENS8_11use_defaultESC_EEPddNS8_4plusIdEEEE10hipError_tPvRmT1_T2_T3_mT4_P12ihipStream_tbEUlT_E1_NS1_11comp_targetILNS1_3genE10ELNS1_11target_archE1200ELNS1_3gpuE4ELNS1_3repE0EEENS1_30default_config_static_selectorELNS0_4arch9wavefront6targetE1EEEvSK_ ; -- Begin function _ZN7rocprim17ROCPRIM_400000_NS6detail17trampoline_kernelINS0_14default_configENS1_22reduce_config_selectorIdEEZNS1_11reduce_implILb1ES3_N6thrust23THRUST_200600_302600_NS17counting_iteratorIdNS8_11hip_rocprim3tagENS8_11use_defaultESC_EEPddNS8_4plusIdEEEE10hipError_tPvRmT1_T2_T3_mT4_P12ihipStream_tbEUlT_E1_NS1_11comp_targetILNS1_3genE10ELNS1_11target_archE1200ELNS1_3gpuE4ELNS1_3repE0EEENS1_30default_config_static_selectorELNS0_4arch9wavefront6targetE1EEEvSK_
	.globl	_ZN7rocprim17ROCPRIM_400000_NS6detail17trampoline_kernelINS0_14default_configENS1_22reduce_config_selectorIdEEZNS1_11reduce_implILb1ES3_N6thrust23THRUST_200600_302600_NS17counting_iteratorIdNS8_11hip_rocprim3tagENS8_11use_defaultESC_EEPddNS8_4plusIdEEEE10hipError_tPvRmT1_T2_T3_mT4_P12ihipStream_tbEUlT_E1_NS1_11comp_targetILNS1_3genE10ELNS1_11target_archE1200ELNS1_3gpuE4ELNS1_3repE0EEENS1_30default_config_static_selectorELNS0_4arch9wavefront6targetE1EEEvSK_
	.p2align	8
	.type	_ZN7rocprim17ROCPRIM_400000_NS6detail17trampoline_kernelINS0_14default_configENS1_22reduce_config_selectorIdEEZNS1_11reduce_implILb1ES3_N6thrust23THRUST_200600_302600_NS17counting_iteratorIdNS8_11hip_rocprim3tagENS8_11use_defaultESC_EEPddNS8_4plusIdEEEE10hipError_tPvRmT1_T2_T3_mT4_P12ihipStream_tbEUlT_E1_NS1_11comp_targetILNS1_3genE10ELNS1_11target_archE1200ELNS1_3gpuE4ELNS1_3repE0EEENS1_30default_config_static_selectorELNS0_4arch9wavefront6targetE1EEEvSK_,@function
_ZN7rocprim17ROCPRIM_400000_NS6detail17trampoline_kernelINS0_14default_configENS1_22reduce_config_selectorIdEEZNS1_11reduce_implILb1ES3_N6thrust23THRUST_200600_302600_NS17counting_iteratorIdNS8_11hip_rocprim3tagENS8_11use_defaultESC_EEPddNS8_4plusIdEEEE10hipError_tPvRmT1_T2_T3_mT4_P12ihipStream_tbEUlT_E1_NS1_11comp_targetILNS1_3genE10ELNS1_11target_archE1200ELNS1_3gpuE4ELNS1_3repE0EEENS1_30default_config_static_selectorELNS0_4arch9wavefront6targetE1EEEvSK_: ; @_ZN7rocprim17ROCPRIM_400000_NS6detail17trampoline_kernelINS0_14default_configENS1_22reduce_config_selectorIdEEZNS1_11reduce_implILb1ES3_N6thrust23THRUST_200600_302600_NS17counting_iteratorIdNS8_11hip_rocprim3tagENS8_11use_defaultESC_EEPddNS8_4plusIdEEEE10hipError_tPvRmT1_T2_T3_mT4_P12ihipStream_tbEUlT_E1_NS1_11comp_targetILNS1_3genE10ELNS1_11target_archE1200ELNS1_3gpuE4ELNS1_3repE0EEENS1_30default_config_static_selectorELNS0_4arch9wavefront6targetE1EEEvSK_
; %bb.0:
	.section	.rodata,"a",@progbits
	.p2align	6, 0x0
	.amdhsa_kernel _ZN7rocprim17ROCPRIM_400000_NS6detail17trampoline_kernelINS0_14default_configENS1_22reduce_config_selectorIdEEZNS1_11reduce_implILb1ES3_N6thrust23THRUST_200600_302600_NS17counting_iteratorIdNS8_11hip_rocprim3tagENS8_11use_defaultESC_EEPddNS8_4plusIdEEEE10hipError_tPvRmT1_T2_T3_mT4_P12ihipStream_tbEUlT_E1_NS1_11comp_targetILNS1_3genE10ELNS1_11target_archE1200ELNS1_3gpuE4ELNS1_3repE0EEENS1_30default_config_static_selectorELNS0_4arch9wavefront6targetE1EEEvSK_
		.amdhsa_group_segment_fixed_size 0
		.amdhsa_private_segment_fixed_size 0
		.amdhsa_kernarg_size 48
		.amdhsa_user_sgpr_count 2
		.amdhsa_user_sgpr_dispatch_ptr 0
		.amdhsa_user_sgpr_queue_ptr 0
		.amdhsa_user_sgpr_kernarg_segment_ptr 1
		.amdhsa_user_sgpr_dispatch_id 0
		.amdhsa_user_sgpr_kernarg_preload_length 0
		.amdhsa_user_sgpr_kernarg_preload_offset 0
		.amdhsa_user_sgpr_private_segment_size 0
		.amdhsa_uses_dynamic_stack 0
		.amdhsa_enable_private_segment 0
		.amdhsa_system_sgpr_workgroup_id_x 1
		.amdhsa_system_sgpr_workgroup_id_y 0
		.amdhsa_system_sgpr_workgroup_id_z 0
		.amdhsa_system_sgpr_workgroup_info 0
		.amdhsa_system_vgpr_workitem_id 0
		.amdhsa_next_free_vgpr 1
		.amdhsa_next_free_sgpr 0
		.amdhsa_accum_offset 4
		.amdhsa_reserve_vcc 0
		.amdhsa_float_round_mode_32 0
		.amdhsa_float_round_mode_16_64 0
		.amdhsa_float_denorm_mode_32 3
		.amdhsa_float_denorm_mode_16_64 3
		.amdhsa_dx10_clamp 1
		.amdhsa_ieee_mode 1
		.amdhsa_fp16_overflow 0
		.amdhsa_tg_split 0
		.amdhsa_exception_fp_ieee_invalid_op 0
		.amdhsa_exception_fp_denorm_src 0
		.amdhsa_exception_fp_ieee_div_zero 0
		.amdhsa_exception_fp_ieee_overflow 0
		.amdhsa_exception_fp_ieee_underflow 0
		.amdhsa_exception_fp_ieee_inexact 0
		.amdhsa_exception_int_div_zero 0
	.end_amdhsa_kernel
	.section	.text._ZN7rocprim17ROCPRIM_400000_NS6detail17trampoline_kernelINS0_14default_configENS1_22reduce_config_selectorIdEEZNS1_11reduce_implILb1ES3_N6thrust23THRUST_200600_302600_NS17counting_iteratorIdNS8_11hip_rocprim3tagENS8_11use_defaultESC_EEPddNS8_4plusIdEEEE10hipError_tPvRmT1_T2_T3_mT4_P12ihipStream_tbEUlT_E1_NS1_11comp_targetILNS1_3genE10ELNS1_11target_archE1200ELNS1_3gpuE4ELNS1_3repE0EEENS1_30default_config_static_selectorELNS0_4arch9wavefront6targetE1EEEvSK_,"axG",@progbits,_ZN7rocprim17ROCPRIM_400000_NS6detail17trampoline_kernelINS0_14default_configENS1_22reduce_config_selectorIdEEZNS1_11reduce_implILb1ES3_N6thrust23THRUST_200600_302600_NS17counting_iteratorIdNS8_11hip_rocprim3tagENS8_11use_defaultESC_EEPddNS8_4plusIdEEEE10hipError_tPvRmT1_T2_T3_mT4_P12ihipStream_tbEUlT_E1_NS1_11comp_targetILNS1_3genE10ELNS1_11target_archE1200ELNS1_3gpuE4ELNS1_3repE0EEENS1_30default_config_static_selectorELNS0_4arch9wavefront6targetE1EEEvSK_,comdat
.Lfunc_end998:
	.size	_ZN7rocprim17ROCPRIM_400000_NS6detail17trampoline_kernelINS0_14default_configENS1_22reduce_config_selectorIdEEZNS1_11reduce_implILb1ES3_N6thrust23THRUST_200600_302600_NS17counting_iteratorIdNS8_11hip_rocprim3tagENS8_11use_defaultESC_EEPddNS8_4plusIdEEEE10hipError_tPvRmT1_T2_T3_mT4_P12ihipStream_tbEUlT_E1_NS1_11comp_targetILNS1_3genE10ELNS1_11target_archE1200ELNS1_3gpuE4ELNS1_3repE0EEENS1_30default_config_static_selectorELNS0_4arch9wavefront6targetE1EEEvSK_, .Lfunc_end998-_ZN7rocprim17ROCPRIM_400000_NS6detail17trampoline_kernelINS0_14default_configENS1_22reduce_config_selectorIdEEZNS1_11reduce_implILb1ES3_N6thrust23THRUST_200600_302600_NS17counting_iteratorIdNS8_11hip_rocprim3tagENS8_11use_defaultESC_EEPddNS8_4plusIdEEEE10hipError_tPvRmT1_T2_T3_mT4_P12ihipStream_tbEUlT_E1_NS1_11comp_targetILNS1_3genE10ELNS1_11target_archE1200ELNS1_3gpuE4ELNS1_3repE0EEENS1_30default_config_static_selectorELNS0_4arch9wavefront6targetE1EEEvSK_
                                        ; -- End function
	.set _ZN7rocprim17ROCPRIM_400000_NS6detail17trampoline_kernelINS0_14default_configENS1_22reduce_config_selectorIdEEZNS1_11reduce_implILb1ES3_N6thrust23THRUST_200600_302600_NS17counting_iteratorIdNS8_11hip_rocprim3tagENS8_11use_defaultESC_EEPddNS8_4plusIdEEEE10hipError_tPvRmT1_T2_T3_mT4_P12ihipStream_tbEUlT_E1_NS1_11comp_targetILNS1_3genE10ELNS1_11target_archE1200ELNS1_3gpuE4ELNS1_3repE0EEENS1_30default_config_static_selectorELNS0_4arch9wavefront6targetE1EEEvSK_.num_vgpr, 0
	.set _ZN7rocprim17ROCPRIM_400000_NS6detail17trampoline_kernelINS0_14default_configENS1_22reduce_config_selectorIdEEZNS1_11reduce_implILb1ES3_N6thrust23THRUST_200600_302600_NS17counting_iteratorIdNS8_11hip_rocprim3tagENS8_11use_defaultESC_EEPddNS8_4plusIdEEEE10hipError_tPvRmT1_T2_T3_mT4_P12ihipStream_tbEUlT_E1_NS1_11comp_targetILNS1_3genE10ELNS1_11target_archE1200ELNS1_3gpuE4ELNS1_3repE0EEENS1_30default_config_static_selectorELNS0_4arch9wavefront6targetE1EEEvSK_.num_agpr, 0
	.set _ZN7rocprim17ROCPRIM_400000_NS6detail17trampoline_kernelINS0_14default_configENS1_22reduce_config_selectorIdEEZNS1_11reduce_implILb1ES3_N6thrust23THRUST_200600_302600_NS17counting_iteratorIdNS8_11hip_rocprim3tagENS8_11use_defaultESC_EEPddNS8_4plusIdEEEE10hipError_tPvRmT1_T2_T3_mT4_P12ihipStream_tbEUlT_E1_NS1_11comp_targetILNS1_3genE10ELNS1_11target_archE1200ELNS1_3gpuE4ELNS1_3repE0EEENS1_30default_config_static_selectorELNS0_4arch9wavefront6targetE1EEEvSK_.numbered_sgpr, 0
	.set _ZN7rocprim17ROCPRIM_400000_NS6detail17trampoline_kernelINS0_14default_configENS1_22reduce_config_selectorIdEEZNS1_11reduce_implILb1ES3_N6thrust23THRUST_200600_302600_NS17counting_iteratorIdNS8_11hip_rocprim3tagENS8_11use_defaultESC_EEPddNS8_4plusIdEEEE10hipError_tPvRmT1_T2_T3_mT4_P12ihipStream_tbEUlT_E1_NS1_11comp_targetILNS1_3genE10ELNS1_11target_archE1200ELNS1_3gpuE4ELNS1_3repE0EEENS1_30default_config_static_selectorELNS0_4arch9wavefront6targetE1EEEvSK_.num_named_barrier, 0
	.set _ZN7rocprim17ROCPRIM_400000_NS6detail17trampoline_kernelINS0_14default_configENS1_22reduce_config_selectorIdEEZNS1_11reduce_implILb1ES3_N6thrust23THRUST_200600_302600_NS17counting_iteratorIdNS8_11hip_rocprim3tagENS8_11use_defaultESC_EEPddNS8_4plusIdEEEE10hipError_tPvRmT1_T2_T3_mT4_P12ihipStream_tbEUlT_E1_NS1_11comp_targetILNS1_3genE10ELNS1_11target_archE1200ELNS1_3gpuE4ELNS1_3repE0EEENS1_30default_config_static_selectorELNS0_4arch9wavefront6targetE1EEEvSK_.private_seg_size, 0
	.set _ZN7rocprim17ROCPRIM_400000_NS6detail17trampoline_kernelINS0_14default_configENS1_22reduce_config_selectorIdEEZNS1_11reduce_implILb1ES3_N6thrust23THRUST_200600_302600_NS17counting_iteratorIdNS8_11hip_rocprim3tagENS8_11use_defaultESC_EEPddNS8_4plusIdEEEE10hipError_tPvRmT1_T2_T3_mT4_P12ihipStream_tbEUlT_E1_NS1_11comp_targetILNS1_3genE10ELNS1_11target_archE1200ELNS1_3gpuE4ELNS1_3repE0EEENS1_30default_config_static_selectorELNS0_4arch9wavefront6targetE1EEEvSK_.uses_vcc, 0
	.set _ZN7rocprim17ROCPRIM_400000_NS6detail17trampoline_kernelINS0_14default_configENS1_22reduce_config_selectorIdEEZNS1_11reduce_implILb1ES3_N6thrust23THRUST_200600_302600_NS17counting_iteratorIdNS8_11hip_rocprim3tagENS8_11use_defaultESC_EEPddNS8_4plusIdEEEE10hipError_tPvRmT1_T2_T3_mT4_P12ihipStream_tbEUlT_E1_NS1_11comp_targetILNS1_3genE10ELNS1_11target_archE1200ELNS1_3gpuE4ELNS1_3repE0EEENS1_30default_config_static_selectorELNS0_4arch9wavefront6targetE1EEEvSK_.uses_flat_scratch, 0
	.set _ZN7rocprim17ROCPRIM_400000_NS6detail17trampoline_kernelINS0_14default_configENS1_22reduce_config_selectorIdEEZNS1_11reduce_implILb1ES3_N6thrust23THRUST_200600_302600_NS17counting_iteratorIdNS8_11hip_rocprim3tagENS8_11use_defaultESC_EEPddNS8_4plusIdEEEE10hipError_tPvRmT1_T2_T3_mT4_P12ihipStream_tbEUlT_E1_NS1_11comp_targetILNS1_3genE10ELNS1_11target_archE1200ELNS1_3gpuE4ELNS1_3repE0EEENS1_30default_config_static_selectorELNS0_4arch9wavefront6targetE1EEEvSK_.has_dyn_sized_stack, 0
	.set _ZN7rocprim17ROCPRIM_400000_NS6detail17trampoline_kernelINS0_14default_configENS1_22reduce_config_selectorIdEEZNS1_11reduce_implILb1ES3_N6thrust23THRUST_200600_302600_NS17counting_iteratorIdNS8_11hip_rocprim3tagENS8_11use_defaultESC_EEPddNS8_4plusIdEEEE10hipError_tPvRmT1_T2_T3_mT4_P12ihipStream_tbEUlT_E1_NS1_11comp_targetILNS1_3genE10ELNS1_11target_archE1200ELNS1_3gpuE4ELNS1_3repE0EEENS1_30default_config_static_selectorELNS0_4arch9wavefront6targetE1EEEvSK_.has_recursion, 0
	.set _ZN7rocprim17ROCPRIM_400000_NS6detail17trampoline_kernelINS0_14default_configENS1_22reduce_config_selectorIdEEZNS1_11reduce_implILb1ES3_N6thrust23THRUST_200600_302600_NS17counting_iteratorIdNS8_11hip_rocprim3tagENS8_11use_defaultESC_EEPddNS8_4plusIdEEEE10hipError_tPvRmT1_T2_T3_mT4_P12ihipStream_tbEUlT_E1_NS1_11comp_targetILNS1_3genE10ELNS1_11target_archE1200ELNS1_3gpuE4ELNS1_3repE0EEENS1_30default_config_static_selectorELNS0_4arch9wavefront6targetE1EEEvSK_.has_indirect_call, 0
	.section	.AMDGPU.csdata,"",@progbits
; Kernel info:
; codeLenInByte = 0
; TotalNumSgprs: 6
; NumVgprs: 0
; NumAgprs: 0
; TotalNumVgprs: 0
; ScratchSize: 0
; MemoryBound: 0
; FloatMode: 240
; IeeeMode: 1
; LDSByteSize: 0 bytes/workgroup (compile time only)
; SGPRBlocks: 0
; VGPRBlocks: 0
; NumSGPRsForWavesPerEU: 6
; NumVGPRsForWavesPerEU: 1
; AccumOffset: 4
; Occupancy: 8
; WaveLimiterHint : 0
; COMPUTE_PGM_RSRC2:SCRATCH_EN: 0
; COMPUTE_PGM_RSRC2:USER_SGPR: 2
; COMPUTE_PGM_RSRC2:TRAP_HANDLER: 0
; COMPUTE_PGM_RSRC2:TGID_X_EN: 1
; COMPUTE_PGM_RSRC2:TGID_Y_EN: 0
; COMPUTE_PGM_RSRC2:TGID_Z_EN: 0
; COMPUTE_PGM_RSRC2:TIDIG_COMP_CNT: 0
; COMPUTE_PGM_RSRC3_GFX90A:ACCUM_OFFSET: 0
; COMPUTE_PGM_RSRC3_GFX90A:TG_SPLIT: 0
	.section	.text._ZN7rocprim17ROCPRIM_400000_NS6detail17trampoline_kernelINS0_14default_configENS1_22reduce_config_selectorIdEEZNS1_11reduce_implILb1ES3_N6thrust23THRUST_200600_302600_NS17counting_iteratorIdNS8_11hip_rocprim3tagENS8_11use_defaultESC_EEPddNS8_4plusIdEEEE10hipError_tPvRmT1_T2_T3_mT4_P12ihipStream_tbEUlT_E1_NS1_11comp_targetILNS1_3genE9ELNS1_11target_archE1100ELNS1_3gpuE3ELNS1_3repE0EEENS1_30default_config_static_selectorELNS0_4arch9wavefront6targetE1EEEvSK_,"axG",@progbits,_ZN7rocprim17ROCPRIM_400000_NS6detail17trampoline_kernelINS0_14default_configENS1_22reduce_config_selectorIdEEZNS1_11reduce_implILb1ES3_N6thrust23THRUST_200600_302600_NS17counting_iteratorIdNS8_11hip_rocprim3tagENS8_11use_defaultESC_EEPddNS8_4plusIdEEEE10hipError_tPvRmT1_T2_T3_mT4_P12ihipStream_tbEUlT_E1_NS1_11comp_targetILNS1_3genE9ELNS1_11target_archE1100ELNS1_3gpuE3ELNS1_3repE0EEENS1_30default_config_static_selectorELNS0_4arch9wavefront6targetE1EEEvSK_,comdat
	.protected	_ZN7rocprim17ROCPRIM_400000_NS6detail17trampoline_kernelINS0_14default_configENS1_22reduce_config_selectorIdEEZNS1_11reduce_implILb1ES3_N6thrust23THRUST_200600_302600_NS17counting_iteratorIdNS8_11hip_rocprim3tagENS8_11use_defaultESC_EEPddNS8_4plusIdEEEE10hipError_tPvRmT1_T2_T3_mT4_P12ihipStream_tbEUlT_E1_NS1_11comp_targetILNS1_3genE9ELNS1_11target_archE1100ELNS1_3gpuE3ELNS1_3repE0EEENS1_30default_config_static_selectorELNS0_4arch9wavefront6targetE1EEEvSK_ ; -- Begin function _ZN7rocprim17ROCPRIM_400000_NS6detail17trampoline_kernelINS0_14default_configENS1_22reduce_config_selectorIdEEZNS1_11reduce_implILb1ES3_N6thrust23THRUST_200600_302600_NS17counting_iteratorIdNS8_11hip_rocprim3tagENS8_11use_defaultESC_EEPddNS8_4plusIdEEEE10hipError_tPvRmT1_T2_T3_mT4_P12ihipStream_tbEUlT_E1_NS1_11comp_targetILNS1_3genE9ELNS1_11target_archE1100ELNS1_3gpuE3ELNS1_3repE0EEENS1_30default_config_static_selectorELNS0_4arch9wavefront6targetE1EEEvSK_
	.globl	_ZN7rocprim17ROCPRIM_400000_NS6detail17trampoline_kernelINS0_14default_configENS1_22reduce_config_selectorIdEEZNS1_11reduce_implILb1ES3_N6thrust23THRUST_200600_302600_NS17counting_iteratorIdNS8_11hip_rocprim3tagENS8_11use_defaultESC_EEPddNS8_4plusIdEEEE10hipError_tPvRmT1_T2_T3_mT4_P12ihipStream_tbEUlT_E1_NS1_11comp_targetILNS1_3genE9ELNS1_11target_archE1100ELNS1_3gpuE3ELNS1_3repE0EEENS1_30default_config_static_selectorELNS0_4arch9wavefront6targetE1EEEvSK_
	.p2align	8
	.type	_ZN7rocprim17ROCPRIM_400000_NS6detail17trampoline_kernelINS0_14default_configENS1_22reduce_config_selectorIdEEZNS1_11reduce_implILb1ES3_N6thrust23THRUST_200600_302600_NS17counting_iteratorIdNS8_11hip_rocprim3tagENS8_11use_defaultESC_EEPddNS8_4plusIdEEEE10hipError_tPvRmT1_T2_T3_mT4_P12ihipStream_tbEUlT_E1_NS1_11comp_targetILNS1_3genE9ELNS1_11target_archE1100ELNS1_3gpuE3ELNS1_3repE0EEENS1_30default_config_static_selectorELNS0_4arch9wavefront6targetE1EEEvSK_,@function
_ZN7rocprim17ROCPRIM_400000_NS6detail17trampoline_kernelINS0_14default_configENS1_22reduce_config_selectorIdEEZNS1_11reduce_implILb1ES3_N6thrust23THRUST_200600_302600_NS17counting_iteratorIdNS8_11hip_rocprim3tagENS8_11use_defaultESC_EEPddNS8_4plusIdEEEE10hipError_tPvRmT1_T2_T3_mT4_P12ihipStream_tbEUlT_E1_NS1_11comp_targetILNS1_3genE9ELNS1_11target_archE1100ELNS1_3gpuE3ELNS1_3repE0EEENS1_30default_config_static_selectorELNS0_4arch9wavefront6targetE1EEEvSK_: ; @_ZN7rocprim17ROCPRIM_400000_NS6detail17trampoline_kernelINS0_14default_configENS1_22reduce_config_selectorIdEEZNS1_11reduce_implILb1ES3_N6thrust23THRUST_200600_302600_NS17counting_iteratorIdNS8_11hip_rocprim3tagENS8_11use_defaultESC_EEPddNS8_4plusIdEEEE10hipError_tPvRmT1_T2_T3_mT4_P12ihipStream_tbEUlT_E1_NS1_11comp_targetILNS1_3genE9ELNS1_11target_archE1100ELNS1_3gpuE3ELNS1_3repE0EEENS1_30default_config_static_selectorELNS0_4arch9wavefront6targetE1EEEvSK_
; %bb.0:
	.section	.rodata,"a",@progbits
	.p2align	6, 0x0
	.amdhsa_kernel _ZN7rocprim17ROCPRIM_400000_NS6detail17trampoline_kernelINS0_14default_configENS1_22reduce_config_selectorIdEEZNS1_11reduce_implILb1ES3_N6thrust23THRUST_200600_302600_NS17counting_iteratorIdNS8_11hip_rocprim3tagENS8_11use_defaultESC_EEPddNS8_4plusIdEEEE10hipError_tPvRmT1_T2_T3_mT4_P12ihipStream_tbEUlT_E1_NS1_11comp_targetILNS1_3genE9ELNS1_11target_archE1100ELNS1_3gpuE3ELNS1_3repE0EEENS1_30default_config_static_selectorELNS0_4arch9wavefront6targetE1EEEvSK_
		.amdhsa_group_segment_fixed_size 0
		.amdhsa_private_segment_fixed_size 0
		.amdhsa_kernarg_size 48
		.amdhsa_user_sgpr_count 2
		.amdhsa_user_sgpr_dispatch_ptr 0
		.amdhsa_user_sgpr_queue_ptr 0
		.amdhsa_user_sgpr_kernarg_segment_ptr 1
		.amdhsa_user_sgpr_dispatch_id 0
		.amdhsa_user_sgpr_kernarg_preload_length 0
		.amdhsa_user_sgpr_kernarg_preload_offset 0
		.amdhsa_user_sgpr_private_segment_size 0
		.amdhsa_uses_dynamic_stack 0
		.amdhsa_enable_private_segment 0
		.amdhsa_system_sgpr_workgroup_id_x 1
		.amdhsa_system_sgpr_workgroup_id_y 0
		.amdhsa_system_sgpr_workgroup_id_z 0
		.amdhsa_system_sgpr_workgroup_info 0
		.amdhsa_system_vgpr_workitem_id 0
		.amdhsa_next_free_vgpr 1
		.amdhsa_next_free_sgpr 0
		.amdhsa_accum_offset 4
		.amdhsa_reserve_vcc 0
		.amdhsa_float_round_mode_32 0
		.amdhsa_float_round_mode_16_64 0
		.amdhsa_float_denorm_mode_32 3
		.amdhsa_float_denorm_mode_16_64 3
		.amdhsa_dx10_clamp 1
		.amdhsa_ieee_mode 1
		.amdhsa_fp16_overflow 0
		.amdhsa_tg_split 0
		.amdhsa_exception_fp_ieee_invalid_op 0
		.amdhsa_exception_fp_denorm_src 0
		.amdhsa_exception_fp_ieee_div_zero 0
		.amdhsa_exception_fp_ieee_overflow 0
		.amdhsa_exception_fp_ieee_underflow 0
		.amdhsa_exception_fp_ieee_inexact 0
		.amdhsa_exception_int_div_zero 0
	.end_amdhsa_kernel
	.section	.text._ZN7rocprim17ROCPRIM_400000_NS6detail17trampoline_kernelINS0_14default_configENS1_22reduce_config_selectorIdEEZNS1_11reduce_implILb1ES3_N6thrust23THRUST_200600_302600_NS17counting_iteratorIdNS8_11hip_rocprim3tagENS8_11use_defaultESC_EEPddNS8_4plusIdEEEE10hipError_tPvRmT1_T2_T3_mT4_P12ihipStream_tbEUlT_E1_NS1_11comp_targetILNS1_3genE9ELNS1_11target_archE1100ELNS1_3gpuE3ELNS1_3repE0EEENS1_30default_config_static_selectorELNS0_4arch9wavefront6targetE1EEEvSK_,"axG",@progbits,_ZN7rocprim17ROCPRIM_400000_NS6detail17trampoline_kernelINS0_14default_configENS1_22reduce_config_selectorIdEEZNS1_11reduce_implILb1ES3_N6thrust23THRUST_200600_302600_NS17counting_iteratorIdNS8_11hip_rocprim3tagENS8_11use_defaultESC_EEPddNS8_4plusIdEEEE10hipError_tPvRmT1_T2_T3_mT4_P12ihipStream_tbEUlT_E1_NS1_11comp_targetILNS1_3genE9ELNS1_11target_archE1100ELNS1_3gpuE3ELNS1_3repE0EEENS1_30default_config_static_selectorELNS0_4arch9wavefront6targetE1EEEvSK_,comdat
.Lfunc_end999:
	.size	_ZN7rocprim17ROCPRIM_400000_NS6detail17trampoline_kernelINS0_14default_configENS1_22reduce_config_selectorIdEEZNS1_11reduce_implILb1ES3_N6thrust23THRUST_200600_302600_NS17counting_iteratorIdNS8_11hip_rocprim3tagENS8_11use_defaultESC_EEPddNS8_4plusIdEEEE10hipError_tPvRmT1_T2_T3_mT4_P12ihipStream_tbEUlT_E1_NS1_11comp_targetILNS1_3genE9ELNS1_11target_archE1100ELNS1_3gpuE3ELNS1_3repE0EEENS1_30default_config_static_selectorELNS0_4arch9wavefront6targetE1EEEvSK_, .Lfunc_end999-_ZN7rocprim17ROCPRIM_400000_NS6detail17trampoline_kernelINS0_14default_configENS1_22reduce_config_selectorIdEEZNS1_11reduce_implILb1ES3_N6thrust23THRUST_200600_302600_NS17counting_iteratorIdNS8_11hip_rocprim3tagENS8_11use_defaultESC_EEPddNS8_4plusIdEEEE10hipError_tPvRmT1_T2_T3_mT4_P12ihipStream_tbEUlT_E1_NS1_11comp_targetILNS1_3genE9ELNS1_11target_archE1100ELNS1_3gpuE3ELNS1_3repE0EEENS1_30default_config_static_selectorELNS0_4arch9wavefront6targetE1EEEvSK_
                                        ; -- End function
	.set _ZN7rocprim17ROCPRIM_400000_NS6detail17trampoline_kernelINS0_14default_configENS1_22reduce_config_selectorIdEEZNS1_11reduce_implILb1ES3_N6thrust23THRUST_200600_302600_NS17counting_iteratorIdNS8_11hip_rocprim3tagENS8_11use_defaultESC_EEPddNS8_4plusIdEEEE10hipError_tPvRmT1_T2_T3_mT4_P12ihipStream_tbEUlT_E1_NS1_11comp_targetILNS1_3genE9ELNS1_11target_archE1100ELNS1_3gpuE3ELNS1_3repE0EEENS1_30default_config_static_selectorELNS0_4arch9wavefront6targetE1EEEvSK_.num_vgpr, 0
	.set _ZN7rocprim17ROCPRIM_400000_NS6detail17trampoline_kernelINS0_14default_configENS1_22reduce_config_selectorIdEEZNS1_11reduce_implILb1ES3_N6thrust23THRUST_200600_302600_NS17counting_iteratorIdNS8_11hip_rocprim3tagENS8_11use_defaultESC_EEPddNS8_4plusIdEEEE10hipError_tPvRmT1_T2_T3_mT4_P12ihipStream_tbEUlT_E1_NS1_11comp_targetILNS1_3genE9ELNS1_11target_archE1100ELNS1_3gpuE3ELNS1_3repE0EEENS1_30default_config_static_selectorELNS0_4arch9wavefront6targetE1EEEvSK_.num_agpr, 0
	.set _ZN7rocprim17ROCPRIM_400000_NS6detail17trampoline_kernelINS0_14default_configENS1_22reduce_config_selectorIdEEZNS1_11reduce_implILb1ES3_N6thrust23THRUST_200600_302600_NS17counting_iteratorIdNS8_11hip_rocprim3tagENS8_11use_defaultESC_EEPddNS8_4plusIdEEEE10hipError_tPvRmT1_T2_T3_mT4_P12ihipStream_tbEUlT_E1_NS1_11comp_targetILNS1_3genE9ELNS1_11target_archE1100ELNS1_3gpuE3ELNS1_3repE0EEENS1_30default_config_static_selectorELNS0_4arch9wavefront6targetE1EEEvSK_.numbered_sgpr, 0
	.set _ZN7rocprim17ROCPRIM_400000_NS6detail17trampoline_kernelINS0_14default_configENS1_22reduce_config_selectorIdEEZNS1_11reduce_implILb1ES3_N6thrust23THRUST_200600_302600_NS17counting_iteratorIdNS8_11hip_rocprim3tagENS8_11use_defaultESC_EEPddNS8_4plusIdEEEE10hipError_tPvRmT1_T2_T3_mT4_P12ihipStream_tbEUlT_E1_NS1_11comp_targetILNS1_3genE9ELNS1_11target_archE1100ELNS1_3gpuE3ELNS1_3repE0EEENS1_30default_config_static_selectorELNS0_4arch9wavefront6targetE1EEEvSK_.num_named_barrier, 0
	.set _ZN7rocprim17ROCPRIM_400000_NS6detail17trampoline_kernelINS0_14default_configENS1_22reduce_config_selectorIdEEZNS1_11reduce_implILb1ES3_N6thrust23THRUST_200600_302600_NS17counting_iteratorIdNS8_11hip_rocprim3tagENS8_11use_defaultESC_EEPddNS8_4plusIdEEEE10hipError_tPvRmT1_T2_T3_mT4_P12ihipStream_tbEUlT_E1_NS1_11comp_targetILNS1_3genE9ELNS1_11target_archE1100ELNS1_3gpuE3ELNS1_3repE0EEENS1_30default_config_static_selectorELNS0_4arch9wavefront6targetE1EEEvSK_.private_seg_size, 0
	.set _ZN7rocprim17ROCPRIM_400000_NS6detail17trampoline_kernelINS0_14default_configENS1_22reduce_config_selectorIdEEZNS1_11reduce_implILb1ES3_N6thrust23THRUST_200600_302600_NS17counting_iteratorIdNS8_11hip_rocprim3tagENS8_11use_defaultESC_EEPddNS8_4plusIdEEEE10hipError_tPvRmT1_T2_T3_mT4_P12ihipStream_tbEUlT_E1_NS1_11comp_targetILNS1_3genE9ELNS1_11target_archE1100ELNS1_3gpuE3ELNS1_3repE0EEENS1_30default_config_static_selectorELNS0_4arch9wavefront6targetE1EEEvSK_.uses_vcc, 0
	.set _ZN7rocprim17ROCPRIM_400000_NS6detail17trampoline_kernelINS0_14default_configENS1_22reduce_config_selectorIdEEZNS1_11reduce_implILb1ES3_N6thrust23THRUST_200600_302600_NS17counting_iteratorIdNS8_11hip_rocprim3tagENS8_11use_defaultESC_EEPddNS8_4plusIdEEEE10hipError_tPvRmT1_T2_T3_mT4_P12ihipStream_tbEUlT_E1_NS1_11comp_targetILNS1_3genE9ELNS1_11target_archE1100ELNS1_3gpuE3ELNS1_3repE0EEENS1_30default_config_static_selectorELNS0_4arch9wavefront6targetE1EEEvSK_.uses_flat_scratch, 0
	.set _ZN7rocprim17ROCPRIM_400000_NS6detail17trampoline_kernelINS0_14default_configENS1_22reduce_config_selectorIdEEZNS1_11reduce_implILb1ES3_N6thrust23THRUST_200600_302600_NS17counting_iteratorIdNS8_11hip_rocprim3tagENS8_11use_defaultESC_EEPddNS8_4plusIdEEEE10hipError_tPvRmT1_T2_T3_mT4_P12ihipStream_tbEUlT_E1_NS1_11comp_targetILNS1_3genE9ELNS1_11target_archE1100ELNS1_3gpuE3ELNS1_3repE0EEENS1_30default_config_static_selectorELNS0_4arch9wavefront6targetE1EEEvSK_.has_dyn_sized_stack, 0
	.set _ZN7rocprim17ROCPRIM_400000_NS6detail17trampoline_kernelINS0_14default_configENS1_22reduce_config_selectorIdEEZNS1_11reduce_implILb1ES3_N6thrust23THRUST_200600_302600_NS17counting_iteratorIdNS8_11hip_rocprim3tagENS8_11use_defaultESC_EEPddNS8_4plusIdEEEE10hipError_tPvRmT1_T2_T3_mT4_P12ihipStream_tbEUlT_E1_NS1_11comp_targetILNS1_3genE9ELNS1_11target_archE1100ELNS1_3gpuE3ELNS1_3repE0EEENS1_30default_config_static_selectorELNS0_4arch9wavefront6targetE1EEEvSK_.has_recursion, 0
	.set _ZN7rocprim17ROCPRIM_400000_NS6detail17trampoline_kernelINS0_14default_configENS1_22reduce_config_selectorIdEEZNS1_11reduce_implILb1ES3_N6thrust23THRUST_200600_302600_NS17counting_iteratorIdNS8_11hip_rocprim3tagENS8_11use_defaultESC_EEPddNS8_4plusIdEEEE10hipError_tPvRmT1_T2_T3_mT4_P12ihipStream_tbEUlT_E1_NS1_11comp_targetILNS1_3genE9ELNS1_11target_archE1100ELNS1_3gpuE3ELNS1_3repE0EEENS1_30default_config_static_selectorELNS0_4arch9wavefront6targetE1EEEvSK_.has_indirect_call, 0
	.section	.AMDGPU.csdata,"",@progbits
; Kernel info:
; codeLenInByte = 0
; TotalNumSgprs: 6
; NumVgprs: 0
; NumAgprs: 0
; TotalNumVgprs: 0
; ScratchSize: 0
; MemoryBound: 0
; FloatMode: 240
; IeeeMode: 1
; LDSByteSize: 0 bytes/workgroup (compile time only)
; SGPRBlocks: 0
; VGPRBlocks: 0
; NumSGPRsForWavesPerEU: 6
; NumVGPRsForWavesPerEU: 1
; AccumOffset: 4
; Occupancy: 8
; WaveLimiterHint : 0
; COMPUTE_PGM_RSRC2:SCRATCH_EN: 0
; COMPUTE_PGM_RSRC2:USER_SGPR: 2
; COMPUTE_PGM_RSRC2:TRAP_HANDLER: 0
; COMPUTE_PGM_RSRC2:TGID_X_EN: 1
; COMPUTE_PGM_RSRC2:TGID_Y_EN: 0
; COMPUTE_PGM_RSRC2:TGID_Z_EN: 0
; COMPUTE_PGM_RSRC2:TIDIG_COMP_CNT: 0
; COMPUTE_PGM_RSRC3_GFX90A:ACCUM_OFFSET: 0
; COMPUTE_PGM_RSRC3_GFX90A:TG_SPLIT: 0
	.section	.text._ZN7rocprim17ROCPRIM_400000_NS6detail17trampoline_kernelINS0_14default_configENS1_22reduce_config_selectorIdEEZNS1_11reduce_implILb1ES3_N6thrust23THRUST_200600_302600_NS17counting_iteratorIdNS8_11hip_rocprim3tagENS8_11use_defaultESC_EEPddNS8_4plusIdEEEE10hipError_tPvRmT1_T2_T3_mT4_P12ihipStream_tbEUlT_E1_NS1_11comp_targetILNS1_3genE8ELNS1_11target_archE1030ELNS1_3gpuE2ELNS1_3repE0EEENS1_30default_config_static_selectorELNS0_4arch9wavefront6targetE1EEEvSK_,"axG",@progbits,_ZN7rocprim17ROCPRIM_400000_NS6detail17trampoline_kernelINS0_14default_configENS1_22reduce_config_selectorIdEEZNS1_11reduce_implILb1ES3_N6thrust23THRUST_200600_302600_NS17counting_iteratorIdNS8_11hip_rocprim3tagENS8_11use_defaultESC_EEPddNS8_4plusIdEEEE10hipError_tPvRmT1_T2_T3_mT4_P12ihipStream_tbEUlT_E1_NS1_11comp_targetILNS1_3genE8ELNS1_11target_archE1030ELNS1_3gpuE2ELNS1_3repE0EEENS1_30default_config_static_selectorELNS0_4arch9wavefront6targetE1EEEvSK_,comdat
	.protected	_ZN7rocprim17ROCPRIM_400000_NS6detail17trampoline_kernelINS0_14default_configENS1_22reduce_config_selectorIdEEZNS1_11reduce_implILb1ES3_N6thrust23THRUST_200600_302600_NS17counting_iteratorIdNS8_11hip_rocprim3tagENS8_11use_defaultESC_EEPddNS8_4plusIdEEEE10hipError_tPvRmT1_T2_T3_mT4_P12ihipStream_tbEUlT_E1_NS1_11comp_targetILNS1_3genE8ELNS1_11target_archE1030ELNS1_3gpuE2ELNS1_3repE0EEENS1_30default_config_static_selectorELNS0_4arch9wavefront6targetE1EEEvSK_ ; -- Begin function _ZN7rocprim17ROCPRIM_400000_NS6detail17trampoline_kernelINS0_14default_configENS1_22reduce_config_selectorIdEEZNS1_11reduce_implILb1ES3_N6thrust23THRUST_200600_302600_NS17counting_iteratorIdNS8_11hip_rocprim3tagENS8_11use_defaultESC_EEPddNS8_4plusIdEEEE10hipError_tPvRmT1_T2_T3_mT4_P12ihipStream_tbEUlT_E1_NS1_11comp_targetILNS1_3genE8ELNS1_11target_archE1030ELNS1_3gpuE2ELNS1_3repE0EEENS1_30default_config_static_selectorELNS0_4arch9wavefront6targetE1EEEvSK_
	.globl	_ZN7rocprim17ROCPRIM_400000_NS6detail17trampoline_kernelINS0_14default_configENS1_22reduce_config_selectorIdEEZNS1_11reduce_implILb1ES3_N6thrust23THRUST_200600_302600_NS17counting_iteratorIdNS8_11hip_rocprim3tagENS8_11use_defaultESC_EEPddNS8_4plusIdEEEE10hipError_tPvRmT1_T2_T3_mT4_P12ihipStream_tbEUlT_E1_NS1_11comp_targetILNS1_3genE8ELNS1_11target_archE1030ELNS1_3gpuE2ELNS1_3repE0EEENS1_30default_config_static_selectorELNS0_4arch9wavefront6targetE1EEEvSK_
	.p2align	8
	.type	_ZN7rocprim17ROCPRIM_400000_NS6detail17trampoline_kernelINS0_14default_configENS1_22reduce_config_selectorIdEEZNS1_11reduce_implILb1ES3_N6thrust23THRUST_200600_302600_NS17counting_iteratorIdNS8_11hip_rocprim3tagENS8_11use_defaultESC_EEPddNS8_4plusIdEEEE10hipError_tPvRmT1_T2_T3_mT4_P12ihipStream_tbEUlT_E1_NS1_11comp_targetILNS1_3genE8ELNS1_11target_archE1030ELNS1_3gpuE2ELNS1_3repE0EEENS1_30default_config_static_selectorELNS0_4arch9wavefront6targetE1EEEvSK_,@function
_ZN7rocprim17ROCPRIM_400000_NS6detail17trampoline_kernelINS0_14default_configENS1_22reduce_config_selectorIdEEZNS1_11reduce_implILb1ES3_N6thrust23THRUST_200600_302600_NS17counting_iteratorIdNS8_11hip_rocprim3tagENS8_11use_defaultESC_EEPddNS8_4plusIdEEEE10hipError_tPvRmT1_T2_T3_mT4_P12ihipStream_tbEUlT_E1_NS1_11comp_targetILNS1_3genE8ELNS1_11target_archE1030ELNS1_3gpuE2ELNS1_3repE0EEENS1_30default_config_static_selectorELNS0_4arch9wavefront6targetE1EEEvSK_: ; @_ZN7rocprim17ROCPRIM_400000_NS6detail17trampoline_kernelINS0_14default_configENS1_22reduce_config_selectorIdEEZNS1_11reduce_implILb1ES3_N6thrust23THRUST_200600_302600_NS17counting_iteratorIdNS8_11hip_rocprim3tagENS8_11use_defaultESC_EEPddNS8_4plusIdEEEE10hipError_tPvRmT1_T2_T3_mT4_P12ihipStream_tbEUlT_E1_NS1_11comp_targetILNS1_3genE8ELNS1_11target_archE1030ELNS1_3gpuE2ELNS1_3repE0EEENS1_30default_config_static_selectorELNS0_4arch9wavefront6targetE1EEEvSK_
; %bb.0:
	.section	.rodata,"a",@progbits
	.p2align	6, 0x0
	.amdhsa_kernel _ZN7rocprim17ROCPRIM_400000_NS6detail17trampoline_kernelINS0_14default_configENS1_22reduce_config_selectorIdEEZNS1_11reduce_implILb1ES3_N6thrust23THRUST_200600_302600_NS17counting_iteratorIdNS8_11hip_rocprim3tagENS8_11use_defaultESC_EEPddNS8_4plusIdEEEE10hipError_tPvRmT1_T2_T3_mT4_P12ihipStream_tbEUlT_E1_NS1_11comp_targetILNS1_3genE8ELNS1_11target_archE1030ELNS1_3gpuE2ELNS1_3repE0EEENS1_30default_config_static_selectorELNS0_4arch9wavefront6targetE1EEEvSK_
		.amdhsa_group_segment_fixed_size 0
		.amdhsa_private_segment_fixed_size 0
		.amdhsa_kernarg_size 48
		.amdhsa_user_sgpr_count 2
		.amdhsa_user_sgpr_dispatch_ptr 0
		.amdhsa_user_sgpr_queue_ptr 0
		.amdhsa_user_sgpr_kernarg_segment_ptr 1
		.amdhsa_user_sgpr_dispatch_id 0
		.amdhsa_user_sgpr_kernarg_preload_length 0
		.amdhsa_user_sgpr_kernarg_preload_offset 0
		.amdhsa_user_sgpr_private_segment_size 0
		.amdhsa_uses_dynamic_stack 0
		.amdhsa_enable_private_segment 0
		.amdhsa_system_sgpr_workgroup_id_x 1
		.amdhsa_system_sgpr_workgroup_id_y 0
		.amdhsa_system_sgpr_workgroup_id_z 0
		.amdhsa_system_sgpr_workgroup_info 0
		.amdhsa_system_vgpr_workitem_id 0
		.amdhsa_next_free_vgpr 1
		.amdhsa_next_free_sgpr 0
		.amdhsa_accum_offset 4
		.amdhsa_reserve_vcc 0
		.amdhsa_float_round_mode_32 0
		.amdhsa_float_round_mode_16_64 0
		.amdhsa_float_denorm_mode_32 3
		.amdhsa_float_denorm_mode_16_64 3
		.amdhsa_dx10_clamp 1
		.amdhsa_ieee_mode 1
		.amdhsa_fp16_overflow 0
		.amdhsa_tg_split 0
		.amdhsa_exception_fp_ieee_invalid_op 0
		.amdhsa_exception_fp_denorm_src 0
		.amdhsa_exception_fp_ieee_div_zero 0
		.amdhsa_exception_fp_ieee_overflow 0
		.amdhsa_exception_fp_ieee_underflow 0
		.amdhsa_exception_fp_ieee_inexact 0
		.amdhsa_exception_int_div_zero 0
	.end_amdhsa_kernel
	.section	.text._ZN7rocprim17ROCPRIM_400000_NS6detail17trampoline_kernelINS0_14default_configENS1_22reduce_config_selectorIdEEZNS1_11reduce_implILb1ES3_N6thrust23THRUST_200600_302600_NS17counting_iteratorIdNS8_11hip_rocprim3tagENS8_11use_defaultESC_EEPddNS8_4plusIdEEEE10hipError_tPvRmT1_T2_T3_mT4_P12ihipStream_tbEUlT_E1_NS1_11comp_targetILNS1_3genE8ELNS1_11target_archE1030ELNS1_3gpuE2ELNS1_3repE0EEENS1_30default_config_static_selectorELNS0_4arch9wavefront6targetE1EEEvSK_,"axG",@progbits,_ZN7rocprim17ROCPRIM_400000_NS6detail17trampoline_kernelINS0_14default_configENS1_22reduce_config_selectorIdEEZNS1_11reduce_implILb1ES3_N6thrust23THRUST_200600_302600_NS17counting_iteratorIdNS8_11hip_rocprim3tagENS8_11use_defaultESC_EEPddNS8_4plusIdEEEE10hipError_tPvRmT1_T2_T3_mT4_P12ihipStream_tbEUlT_E1_NS1_11comp_targetILNS1_3genE8ELNS1_11target_archE1030ELNS1_3gpuE2ELNS1_3repE0EEENS1_30default_config_static_selectorELNS0_4arch9wavefront6targetE1EEEvSK_,comdat
.Lfunc_end1000:
	.size	_ZN7rocprim17ROCPRIM_400000_NS6detail17trampoline_kernelINS0_14default_configENS1_22reduce_config_selectorIdEEZNS1_11reduce_implILb1ES3_N6thrust23THRUST_200600_302600_NS17counting_iteratorIdNS8_11hip_rocprim3tagENS8_11use_defaultESC_EEPddNS8_4plusIdEEEE10hipError_tPvRmT1_T2_T3_mT4_P12ihipStream_tbEUlT_E1_NS1_11comp_targetILNS1_3genE8ELNS1_11target_archE1030ELNS1_3gpuE2ELNS1_3repE0EEENS1_30default_config_static_selectorELNS0_4arch9wavefront6targetE1EEEvSK_, .Lfunc_end1000-_ZN7rocprim17ROCPRIM_400000_NS6detail17trampoline_kernelINS0_14default_configENS1_22reduce_config_selectorIdEEZNS1_11reduce_implILb1ES3_N6thrust23THRUST_200600_302600_NS17counting_iteratorIdNS8_11hip_rocprim3tagENS8_11use_defaultESC_EEPddNS8_4plusIdEEEE10hipError_tPvRmT1_T2_T3_mT4_P12ihipStream_tbEUlT_E1_NS1_11comp_targetILNS1_3genE8ELNS1_11target_archE1030ELNS1_3gpuE2ELNS1_3repE0EEENS1_30default_config_static_selectorELNS0_4arch9wavefront6targetE1EEEvSK_
                                        ; -- End function
	.set _ZN7rocprim17ROCPRIM_400000_NS6detail17trampoline_kernelINS0_14default_configENS1_22reduce_config_selectorIdEEZNS1_11reduce_implILb1ES3_N6thrust23THRUST_200600_302600_NS17counting_iteratorIdNS8_11hip_rocprim3tagENS8_11use_defaultESC_EEPddNS8_4plusIdEEEE10hipError_tPvRmT1_T2_T3_mT4_P12ihipStream_tbEUlT_E1_NS1_11comp_targetILNS1_3genE8ELNS1_11target_archE1030ELNS1_3gpuE2ELNS1_3repE0EEENS1_30default_config_static_selectorELNS0_4arch9wavefront6targetE1EEEvSK_.num_vgpr, 0
	.set _ZN7rocprim17ROCPRIM_400000_NS6detail17trampoline_kernelINS0_14default_configENS1_22reduce_config_selectorIdEEZNS1_11reduce_implILb1ES3_N6thrust23THRUST_200600_302600_NS17counting_iteratorIdNS8_11hip_rocprim3tagENS8_11use_defaultESC_EEPddNS8_4plusIdEEEE10hipError_tPvRmT1_T2_T3_mT4_P12ihipStream_tbEUlT_E1_NS1_11comp_targetILNS1_3genE8ELNS1_11target_archE1030ELNS1_3gpuE2ELNS1_3repE0EEENS1_30default_config_static_selectorELNS0_4arch9wavefront6targetE1EEEvSK_.num_agpr, 0
	.set _ZN7rocprim17ROCPRIM_400000_NS6detail17trampoline_kernelINS0_14default_configENS1_22reduce_config_selectorIdEEZNS1_11reduce_implILb1ES3_N6thrust23THRUST_200600_302600_NS17counting_iteratorIdNS8_11hip_rocprim3tagENS8_11use_defaultESC_EEPddNS8_4plusIdEEEE10hipError_tPvRmT1_T2_T3_mT4_P12ihipStream_tbEUlT_E1_NS1_11comp_targetILNS1_3genE8ELNS1_11target_archE1030ELNS1_3gpuE2ELNS1_3repE0EEENS1_30default_config_static_selectorELNS0_4arch9wavefront6targetE1EEEvSK_.numbered_sgpr, 0
	.set _ZN7rocprim17ROCPRIM_400000_NS6detail17trampoline_kernelINS0_14default_configENS1_22reduce_config_selectorIdEEZNS1_11reduce_implILb1ES3_N6thrust23THRUST_200600_302600_NS17counting_iteratorIdNS8_11hip_rocprim3tagENS8_11use_defaultESC_EEPddNS8_4plusIdEEEE10hipError_tPvRmT1_T2_T3_mT4_P12ihipStream_tbEUlT_E1_NS1_11comp_targetILNS1_3genE8ELNS1_11target_archE1030ELNS1_3gpuE2ELNS1_3repE0EEENS1_30default_config_static_selectorELNS0_4arch9wavefront6targetE1EEEvSK_.num_named_barrier, 0
	.set _ZN7rocprim17ROCPRIM_400000_NS6detail17trampoline_kernelINS0_14default_configENS1_22reduce_config_selectorIdEEZNS1_11reduce_implILb1ES3_N6thrust23THRUST_200600_302600_NS17counting_iteratorIdNS8_11hip_rocprim3tagENS8_11use_defaultESC_EEPddNS8_4plusIdEEEE10hipError_tPvRmT1_T2_T3_mT4_P12ihipStream_tbEUlT_E1_NS1_11comp_targetILNS1_3genE8ELNS1_11target_archE1030ELNS1_3gpuE2ELNS1_3repE0EEENS1_30default_config_static_selectorELNS0_4arch9wavefront6targetE1EEEvSK_.private_seg_size, 0
	.set _ZN7rocprim17ROCPRIM_400000_NS6detail17trampoline_kernelINS0_14default_configENS1_22reduce_config_selectorIdEEZNS1_11reduce_implILb1ES3_N6thrust23THRUST_200600_302600_NS17counting_iteratorIdNS8_11hip_rocprim3tagENS8_11use_defaultESC_EEPddNS8_4plusIdEEEE10hipError_tPvRmT1_T2_T3_mT4_P12ihipStream_tbEUlT_E1_NS1_11comp_targetILNS1_3genE8ELNS1_11target_archE1030ELNS1_3gpuE2ELNS1_3repE0EEENS1_30default_config_static_selectorELNS0_4arch9wavefront6targetE1EEEvSK_.uses_vcc, 0
	.set _ZN7rocprim17ROCPRIM_400000_NS6detail17trampoline_kernelINS0_14default_configENS1_22reduce_config_selectorIdEEZNS1_11reduce_implILb1ES3_N6thrust23THRUST_200600_302600_NS17counting_iteratorIdNS8_11hip_rocprim3tagENS8_11use_defaultESC_EEPddNS8_4plusIdEEEE10hipError_tPvRmT1_T2_T3_mT4_P12ihipStream_tbEUlT_E1_NS1_11comp_targetILNS1_3genE8ELNS1_11target_archE1030ELNS1_3gpuE2ELNS1_3repE0EEENS1_30default_config_static_selectorELNS0_4arch9wavefront6targetE1EEEvSK_.uses_flat_scratch, 0
	.set _ZN7rocprim17ROCPRIM_400000_NS6detail17trampoline_kernelINS0_14default_configENS1_22reduce_config_selectorIdEEZNS1_11reduce_implILb1ES3_N6thrust23THRUST_200600_302600_NS17counting_iteratorIdNS8_11hip_rocprim3tagENS8_11use_defaultESC_EEPddNS8_4plusIdEEEE10hipError_tPvRmT1_T2_T3_mT4_P12ihipStream_tbEUlT_E1_NS1_11comp_targetILNS1_3genE8ELNS1_11target_archE1030ELNS1_3gpuE2ELNS1_3repE0EEENS1_30default_config_static_selectorELNS0_4arch9wavefront6targetE1EEEvSK_.has_dyn_sized_stack, 0
	.set _ZN7rocprim17ROCPRIM_400000_NS6detail17trampoline_kernelINS0_14default_configENS1_22reduce_config_selectorIdEEZNS1_11reduce_implILb1ES3_N6thrust23THRUST_200600_302600_NS17counting_iteratorIdNS8_11hip_rocprim3tagENS8_11use_defaultESC_EEPddNS8_4plusIdEEEE10hipError_tPvRmT1_T2_T3_mT4_P12ihipStream_tbEUlT_E1_NS1_11comp_targetILNS1_3genE8ELNS1_11target_archE1030ELNS1_3gpuE2ELNS1_3repE0EEENS1_30default_config_static_selectorELNS0_4arch9wavefront6targetE1EEEvSK_.has_recursion, 0
	.set _ZN7rocprim17ROCPRIM_400000_NS6detail17trampoline_kernelINS0_14default_configENS1_22reduce_config_selectorIdEEZNS1_11reduce_implILb1ES3_N6thrust23THRUST_200600_302600_NS17counting_iteratorIdNS8_11hip_rocprim3tagENS8_11use_defaultESC_EEPddNS8_4plusIdEEEE10hipError_tPvRmT1_T2_T3_mT4_P12ihipStream_tbEUlT_E1_NS1_11comp_targetILNS1_3genE8ELNS1_11target_archE1030ELNS1_3gpuE2ELNS1_3repE0EEENS1_30default_config_static_selectorELNS0_4arch9wavefront6targetE1EEEvSK_.has_indirect_call, 0
	.section	.AMDGPU.csdata,"",@progbits
; Kernel info:
; codeLenInByte = 0
; TotalNumSgprs: 6
; NumVgprs: 0
; NumAgprs: 0
; TotalNumVgprs: 0
; ScratchSize: 0
; MemoryBound: 0
; FloatMode: 240
; IeeeMode: 1
; LDSByteSize: 0 bytes/workgroup (compile time only)
; SGPRBlocks: 0
; VGPRBlocks: 0
; NumSGPRsForWavesPerEU: 6
; NumVGPRsForWavesPerEU: 1
; AccumOffset: 4
; Occupancy: 8
; WaveLimiterHint : 0
; COMPUTE_PGM_RSRC2:SCRATCH_EN: 0
; COMPUTE_PGM_RSRC2:USER_SGPR: 2
; COMPUTE_PGM_RSRC2:TRAP_HANDLER: 0
; COMPUTE_PGM_RSRC2:TGID_X_EN: 1
; COMPUTE_PGM_RSRC2:TGID_Y_EN: 0
; COMPUTE_PGM_RSRC2:TGID_Z_EN: 0
; COMPUTE_PGM_RSRC2:TIDIG_COMP_CNT: 0
; COMPUTE_PGM_RSRC3_GFX90A:ACCUM_OFFSET: 0
; COMPUTE_PGM_RSRC3_GFX90A:TG_SPLIT: 0
	.section	.text._ZN7rocprim17ROCPRIM_400000_NS6detail17trampoline_kernelINS0_14default_configENS1_22reduce_config_selectorIfEEZNS1_11reduce_implILb1ES3_N6thrust23THRUST_200600_302600_NS17counting_iteratorIfNS8_11hip_rocprim3tagENS8_11use_defaultESC_EEPffNS8_4plusIfEEEE10hipError_tPvRmT1_T2_T3_mT4_P12ihipStream_tbEUlT_E0_NS1_11comp_targetILNS1_3genE0ELNS1_11target_archE4294967295ELNS1_3gpuE0ELNS1_3repE0EEENS1_30default_config_static_selectorELNS0_4arch9wavefront6targetE1EEEvSK_,"axG",@progbits,_ZN7rocprim17ROCPRIM_400000_NS6detail17trampoline_kernelINS0_14default_configENS1_22reduce_config_selectorIfEEZNS1_11reduce_implILb1ES3_N6thrust23THRUST_200600_302600_NS17counting_iteratorIfNS8_11hip_rocprim3tagENS8_11use_defaultESC_EEPffNS8_4plusIfEEEE10hipError_tPvRmT1_T2_T3_mT4_P12ihipStream_tbEUlT_E0_NS1_11comp_targetILNS1_3genE0ELNS1_11target_archE4294967295ELNS1_3gpuE0ELNS1_3repE0EEENS1_30default_config_static_selectorELNS0_4arch9wavefront6targetE1EEEvSK_,comdat
	.protected	_ZN7rocprim17ROCPRIM_400000_NS6detail17trampoline_kernelINS0_14default_configENS1_22reduce_config_selectorIfEEZNS1_11reduce_implILb1ES3_N6thrust23THRUST_200600_302600_NS17counting_iteratorIfNS8_11hip_rocprim3tagENS8_11use_defaultESC_EEPffNS8_4plusIfEEEE10hipError_tPvRmT1_T2_T3_mT4_P12ihipStream_tbEUlT_E0_NS1_11comp_targetILNS1_3genE0ELNS1_11target_archE4294967295ELNS1_3gpuE0ELNS1_3repE0EEENS1_30default_config_static_selectorELNS0_4arch9wavefront6targetE1EEEvSK_ ; -- Begin function _ZN7rocprim17ROCPRIM_400000_NS6detail17trampoline_kernelINS0_14default_configENS1_22reduce_config_selectorIfEEZNS1_11reduce_implILb1ES3_N6thrust23THRUST_200600_302600_NS17counting_iteratorIfNS8_11hip_rocprim3tagENS8_11use_defaultESC_EEPffNS8_4plusIfEEEE10hipError_tPvRmT1_T2_T3_mT4_P12ihipStream_tbEUlT_E0_NS1_11comp_targetILNS1_3genE0ELNS1_11target_archE4294967295ELNS1_3gpuE0ELNS1_3repE0EEENS1_30default_config_static_selectorELNS0_4arch9wavefront6targetE1EEEvSK_
	.globl	_ZN7rocprim17ROCPRIM_400000_NS6detail17trampoline_kernelINS0_14default_configENS1_22reduce_config_selectorIfEEZNS1_11reduce_implILb1ES3_N6thrust23THRUST_200600_302600_NS17counting_iteratorIfNS8_11hip_rocprim3tagENS8_11use_defaultESC_EEPffNS8_4plusIfEEEE10hipError_tPvRmT1_T2_T3_mT4_P12ihipStream_tbEUlT_E0_NS1_11comp_targetILNS1_3genE0ELNS1_11target_archE4294967295ELNS1_3gpuE0ELNS1_3repE0EEENS1_30default_config_static_selectorELNS0_4arch9wavefront6targetE1EEEvSK_
	.p2align	8
	.type	_ZN7rocprim17ROCPRIM_400000_NS6detail17trampoline_kernelINS0_14default_configENS1_22reduce_config_selectorIfEEZNS1_11reduce_implILb1ES3_N6thrust23THRUST_200600_302600_NS17counting_iteratorIfNS8_11hip_rocprim3tagENS8_11use_defaultESC_EEPffNS8_4plusIfEEEE10hipError_tPvRmT1_T2_T3_mT4_P12ihipStream_tbEUlT_E0_NS1_11comp_targetILNS1_3genE0ELNS1_11target_archE4294967295ELNS1_3gpuE0ELNS1_3repE0EEENS1_30default_config_static_selectorELNS0_4arch9wavefront6targetE1EEEvSK_,@function
_ZN7rocprim17ROCPRIM_400000_NS6detail17trampoline_kernelINS0_14default_configENS1_22reduce_config_selectorIfEEZNS1_11reduce_implILb1ES3_N6thrust23THRUST_200600_302600_NS17counting_iteratorIfNS8_11hip_rocprim3tagENS8_11use_defaultESC_EEPffNS8_4plusIfEEEE10hipError_tPvRmT1_T2_T3_mT4_P12ihipStream_tbEUlT_E0_NS1_11comp_targetILNS1_3genE0ELNS1_11target_archE4294967295ELNS1_3gpuE0ELNS1_3repE0EEENS1_30default_config_static_selectorELNS0_4arch9wavefront6targetE1EEEvSK_: ; @_ZN7rocprim17ROCPRIM_400000_NS6detail17trampoline_kernelINS0_14default_configENS1_22reduce_config_selectorIfEEZNS1_11reduce_implILb1ES3_N6thrust23THRUST_200600_302600_NS17counting_iteratorIfNS8_11hip_rocprim3tagENS8_11use_defaultESC_EEPffNS8_4plusIfEEEE10hipError_tPvRmT1_T2_T3_mT4_P12ihipStream_tbEUlT_E0_NS1_11comp_targetILNS1_3genE0ELNS1_11target_archE4294967295ELNS1_3gpuE0ELNS1_3repE0EEENS1_30default_config_static_selectorELNS0_4arch9wavefront6targetE1EEEvSK_
; %bb.0:
	s_load_dwordx8 s[4:11], s[0:1], 0x8
	s_load_dword s3, s[0:1], 0x0
	s_lshl_b32 s15, s2, 10
	v_cvt_f32_u32_e32 v2, s15
	v_cvt_f32_ubyte0_e32 v4, v0
	s_waitcnt lgkmcnt(0)
	s_xor_b32 s13, s4, s5
	s_flbit_i32 s12, s5
	s_ashr_i32 s13, s13, 31
	s_add_i32 s12, s12, -1
	s_add_i32 s13, s13, 32
	s_min_u32 s14, s12, s13
	s_lshl_b64 s[4:5], s[4:5], s14
	s_min_u32 s4, s4, 1
	s_or_b32 s4, s5, s4
	v_cvt_f32_i32_e32 v1, s4
	s_load_dwordx2 s[12:13], s[0:1], 0x28
	s_sub_i32 s4, 32, s14
	v_ldexp_f32 v1, v1, s4
	v_add_f32_e32 v1, s3, v1
	s_mov_b32 s3, 0
	s_lshr_b64 s[4:5], s[6:7], 10
	s_cmp_lg_u64 s[4:5], s[2:3]
	v_add_f32_e32 v2, v1, v2
	v_mbcnt_lo_u32_b32 v1, -1, 0
	s_cbranch_scc0 .LBB1001_6
; %bb.1:
	v_add_f32_e32 v3, v2, v4
	v_add_f32_e32 v5, 0x43800000, v3
	;; [unrolled: 1-line block ×7, first 2 shown]
	v_mbcnt_hi_u32_b32 v5, -1, v1
	v_lshlrev_b32_e32 v6, 2, v5
	v_add_f32_dpp v3, v3, v3 quad_perm:[1,0,3,2] row_mask:0xf bank_mask:0xf bound_ctrl:1
	v_or_b32_e32 v7, 0xfc, v6
	v_cmp_eq_u32_e32 vcc, 0, v5
	v_add_f32_dpp v3, v3, v3 quad_perm:[2,3,0,1] row_mask:0xf bank_mask:0xf bound_ctrl:1
	s_nop 1
	v_add_f32_dpp v3, v3, v3 row_ror:4 row_mask:0xf bank_mask:0xf bound_ctrl:1
	s_nop 1
	v_add_f32_dpp v3, v3, v3 row_ror:8 row_mask:0xf bank_mask:0xf bound_ctrl:1
	s_nop 1
	v_add_f32_dpp v3, v3, v3 row_bcast:15 row_mask:0xf bank_mask:0xf bound_ctrl:1
	s_nop 1
	v_add_f32_dpp v3, v3, v3 row_bcast:31 row_mask:0xf bank_mask:0xf bound_ctrl:1
	ds_bpermute_b32 v3, v7, v3
	s_and_saveexec_b64 s[4:5], vcc
	s_cbranch_execz .LBB1001_3
; %bb.2:
	v_lshrrev_b32_e32 v7, 4, v0
	v_and_b32_e32 v7, 12, v7
	s_waitcnt lgkmcnt(0)
	ds_write_b32 v7, v3
.LBB1001_3:
	s_or_b64 exec, exec, s[4:5]
	v_cmp_gt_u32_e32 vcc, 64, v0
	s_waitcnt lgkmcnt(0)
	s_barrier
	s_and_saveexec_b64 s[4:5], vcc
	s_cbranch_execz .LBB1001_5
; %bb.4:
	v_and_b32_e32 v3, 3, v5
	v_lshlrev_b32_e32 v7, 2, v3
	ds_read_b32 v7, v7
	v_cmp_ne_u32_e32 vcc, 3, v3
	s_nop 1
	v_addc_co_u32_e32 v3, vcc, 0, v5, vcc
	v_lshlrev_b32_e32 v3, 2, v3
	s_waitcnt lgkmcnt(0)
	ds_bpermute_b32 v3, v3, v7
	v_or_b32_e32 v5, 8, v6
	s_waitcnt lgkmcnt(0)
	v_add_f32_e32 v3, v7, v3
	ds_bpermute_b32 v5, v5, v3
	s_waitcnt lgkmcnt(0)
	v_add_f32_e32 v3, v3, v5
.LBB1001_5:
	s_or_b64 exec, exec, s[4:5]
	s_load_dword s14, s[0:1], 0x30
	s_branch .LBB1001_12
.LBB1001_6:
                                        ; implicit-def: $vgpr3
	s_load_dword s14, s[0:1], 0x30
	s_cbranch_execz .LBB1001_12
; %bb.7:
	v_or_b32_e32 v3, 0x100, v0
	v_cvt_f32_u32_e32 v5, v3
	s_sub_i32 s15, s6, s15
	v_add_f32_e32 v4, v2, v4
	v_cmp_gt_u32_e32 vcc, s15, v0
	v_or_b32_e32 v6, 0x200, v0
	v_add_f32_e32 v5, v2, v5
	v_cndmask_b32_e32 v4, 0, v4, vcc
	v_cvt_f32_u32_e32 v7, v6
	v_cmp_gt_u32_e32 vcc, s15, v3
	v_cmp_gt_u32_e64 s[0:1], s15, v6
	v_mbcnt_hi_u32_b32 v1, -1, v1
	v_cndmask_b32_e32 v3, 0, v5, vcc
	v_or_b32_e32 v5, 0x300, v0
	v_cvt_f32_u32_e32 v8, v5
	v_add_f32_e32 v7, v2, v7
	v_add_f32_e32 v3, v4, v3
	v_cndmask_b32_e64 v6, 0, v7, s[0:1]
	v_cndmask_b32_e32 v3, v4, v3, vcc
	v_add_f32_e32 v2, v2, v8
	v_cmp_gt_u32_e64 s[4:5], s15, v5
	v_add_f32_e32 v4, v6, v3
	v_cndmask_b32_e64 v3, v3, v4, s[0:1]
	v_cndmask_b32_e64 v2, 0, v2, s[4:5]
	v_and_b32_e32 v4, 63, v1
	v_add_f32_e32 v2, v2, v3
	v_cmp_ne_u32_e32 vcc, 63, v4
	v_cndmask_b32_e64 v3, v3, v2, s[4:5]
	s_min_u32 s15, s15, 0x100
	v_addc_co_u32_e32 v2, vcc, 0, v1, vcc
	v_lshlrev_b32_e32 v2, 2, v2
	ds_bpermute_b32 v2, v2, v3
	v_and_b32_e32 v5, 0xc0, v0
	v_sub_u32_e64 v5, s15, v5 clamp
	v_add_u32_e32 v6, 1, v4
	v_cmp_gt_u32_e64 s[0:1], 62, v4
	s_waitcnt lgkmcnt(0)
	v_add_f32_e32 v2, v3, v2
	v_cmp_lt_u32_e32 vcc, v6, v5
	v_cndmask_b32_e64 v6, 0, 2, s[0:1]
	v_add_lshl_u32 v6, v6, v1, 2
	v_cndmask_b32_e32 v2, v3, v2, vcc
	ds_bpermute_b32 v6, v6, v2
	v_add_u32_e32 v7, 2, v4
	v_cmp_lt_u32_e64 s[0:1], v7, v5
	v_add_u32_e32 v7, 4, v4
	s_waitcnt lgkmcnt(0)
	v_add_f32_e32 v6, v2, v6
	v_cndmask_b32_e64 v2, v2, v6, s[0:1]
	v_cmp_gt_u32_e64 s[0:1], 60, v4
	s_nop 1
	v_cndmask_b32_e64 v6, 0, 4, s[0:1]
	v_add_lshl_u32 v6, v6, v1, 2
	ds_bpermute_b32 v6, v6, v2
	v_cmp_lt_u32_e64 s[0:1], v7, v5
	v_add_u32_e32 v7, 8, v4
	s_waitcnt lgkmcnt(0)
	v_add_f32_e32 v6, v2, v6
	v_cndmask_b32_e64 v2, v2, v6, s[0:1]
	v_cmp_gt_u32_e64 s[0:1], 56, v4
	s_nop 1
	v_cndmask_b32_e64 v6, 0, 8, s[0:1]
	v_add_lshl_u32 v6, v6, v1, 2
	ds_bpermute_b32 v6, v6, v2
	v_cmp_lt_u32_e64 s[0:1], v7, v5
	v_add_u32_e32 v7, 16, v4
	s_waitcnt lgkmcnt(0)
	v_add_f32_e32 v6, v2, v6
	v_cndmask_b32_e64 v2, v2, v6, s[0:1]
	v_cmp_gt_u32_e64 s[0:1], 48, v4
	v_add_u32_e32 v4, 32, v4
	s_nop 0
	v_cndmask_b32_e64 v6, 0, 16, s[0:1]
	v_add_lshl_u32 v6, v6, v1, 2
	ds_bpermute_b32 v6, v6, v2
	v_cmp_lt_u32_e64 s[0:1], v7, v5
	s_waitcnt lgkmcnt(0)
	v_add_f32_e32 v6, v2, v6
	v_cndmask_b32_e64 v6, v2, v6, s[0:1]
	v_lshlrev_b32_e32 v2, 2, v1
	v_or_b32_e32 v7, 0x80, v2
	ds_bpermute_b32 v7, v7, v6
	v_cmp_lt_u32_e64 s[0:1], v4, v5
	s_waitcnt lgkmcnt(0)
	v_add_f32_e32 v7, v6, v7
	v_cndmask_b32_e64 v4, v6, v7, s[0:1]
	v_cndmask_b32_e32 v3, v3, v4, vcc
	v_cmp_eq_u32_e32 vcc, 0, v1
	s_and_saveexec_b64 s[0:1], vcc
; %bb.8:
	v_lshrrev_b32_e32 v4, 4, v0
	v_and_b32_e32 v4, 12, v4
	ds_write_b32 v4, v3 offset:16
; %bb.9:
	s_or_b64 exec, exec, s[0:1]
	v_cmp_gt_u32_e32 vcc, 4, v0
	s_waitcnt lgkmcnt(0)
	s_barrier
	s_and_saveexec_b64 s[4:5], vcc
	s_cbranch_execz .LBB1001_11
; %bb.10:
	ds_read_b32 v3, v2 offset:16
	v_and_b32_e32 v4, 3, v1
	v_cmp_ne_u32_e32 vcc, 3, v4
	s_add_i32 s15, s15, 63
	s_lshr_b32 s0, s15, 6
	v_addc_co_u32_e32 v1, vcc, 0, v1, vcc
	v_lshlrev_b32_e32 v1, 2, v1
	s_waitcnt lgkmcnt(0)
	ds_bpermute_b32 v1, v1, v3
	v_add_u32_e32 v5, 1, v4
	v_cmp_gt_u32_e32 vcc, s0, v5
	v_or_b32_e32 v2, 8, v2
	v_add_u32_e32 v4, 2, v4
	s_waitcnt lgkmcnt(0)
	v_add_f32_e32 v1, v3, v1
	v_cndmask_b32_e32 v1, v3, v1, vcc
	ds_bpermute_b32 v2, v2, v1
	v_cmp_gt_u32_e64 s[0:1], s0, v4
	s_waitcnt lgkmcnt(0)
	v_add_f32_e32 v2, v1, v2
	v_cndmask_b32_e64 v1, v1, v2, s[0:1]
	v_cndmask_b32_e32 v3, v3, v1, vcc
.LBB1001_11:
	s_or_b64 exec, exec, s[4:5]
.LBB1001_12:
	v_cmp_eq_u32_e32 vcc, 0, v0
	s_and_saveexec_b64 s[0:1], vcc
	s_cbranch_execnz .LBB1001_14
; %bb.13:
	s_endpgm
.LBB1001_14:
	s_waitcnt lgkmcnt(0)
	s_mul_i32 s0, s12, s11
	s_mul_hi_u32 s1, s12, s10
	s_add_i32 s0, s1, s0
	s_mul_i32 s1, s13, s10
	s_add_i32 s1, s0, s1
	s_mul_i32 s0, s12, s10
	s_lshl_b64 s[0:1], s[0:1], 2
	s_add_u32 s4, s8, s0
	s_addc_u32 s5, s9, s1
	s_cmp_eq_u64 s[6:7], 0
	s_cselect_b64 vcc, -1, 0
	s_lshl_b64 s[0:1], s[2:3], 2
	v_mov_b32_e32 v0, s14
	s_add_u32 s0, s4, s0
	v_cndmask_b32_e32 v0, v3, v0, vcc
	s_addc_u32 s1, s5, s1
	v_mov_b32_e32 v1, 0
	global_store_dword v1, v0, s[0:1]
	s_endpgm
	.section	.rodata,"a",@progbits
	.p2align	6, 0x0
	.amdhsa_kernel _ZN7rocprim17ROCPRIM_400000_NS6detail17trampoline_kernelINS0_14default_configENS1_22reduce_config_selectorIfEEZNS1_11reduce_implILb1ES3_N6thrust23THRUST_200600_302600_NS17counting_iteratorIfNS8_11hip_rocprim3tagENS8_11use_defaultESC_EEPffNS8_4plusIfEEEE10hipError_tPvRmT1_T2_T3_mT4_P12ihipStream_tbEUlT_E0_NS1_11comp_targetILNS1_3genE0ELNS1_11target_archE4294967295ELNS1_3gpuE0ELNS1_3repE0EEENS1_30default_config_static_selectorELNS0_4arch9wavefront6targetE1EEEvSK_
		.amdhsa_group_segment_fixed_size 32
		.amdhsa_private_segment_fixed_size 0
		.amdhsa_kernarg_size 56
		.amdhsa_user_sgpr_count 2
		.amdhsa_user_sgpr_dispatch_ptr 0
		.amdhsa_user_sgpr_queue_ptr 0
		.amdhsa_user_sgpr_kernarg_segment_ptr 1
		.amdhsa_user_sgpr_dispatch_id 0
		.amdhsa_user_sgpr_kernarg_preload_length 0
		.amdhsa_user_sgpr_kernarg_preload_offset 0
		.amdhsa_user_sgpr_private_segment_size 0
		.amdhsa_uses_dynamic_stack 0
		.amdhsa_enable_private_segment 0
		.amdhsa_system_sgpr_workgroup_id_x 1
		.amdhsa_system_sgpr_workgroup_id_y 0
		.amdhsa_system_sgpr_workgroup_id_z 0
		.amdhsa_system_sgpr_workgroup_info 0
		.amdhsa_system_vgpr_workitem_id 0
		.amdhsa_next_free_vgpr 9
		.amdhsa_next_free_sgpr 16
		.amdhsa_accum_offset 12
		.amdhsa_reserve_vcc 1
		.amdhsa_float_round_mode_32 0
		.amdhsa_float_round_mode_16_64 0
		.amdhsa_float_denorm_mode_32 3
		.amdhsa_float_denorm_mode_16_64 3
		.amdhsa_dx10_clamp 1
		.amdhsa_ieee_mode 1
		.amdhsa_fp16_overflow 0
		.amdhsa_tg_split 0
		.amdhsa_exception_fp_ieee_invalid_op 0
		.amdhsa_exception_fp_denorm_src 0
		.amdhsa_exception_fp_ieee_div_zero 0
		.amdhsa_exception_fp_ieee_overflow 0
		.amdhsa_exception_fp_ieee_underflow 0
		.amdhsa_exception_fp_ieee_inexact 0
		.amdhsa_exception_int_div_zero 0
	.end_amdhsa_kernel
	.section	.text._ZN7rocprim17ROCPRIM_400000_NS6detail17trampoline_kernelINS0_14default_configENS1_22reduce_config_selectorIfEEZNS1_11reduce_implILb1ES3_N6thrust23THRUST_200600_302600_NS17counting_iteratorIfNS8_11hip_rocprim3tagENS8_11use_defaultESC_EEPffNS8_4plusIfEEEE10hipError_tPvRmT1_T2_T3_mT4_P12ihipStream_tbEUlT_E0_NS1_11comp_targetILNS1_3genE0ELNS1_11target_archE4294967295ELNS1_3gpuE0ELNS1_3repE0EEENS1_30default_config_static_selectorELNS0_4arch9wavefront6targetE1EEEvSK_,"axG",@progbits,_ZN7rocprim17ROCPRIM_400000_NS6detail17trampoline_kernelINS0_14default_configENS1_22reduce_config_selectorIfEEZNS1_11reduce_implILb1ES3_N6thrust23THRUST_200600_302600_NS17counting_iteratorIfNS8_11hip_rocprim3tagENS8_11use_defaultESC_EEPffNS8_4plusIfEEEE10hipError_tPvRmT1_T2_T3_mT4_P12ihipStream_tbEUlT_E0_NS1_11comp_targetILNS1_3genE0ELNS1_11target_archE4294967295ELNS1_3gpuE0ELNS1_3repE0EEENS1_30default_config_static_selectorELNS0_4arch9wavefront6targetE1EEEvSK_,comdat
.Lfunc_end1001:
	.size	_ZN7rocprim17ROCPRIM_400000_NS6detail17trampoline_kernelINS0_14default_configENS1_22reduce_config_selectorIfEEZNS1_11reduce_implILb1ES3_N6thrust23THRUST_200600_302600_NS17counting_iteratorIfNS8_11hip_rocprim3tagENS8_11use_defaultESC_EEPffNS8_4plusIfEEEE10hipError_tPvRmT1_T2_T3_mT4_P12ihipStream_tbEUlT_E0_NS1_11comp_targetILNS1_3genE0ELNS1_11target_archE4294967295ELNS1_3gpuE0ELNS1_3repE0EEENS1_30default_config_static_selectorELNS0_4arch9wavefront6targetE1EEEvSK_, .Lfunc_end1001-_ZN7rocprim17ROCPRIM_400000_NS6detail17trampoline_kernelINS0_14default_configENS1_22reduce_config_selectorIfEEZNS1_11reduce_implILb1ES3_N6thrust23THRUST_200600_302600_NS17counting_iteratorIfNS8_11hip_rocprim3tagENS8_11use_defaultESC_EEPffNS8_4plusIfEEEE10hipError_tPvRmT1_T2_T3_mT4_P12ihipStream_tbEUlT_E0_NS1_11comp_targetILNS1_3genE0ELNS1_11target_archE4294967295ELNS1_3gpuE0ELNS1_3repE0EEENS1_30default_config_static_selectorELNS0_4arch9wavefront6targetE1EEEvSK_
                                        ; -- End function
	.set _ZN7rocprim17ROCPRIM_400000_NS6detail17trampoline_kernelINS0_14default_configENS1_22reduce_config_selectorIfEEZNS1_11reduce_implILb1ES3_N6thrust23THRUST_200600_302600_NS17counting_iteratorIfNS8_11hip_rocprim3tagENS8_11use_defaultESC_EEPffNS8_4plusIfEEEE10hipError_tPvRmT1_T2_T3_mT4_P12ihipStream_tbEUlT_E0_NS1_11comp_targetILNS1_3genE0ELNS1_11target_archE4294967295ELNS1_3gpuE0ELNS1_3repE0EEENS1_30default_config_static_selectorELNS0_4arch9wavefront6targetE1EEEvSK_.num_vgpr, 9
	.set _ZN7rocprim17ROCPRIM_400000_NS6detail17trampoline_kernelINS0_14default_configENS1_22reduce_config_selectorIfEEZNS1_11reduce_implILb1ES3_N6thrust23THRUST_200600_302600_NS17counting_iteratorIfNS8_11hip_rocprim3tagENS8_11use_defaultESC_EEPffNS8_4plusIfEEEE10hipError_tPvRmT1_T2_T3_mT4_P12ihipStream_tbEUlT_E0_NS1_11comp_targetILNS1_3genE0ELNS1_11target_archE4294967295ELNS1_3gpuE0ELNS1_3repE0EEENS1_30default_config_static_selectorELNS0_4arch9wavefront6targetE1EEEvSK_.num_agpr, 0
	.set _ZN7rocprim17ROCPRIM_400000_NS6detail17trampoline_kernelINS0_14default_configENS1_22reduce_config_selectorIfEEZNS1_11reduce_implILb1ES3_N6thrust23THRUST_200600_302600_NS17counting_iteratorIfNS8_11hip_rocprim3tagENS8_11use_defaultESC_EEPffNS8_4plusIfEEEE10hipError_tPvRmT1_T2_T3_mT4_P12ihipStream_tbEUlT_E0_NS1_11comp_targetILNS1_3genE0ELNS1_11target_archE4294967295ELNS1_3gpuE0ELNS1_3repE0EEENS1_30default_config_static_selectorELNS0_4arch9wavefront6targetE1EEEvSK_.numbered_sgpr, 16
	.set _ZN7rocprim17ROCPRIM_400000_NS6detail17trampoline_kernelINS0_14default_configENS1_22reduce_config_selectorIfEEZNS1_11reduce_implILb1ES3_N6thrust23THRUST_200600_302600_NS17counting_iteratorIfNS8_11hip_rocprim3tagENS8_11use_defaultESC_EEPffNS8_4plusIfEEEE10hipError_tPvRmT1_T2_T3_mT4_P12ihipStream_tbEUlT_E0_NS1_11comp_targetILNS1_3genE0ELNS1_11target_archE4294967295ELNS1_3gpuE0ELNS1_3repE0EEENS1_30default_config_static_selectorELNS0_4arch9wavefront6targetE1EEEvSK_.num_named_barrier, 0
	.set _ZN7rocprim17ROCPRIM_400000_NS6detail17trampoline_kernelINS0_14default_configENS1_22reduce_config_selectorIfEEZNS1_11reduce_implILb1ES3_N6thrust23THRUST_200600_302600_NS17counting_iteratorIfNS8_11hip_rocprim3tagENS8_11use_defaultESC_EEPffNS8_4plusIfEEEE10hipError_tPvRmT1_T2_T3_mT4_P12ihipStream_tbEUlT_E0_NS1_11comp_targetILNS1_3genE0ELNS1_11target_archE4294967295ELNS1_3gpuE0ELNS1_3repE0EEENS1_30default_config_static_selectorELNS0_4arch9wavefront6targetE1EEEvSK_.private_seg_size, 0
	.set _ZN7rocprim17ROCPRIM_400000_NS6detail17trampoline_kernelINS0_14default_configENS1_22reduce_config_selectorIfEEZNS1_11reduce_implILb1ES3_N6thrust23THRUST_200600_302600_NS17counting_iteratorIfNS8_11hip_rocprim3tagENS8_11use_defaultESC_EEPffNS8_4plusIfEEEE10hipError_tPvRmT1_T2_T3_mT4_P12ihipStream_tbEUlT_E0_NS1_11comp_targetILNS1_3genE0ELNS1_11target_archE4294967295ELNS1_3gpuE0ELNS1_3repE0EEENS1_30default_config_static_selectorELNS0_4arch9wavefront6targetE1EEEvSK_.uses_vcc, 1
	.set _ZN7rocprim17ROCPRIM_400000_NS6detail17trampoline_kernelINS0_14default_configENS1_22reduce_config_selectorIfEEZNS1_11reduce_implILb1ES3_N6thrust23THRUST_200600_302600_NS17counting_iteratorIfNS8_11hip_rocprim3tagENS8_11use_defaultESC_EEPffNS8_4plusIfEEEE10hipError_tPvRmT1_T2_T3_mT4_P12ihipStream_tbEUlT_E0_NS1_11comp_targetILNS1_3genE0ELNS1_11target_archE4294967295ELNS1_3gpuE0ELNS1_3repE0EEENS1_30default_config_static_selectorELNS0_4arch9wavefront6targetE1EEEvSK_.uses_flat_scratch, 0
	.set _ZN7rocprim17ROCPRIM_400000_NS6detail17trampoline_kernelINS0_14default_configENS1_22reduce_config_selectorIfEEZNS1_11reduce_implILb1ES3_N6thrust23THRUST_200600_302600_NS17counting_iteratorIfNS8_11hip_rocprim3tagENS8_11use_defaultESC_EEPffNS8_4plusIfEEEE10hipError_tPvRmT1_T2_T3_mT4_P12ihipStream_tbEUlT_E0_NS1_11comp_targetILNS1_3genE0ELNS1_11target_archE4294967295ELNS1_3gpuE0ELNS1_3repE0EEENS1_30default_config_static_selectorELNS0_4arch9wavefront6targetE1EEEvSK_.has_dyn_sized_stack, 0
	.set _ZN7rocprim17ROCPRIM_400000_NS6detail17trampoline_kernelINS0_14default_configENS1_22reduce_config_selectorIfEEZNS1_11reduce_implILb1ES3_N6thrust23THRUST_200600_302600_NS17counting_iteratorIfNS8_11hip_rocprim3tagENS8_11use_defaultESC_EEPffNS8_4plusIfEEEE10hipError_tPvRmT1_T2_T3_mT4_P12ihipStream_tbEUlT_E0_NS1_11comp_targetILNS1_3genE0ELNS1_11target_archE4294967295ELNS1_3gpuE0ELNS1_3repE0EEENS1_30default_config_static_selectorELNS0_4arch9wavefront6targetE1EEEvSK_.has_recursion, 0
	.set _ZN7rocprim17ROCPRIM_400000_NS6detail17trampoline_kernelINS0_14default_configENS1_22reduce_config_selectorIfEEZNS1_11reduce_implILb1ES3_N6thrust23THRUST_200600_302600_NS17counting_iteratorIfNS8_11hip_rocprim3tagENS8_11use_defaultESC_EEPffNS8_4plusIfEEEE10hipError_tPvRmT1_T2_T3_mT4_P12ihipStream_tbEUlT_E0_NS1_11comp_targetILNS1_3genE0ELNS1_11target_archE4294967295ELNS1_3gpuE0ELNS1_3repE0EEENS1_30default_config_static_selectorELNS0_4arch9wavefront6targetE1EEEvSK_.has_indirect_call, 0
	.section	.AMDGPU.csdata,"",@progbits
; Kernel info:
; codeLenInByte = 1188
; TotalNumSgprs: 22
; NumVgprs: 9
; NumAgprs: 0
; TotalNumVgprs: 9
; ScratchSize: 0
; MemoryBound: 0
; FloatMode: 240
; IeeeMode: 1
; LDSByteSize: 32 bytes/workgroup (compile time only)
; SGPRBlocks: 2
; VGPRBlocks: 1
; NumSGPRsForWavesPerEU: 22
; NumVGPRsForWavesPerEU: 9
; AccumOffset: 12
; Occupancy: 8
; WaveLimiterHint : 0
; COMPUTE_PGM_RSRC2:SCRATCH_EN: 0
; COMPUTE_PGM_RSRC2:USER_SGPR: 2
; COMPUTE_PGM_RSRC2:TRAP_HANDLER: 0
; COMPUTE_PGM_RSRC2:TGID_X_EN: 1
; COMPUTE_PGM_RSRC2:TGID_Y_EN: 0
; COMPUTE_PGM_RSRC2:TGID_Z_EN: 0
; COMPUTE_PGM_RSRC2:TIDIG_COMP_CNT: 0
; COMPUTE_PGM_RSRC3_GFX90A:ACCUM_OFFSET: 2
; COMPUTE_PGM_RSRC3_GFX90A:TG_SPLIT: 0
	.section	.text._ZN7rocprim17ROCPRIM_400000_NS6detail17trampoline_kernelINS0_14default_configENS1_22reduce_config_selectorIfEEZNS1_11reduce_implILb1ES3_N6thrust23THRUST_200600_302600_NS17counting_iteratorIfNS8_11hip_rocprim3tagENS8_11use_defaultESC_EEPffNS8_4plusIfEEEE10hipError_tPvRmT1_T2_T3_mT4_P12ihipStream_tbEUlT_E0_NS1_11comp_targetILNS1_3genE5ELNS1_11target_archE942ELNS1_3gpuE9ELNS1_3repE0EEENS1_30default_config_static_selectorELNS0_4arch9wavefront6targetE1EEEvSK_,"axG",@progbits,_ZN7rocprim17ROCPRIM_400000_NS6detail17trampoline_kernelINS0_14default_configENS1_22reduce_config_selectorIfEEZNS1_11reduce_implILb1ES3_N6thrust23THRUST_200600_302600_NS17counting_iteratorIfNS8_11hip_rocprim3tagENS8_11use_defaultESC_EEPffNS8_4plusIfEEEE10hipError_tPvRmT1_T2_T3_mT4_P12ihipStream_tbEUlT_E0_NS1_11comp_targetILNS1_3genE5ELNS1_11target_archE942ELNS1_3gpuE9ELNS1_3repE0EEENS1_30default_config_static_selectorELNS0_4arch9wavefront6targetE1EEEvSK_,comdat
	.protected	_ZN7rocprim17ROCPRIM_400000_NS6detail17trampoline_kernelINS0_14default_configENS1_22reduce_config_selectorIfEEZNS1_11reduce_implILb1ES3_N6thrust23THRUST_200600_302600_NS17counting_iteratorIfNS8_11hip_rocprim3tagENS8_11use_defaultESC_EEPffNS8_4plusIfEEEE10hipError_tPvRmT1_T2_T3_mT4_P12ihipStream_tbEUlT_E0_NS1_11comp_targetILNS1_3genE5ELNS1_11target_archE942ELNS1_3gpuE9ELNS1_3repE0EEENS1_30default_config_static_selectorELNS0_4arch9wavefront6targetE1EEEvSK_ ; -- Begin function _ZN7rocprim17ROCPRIM_400000_NS6detail17trampoline_kernelINS0_14default_configENS1_22reduce_config_selectorIfEEZNS1_11reduce_implILb1ES3_N6thrust23THRUST_200600_302600_NS17counting_iteratorIfNS8_11hip_rocprim3tagENS8_11use_defaultESC_EEPffNS8_4plusIfEEEE10hipError_tPvRmT1_T2_T3_mT4_P12ihipStream_tbEUlT_E0_NS1_11comp_targetILNS1_3genE5ELNS1_11target_archE942ELNS1_3gpuE9ELNS1_3repE0EEENS1_30default_config_static_selectorELNS0_4arch9wavefront6targetE1EEEvSK_
	.globl	_ZN7rocprim17ROCPRIM_400000_NS6detail17trampoline_kernelINS0_14default_configENS1_22reduce_config_selectorIfEEZNS1_11reduce_implILb1ES3_N6thrust23THRUST_200600_302600_NS17counting_iteratorIfNS8_11hip_rocprim3tagENS8_11use_defaultESC_EEPffNS8_4plusIfEEEE10hipError_tPvRmT1_T2_T3_mT4_P12ihipStream_tbEUlT_E0_NS1_11comp_targetILNS1_3genE5ELNS1_11target_archE942ELNS1_3gpuE9ELNS1_3repE0EEENS1_30default_config_static_selectorELNS0_4arch9wavefront6targetE1EEEvSK_
	.p2align	8
	.type	_ZN7rocprim17ROCPRIM_400000_NS6detail17trampoline_kernelINS0_14default_configENS1_22reduce_config_selectorIfEEZNS1_11reduce_implILb1ES3_N6thrust23THRUST_200600_302600_NS17counting_iteratorIfNS8_11hip_rocprim3tagENS8_11use_defaultESC_EEPffNS8_4plusIfEEEE10hipError_tPvRmT1_T2_T3_mT4_P12ihipStream_tbEUlT_E0_NS1_11comp_targetILNS1_3genE5ELNS1_11target_archE942ELNS1_3gpuE9ELNS1_3repE0EEENS1_30default_config_static_selectorELNS0_4arch9wavefront6targetE1EEEvSK_,@function
_ZN7rocprim17ROCPRIM_400000_NS6detail17trampoline_kernelINS0_14default_configENS1_22reduce_config_selectorIfEEZNS1_11reduce_implILb1ES3_N6thrust23THRUST_200600_302600_NS17counting_iteratorIfNS8_11hip_rocprim3tagENS8_11use_defaultESC_EEPffNS8_4plusIfEEEE10hipError_tPvRmT1_T2_T3_mT4_P12ihipStream_tbEUlT_E0_NS1_11comp_targetILNS1_3genE5ELNS1_11target_archE942ELNS1_3gpuE9ELNS1_3repE0EEENS1_30default_config_static_selectorELNS0_4arch9wavefront6targetE1EEEvSK_: ; @_ZN7rocprim17ROCPRIM_400000_NS6detail17trampoline_kernelINS0_14default_configENS1_22reduce_config_selectorIfEEZNS1_11reduce_implILb1ES3_N6thrust23THRUST_200600_302600_NS17counting_iteratorIfNS8_11hip_rocprim3tagENS8_11use_defaultESC_EEPffNS8_4plusIfEEEE10hipError_tPvRmT1_T2_T3_mT4_P12ihipStream_tbEUlT_E0_NS1_11comp_targetILNS1_3genE5ELNS1_11target_archE942ELNS1_3gpuE9ELNS1_3repE0EEENS1_30default_config_static_selectorELNS0_4arch9wavefront6targetE1EEEvSK_
; %bb.0:
	.section	.rodata,"a",@progbits
	.p2align	6, 0x0
	.amdhsa_kernel _ZN7rocprim17ROCPRIM_400000_NS6detail17trampoline_kernelINS0_14default_configENS1_22reduce_config_selectorIfEEZNS1_11reduce_implILb1ES3_N6thrust23THRUST_200600_302600_NS17counting_iteratorIfNS8_11hip_rocprim3tagENS8_11use_defaultESC_EEPffNS8_4plusIfEEEE10hipError_tPvRmT1_T2_T3_mT4_P12ihipStream_tbEUlT_E0_NS1_11comp_targetILNS1_3genE5ELNS1_11target_archE942ELNS1_3gpuE9ELNS1_3repE0EEENS1_30default_config_static_selectorELNS0_4arch9wavefront6targetE1EEEvSK_
		.amdhsa_group_segment_fixed_size 0
		.amdhsa_private_segment_fixed_size 0
		.amdhsa_kernarg_size 56
		.amdhsa_user_sgpr_count 2
		.amdhsa_user_sgpr_dispatch_ptr 0
		.amdhsa_user_sgpr_queue_ptr 0
		.amdhsa_user_sgpr_kernarg_segment_ptr 1
		.amdhsa_user_sgpr_dispatch_id 0
		.amdhsa_user_sgpr_kernarg_preload_length 0
		.amdhsa_user_sgpr_kernarg_preload_offset 0
		.amdhsa_user_sgpr_private_segment_size 0
		.amdhsa_uses_dynamic_stack 0
		.amdhsa_enable_private_segment 0
		.amdhsa_system_sgpr_workgroup_id_x 1
		.amdhsa_system_sgpr_workgroup_id_y 0
		.amdhsa_system_sgpr_workgroup_id_z 0
		.amdhsa_system_sgpr_workgroup_info 0
		.amdhsa_system_vgpr_workitem_id 0
		.amdhsa_next_free_vgpr 1
		.amdhsa_next_free_sgpr 0
		.amdhsa_accum_offset 4
		.amdhsa_reserve_vcc 0
		.amdhsa_float_round_mode_32 0
		.amdhsa_float_round_mode_16_64 0
		.amdhsa_float_denorm_mode_32 3
		.amdhsa_float_denorm_mode_16_64 3
		.amdhsa_dx10_clamp 1
		.amdhsa_ieee_mode 1
		.amdhsa_fp16_overflow 0
		.amdhsa_tg_split 0
		.amdhsa_exception_fp_ieee_invalid_op 0
		.amdhsa_exception_fp_denorm_src 0
		.amdhsa_exception_fp_ieee_div_zero 0
		.amdhsa_exception_fp_ieee_overflow 0
		.amdhsa_exception_fp_ieee_underflow 0
		.amdhsa_exception_fp_ieee_inexact 0
		.amdhsa_exception_int_div_zero 0
	.end_amdhsa_kernel
	.section	.text._ZN7rocprim17ROCPRIM_400000_NS6detail17trampoline_kernelINS0_14default_configENS1_22reduce_config_selectorIfEEZNS1_11reduce_implILb1ES3_N6thrust23THRUST_200600_302600_NS17counting_iteratorIfNS8_11hip_rocprim3tagENS8_11use_defaultESC_EEPffNS8_4plusIfEEEE10hipError_tPvRmT1_T2_T3_mT4_P12ihipStream_tbEUlT_E0_NS1_11comp_targetILNS1_3genE5ELNS1_11target_archE942ELNS1_3gpuE9ELNS1_3repE0EEENS1_30default_config_static_selectorELNS0_4arch9wavefront6targetE1EEEvSK_,"axG",@progbits,_ZN7rocprim17ROCPRIM_400000_NS6detail17trampoline_kernelINS0_14default_configENS1_22reduce_config_selectorIfEEZNS1_11reduce_implILb1ES3_N6thrust23THRUST_200600_302600_NS17counting_iteratorIfNS8_11hip_rocprim3tagENS8_11use_defaultESC_EEPffNS8_4plusIfEEEE10hipError_tPvRmT1_T2_T3_mT4_P12ihipStream_tbEUlT_E0_NS1_11comp_targetILNS1_3genE5ELNS1_11target_archE942ELNS1_3gpuE9ELNS1_3repE0EEENS1_30default_config_static_selectorELNS0_4arch9wavefront6targetE1EEEvSK_,comdat
.Lfunc_end1002:
	.size	_ZN7rocprim17ROCPRIM_400000_NS6detail17trampoline_kernelINS0_14default_configENS1_22reduce_config_selectorIfEEZNS1_11reduce_implILb1ES3_N6thrust23THRUST_200600_302600_NS17counting_iteratorIfNS8_11hip_rocprim3tagENS8_11use_defaultESC_EEPffNS8_4plusIfEEEE10hipError_tPvRmT1_T2_T3_mT4_P12ihipStream_tbEUlT_E0_NS1_11comp_targetILNS1_3genE5ELNS1_11target_archE942ELNS1_3gpuE9ELNS1_3repE0EEENS1_30default_config_static_selectorELNS0_4arch9wavefront6targetE1EEEvSK_, .Lfunc_end1002-_ZN7rocprim17ROCPRIM_400000_NS6detail17trampoline_kernelINS0_14default_configENS1_22reduce_config_selectorIfEEZNS1_11reduce_implILb1ES3_N6thrust23THRUST_200600_302600_NS17counting_iteratorIfNS8_11hip_rocprim3tagENS8_11use_defaultESC_EEPffNS8_4plusIfEEEE10hipError_tPvRmT1_T2_T3_mT4_P12ihipStream_tbEUlT_E0_NS1_11comp_targetILNS1_3genE5ELNS1_11target_archE942ELNS1_3gpuE9ELNS1_3repE0EEENS1_30default_config_static_selectorELNS0_4arch9wavefront6targetE1EEEvSK_
                                        ; -- End function
	.set _ZN7rocprim17ROCPRIM_400000_NS6detail17trampoline_kernelINS0_14default_configENS1_22reduce_config_selectorIfEEZNS1_11reduce_implILb1ES3_N6thrust23THRUST_200600_302600_NS17counting_iteratorIfNS8_11hip_rocprim3tagENS8_11use_defaultESC_EEPffNS8_4plusIfEEEE10hipError_tPvRmT1_T2_T3_mT4_P12ihipStream_tbEUlT_E0_NS1_11comp_targetILNS1_3genE5ELNS1_11target_archE942ELNS1_3gpuE9ELNS1_3repE0EEENS1_30default_config_static_selectorELNS0_4arch9wavefront6targetE1EEEvSK_.num_vgpr, 0
	.set _ZN7rocprim17ROCPRIM_400000_NS6detail17trampoline_kernelINS0_14default_configENS1_22reduce_config_selectorIfEEZNS1_11reduce_implILb1ES3_N6thrust23THRUST_200600_302600_NS17counting_iteratorIfNS8_11hip_rocprim3tagENS8_11use_defaultESC_EEPffNS8_4plusIfEEEE10hipError_tPvRmT1_T2_T3_mT4_P12ihipStream_tbEUlT_E0_NS1_11comp_targetILNS1_3genE5ELNS1_11target_archE942ELNS1_3gpuE9ELNS1_3repE0EEENS1_30default_config_static_selectorELNS0_4arch9wavefront6targetE1EEEvSK_.num_agpr, 0
	.set _ZN7rocprim17ROCPRIM_400000_NS6detail17trampoline_kernelINS0_14default_configENS1_22reduce_config_selectorIfEEZNS1_11reduce_implILb1ES3_N6thrust23THRUST_200600_302600_NS17counting_iteratorIfNS8_11hip_rocprim3tagENS8_11use_defaultESC_EEPffNS8_4plusIfEEEE10hipError_tPvRmT1_T2_T3_mT4_P12ihipStream_tbEUlT_E0_NS1_11comp_targetILNS1_3genE5ELNS1_11target_archE942ELNS1_3gpuE9ELNS1_3repE0EEENS1_30default_config_static_selectorELNS0_4arch9wavefront6targetE1EEEvSK_.numbered_sgpr, 0
	.set _ZN7rocprim17ROCPRIM_400000_NS6detail17trampoline_kernelINS0_14default_configENS1_22reduce_config_selectorIfEEZNS1_11reduce_implILb1ES3_N6thrust23THRUST_200600_302600_NS17counting_iteratorIfNS8_11hip_rocprim3tagENS8_11use_defaultESC_EEPffNS8_4plusIfEEEE10hipError_tPvRmT1_T2_T3_mT4_P12ihipStream_tbEUlT_E0_NS1_11comp_targetILNS1_3genE5ELNS1_11target_archE942ELNS1_3gpuE9ELNS1_3repE0EEENS1_30default_config_static_selectorELNS0_4arch9wavefront6targetE1EEEvSK_.num_named_barrier, 0
	.set _ZN7rocprim17ROCPRIM_400000_NS6detail17trampoline_kernelINS0_14default_configENS1_22reduce_config_selectorIfEEZNS1_11reduce_implILb1ES3_N6thrust23THRUST_200600_302600_NS17counting_iteratorIfNS8_11hip_rocprim3tagENS8_11use_defaultESC_EEPffNS8_4plusIfEEEE10hipError_tPvRmT1_T2_T3_mT4_P12ihipStream_tbEUlT_E0_NS1_11comp_targetILNS1_3genE5ELNS1_11target_archE942ELNS1_3gpuE9ELNS1_3repE0EEENS1_30default_config_static_selectorELNS0_4arch9wavefront6targetE1EEEvSK_.private_seg_size, 0
	.set _ZN7rocprim17ROCPRIM_400000_NS6detail17trampoline_kernelINS0_14default_configENS1_22reduce_config_selectorIfEEZNS1_11reduce_implILb1ES3_N6thrust23THRUST_200600_302600_NS17counting_iteratorIfNS8_11hip_rocprim3tagENS8_11use_defaultESC_EEPffNS8_4plusIfEEEE10hipError_tPvRmT1_T2_T3_mT4_P12ihipStream_tbEUlT_E0_NS1_11comp_targetILNS1_3genE5ELNS1_11target_archE942ELNS1_3gpuE9ELNS1_3repE0EEENS1_30default_config_static_selectorELNS0_4arch9wavefront6targetE1EEEvSK_.uses_vcc, 0
	.set _ZN7rocprim17ROCPRIM_400000_NS6detail17trampoline_kernelINS0_14default_configENS1_22reduce_config_selectorIfEEZNS1_11reduce_implILb1ES3_N6thrust23THRUST_200600_302600_NS17counting_iteratorIfNS8_11hip_rocprim3tagENS8_11use_defaultESC_EEPffNS8_4plusIfEEEE10hipError_tPvRmT1_T2_T3_mT4_P12ihipStream_tbEUlT_E0_NS1_11comp_targetILNS1_3genE5ELNS1_11target_archE942ELNS1_3gpuE9ELNS1_3repE0EEENS1_30default_config_static_selectorELNS0_4arch9wavefront6targetE1EEEvSK_.uses_flat_scratch, 0
	.set _ZN7rocprim17ROCPRIM_400000_NS6detail17trampoline_kernelINS0_14default_configENS1_22reduce_config_selectorIfEEZNS1_11reduce_implILb1ES3_N6thrust23THRUST_200600_302600_NS17counting_iteratorIfNS8_11hip_rocprim3tagENS8_11use_defaultESC_EEPffNS8_4plusIfEEEE10hipError_tPvRmT1_T2_T3_mT4_P12ihipStream_tbEUlT_E0_NS1_11comp_targetILNS1_3genE5ELNS1_11target_archE942ELNS1_3gpuE9ELNS1_3repE0EEENS1_30default_config_static_selectorELNS0_4arch9wavefront6targetE1EEEvSK_.has_dyn_sized_stack, 0
	.set _ZN7rocprim17ROCPRIM_400000_NS6detail17trampoline_kernelINS0_14default_configENS1_22reduce_config_selectorIfEEZNS1_11reduce_implILb1ES3_N6thrust23THRUST_200600_302600_NS17counting_iteratorIfNS8_11hip_rocprim3tagENS8_11use_defaultESC_EEPffNS8_4plusIfEEEE10hipError_tPvRmT1_T2_T3_mT4_P12ihipStream_tbEUlT_E0_NS1_11comp_targetILNS1_3genE5ELNS1_11target_archE942ELNS1_3gpuE9ELNS1_3repE0EEENS1_30default_config_static_selectorELNS0_4arch9wavefront6targetE1EEEvSK_.has_recursion, 0
	.set _ZN7rocprim17ROCPRIM_400000_NS6detail17trampoline_kernelINS0_14default_configENS1_22reduce_config_selectorIfEEZNS1_11reduce_implILb1ES3_N6thrust23THRUST_200600_302600_NS17counting_iteratorIfNS8_11hip_rocprim3tagENS8_11use_defaultESC_EEPffNS8_4plusIfEEEE10hipError_tPvRmT1_T2_T3_mT4_P12ihipStream_tbEUlT_E0_NS1_11comp_targetILNS1_3genE5ELNS1_11target_archE942ELNS1_3gpuE9ELNS1_3repE0EEENS1_30default_config_static_selectorELNS0_4arch9wavefront6targetE1EEEvSK_.has_indirect_call, 0
	.section	.AMDGPU.csdata,"",@progbits
; Kernel info:
; codeLenInByte = 0
; TotalNumSgprs: 6
; NumVgprs: 0
; NumAgprs: 0
; TotalNumVgprs: 0
; ScratchSize: 0
; MemoryBound: 0
; FloatMode: 240
; IeeeMode: 1
; LDSByteSize: 0 bytes/workgroup (compile time only)
; SGPRBlocks: 0
; VGPRBlocks: 0
; NumSGPRsForWavesPerEU: 6
; NumVGPRsForWavesPerEU: 1
; AccumOffset: 4
; Occupancy: 8
; WaveLimiterHint : 0
; COMPUTE_PGM_RSRC2:SCRATCH_EN: 0
; COMPUTE_PGM_RSRC2:USER_SGPR: 2
; COMPUTE_PGM_RSRC2:TRAP_HANDLER: 0
; COMPUTE_PGM_RSRC2:TGID_X_EN: 1
; COMPUTE_PGM_RSRC2:TGID_Y_EN: 0
; COMPUTE_PGM_RSRC2:TGID_Z_EN: 0
; COMPUTE_PGM_RSRC2:TIDIG_COMP_CNT: 0
; COMPUTE_PGM_RSRC3_GFX90A:ACCUM_OFFSET: 0
; COMPUTE_PGM_RSRC3_GFX90A:TG_SPLIT: 0
	.section	.text._ZN7rocprim17ROCPRIM_400000_NS6detail17trampoline_kernelINS0_14default_configENS1_22reduce_config_selectorIfEEZNS1_11reduce_implILb1ES3_N6thrust23THRUST_200600_302600_NS17counting_iteratorIfNS8_11hip_rocprim3tagENS8_11use_defaultESC_EEPffNS8_4plusIfEEEE10hipError_tPvRmT1_T2_T3_mT4_P12ihipStream_tbEUlT_E0_NS1_11comp_targetILNS1_3genE4ELNS1_11target_archE910ELNS1_3gpuE8ELNS1_3repE0EEENS1_30default_config_static_selectorELNS0_4arch9wavefront6targetE1EEEvSK_,"axG",@progbits,_ZN7rocprim17ROCPRIM_400000_NS6detail17trampoline_kernelINS0_14default_configENS1_22reduce_config_selectorIfEEZNS1_11reduce_implILb1ES3_N6thrust23THRUST_200600_302600_NS17counting_iteratorIfNS8_11hip_rocprim3tagENS8_11use_defaultESC_EEPffNS8_4plusIfEEEE10hipError_tPvRmT1_T2_T3_mT4_P12ihipStream_tbEUlT_E0_NS1_11comp_targetILNS1_3genE4ELNS1_11target_archE910ELNS1_3gpuE8ELNS1_3repE0EEENS1_30default_config_static_selectorELNS0_4arch9wavefront6targetE1EEEvSK_,comdat
	.protected	_ZN7rocprim17ROCPRIM_400000_NS6detail17trampoline_kernelINS0_14default_configENS1_22reduce_config_selectorIfEEZNS1_11reduce_implILb1ES3_N6thrust23THRUST_200600_302600_NS17counting_iteratorIfNS8_11hip_rocprim3tagENS8_11use_defaultESC_EEPffNS8_4plusIfEEEE10hipError_tPvRmT1_T2_T3_mT4_P12ihipStream_tbEUlT_E0_NS1_11comp_targetILNS1_3genE4ELNS1_11target_archE910ELNS1_3gpuE8ELNS1_3repE0EEENS1_30default_config_static_selectorELNS0_4arch9wavefront6targetE1EEEvSK_ ; -- Begin function _ZN7rocprim17ROCPRIM_400000_NS6detail17trampoline_kernelINS0_14default_configENS1_22reduce_config_selectorIfEEZNS1_11reduce_implILb1ES3_N6thrust23THRUST_200600_302600_NS17counting_iteratorIfNS8_11hip_rocprim3tagENS8_11use_defaultESC_EEPffNS8_4plusIfEEEE10hipError_tPvRmT1_T2_T3_mT4_P12ihipStream_tbEUlT_E0_NS1_11comp_targetILNS1_3genE4ELNS1_11target_archE910ELNS1_3gpuE8ELNS1_3repE0EEENS1_30default_config_static_selectorELNS0_4arch9wavefront6targetE1EEEvSK_
	.globl	_ZN7rocprim17ROCPRIM_400000_NS6detail17trampoline_kernelINS0_14default_configENS1_22reduce_config_selectorIfEEZNS1_11reduce_implILb1ES3_N6thrust23THRUST_200600_302600_NS17counting_iteratorIfNS8_11hip_rocprim3tagENS8_11use_defaultESC_EEPffNS8_4plusIfEEEE10hipError_tPvRmT1_T2_T3_mT4_P12ihipStream_tbEUlT_E0_NS1_11comp_targetILNS1_3genE4ELNS1_11target_archE910ELNS1_3gpuE8ELNS1_3repE0EEENS1_30default_config_static_selectorELNS0_4arch9wavefront6targetE1EEEvSK_
	.p2align	8
	.type	_ZN7rocprim17ROCPRIM_400000_NS6detail17trampoline_kernelINS0_14default_configENS1_22reduce_config_selectorIfEEZNS1_11reduce_implILb1ES3_N6thrust23THRUST_200600_302600_NS17counting_iteratorIfNS8_11hip_rocprim3tagENS8_11use_defaultESC_EEPffNS8_4plusIfEEEE10hipError_tPvRmT1_T2_T3_mT4_P12ihipStream_tbEUlT_E0_NS1_11comp_targetILNS1_3genE4ELNS1_11target_archE910ELNS1_3gpuE8ELNS1_3repE0EEENS1_30default_config_static_selectorELNS0_4arch9wavefront6targetE1EEEvSK_,@function
_ZN7rocprim17ROCPRIM_400000_NS6detail17trampoline_kernelINS0_14default_configENS1_22reduce_config_selectorIfEEZNS1_11reduce_implILb1ES3_N6thrust23THRUST_200600_302600_NS17counting_iteratorIfNS8_11hip_rocprim3tagENS8_11use_defaultESC_EEPffNS8_4plusIfEEEE10hipError_tPvRmT1_T2_T3_mT4_P12ihipStream_tbEUlT_E0_NS1_11comp_targetILNS1_3genE4ELNS1_11target_archE910ELNS1_3gpuE8ELNS1_3repE0EEENS1_30default_config_static_selectorELNS0_4arch9wavefront6targetE1EEEvSK_: ; @_ZN7rocprim17ROCPRIM_400000_NS6detail17trampoline_kernelINS0_14default_configENS1_22reduce_config_selectorIfEEZNS1_11reduce_implILb1ES3_N6thrust23THRUST_200600_302600_NS17counting_iteratorIfNS8_11hip_rocprim3tagENS8_11use_defaultESC_EEPffNS8_4plusIfEEEE10hipError_tPvRmT1_T2_T3_mT4_P12ihipStream_tbEUlT_E0_NS1_11comp_targetILNS1_3genE4ELNS1_11target_archE910ELNS1_3gpuE8ELNS1_3repE0EEENS1_30default_config_static_selectorELNS0_4arch9wavefront6targetE1EEEvSK_
; %bb.0:
	.section	.rodata,"a",@progbits
	.p2align	6, 0x0
	.amdhsa_kernel _ZN7rocprim17ROCPRIM_400000_NS6detail17trampoline_kernelINS0_14default_configENS1_22reduce_config_selectorIfEEZNS1_11reduce_implILb1ES3_N6thrust23THRUST_200600_302600_NS17counting_iteratorIfNS8_11hip_rocprim3tagENS8_11use_defaultESC_EEPffNS8_4plusIfEEEE10hipError_tPvRmT1_T2_T3_mT4_P12ihipStream_tbEUlT_E0_NS1_11comp_targetILNS1_3genE4ELNS1_11target_archE910ELNS1_3gpuE8ELNS1_3repE0EEENS1_30default_config_static_selectorELNS0_4arch9wavefront6targetE1EEEvSK_
		.amdhsa_group_segment_fixed_size 0
		.amdhsa_private_segment_fixed_size 0
		.amdhsa_kernarg_size 56
		.amdhsa_user_sgpr_count 2
		.amdhsa_user_sgpr_dispatch_ptr 0
		.amdhsa_user_sgpr_queue_ptr 0
		.amdhsa_user_sgpr_kernarg_segment_ptr 1
		.amdhsa_user_sgpr_dispatch_id 0
		.amdhsa_user_sgpr_kernarg_preload_length 0
		.amdhsa_user_sgpr_kernarg_preload_offset 0
		.amdhsa_user_sgpr_private_segment_size 0
		.amdhsa_uses_dynamic_stack 0
		.amdhsa_enable_private_segment 0
		.amdhsa_system_sgpr_workgroup_id_x 1
		.amdhsa_system_sgpr_workgroup_id_y 0
		.amdhsa_system_sgpr_workgroup_id_z 0
		.amdhsa_system_sgpr_workgroup_info 0
		.amdhsa_system_vgpr_workitem_id 0
		.amdhsa_next_free_vgpr 1
		.amdhsa_next_free_sgpr 0
		.amdhsa_accum_offset 4
		.amdhsa_reserve_vcc 0
		.amdhsa_float_round_mode_32 0
		.amdhsa_float_round_mode_16_64 0
		.amdhsa_float_denorm_mode_32 3
		.amdhsa_float_denorm_mode_16_64 3
		.amdhsa_dx10_clamp 1
		.amdhsa_ieee_mode 1
		.amdhsa_fp16_overflow 0
		.amdhsa_tg_split 0
		.amdhsa_exception_fp_ieee_invalid_op 0
		.amdhsa_exception_fp_denorm_src 0
		.amdhsa_exception_fp_ieee_div_zero 0
		.amdhsa_exception_fp_ieee_overflow 0
		.amdhsa_exception_fp_ieee_underflow 0
		.amdhsa_exception_fp_ieee_inexact 0
		.amdhsa_exception_int_div_zero 0
	.end_amdhsa_kernel
	.section	.text._ZN7rocprim17ROCPRIM_400000_NS6detail17trampoline_kernelINS0_14default_configENS1_22reduce_config_selectorIfEEZNS1_11reduce_implILb1ES3_N6thrust23THRUST_200600_302600_NS17counting_iteratorIfNS8_11hip_rocprim3tagENS8_11use_defaultESC_EEPffNS8_4plusIfEEEE10hipError_tPvRmT1_T2_T3_mT4_P12ihipStream_tbEUlT_E0_NS1_11comp_targetILNS1_3genE4ELNS1_11target_archE910ELNS1_3gpuE8ELNS1_3repE0EEENS1_30default_config_static_selectorELNS0_4arch9wavefront6targetE1EEEvSK_,"axG",@progbits,_ZN7rocprim17ROCPRIM_400000_NS6detail17trampoline_kernelINS0_14default_configENS1_22reduce_config_selectorIfEEZNS1_11reduce_implILb1ES3_N6thrust23THRUST_200600_302600_NS17counting_iteratorIfNS8_11hip_rocprim3tagENS8_11use_defaultESC_EEPffNS8_4plusIfEEEE10hipError_tPvRmT1_T2_T3_mT4_P12ihipStream_tbEUlT_E0_NS1_11comp_targetILNS1_3genE4ELNS1_11target_archE910ELNS1_3gpuE8ELNS1_3repE0EEENS1_30default_config_static_selectorELNS0_4arch9wavefront6targetE1EEEvSK_,comdat
.Lfunc_end1003:
	.size	_ZN7rocprim17ROCPRIM_400000_NS6detail17trampoline_kernelINS0_14default_configENS1_22reduce_config_selectorIfEEZNS1_11reduce_implILb1ES3_N6thrust23THRUST_200600_302600_NS17counting_iteratorIfNS8_11hip_rocprim3tagENS8_11use_defaultESC_EEPffNS8_4plusIfEEEE10hipError_tPvRmT1_T2_T3_mT4_P12ihipStream_tbEUlT_E0_NS1_11comp_targetILNS1_3genE4ELNS1_11target_archE910ELNS1_3gpuE8ELNS1_3repE0EEENS1_30default_config_static_selectorELNS0_4arch9wavefront6targetE1EEEvSK_, .Lfunc_end1003-_ZN7rocprim17ROCPRIM_400000_NS6detail17trampoline_kernelINS0_14default_configENS1_22reduce_config_selectorIfEEZNS1_11reduce_implILb1ES3_N6thrust23THRUST_200600_302600_NS17counting_iteratorIfNS8_11hip_rocprim3tagENS8_11use_defaultESC_EEPffNS8_4plusIfEEEE10hipError_tPvRmT1_T2_T3_mT4_P12ihipStream_tbEUlT_E0_NS1_11comp_targetILNS1_3genE4ELNS1_11target_archE910ELNS1_3gpuE8ELNS1_3repE0EEENS1_30default_config_static_selectorELNS0_4arch9wavefront6targetE1EEEvSK_
                                        ; -- End function
	.set _ZN7rocprim17ROCPRIM_400000_NS6detail17trampoline_kernelINS0_14default_configENS1_22reduce_config_selectorIfEEZNS1_11reduce_implILb1ES3_N6thrust23THRUST_200600_302600_NS17counting_iteratorIfNS8_11hip_rocprim3tagENS8_11use_defaultESC_EEPffNS8_4plusIfEEEE10hipError_tPvRmT1_T2_T3_mT4_P12ihipStream_tbEUlT_E0_NS1_11comp_targetILNS1_3genE4ELNS1_11target_archE910ELNS1_3gpuE8ELNS1_3repE0EEENS1_30default_config_static_selectorELNS0_4arch9wavefront6targetE1EEEvSK_.num_vgpr, 0
	.set _ZN7rocprim17ROCPRIM_400000_NS6detail17trampoline_kernelINS0_14default_configENS1_22reduce_config_selectorIfEEZNS1_11reduce_implILb1ES3_N6thrust23THRUST_200600_302600_NS17counting_iteratorIfNS8_11hip_rocprim3tagENS8_11use_defaultESC_EEPffNS8_4plusIfEEEE10hipError_tPvRmT1_T2_T3_mT4_P12ihipStream_tbEUlT_E0_NS1_11comp_targetILNS1_3genE4ELNS1_11target_archE910ELNS1_3gpuE8ELNS1_3repE0EEENS1_30default_config_static_selectorELNS0_4arch9wavefront6targetE1EEEvSK_.num_agpr, 0
	.set _ZN7rocprim17ROCPRIM_400000_NS6detail17trampoline_kernelINS0_14default_configENS1_22reduce_config_selectorIfEEZNS1_11reduce_implILb1ES3_N6thrust23THRUST_200600_302600_NS17counting_iteratorIfNS8_11hip_rocprim3tagENS8_11use_defaultESC_EEPffNS8_4plusIfEEEE10hipError_tPvRmT1_T2_T3_mT4_P12ihipStream_tbEUlT_E0_NS1_11comp_targetILNS1_3genE4ELNS1_11target_archE910ELNS1_3gpuE8ELNS1_3repE0EEENS1_30default_config_static_selectorELNS0_4arch9wavefront6targetE1EEEvSK_.numbered_sgpr, 0
	.set _ZN7rocprim17ROCPRIM_400000_NS6detail17trampoline_kernelINS0_14default_configENS1_22reduce_config_selectorIfEEZNS1_11reduce_implILb1ES3_N6thrust23THRUST_200600_302600_NS17counting_iteratorIfNS8_11hip_rocprim3tagENS8_11use_defaultESC_EEPffNS8_4plusIfEEEE10hipError_tPvRmT1_T2_T3_mT4_P12ihipStream_tbEUlT_E0_NS1_11comp_targetILNS1_3genE4ELNS1_11target_archE910ELNS1_3gpuE8ELNS1_3repE0EEENS1_30default_config_static_selectorELNS0_4arch9wavefront6targetE1EEEvSK_.num_named_barrier, 0
	.set _ZN7rocprim17ROCPRIM_400000_NS6detail17trampoline_kernelINS0_14default_configENS1_22reduce_config_selectorIfEEZNS1_11reduce_implILb1ES3_N6thrust23THRUST_200600_302600_NS17counting_iteratorIfNS8_11hip_rocprim3tagENS8_11use_defaultESC_EEPffNS8_4plusIfEEEE10hipError_tPvRmT1_T2_T3_mT4_P12ihipStream_tbEUlT_E0_NS1_11comp_targetILNS1_3genE4ELNS1_11target_archE910ELNS1_3gpuE8ELNS1_3repE0EEENS1_30default_config_static_selectorELNS0_4arch9wavefront6targetE1EEEvSK_.private_seg_size, 0
	.set _ZN7rocprim17ROCPRIM_400000_NS6detail17trampoline_kernelINS0_14default_configENS1_22reduce_config_selectorIfEEZNS1_11reduce_implILb1ES3_N6thrust23THRUST_200600_302600_NS17counting_iteratorIfNS8_11hip_rocprim3tagENS8_11use_defaultESC_EEPffNS8_4plusIfEEEE10hipError_tPvRmT1_T2_T3_mT4_P12ihipStream_tbEUlT_E0_NS1_11comp_targetILNS1_3genE4ELNS1_11target_archE910ELNS1_3gpuE8ELNS1_3repE0EEENS1_30default_config_static_selectorELNS0_4arch9wavefront6targetE1EEEvSK_.uses_vcc, 0
	.set _ZN7rocprim17ROCPRIM_400000_NS6detail17trampoline_kernelINS0_14default_configENS1_22reduce_config_selectorIfEEZNS1_11reduce_implILb1ES3_N6thrust23THRUST_200600_302600_NS17counting_iteratorIfNS8_11hip_rocprim3tagENS8_11use_defaultESC_EEPffNS8_4plusIfEEEE10hipError_tPvRmT1_T2_T3_mT4_P12ihipStream_tbEUlT_E0_NS1_11comp_targetILNS1_3genE4ELNS1_11target_archE910ELNS1_3gpuE8ELNS1_3repE0EEENS1_30default_config_static_selectorELNS0_4arch9wavefront6targetE1EEEvSK_.uses_flat_scratch, 0
	.set _ZN7rocprim17ROCPRIM_400000_NS6detail17trampoline_kernelINS0_14default_configENS1_22reduce_config_selectorIfEEZNS1_11reduce_implILb1ES3_N6thrust23THRUST_200600_302600_NS17counting_iteratorIfNS8_11hip_rocprim3tagENS8_11use_defaultESC_EEPffNS8_4plusIfEEEE10hipError_tPvRmT1_T2_T3_mT4_P12ihipStream_tbEUlT_E0_NS1_11comp_targetILNS1_3genE4ELNS1_11target_archE910ELNS1_3gpuE8ELNS1_3repE0EEENS1_30default_config_static_selectorELNS0_4arch9wavefront6targetE1EEEvSK_.has_dyn_sized_stack, 0
	.set _ZN7rocprim17ROCPRIM_400000_NS6detail17trampoline_kernelINS0_14default_configENS1_22reduce_config_selectorIfEEZNS1_11reduce_implILb1ES3_N6thrust23THRUST_200600_302600_NS17counting_iteratorIfNS8_11hip_rocprim3tagENS8_11use_defaultESC_EEPffNS8_4plusIfEEEE10hipError_tPvRmT1_T2_T3_mT4_P12ihipStream_tbEUlT_E0_NS1_11comp_targetILNS1_3genE4ELNS1_11target_archE910ELNS1_3gpuE8ELNS1_3repE0EEENS1_30default_config_static_selectorELNS0_4arch9wavefront6targetE1EEEvSK_.has_recursion, 0
	.set _ZN7rocprim17ROCPRIM_400000_NS6detail17trampoline_kernelINS0_14default_configENS1_22reduce_config_selectorIfEEZNS1_11reduce_implILb1ES3_N6thrust23THRUST_200600_302600_NS17counting_iteratorIfNS8_11hip_rocprim3tagENS8_11use_defaultESC_EEPffNS8_4plusIfEEEE10hipError_tPvRmT1_T2_T3_mT4_P12ihipStream_tbEUlT_E0_NS1_11comp_targetILNS1_3genE4ELNS1_11target_archE910ELNS1_3gpuE8ELNS1_3repE0EEENS1_30default_config_static_selectorELNS0_4arch9wavefront6targetE1EEEvSK_.has_indirect_call, 0
	.section	.AMDGPU.csdata,"",@progbits
; Kernel info:
; codeLenInByte = 0
; TotalNumSgprs: 6
; NumVgprs: 0
; NumAgprs: 0
; TotalNumVgprs: 0
; ScratchSize: 0
; MemoryBound: 0
; FloatMode: 240
; IeeeMode: 1
; LDSByteSize: 0 bytes/workgroup (compile time only)
; SGPRBlocks: 0
; VGPRBlocks: 0
; NumSGPRsForWavesPerEU: 6
; NumVGPRsForWavesPerEU: 1
; AccumOffset: 4
; Occupancy: 8
; WaveLimiterHint : 0
; COMPUTE_PGM_RSRC2:SCRATCH_EN: 0
; COMPUTE_PGM_RSRC2:USER_SGPR: 2
; COMPUTE_PGM_RSRC2:TRAP_HANDLER: 0
; COMPUTE_PGM_RSRC2:TGID_X_EN: 1
; COMPUTE_PGM_RSRC2:TGID_Y_EN: 0
; COMPUTE_PGM_RSRC2:TGID_Z_EN: 0
; COMPUTE_PGM_RSRC2:TIDIG_COMP_CNT: 0
; COMPUTE_PGM_RSRC3_GFX90A:ACCUM_OFFSET: 0
; COMPUTE_PGM_RSRC3_GFX90A:TG_SPLIT: 0
	.section	.text._ZN7rocprim17ROCPRIM_400000_NS6detail17trampoline_kernelINS0_14default_configENS1_22reduce_config_selectorIfEEZNS1_11reduce_implILb1ES3_N6thrust23THRUST_200600_302600_NS17counting_iteratorIfNS8_11hip_rocprim3tagENS8_11use_defaultESC_EEPffNS8_4plusIfEEEE10hipError_tPvRmT1_T2_T3_mT4_P12ihipStream_tbEUlT_E0_NS1_11comp_targetILNS1_3genE3ELNS1_11target_archE908ELNS1_3gpuE7ELNS1_3repE0EEENS1_30default_config_static_selectorELNS0_4arch9wavefront6targetE1EEEvSK_,"axG",@progbits,_ZN7rocprim17ROCPRIM_400000_NS6detail17trampoline_kernelINS0_14default_configENS1_22reduce_config_selectorIfEEZNS1_11reduce_implILb1ES3_N6thrust23THRUST_200600_302600_NS17counting_iteratorIfNS8_11hip_rocprim3tagENS8_11use_defaultESC_EEPffNS8_4plusIfEEEE10hipError_tPvRmT1_T2_T3_mT4_P12ihipStream_tbEUlT_E0_NS1_11comp_targetILNS1_3genE3ELNS1_11target_archE908ELNS1_3gpuE7ELNS1_3repE0EEENS1_30default_config_static_selectorELNS0_4arch9wavefront6targetE1EEEvSK_,comdat
	.protected	_ZN7rocprim17ROCPRIM_400000_NS6detail17trampoline_kernelINS0_14default_configENS1_22reduce_config_selectorIfEEZNS1_11reduce_implILb1ES3_N6thrust23THRUST_200600_302600_NS17counting_iteratorIfNS8_11hip_rocprim3tagENS8_11use_defaultESC_EEPffNS8_4plusIfEEEE10hipError_tPvRmT1_T2_T3_mT4_P12ihipStream_tbEUlT_E0_NS1_11comp_targetILNS1_3genE3ELNS1_11target_archE908ELNS1_3gpuE7ELNS1_3repE0EEENS1_30default_config_static_selectorELNS0_4arch9wavefront6targetE1EEEvSK_ ; -- Begin function _ZN7rocprim17ROCPRIM_400000_NS6detail17trampoline_kernelINS0_14default_configENS1_22reduce_config_selectorIfEEZNS1_11reduce_implILb1ES3_N6thrust23THRUST_200600_302600_NS17counting_iteratorIfNS8_11hip_rocprim3tagENS8_11use_defaultESC_EEPffNS8_4plusIfEEEE10hipError_tPvRmT1_T2_T3_mT4_P12ihipStream_tbEUlT_E0_NS1_11comp_targetILNS1_3genE3ELNS1_11target_archE908ELNS1_3gpuE7ELNS1_3repE0EEENS1_30default_config_static_selectorELNS0_4arch9wavefront6targetE1EEEvSK_
	.globl	_ZN7rocprim17ROCPRIM_400000_NS6detail17trampoline_kernelINS0_14default_configENS1_22reduce_config_selectorIfEEZNS1_11reduce_implILb1ES3_N6thrust23THRUST_200600_302600_NS17counting_iteratorIfNS8_11hip_rocprim3tagENS8_11use_defaultESC_EEPffNS8_4plusIfEEEE10hipError_tPvRmT1_T2_T3_mT4_P12ihipStream_tbEUlT_E0_NS1_11comp_targetILNS1_3genE3ELNS1_11target_archE908ELNS1_3gpuE7ELNS1_3repE0EEENS1_30default_config_static_selectorELNS0_4arch9wavefront6targetE1EEEvSK_
	.p2align	8
	.type	_ZN7rocprim17ROCPRIM_400000_NS6detail17trampoline_kernelINS0_14default_configENS1_22reduce_config_selectorIfEEZNS1_11reduce_implILb1ES3_N6thrust23THRUST_200600_302600_NS17counting_iteratorIfNS8_11hip_rocprim3tagENS8_11use_defaultESC_EEPffNS8_4plusIfEEEE10hipError_tPvRmT1_T2_T3_mT4_P12ihipStream_tbEUlT_E0_NS1_11comp_targetILNS1_3genE3ELNS1_11target_archE908ELNS1_3gpuE7ELNS1_3repE0EEENS1_30default_config_static_selectorELNS0_4arch9wavefront6targetE1EEEvSK_,@function
_ZN7rocprim17ROCPRIM_400000_NS6detail17trampoline_kernelINS0_14default_configENS1_22reduce_config_selectorIfEEZNS1_11reduce_implILb1ES3_N6thrust23THRUST_200600_302600_NS17counting_iteratorIfNS8_11hip_rocprim3tagENS8_11use_defaultESC_EEPffNS8_4plusIfEEEE10hipError_tPvRmT1_T2_T3_mT4_P12ihipStream_tbEUlT_E0_NS1_11comp_targetILNS1_3genE3ELNS1_11target_archE908ELNS1_3gpuE7ELNS1_3repE0EEENS1_30default_config_static_selectorELNS0_4arch9wavefront6targetE1EEEvSK_: ; @_ZN7rocprim17ROCPRIM_400000_NS6detail17trampoline_kernelINS0_14default_configENS1_22reduce_config_selectorIfEEZNS1_11reduce_implILb1ES3_N6thrust23THRUST_200600_302600_NS17counting_iteratorIfNS8_11hip_rocprim3tagENS8_11use_defaultESC_EEPffNS8_4plusIfEEEE10hipError_tPvRmT1_T2_T3_mT4_P12ihipStream_tbEUlT_E0_NS1_11comp_targetILNS1_3genE3ELNS1_11target_archE908ELNS1_3gpuE7ELNS1_3repE0EEENS1_30default_config_static_selectorELNS0_4arch9wavefront6targetE1EEEvSK_
; %bb.0:
	.section	.rodata,"a",@progbits
	.p2align	6, 0x0
	.amdhsa_kernel _ZN7rocprim17ROCPRIM_400000_NS6detail17trampoline_kernelINS0_14default_configENS1_22reduce_config_selectorIfEEZNS1_11reduce_implILb1ES3_N6thrust23THRUST_200600_302600_NS17counting_iteratorIfNS8_11hip_rocprim3tagENS8_11use_defaultESC_EEPffNS8_4plusIfEEEE10hipError_tPvRmT1_T2_T3_mT4_P12ihipStream_tbEUlT_E0_NS1_11comp_targetILNS1_3genE3ELNS1_11target_archE908ELNS1_3gpuE7ELNS1_3repE0EEENS1_30default_config_static_selectorELNS0_4arch9wavefront6targetE1EEEvSK_
		.amdhsa_group_segment_fixed_size 0
		.amdhsa_private_segment_fixed_size 0
		.amdhsa_kernarg_size 56
		.amdhsa_user_sgpr_count 2
		.amdhsa_user_sgpr_dispatch_ptr 0
		.amdhsa_user_sgpr_queue_ptr 0
		.amdhsa_user_sgpr_kernarg_segment_ptr 1
		.amdhsa_user_sgpr_dispatch_id 0
		.amdhsa_user_sgpr_kernarg_preload_length 0
		.amdhsa_user_sgpr_kernarg_preload_offset 0
		.amdhsa_user_sgpr_private_segment_size 0
		.amdhsa_uses_dynamic_stack 0
		.amdhsa_enable_private_segment 0
		.amdhsa_system_sgpr_workgroup_id_x 1
		.amdhsa_system_sgpr_workgroup_id_y 0
		.amdhsa_system_sgpr_workgroup_id_z 0
		.amdhsa_system_sgpr_workgroup_info 0
		.amdhsa_system_vgpr_workitem_id 0
		.amdhsa_next_free_vgpr 1
		.amdhsa_next_free_sgpr 0
		.amdhsa_accum_offset 4
		.amdhsa_reserve_vcc 0
		.amdhsa_float_round_mode_32 0
		.amdhsa_float_round_mode_16_64 0
		.amdhsa_float_denorm_mode_32 3
		.amdhsa_float_denorm_mode_16_64 3
		.amdhsa_dx10_clamp 1
		.amdhsa_ieee_mode 1
		.amdhsa_fp16_overflow 0
		.amdhsa_tg_split 0
		.amdhsa_exception_fp_ieee_invalid_op 0
		.amdhsa_exception_fp_denorm_src 0
		.amdhsa_exception_fp_ieee_div_zero 0
		.amdhsa_exception_fp_ieee_overflow 0
		.amdhsa_exception_fp_ieee_underflow 0
		.amdhsa_exception_fp_ieee_inexact 0
		.amdhsa_exception_int_div_zero 0
	.end_amdhsa_kernel
	.section	.text._ZN7rocprim17ROCPRIM_400000_NS6detail17trampoline_kernelINS0_14default_configENS1_22reduce_config_selectorIfEEZNS1_11reduce_implILb1ES3_N6thrust23THRUST_200600_302600_NS17counting_iteratorIfNS8_11hip_rocprim3tagENS8_11use_defaultESC_EEPffNS8_4plusIfEEEE10hipError_tPvRmT1_T2_T3_mT4_P12ihipStream_tbEUlT_E0_NS1_11comp_targetILNS1_3genE3ELNS1_11target_archE908ELNS1_3gpuE7ELNS1_3repE0EEENS1_30default_config_static_selectorELNS0_4arch9wavefront6targetE1EEEvSK_,"axG",@progbits,_ZN7rocprim17ROCPRIM_400000_NS6detail17trampoline_kernelINS0_14default_configENS1_22reduce_config_selectorIfEEZNS1_11reduce_implILb1ES3_N6thrust23THRUST_200600_302600_NS17counting_iteratorIfNS8_11hip_rocprim3tagENS8_11use_defaultESC_EEPffNS8_4plusIfEEEE10hipError_tPvRmT1_T2_T3_mT4_P12ihipStream_tbEUlT_E0_NS1_11comp_targetILNS1_3genE3ELNS1_11target_archE908ELNS1_3gpuE7ELNS1_3repE0EEENS1_30default_config_static_selectorELNS0_4arch9wavefront6targetE1EEEvSK_,comdat
.Lfunc_end1004:
	.size	_ZN7rocprim17ROCPRIM_400000_NS6detail17trampoline_kernelINS0_14default_configENS1_22reduce_config_selectorIfEEZNS1_11reduce_implILb1ES3_N6thrust23THRUST_200600_302600_NS17counting_iteratorIfNS8_11hip_rocprim3tagENS8_11use_defaultESC_EEPffNS8_4plusIfEEEE10hipError_tPvRmT1_T2_T3_mT4_P12ihipStream_tbEUlT_E0_NS1_11comp_targetILNS1_3genE3ELNS1_11target_archE908ELNS1_3gpuE7ELNS1_3repE0EEENS1_30default_config_static_selectorELNS0_4arch9wavefront6targetE1EEEvSK_, .Lfunc_end1004-_ZN7rocprim17ROCPRIM_400000_NS6detail17trampoline_kernelINS0_14default_configENS1_22reduce_config_selectorIfEEZNS1_11reduce_implILb1ES3_N6thrust23THRUST_200600_302600_NS17counting_iteratorIfNS8_11hip_rocprim3tagENS8_11use_defaultESC_EEPffNS8_4plusIfEEEE10hipError_tPvRmT1_T2_T3_mT4_P12ihipStream_tbEUlT_E0_NS1_11comp_targetILNS1_3genE3ELNS1_11target_archE908ELNS1_3gpuE7ELNS1_3repE0EEENS1_30default_config_static_selectorELNS0_4arch9wavefront6targetE1EEEvSK_
                                        ; -- End function
	.set _ZN7rocprim17ROCPRIM_400000_NS6detail17trampoline_kernelINS0_14default_configENS1_22reduce_config_selectorIfEEZNS1_11reduce_implILb1ES3_N6thrust23THRUST_200600_302600_NS17counting_iteratorIfNS8_11hip_rocprim3tagENS8_11use_defaultESC_EEPffNS8_4plusIfEEEE10hipError_tPvRmT1_T2_T3_mT4_P12ihipStream_tbEUlT_E0_NS1_11comp_targetILNS1_3genE3ELNS1_11target_archE908ELNS1_3gpuE7ELNS1_3repE0EEENS1_30default_config_static_selectorELNS0_4arch9wavefront6targetE1EEEvSK_.num_vgpr, 0
	.set _ZN7rocprim17ROCPRIM_400000_NS6detail17trampoline_kernelINS0_14default_configENS1_22reduce_config_selectorIfEEZNS1_11reduce_implILb1ES3_N6thrust23THRUST_200600_302600_NS17counting_iteratorIfNS8_11hip_rocprim3tagENS8_11use_defaultESC_EEPffNS8_4plusIfEEEE10hipError_tPvRmT1_T2_T3_mT4_P12ihipStream_tbEUlT_E0_NS1_11comp_targetILNS1_3genE3ELNS1_11target_archE908ELNS1_3gpuE7ELNS1_3repE0EEENS1_30default_config_static_selectorELNS0_4arch9wavefront6targetE1EEEvSK_.num_agpr, 0
	.set _ZN7rocprim17ROCPRIM_400000_NS6detail17trampoline_kernelINS0_14default_configENS1_22reduce_config_selectorIfEEZNS1_11reduce_implILb1ES3_N6thrust23THRUST_200600_302600_NS17counting_iteratorIfNS8_11hip_rocprim3tagENS8_11use_defaultESC_EEPffNS8_4plusIfEEEE10hipError_tPvRmT1_T2_T3_mT4_P12ihipStream_tbEUlT_E0_NS1_11comp_targetILNS1_3genE3ELNS1_11target_archE908ELNS1_3gpuE7ELNS1_3repE0EEENS1_30default_config_static_selectorELNS0_4arch9wavefront6targetE1EEEvSK_.numbered_sgpr, 0
	.set _ZN7rocprim17ROCPRIM_400000_NS6detail17trampoline_kernelINS0_14default_configENS1_22reduce_config_selectorIfEEZNS1_11reduce_implILb1ES3_N6thrust23THRUST_200600_302600_NS17counting_iteratorIfNS8_11hip_rocprim3tagENS8_11use_defaultESC_EEPffNS8_4plusIfEEEE10hipError_tPvRmT1_T2_T3_mT4_P12ihipStream_tbEUlT_E0_NS1_11comp_targetILNS1_3genE3ELNS1_11target_archE908ELNS1_3gpuE7ELNS1_3repE0EEENS1_30default_config_static_selectorELNS0_4arch9wavefront6targetE1EEEvSK_.num_named_barrier, 0
	.set _ZN7rocprim17ROCPRIM_400000_NS6detail17trampoline_kernelINS0_14default_configENS1_22reduce_config_selectorIfEEZNS1_11reduce_implILb1ES3_N6thrust23THRUST_200600_302600_NS17counting_iteratorIfNS8_11hip_rocprim3tagENS8_11use_defaultESC_EEPffNS8_4plusIfEEEE10hipError_tPvRmT1_T2_T3_mT4_P12ihipStream_tbEUlT_E0_NS1_11comp_targetILNS1_3genE3ELNS1_11target_archE908ELNS1_3gpuE7ELNS1_3repE0EEENS1_30default_config_static_selectorELNS0_4arch9wavefront6targetE1EEEvSK_.private_seg_size, 0
	.set _ZN7rocprim17ROCPRIM_400000_NS6detail17trampoline_kernelINS0_14default_configENS1_22reduce_config_selectorIfEEZNS1_11reduce_implILb1ES3_N6thrust23THRUST_200600_302600_NS17counting_iteratorIfNS8_11hip_rocprim3tagENS8_11use_defaultESC_EEPffNS8_4plusIfEEEE10hipError_tPvRmT1_T2_T3_mT4_P12ihipStream_tbEUlT_E0_NS1_11comp_targetILNS1_3genE3ELNS1_11target_archE908ELNS1_3gpuE7ELNS1_3repE0EEENS1_30default_config_static_selectorELNS0_4arch9wavefront6targetE1EEEvSK_.uses_vcc, 0
	.set _ZN7rocprim17ROCPRIM_400000_NS6detail17trampoline_kernelINS0_14default_configENS1_22reduce_config_selectorIfEEZNS1_11reduce_implILb1ES3_N6thrust23THRUST_200600_302600_NS17counting_iteratorIfNS8_11hip_rocprim3tagENS8_11use_defaultESC_EEPffNS8_4plusIfEEEE10hipError_tPvRmT1_T2_T3_mT4_P12ihipStream_tbEUlT_E0_NS1_11comp_targetILNS1_3genE3ELNS1_11target_archE908ELNS1_3gpuE7ELNS1_3repE0EEENS1_30default_config_static_selectorELNS0_4arch9wavefront6targetE1EEEvSK_.uses_flat_scratch, 0
	.set _ZN7rocprim17ROCPRIM_400000_NS6detail17trampoline_kernelINS0_14default_configENS1_22reduce_config_selectorIfEEZNS1_11reduce_implILb1ES3_N6thrust23THRUST_200600_302600_NS17counting_iteratorIfNS8_11hip_rocprim3tagENS8_11use_defaultESC_EEPffNS8_4plusIfEEEE10hipError_tPvRmT1_T2_T3_mT4_P12ihipStream_tbEUlT_E0_NS1_11comp_targetILNS1_3genE3ELNS1_11target_archE908ELNS1_3gpuE7ELNS1_3repE0EEENS1_30default_config_static_selectorELNS0_4arch9wavefront6targetE1EEEvSK_.has_dyn_sized_stack, 0
	.set _ZN7rocprim17ROCPRIM_400000_NS6detail17trampoline_kernelINS0_14default_configENS1_22reduce_config_selectorIfEEZNS1_11reduce_implILb1ES3_N6thrust23THRUST_200600_302600_NS17counting_iteratorIfNS8_11hip_rocprim3tagENS8_11use_defaultESC_EEPffNS8_4plusIfEEEE10hipError_tPvRmT1_T2_T3_mT4_P12ihipStream_tbEUlT_E0_NS1_11comp_targetILNS1_3genE3ELNS1_11target_archE908ELNS1_3gpuE7ELNS1_3repE0EEENS1_30default_config_static_selectorELNS0_4arch9wavefront6targetE1EEEvSK_.has_recursion, 0
	.set _ZN7rocprim17ROCPRIM_400000_NS6detail17trampoline_kernelINS0_14default_configENS1_22reduce_config_selectorIfEEZNS1_11reduce_implILb1ES3_N6thrust23THRUST_200600_302600_NS17counting_iteratorIfNS8_11hip_rocprim3tagENS8_11use_defaultESC_EEPffNS8_4plusIfEEEE10hipError_tPvRmT1_T2_T3_mT4_P12ihipStream_tbEUlT_E0_NS1_11comp_targetILNS1_3genE3ELNS1_11target_archE908ELNS1_3gpuE7ELNS1_3repE0EEENS1_30default_config_static_selectorELNS0_4arch9wavefront6targetE1EEEvSK_.has_indirect_call, 0
	.section	.AMDGPU.csdata,"",@progbits
; Kernel info:
; codeLenInByte = 0
; TotalNumSgprs: 6
; NumVgprs: 0
; NumAgprs: 0
; TotalNumVgprs: 0
; ScratchSize: 0
; MemoryBound: 0
; FloatMode: 240
; IeeeMode: 1
; LDSByteSize: 0 bytes/workgroup (compile time only)
; SGPRBlocks: 0
; VGPRBlocks: 0
; NumSGPRsForWavesPerEU: 6
; NumVGPRsForWavesPerEU: 1
; AccumOffset: 4
; Occupancy: 8
; WaveLimiterHint : 0
; COMPUTE_PGM_RSRC2:SCRATCH_EN: 0
; COMPUTE_PGM_RSRC2:USER_SGPR: 2
; COMPUTE_PGM_RSRC2:TRAP_HANDLER: 0
; COMPUTE_PGM_RSRC2:TGID_X_EN: 1
; COMPUTE_PGM_RSRC2:TGID_Y_EN: 0
; COMPUTE_PGM_RSRC2:TGID_Z_EN: 0
; COMPUTE_PGM_RSRC2:TIDIG_COMP_CNT: 0
; COMPUTE_PGM_RSRC3_GFX90A:ACCUM_OFFSET: 0
; COMPUTE_PGM_RSRC3_GFX90A:TG_SPLIT: 0
	.section	.text._ZN7rocprim17ROCPRIM_400000_NS6detail17trampoline_kernelINS0_14default_configENS1_22reduce_config_selectorIfEEZNS1_11reduce_implILb1ES3_N6thrust23THRUST_200600_302600_NS17counting_iteratorIfNS8_11hip_rocprim3tagENS8_11use_defaultESC_EEPffNS8_4plusIfEEEE10hipError_tPvRmT1_T2_T3_mT4_P12ihipStream_tbEUlT_E0_NS1_11comp_targetILNS1_3genE2ELNS1_11target_archE906ELNS1_3gpuE6ELNS1_3repE0EEENS1_30default_config_static_selectorELNS0_4arch9wavefront6targetE1EEEvSK_,"axG",@progbits,_ZN7rocprim17ROCPRIM_400000_NS6detail17trampoline_kernelINS0_14default_configENS1_22reduce_config_selectorIfEEZNS1_11reduce_implILb1ES3_N6thrust23THRUST_200600_302600_NS17counting_iteratorIfNS8_11hip_rocprim3tagENS8_11use_defaultESC_EEPffNS8_4plusIfEEEE10hipError_tPvRmT1_T2_T3_mT4_P12ihipStream_tbEUlT_E0_NS1_11comp_targetILNS1_3genE2ELNS1_11target_archE906ELNS1_3gpuE6ELNS1_3repE0EEENS1_30default_config_static_selectorELNS0_4arch9wavefront6targetE1EEEvSK_,comdat
	.protected	_ZN7rocprim17ROCPRIM_400000_NS6detail17trampoline_kernelINS0_14default_configENS1_22reduce_config_selectorIfEEZNS1_11reduce_implILb1ES3_N6thrust23THRUST_200600_302600_NS17counting_iteratorIfNS8_11hip_rocprim3tagENS8_11use_defaultESC_EEPffNS8_4plusIfEEEE10hipError_tPvRmT1_T2_T3_mT4_P12ihipStream_tbEUlT_E0_NS1_11comp_targetILNS1_3genE2ELNS1_11target_archE906ELNS1_3gpuE6ELNS1_3repE0EEENS1_30default_config_static_selectorELNS0_4arch9wavefront6targetE1EEEvSK_ ; -- Begin function _ZN7rocprim17ROCPRIM_400000_NS6detail17trampoline_kernelINS0_14default_configENS1_22reduce_config_selectorIfEEZNS1_11reduce_implILb1ES3_N6thrust23THRUST_200600_302600_NS17counting_iteratorIfNS8_11hip_rocprim3tagENS8_11use_defaultESC_EEPffNS8_4plusIfEEEE10hipError_tPvRmT1_T2_T3_mT4_P12ihipStream_tbEUlT_E0_NS1_11comp_targetILNS1_3genE2ELNS1_11target_archE906ELNS1_3gpuE6ELNS1_3repE0EEENS1_30default_config_static_selectorELNS0_4arch9wavefront6targetE1EEEvSK_
	.globl	_ZN7rocprim17ROCPRIM_400000_NS6detail17trampoline_kernelINS0_14default_configENS1_22reduce_config_selectorIfEEZNS1_11reduce_implILb1ES3_N6thrust23THRUST_200600_302600_NS17counting_iteratorIfNS8_11hip_rocprim3tagENS8_11use_defaultESC_EEPffNS8_4plusIfEEEE10hipError_tPvRmT1_T2_T3_mT4_P12ihipStream_tbEUlT_E0_NS1_11comp_targetILNS1_3genE2ELNS1_11target_archE906ELNS1_3gpuE6ELNS1_3repE0EEENS1_30default_config_static_selectorELNS0_4arch9wavefront6targetE1EEEvSK_
	.p2align	8
	.type	_ZN7rocprim17ROCPRIM_400000_NS6detail17trampoline_kernelINS0_14default_configENS1_22reduce_config_selectorIfEEZNS1_11reduce_implILb1ES3_N6thrust23THRUST_200600_302600_NS17counting_iteratorIfNS8_11hip_rocprim3tagENS8_11use_defaultESC_EEPffNS8_4plusIfEEEE10hipError_tPvRmT1_T2_T3_mT4_P12ihipStream_tbEUlT_E0_NS1_11comp_targetILNS1_3genE2ELNS1_11target_archE906ELNS1_3gpuE6ELNS1_3repE0EEENS1_30default_config_static_selectorELNS0_4arch9wavefront6targetE1EEEvSK_,@function
_ZN7rocprim17ROCPRIM_400000_NS6detail17trampoline_kernelINS0_14default_configENS1_22reduce_config_selectorIfEEZNS1_11reduce_implILb1ES3_N6thrust23THRUST_200600_302600_NS17counting_iteratorIfNS8_11hip_rocprim3tagENS8_11use_defaultESC_EEPffNS8_4plusIfEEEE10hipError_tPvRmT1_T2_T3_mT4_P12ihipStream_tbEUlT_E0_NS1_11comp_targetILNS1_3genE2ELNS1_11target_archE906ELNS1_3gpuE6ELNS1_3repE0EEENS1_30default_config_static_selectorELNS0_4arch9wavefront6targetE1EEEvSK_: ; @_ZN7rocprim17ROCPRIM_400000_NS6detail17trampoline_kernelINS0_14default_configENS1_22reduce_config_selectorIfEEZNS1_11reduce_implILb1ES3_N6thrust23THRUST_200600_302600_NS17counting_iteratorIfNS8_11hip_rocprim3tagENS8_11use_defaultESC_EEPffNS8_4plusIfEEEE10hipError_tPvRmT1_T2_T3_mT4_P12ihipStream_tbEUlT_E0_NS1_11comp_targetILNS1_3genE2ELNS1_11target_archE906ELNS1_3gpuE6ELNS1_3repE0EEENS1_30default_config_static_selectorELNS0_4arch9wavefront6targetE1EEEvSK_
; %bb.0:
	.section	.rodata,"a",@progbits
	.p2align	6, 0x0
	.amdhsa_kernel _ZN7rocprim17ROCPRIM_400000_NS6detail17trampoline_kernelINS0_14default_configENS1_22reduce_config_selectorIfEEZNS1_11reduce_implILb1ES3_N6thrust23THRUST_200600_302600_NS17counting_iteratorIfNS8_11hip_rocprim3tagENS8_11use_defaultESC_EEPffNS8_4plusIfEEEE10hipError_tPvRmT1_T2_T3_mT4_P12ihipStream_tbEUlT_E0_NS1_11comp_targetILNS1_3genE2ELNS1_11target_archE906ELNS1_3gpuE6ELNS1_3repE0EEENS1_30default_config_static_selectorELNS0_4arch9wavefront6targetE1EEEvSK_
		.amdhsa_group_segment_fixed_size 0
		.amdhsa_private_segment_fixed_size 0
		.amdhsa_kernarg_size 56
		.amdhsa_user_sgpr_count 2
		.amdhsa_user_sgpr_dispatch_ptr 0
		.amdhsa_user_sgpr_queue_ptr 0
		.amdhsa_user_sgpr_kernarg_segment_ptr 1
		.amdhsa_user_sgpr_dispatch_id 0
		.amdhsa_user_sgpr_kernarg_preload_length 0
		.amdhsa_user_sgpr_kernarg_preload_offset 0
		.amdhsa_user_sgpr_private_segment_size 0
		.amdhsa_uses_dynamic_stack 0
		.amdhsa_enable_private_segment 0
		.amdhsa_system_sgpr_workgroup_id_x 1
		.amdhsa_system_sgpr_workgroup_id_y 0
		.amdhsa_system_sgpr_workgroup_id_z 0
		.amdhsa_system_sgpr_workgroup_info 0
		.amdhsa_system_vgpr_workitem_id 0
		.amdhsa_next_free_vgpr 1
		.amdhsa_next_free_sgpr 0
		.amdhsa_accum_offset 4
		.amdhsa_reserve_vcc 0
		.amdhsa_float_round_mode_32 0
		.amdhsa_float_round_mode_16_64 0
		.amdhsa_float_denorm_mode_32 3
		.amdhsa_float_denorm_mode_16_64 3
		.amdhsa_dx10_clamp 1
		.amdhsa_ieee_mode 1
		.amdhsa_fp16_overflow 0
		.amdhsa_tg_split 0
		.amdhsa_exception_fp_ieee_invalid_op 0
		.amdhsa_exception_fp_denorm_src 0
		.amdhsa_exception_fp_ieee_div_zero 0
		.amdhsa_exception_fp_ieee_overflow 0
		.amdhsa_exception_fp_ieee_underflow 0
		.amdhsa_exception_fp_ieee_inexact 0
		.amdhsa_exception_int_div_zero 0
	.end_amdhsa_kernel
	.section	.text._ZN7rocprim17ROCPRIM_400000_NS6detail17trampoline_kernelINS0_14default_configENS1_22reduce_config_selectorIfEEZNS1_11reduce_implILb1ES3_N6thrust23THRUST_200600_302600_NS17counting_iteratorIfNS8_11hip_rocprim3tagENS8_11use_defaultESC_EEPffNS8_4plusIfEEEE10hipError_tPvRmT1_T2_T3_mT4_P12ihipStream_tbEUlT_E0_NS1_11comp_targetILNS1_3genE2ELNS1_11target_archE906ELNS1_3gpuE6ELNS1_3repE0EEENS1_30default_config_static_selectorELNS0_4arch9wavefront6targetE1EEEvSK_,"axG",@progbits,_ZN7rocprim17ROCPRIM_400000_NS6detail17trampoline_kernelINS0_14default_configENS1_22reduce_config_selectorIfEEZNS1_11reduce_implILb1ES3_N6thrust23THRUST_200600_302600_NS17counting_iteratorIfNS8_11hip_rocprim3tagENS8_11use_defaultESC_EEPffNS8_4plusIfEEEE10hipError_tPvRmT1_T2_T3_mT4_P12ihipStream_tbEUlT_E0_NS1_11comp_targetILNS1_3genE2ELNS1_11target_archE906ELNS1_3gpuE6ELNS1_3repE0EEENS1_30default_config_static_selectorELNS0_4arch9wavefront6targetE1EEEvSK_,comdat
.Lfunc_end1005:
	.size	_ZN7rocprim17ROCPRIM_400000_NS6detail17trampoline_kernelINS0_14default_configENS1_22reduce_config_selectorIfEEZNS1_11reduce_implILb1ES3_N6thrust23THRUST_200600_302600_NS17counting_iteratorIfNS8_11hip_rocprim3tagENS8_11use_defaultESC_EEPffNS8_4plusIfEEEE10hipError_tPvRmT1_T2_T3_mT4_P12ihipStream_tbEUlT_E0_NS1_11comp_targetILNS1_3genE2ELNS1_11target_archE906ELNS1_3gpuE6ELNS1_3repE0EEENS1_30default_config_static_selectorELNS0_4arch9wavefront6targetE1EEEvSK_, .Lfunc_end1005-_ZN7rocprim17ROCPRIM_400000_NS6detail17trampoline_kernelINS0_14default_configENS1_22reduce_config_selectorIfEEZNS1_11reduce_implILb1ES3_N6thrust23THRUST_200600_302600_NS17counting_iteratorIfNS8_11hip_rocprim3tagENS8_11use_defaultESC_EEPffNS8_4plusIfEEEE10hipError_tPvRmT1_T2_T3_mT4_P12ihipStream_tbEUlT_E0_NS1_11comp_targetILNS1_3genE2ELNS1_11target_archE906ELNS1_3gpuE6ELNS1_3repE0EEENS1_30default_config_static_selectorELNS0_4arch9wavefront6targetE1EEEvSK_
                                        ; -- End function
	.set _ZN7rocprim17ROCPRIM_400000_NS6detail17trampoline_kernelINS0_14default_configENS1_22reduce_config_selectorIfEEZNS1_11reduce_implILb1ES3_N6thrust23THRUST_200600_302600_NS17counting_iteratorIfNS8_11hip_rocprim3tagENS8_11use_defaultESC_EEPffNS8_4plusIfEEEE10hipError_tPvRmT1_T2_T3_mT4_P12ihipStream_tbEUlT_E0_NS1_11comp_targetILNS1_3genE2ELNS1_11target_archE906ELNS1_3gpuE6ELNS1_3repE0EEENS1_30default_config_static_selectorELNS0_4arch9wavefront6targetE1EEEvSK_.num_vgpr, 0
	.set _ZN7rocprim17ROCPRIM_400000_NS6detail17trampoline_kernelINS0_14default_configENS1_22reduce_config_selectorIfEEZNS1_11reduce_implILb1ES3_N6thrust23THRUST_200600_302600_NS17counting_iteratorIfNS8_11hip_rocprim3tagENS8_11use_defaultESC_EEPffNS8_4plusIfEEEE10hipError_tPvRmT1_T2_T3_mT4_P12ihipStream_tbEUlT_E0_NS1_11comp_targetILNS1_3genE2ELNS1_11target_archE906ELNS1_3gpuE6ELNS1_3repE0EEENS1_30default_config_static_selectorELNS0_4arch9wavefront6targetE1EEEvSK_.num_agpr, 0
	.set _ZN7rocprim17ROCPRIM_400000_NS6detail17trampoline_kernelINS0_14default_configENS1_22reduce_config_selectorIfEEZNS1_11reduce_implILb1ES3_N6thrust23THRUST_200600_302600_NS17counting_iteratorIfNS8_11hip_rocprim3tagENS8_11use_defaultESC_EEPffNS8_4plusIfEEEE10hipError_tPvRmT1_T2_T3_mT4_P12ihipStream_tbEUlT_E0_NS1_11comp_targetILNS1_3genE2ELNS1_11target_archE906ELNS1_3gpuE6ELNS1_3repE0EEENS1_30default_config_static_selectorELNS0_4arch9wavefront6targetE1EEEvSK_.numbered_sgpr, 0
	.set _ZN7rocprim17ROCPRIM_400000_NS6detail17trampoline_kernelINS0_14default_configENS1_22reduce_config_selectorIfEEZNS1_11reduce_implILb1ES3_N6thrust23THRUST_200600_302600_NS17counting_iteratorIfNS8_11hip_rocprim3tagENS8_11use_defaultESC_EEPffNS8_4plusIfEEEE10hipError_tPvRmT1_T2_T3_mT4_P12ihipStream_tbEUlT_E0_NS1_11comp_targetILNS1_3genE2ELNS1_11target_archE906ELNS1_3gpuE6ELNS1_3repE0EEENS1_30default_config_static_selectorELNS0_4arch9wavefront6targetE1EEEvSK_.num_named_barrier, 0
	.set _ZN7rocprim17ROCPRIM_400000_NS6detail17trampoline_kernelINS0_14default_configENS1_22reduce_config_selectorIfEEZNS1_11reduce_implILb1ES3_N6thrust23THRUST_200600_302600_NS17counting_iteratorIfNS8_11hip_rocprim3tagENS8_11use_defaultESC_EEPffNS8_4plusIfEEEE10hipError_tPvRmT1_T2_T3_mT4_P12ihipStream_tbEUlT_E0_NS1_11comp_targetILNS1_3genE2ELNS1_11target_archE906ELNS1_3gpuE6ELNS1_3repE0EEENS1_30default_config_static_selectorELNS0_4arch9wavefront6targetE1EEEvSK_.private_seg_size, 0
	.set _ZN7rocprim17ROCPRIM_400000_NS6detail17trampoline_kernelINS0_14default_configENS1_22reduce_config_selectorIfEEZNS1_11reduce_implILb1ES3_N6thrust23THRUST_200600_302600_NS17counting_iteratorIfNS8_11hip_rocprim3tagENS8_11use_defaultESC_EEPffNS8_4plusIfEEEE10hipError_tPvRmT1_T2_T3_mT4_P12ihipStream_tbEUlT_E0_NS1_11comp_targetILNS1_3genE2ELNS1_11target_archE906ELNS1_3gpuE6ELNS1_3repE0EEENS1_30default_config_static_selectorELNS0_4arch9wavefront6targetE1EEEvSK_.uses_vcc, 0
	.set _ZN7rocprim17ROCPRIM_400000_NS6detail17trampoline_kernelINS0_14default_configENS1_22reduce_config_selectorIfEEZNS1_11reduce_implILb1ES3_N6thrust23THRUST_200600_302600_NS17counting_iteratorIfNS8_11hip_rocprim3tagENS8_11use_defaultESC_EEPffNS8_4plusIfEEEE10hipError_tPvRmT1_T2_T3_mT4_P12ihipStream_tbEUlT_E0_NS1_11comp_targetILNS1_3genE2ELNS1_11target_archE906ELNS1_3gpuE6ELNS1_3repE0EEENS1_30default_config_static_selectorELNS0_4arch9wavefront6targetE1EEEvSK_.uses_flat_scratch, 0
	.set _ZN7rocprim17ROCPRIM_400000_NS6detail17trampoline_kernelINS0_14default_configENS1_22reduce_config_selectorIfEEZNS1_11reduce_implILb1ES3_N6thrust23THRUST_200600_302600_NS17counting_iteratorIfNS8_11hip_rocprim3tagENS8_11use_defaultESC_EEPffNS8_4plusIfEEEE10hipError_tPvRmT1_T2_T3_mT4_P12ihipStream_tbEUlT_E0_NS1_11comp_targetILNS1_3genE2ELNS1_11target_archE906ELNS1_3gpuE6ELNS1_3repE0EEENS1_30default_config_static_selectorELNS0_4arch9wavefront6targetE1EEEvSK_.has_dyn_sized_stack, 0
	.set _ZN7rocprim17ROCPRIM_400000_NS6detail17trampoline_kernelINS0_14default_configENS1_22reduce_config_selectorIfEEZNS1_11reduce_implILb1ES3_N6thrust23THRUST_200600_302600_NS17counting_iteratorIfNS8_11hip_rocprim3tagENS8_11use_defaultESC_EEPffNS8_4plusIfEEEE10hipError_tPvRmT1_T2_T3_mT4_P12ihipStream_tbEUlT_E0_NS1_11comp_targetILNS1_3genE2ELNS1_11target_archE906ELNS1_3gpuE6ELNS1_3repE0EEENS1_30default_config_static_selectorELNS0_4arch9wavefront6targetE1EEEvSK_.has_recursion, 0
	.set _ZN7rocprim17ROCPRIM_400000_NS6detail17trampoline_kernelINS0_14default_configENS1_22reduce_config_selectorIfEEZNS1_11reduce_implILb1ES3_N6thrust23THRUST_200600_302600_NS17counting_iteratorIfNS8_11hip_rocprim3tagENS8_11use_defaultESC_EEPffNS8_4plusIfEEEE10hipError_tPvRmT1_T2_T3_mT4_P12ihipStream_tbEUlT_E0_NS1_11comp_targetILNS1_3genE2ELNS1_11target_archE906ELNS1_3gpuE6ELNS1_3repE0EEENS1_30default_config_static_selectorELNS0_4arch9wavefront6targetE1EEEvSK_.has_indirect_call, 0
	.section	.AMDGPU.csdata,"",@progbits
; Kernel info:
; codeLenInByte = 0
; TotalNumSgprs: 6
; NumVgprs: 0
; NumAgprs: 0
; TotalNumVgprs: 0
; ScratchSize: 0
; MemoryBound: 0
; FloatMode: 240
; IeeeMode: 1
; LDSByteSize: 0 bytes/workgroup (compile time only)
; SGPRBlocks: 0
; VGPRBlocks: 0
; NumSGPRsForWavesPerEU: 6
; NumVGPRsForWavesPerEU: 1
; AccumOffset: 4
; Occupancy: 8
; WaveLimiterHint : 0
; COMPUTE_PGM_RSRC2:SCRATCH_EN: 0
; COMPUTE_PGM_RSRC2:USER_SGPR: 2
; COMPUTE_PGM_RSRC2:TRAP_HANDLER: 0
; COMPUTE_PGM_RSRC2:TGID_X_EN: 1
; COMPUTE_PGM_RSRC2:TGID_Y_EN: 0
; COMPUTE_PGM_RSRC2:TGID_Z_EN: 0
; COMPUTE_PGM_RSRC2:TIDIG_COMP_CNT: 0
; COMPUTE_PGM_RSRC3_GFX90A:ACCUM_OFFSET: 0
; COMPUTE_PGM_RSRC3_GFX90A:TG_SPLIT: 0
	.section	.text._ZN7rocprim17ROCPRIM_400000_NS6detail17trampoline_kernelINS0_14default_configENS1_22reduce_config_selectorIfEEZNS1_11reduce_implILb1ES3_N6thrust23THRUST_200600_302600_NS17counting_iteratorIfNS8_11hip_rocprim3tagENS8_11use_defaultESC_EEPffNS8_4plusIfEEEE10hipError_tPvRmT1_T2_T3_mT4_P12ihipStream_tbEUlT_E0_NS1_11comp_targetILNS1_3genE10ELNS1_11target_archE1201ELNS1_3gpuE5ELNS1_3repE0EEENS1_30default_config_static_selectorELNS0_4arch9wavefront6targetE1EEEvSK_,"axG",@progbits,_ZN7rocprim17ROCPRIM_400000_NS6detail17trampoline_kernelINS0_14default_configENS1_22reduce_config_selectorIfEEZNS1_11reduce_implILb1ES3_N6thrust23THRUST_200600_302600_NS17counting_iteratorIfNS8_11hip_rocprim3tagENS8_11use_defaultESC_EEPffNS8_4plusIfEEEE10hipError_tPvRmT1_T2_T3_mT4_P12ihipStream_tbEUlT_E0_NS1_11comp_targetILNS1_3genE10ELNS1_11target_archE1201ELNS1_3gpuE5ELNS1_3repE0EEENS1_30default_config_static_selectorELNS0_4arch9wavefront6targetE1EEEvSK_,comdat
	.protected	_ZN7rocprim17ROCPRIM_400000_NS6detail17trampoline_kernelINS0_14default_configENS1_22reduce_config_selectorIfEEZNS1_11reduce_implILb1ES3_N6thrust23THRUST_200600_302600_NS17counting_iteratorIfNS8_11hip_rocprim3tagENS8_11use_defaultESC_EEPffNS8_4plusIfEEEE10hipError_tPvRmT1_T2_T3_mT4_P12ihipStream_tbEUlT_E0_NS1_11comp_targetILNS1_3genE10ELNS1_11target_archE1201ELNS1_3gpuE5ELNS1_3repE0EEENS1_30default_config_static_selectorELNS0_4arch9wavefront6targetE1EEEvSK_ ; -- Begin function _ZN7rocprim17ROCPRIM_400000_NS6detail17trampoline_kernelINS0_14default_configENS1_22reduce_config_selectorIfEEZNS1_11reduce_implILb1ES3_N6thrust23THRUST_200600_302600_NS17counting_iteratorIfNS8_11hip_rocprim3tagENS8_11use_defaultESC_EEPffNS8_4plusIfEEEE10hipError_tPvRmT1_T2_T3_mT4_P12ihipStream_tbEUlT_E0_NS1_11comp_targetILNS1_3genE10ELNS1_11target_archE1201ELNS1_3gpuE5ELNS1_3repE0EEENS1_30default_config_static_selectorELNS0_4arch9wavefront6targetE1EEEvSK_
	.globl	_ZN7rocprim17ROCPRIM_400000_NS6detail17trampoline_kernelINS0_14default_configENS1_22reduce_config_selectorIfEEZNS1_11reduce_implILb1ES3_N6thrust23THRUST_200600_302600_NS17counting_iteratorIfNS8_11hip_rocprim3tagENS8_11use_defaultESC_EEPffNS8_4plusIfEEEE10hipError_tPvRmT1_T2_T3_mT4_P12ihipStream_tbEUlT_E0_NS1_11comp_targetILNS1_3genE10ELNS1_11target_archE1201ELNS1_3gpuE5ELNS1_3repE0EEENS1_30default_config_static_selectorELNS0_4arch9wavefront6targetE1EEEvSK_
	.p2align	8
	.type	_ZN7rocprim17ROCPRIM_400000_NS6detail17trampoline_kernelINS0_14default_configENS1_22reduce_config_selectorIfEEZNS1_11reduce_implILb1ES3_N6thrust23THRUST_200600_302600_NS17counting_iteratorIfNS8_11hip_rocprim3tagENS8_11use_defaultESC_EEPffNS8_4plusIfEEEE10hipError_tPvRmT1_T2_T3_mT4_P12ihipStream_tbEUlT_E0_NS1_11comp_targetILNS1_3genE10ELNS1_11target_archE1201ELNS1_3gpuE5ELNS1_3repE0EEENS1_30default_config_static_selectorELNS0_4arch9wavefront6targetE1EEEvSK_,@function
_ZN7rocprim17ROCPRIM_400000_NS6detail17trampoline_kernelINS0_14default_configENS1_22reduce_config_selectorIfEEZNS1_11reduce_implILb1ES3_N6thrust23THRUST_200600_302600_NS17counting_iteratorIfNS8_11hip_rocprim3tagENS8_11use_defaultESC_EEPffNS8_4plusIfEEEE10hipError_tPvRmT1_T2_T3_mT4_P12ihipStream_tbEUlT_E0_NS1_11comp_targetILNS1_3genE10ELNS1_11target_archE1201ELNS1_3gpuE5ELNS1_3repE0EEENS1_30default_config_static_selectorELNS0_4arch9wavefront6targetE1EEEvSK_: ; @_ZN7rocprim17ROCPRIM_400000_NS6detail17trampoline_kernelINS0_14default_configENS1_22reduce_config_selectorIfEEZNS1_11reduce_implILb1ES3_N6thrust23THRUST_200600_302600_NS17counting_iteratorIfNS8_11hip_rocprim3tagENS8_11use_defaultESC_EEPffNS8_4plusIfEEEE10hipError_tPvRmT1_T2_T3_mT4_P12ihipStream_tbEUlT_E0_NS1_11comp_targetILNS1_3genE10ELNS1_11target_archE1201ELNS1_3gpuE5ELNS1_3repE0EEENS1_30default_config_static_selectorELNS0_4arch9wavefront6targetE1EEEvSK_
; %bb.0:
	.section	.rodata,"a",@progbits
	.p2align	6, 0x0
	.amdhsa_kernel _ZN7rocprim17ROCPRIM_400000_NS6detail17trampoline_kernelINS0_14default_configENS1_22reduce_config_selectorIfEEZNS1_11reduce_implILb1ES3_N6thrust23THRUST_200600_302600_NS17counting_iteratorIfNS8_11hip_rocprim3tagENS8_11use_defaultESC_EEPffNS8_4plusIfEEEE10hipError_tPvRmT1_T2_T3_mT4_P12ihipStream_tbEUlT_E0_NS1_11comp_targetILNS1_3genE10ELNS1_11target_archE1201ELNS1_3gpuE5ELNS1_3repE0EEENS1_30default_config_static_selectorELNS0_4arch9wavefront6targetE1EEEvSK_
		.amdhsa_group_segment_fixed_size 0
		.amdhsa_private_segment_fixed_size 0
		.amdhsa_kernarg_size 56
		.amdhsa_user_sgpr_count 2
		.amdhsa_user_sgpr_dispatch_ptr 0
		.amdhsa_user_sgpr_queue_ptr 0
		.amdhsa_user_sgpr_kernarg_segment_ptr 1
		.amdhsa_user_sgpr_dispatch_id 0
		.amdhsa_user_sgpr_kernarg_preload_length 0
		.amdhsa_user_sgpr_kernarg_preload_offset 0
		.amdhsa_user_sgpr_private_segment_size 0
		.amdhsa_uses_dynamic_stack 0
		.amdhsa_enable_private_segment 0
		.amdhsa_system_sgpr_workgroup_id_x 1
		.amdhsa_system_sgpr_workgroup_id_y 0
		.amdhsa_system_sgpr_workgroup_id_z 0
		.amdhsa_system_sgpr_workgroup_info 0
		.amdhsa_system_vgpr_workitem_id 0
		.amdhsa_next_free_vgpr 1
		.amdhsa_next_free_sgpr 0
		.amdhsa_accum_offset 4
		.amdhsa_reserve_vcc 0
		.amdhsa_float_round_mode_32 0
		.amdhsa_float_round_mode_16_64 0
		.amdhsa_float_denorm_mode_32 3
		.amdhsa_float_denorm_mode_16_64 3
		.amdhsa_dx10_clamp 1
		.amdhsa_ieee_mode 1
		.amdhsa_fp16_overflow 0
		.amdhsa_tg_split 0
		.amdhsa_exception_fp_ieee_invalid_op 0
		.amdhsa_exception_fp_denorm_src 0
		.amdhsa_exception_fp_ieee_div_zero 0
		.amdhsa_exception_fp_ieee_overflow 0
		.amdhsa_exception_fp_ieee_underflow 0
		.amdhsa_exception_fp_ieee_inexact 0
		.amdhsa_exception_int_div_zero 0
	.end_amdhsa_kernel
	.section	.text._ZN7rocprim17ROCPRIM_400000_NS6detail17trampoline_kernelINS0_14default_configENS1_22reduce_config_selectorIfEEZNS1_11reduce_implILb1ES3_N6thrust23THRUST_200600_302600_NS17counting_iteratorIfNS8_11hip_rocprim3tagENS8_11use_defaultESC_EEPffNS8_4plusIfEEEE10hipError_tPvRmT1_T2_T3_mT4_P12ihipStream_tbEUlT_E0_NS1_11comp_targetILNS1_3genE10ELNS1_11target_archE1201ELNS1_3gpuE5ELNS1_3repE0EEENS1_30default_config_static_selectorELNS0_4arch9wavefront6targetE1EEEvSK_,"axG",@progbits,_ZN7rocprim17ROCPRIM_400000_NS6detail17trampoline_kernelINS0_14default_configENS1_22reduce_config_selectorIfEEZNS1_11reduce_implILb1ES3_N6thrust23THRUST_200600_302600_NS17counting_iteratorIfNS8_11hip_rocprim3tagENS8_11use_defaultESC_EEPffNS8_4plusIfEEEE10hipError_tPvRmT1_T2_T3_mT4_P12ihipStream_tbEUlT_E0_NS1_11comp_targetILNS1_3genE10ELNS1_11target_archE1201ELNS1_3gpuE5ELNS1_3repE0EEENS1_30default_config_static_selectorELNS0_4arch9wavefront6targetE1EEEvSK_,comdat
.Lfunc_end1006:
	.size	_ZN7rocprim17ROCPRIM_400000_NS6detail17trampoline_kernelINS0_14default_configENS1_22reduce_config_selectorIfEEZNS1_11reduce_implILb1ES3_N6thrust23THRUST_200600_302600_NS17counting_iteratorIfNS8_11hip_rocprim3tagENS8_11use_defaultESC_EEPffNS8_4plusIfEEEE10hipError_tPvRmT1_T2_T3_mT4_P12ihipStream_tbEUlT_E0_NS1_11comp_targetILNS1_3genE10ELNS1_11target_archE1201ELNS1_3gpuE5ELNS1_3repE0EEENS1_30default_config_static_selectorELNS0_4arch9wavefront6targetE1EEEvSK_, .Lfunc_end1006-_ZN7rocprim17ROCPRIM_400000_NS6detail17trampoline_kernelINS0_14default_configENS1_22reduce_config_selectorIfEEZNS1_11reduce_implILb1ES3_N6thrust23THRUST_200600_302600_NS17counting_iteratorIfNS8_11hip_rocprim3tagENS8_11use_defaultESC_EEPffNS8_4plusIfEEEE10hipError_tPvRmT1_T2_T3_mT4_P12ihipStream_tbEUlT_E0_NS1_11comp_targetILNS1_3genE10ELNS1_11target_archE1201ELNS1_3gpuE5ELNS1_3repE0EEENS1_30default_config_static_selectorELNS0_4arch9wavefront6targetE1EEEvSK_
                                        ; -- End function
	.set _ZN7rocprim17ROCPRIM_400000_NS6detail17trampoline_kernelINS0_14default_configENS1_22reduce_config_selectorIfEEZNS1_11reduce_implILb1ES3_N6thrust23THRUST_200600_302600_NS17counting_iteratorIfNS8_11hip_rocprim3tagENS8_11use_defaultESC_EEPffNS8_4plusIfEEEE10hipError_tPvRmT1_T2_T3_mT4_P12ihipStream_tbEUlT_E0_NS1_11comp_targetILNS1_3genE10ELNS1_11target_archE1201ELNS1_3gpuE5ELNS1_3repE0EEENS1_30default_config_static_selectorELNS0_4arch9wavefront6targetE1EEEvSK_.num_vgpr, 0
	.set _ZN7rocprim17ROCPRIM_400000_NS6detail17trampoline_kernelINS0_14default_configENS1_22reduce_config_selectorIfEEZNS1_11reduce_implILb1ES3_N6thrust23THRUST_200600_302600_NS17counting_iteratorIfNS8_11hip_rocprim3tagENS8_11use_defaultESC_EEPffNS8_4plusIfEEEE10hipError_tPvRmT1_T2_T3_mT4_P12ihipStream_tbEUlT_E0_NS1_11comp_targetILNS1_3genE10ELNS1_11target_archE1201ELNS1_3gpuE5ELNS1_3repE0EEENS1_30default_config_static_selectorELNS0_4arch9wavefront6targetE1EEEvSK_.num_agpr, 0
	.set _ZN7rocprim17ROCPRIM_400000_NS6detail17trampoline_kernelINS0_14default_configENS1_22reduce_config_selectorIfEEZNS1_11reduce_implILb1ES3_N6thrust23THRUST_200600_302600_NS17counting_iteratorIfNS8_11hip_rocprim3tagENS8_11use_defaultESC_EEPffNS8_4plusIfEEEE10hipError_tPvRmT1_T2_T3_mT4_P12ihipStream_tbEUlT_E0_NS1_11comp_targetILNS1_3genE10ELNS1_11target_archE1201ELNS1_3gpuE5ELNS1_3repE0EEENS1_30default_config_static_selectorELNS0_4arch9wavefront6targetE1EEEvSK_.numbered_sgpr, 0
	.set _ZN7rocprim17ROCPRIM_400000_NS6detail17trampoline_kernelINS0_14default_configENS1_22reduce_config_selectorIfEEZNS1_11reduce_implILb1ES3_N6thrust23THRUST_200600_302600_NS17counting_iteratorIfNS8_11hip_rocprim3tagENS8_11use_defaultESC_EEPffNS8_4plusIfEEEE10hipError_tPvRmT1_T2_T3_mT4_P12ihipStream_tbEUlT_E0_NS1_11comp_targetILNS1_3genE10ELNS1_11target_archE1201ELNS1_3gpuE5ELNS1_3repE0EEENS1_30default_config_static_selectorELNS0_4arch9wavefront6targetE1EEEvSK_.num_named_barrier, 0
	.set _ZN7rocprim17ROCPRIM_400000_NS6detail17trampoline_kernelINS0_14default_configENS1_22reduce_config_selectorIfEEZNS1_11reduce_implILb1ES3_N6thrust23THRUST_200600_302600_NS17counting_iteratorIfNS8_11hip_rocprim3tagENS8_11use_defaultESC_EEPffNS8_4plusIfEEEE10hipError_tPvRmT1_T2_T3_mT4_P12ihipStream_tbEUlT_E0_NS1_11comp_targetILNS1_3genE10ELNS1_11target_archE1201ELNS1_3gpuE5ELNS1_3repE0EEENS1_30default_config_static_selectorELNS0_4arch9wavefront6targetE1EEEvSK_.private_seg_size, 0
	.set _ZN7rocprim17ROCPRIM_400000_NS6detail17trampoline_kernelINS0_14default_configENS1_22reduce_config_selectorIfEEZNS1_11reduce_implILb1ES3_N6thrust23THRUST_200600_302600_NS17counting_iteratorIfNS8_11hip_rocprim3tagENS8_11use_defaultESC_EEPffNS8_4plusIfEEEE10hipError_tPvRmT1_T2_T3_mT4_P12ihipStream_tbEUlT_E0_NS1_11comp_targetILNS1_3genE10ELNS1_11target_archE1201ELNS1_3gpuE5ELNS1_3repE0EEENS1_30default_config_static_selectorELNS0_4arch9wavefront6targetE1EEEvSK_.uses_vcc, 0
	.set _ZN7rocprim17ROCPRIM_400000_NS6detail17trampoline_kernelINS0_14default_configENS1_22reduce_config_selectorIfEEZNS1_11reduce_implILb1ES3_N6thrust23THRUST_200600_302600_NS17counting_iteratorIfNS8_11hip_rocprim3tagENS8_11use_defaultESC_EEPffNS8_4plusIfEEEE10hipError_tPvRmT1_T2_T3_mT4_P12ihipStream_tbEUlT_E0_NS1_11comp_targetILNS1_3genE10ELNS1_11target_archE1201ELNS1_3gpuE5ELNS1_3repE0EEENS1_30default_config_static_selectorELNS0_4arch9wavefront6targetE1EEEvSK_.uses_flat_scratch, 0
	.set _ZN7rocprim17ROCPRIM_400000_NS6detail17trampoline_kernelINS0_14default_configENS1_22reduce_config_selectorIfEEZNS1_11reduce_implILb1ES3_N6thrust23THRUST_200600_302600_NS17counting_iteratorIfNS8_11hip_rocprim3tagENS8_11use_defaultESC_EEPffNS8_4plusIfEEEE10hipError_tPvRmT1_T2_T3_mT4_P12ihipStream_tbEUlT_E0_NS1_11comp_targetILNS1_3genE10ELNS1_11target_archE1201ELNS1_3gpuE5ELNS1_3repE0EEENS1_30default_config_static_selectorELNS0_4arch9wavefront6targetE1EEEvSK_.has_dyn_sized_stack, 0
	.set _ZN7rocprim17ROCPRIM_400000_NS6detail17trampoline_kernelINS0_14default_configENS1_22reduce_config_selectorIfEEZNS1_11reduce_implILb1ES3_N6thrust23THRUST_200600_302600_NS17counting_iteratorIfNS8_11hip_rocprim3tagENS8_11use_defaultESC_EEPffNS8_4plusIfEEEE10hipError_tPvRmT1_T2_T3_mT4_P12ihipStream_tbEUlT_E0_NS1_11comp_targetILNS1_3genE10ELNS1_11target_archE1201ELNS1_3gpuE5ELNS1_3repE0EEENS1_30default_config_static_selectorELNS0_4arch9wavefront6targetE1EEEvSK_.has_recursion, 0
	.set _ZN7rocprim17ROCPRIM_400000_NS6detail17trampoline_kernelINS0_14default_configENS1_22reduce_config_selectorIfEEZNS1_11reduce_implILb1ES3_N6thrust23THRUST_200600_302600_NS17counting_iteratorIfNS8_11hip_rocprim3tagENS8_11use_defaultESC_EEPffNS8_4plusIfEEEE10hipError_tPvRmT1_T2_T3_mT4_P12ihipStream_tbEUlT_E0_NS1_11comp_targetILNS1_3genE10ELNS1_11target_archE1201ELNS1_3gpuE5ELNS1_3repE0EEENS1_30default_config_static_selectorELNS0_4arch9wavefront6targetE1EEEvSK_.has_indirect_call, 0
	.section	.AMDGPU.csdata,"",@progbits
; Kernel info:
; codeLenInByte = 0
; TotalNumSgprs: 6
; NumVgprs: 0
; NumAgprs: 0
; TotalNumVgprs: 0
; ScratchSize: 0
; MemoryBound: 0
; FloatMode: 240
; IeeeMode: 1
; LDSByteSize: 0 bytes/workgroup (compile time only)
; SGPRBlocks: 0
; VGPRBlocks: 0
; NumSGPRsForWavesPerEU: 6
; NumVGPRsForWavesPerEU: 1
; AccumOffset: 4
; Occupancy: 8
; WaveLimiterHint : 0
; COMPUTE_PGM_RSRC2:SCRATCH_EN: 0
; COMPUTE_PGM_RSRC2:USER_SGPR: 2
; COMPUTE_PGM_RSRC2:TRAP_HANDLER: 0
; COMPUTE_PGM_RSRC2:TGID_X_EN: 1
; COMPUTE_PGM_RSRC2:TGID_Y_EN: 0
; COMPUTE_PGM_RSRC2:TGID_Z_EN: 0
; COMPUTE_PGM_RSRC2:TIDIG_COMP_CNT: 0
; COMPUTE_PGM_RSRC3_GFX90A:ACCUM_OFFSET: 0
; COMPUTE_PGM_RSRC3_GFX90A:TG_SPLIT: 0
	.section	.text._ZN7rocprim17ROCPRIM_400000_NS6detail17trampoline_kernelINS0_14default_configENS1_22reduce_config_selectorIfEEZNS1_11reduce_implILb1ES3_N6thrust23THRUST_200600_302600_NS17counting_iteratorIfNS8_11hip_rocprim3tagENS8_11use_defaultESC_EEPffNS8_4plusIfEEEE10hipError_tPvRmT1_T2_T3_mT4_P12ihipStream_tbEUlT_E0_NS1_11comp_targetILNS1_3genE10ELNS1_11target_archE1200ELNS1_3gpuE4ELNS1_3repE0EEENS1_30default_config_static_selectorELNS0_4arch9wavefront6targetE1EEEvSK_,"axG",@progbits,_ZN7rocprim17ROCPRIM_400000_NS6detail17trampoline_kernelINS0_14default_configENS1_22reduce_config_selectorIfEEZNS1_11reduce_implILb1ES3_N6thrust23THRUST_200600_302600_NS17counting_iteratorIfNS8_11hip_rocprim3tagENS8_11use_defaultESC_EEPffNS8_4plusIfEEEE10hipError_tPvRmT1_T2_T3_mT4_P12ihipStream_tbEUlT_E0_NS1_11comp_targetILNS1_3genE10ELNS1_11target_archE1200ELNS1_3gpuE4ELNS1_3repE0EEENS1_30default_config_static_selectorELNS0_4arch9wavefront6targetE1EEEvSK_,comdat
	.protected	_ZN7rocprim17ROCPRIM_400000_NS6detail17trampoline_kernelINS0_14default_configENS1_22reduce_config_selectorIfEEZNS1_11reduce_implILb1ES3_N6thrust23THRUST_200600_302600_NS17counting_iteratorIfNS8_11hip_rocprim3tagENS8_11use_defaultESC_EEPffNS8_4plusIfEEEE10hipError_tPvRmT1_T2_T3_mT4_P12ihipStream_tbEUlT_E0_NS1_11comp_targetILNS1_3genE10ELNS1_11target_archE1200ELNS1_3gpuE4ELNS1_3repE0EEENS1_30default_config_static_selectorELNS0_4arch9wavefront6targetE1EEEvSK_ ; -- Begin function _ZN7rocprim17ROCPRIM_400000_NS6detail17trampoline_kernelINS0_14default_configENS1_22reduce_config_selectorIfEEZNS1_11reduce_implILb1ES3_N6thrust23THRUST_200600_302600_NS17counting_iteratorIfNS8_11hip_rocprim3tagENS8_11use_defaultESC_EEPffNS8_4plusIfEEEE10hipError_tPvRmT1_T2_T3_mT4_P12ihipStream_tbEUlT_E0_NS1_11comp_targetILNS1_3genE10ELNS1_11target_archE1200ELNS1_3gpuE4ELNS1_3repE0EEENS1_30default_config_static_selectorELNS0_4arch9wavefront6targetE1EEEvSK_
	.globl	_ZN7rocprim17ROCPRIM_400000_NS6detail17trampoline_kernelINS0_14default_configENS1_22reduce_config_selectorIfEEZNS1_11reduce_implILb1ES3_N6thrust23THRUST_200600_302600_NS17counting_iteratorIfNS8_11hip_rocprim3tagENS8_11use_defaultESC_EEPffNS8_4plusIfEEEE10hipError_tPvRmT1_T2_T3_mT4_P12ihipStream_tbEUlT_E0_NS1_11comp_targetILNS1_3genE10ELNS1_11target_archE1200ELNS1_3gpuE4ELNS1_3repE0EEENS1_30default_config_static_selectorELNS0_4arch9wavefront6targetE1EEEvSK_
	.p2align	8
	.type	_ZN7rocprim17ROCPRIM_400000_NS6detail17trampoline_kernelINS0_14default_configENS1_22reduce_config_selectorIfEEZNS1_11reduce_implILb1ES3_N6thrust23THRUST_200600_302600_NS17counting_iteratorIfNS8_11hip_rocprim3tagENS8_11use_defaultESC_EEPffNS8_4plusIfEEEE10hipError_tPvRmT1_T2_T3_mT4_P12ihipStream_tbEUlT_E0_NS1_11comp_targetILNS1_3genE10ELNS1_11target_archE1200ELNS1_3gpuE4ELNS1_3repE0EEENS1_30default_config_static_selectorELNS0_4arch9wavefront6targetE1EEEvSK_,@function
_ZN7rocprim17ROCPRIM_400000_NS6detail17trampoline_kernelINS0_14default_configENS1_22reduce_config_selectorIfEEZNS1_11reduce_implILb1ES3_N6thrust23THRUST_200600_302600_NS17counting_iteratorIfNS8_11hip_rocprim3tagENS8_11use_defaultESC_EEPffNS8_4plusIfEEEE10hipError_tPvRmT1_T2_T3_mT4_P12ihipStream_tbEUlT_E0_NS1_11comp_targetILNS1_3genE10ELNS1_11target_archE1200ELNS1_3gpuE4ELNS1_3repE0EEENS1_30default_config_static_selectorELNS0_4arch9wavefront6targetE1EEEvSK_: ; @_ZN7rocprim17ROCPRIM_400000_NS6detail17trampoline_kernelINS0_14default_configENS1_22reduce_config_selectorIfEEZNS1_11reduce_implILb1ES3_N6thrust23THRUST_200600_302600_NS17counting_iteratorIfNS8_11hip_rocprim3tagENS8_11use_defaultESC_EEPffNS8_4plusIfEEEE10hipError_tPvRmT1_T2_T3_mT4_P12ihipStream_tbEUlT_E0_NS1_11comp_targetILNS1_3genE10ELNS1_11target_archE1200ELNS1_3gpuE4ELNS1_3repE0EEENS1_30default_config_static_selectorELNS0_4arch9wavefront6targetE1EEEvSK_
; %bb.0:
	.section	.rodata,"a",@progbits
	.p2align	6, 0x0
	.amdhsa_kernel _ZN7rocprim17ROCPRIM_400000_NS6detail17trampoline_kernelINS0_14default_configENS1_22reduce_config_selectorIfEEZNS1_11reduce_implILb1ES3_N6thrust23THRUST_200600_302600_NS17counting_iteratorIfNS8_11hip_rocprim3tagENS8_11use_defaultESC_EEPffNS8_4plusIfEEEE10hipError_tPvRmT1_T2_T3_mT4_P12ihipStream_tbEUlT_E0_NS1_11comp_targetILNS1_3genE10ELNS1_11target_archE1200ELNS1_3gpuE4ELNS1_3repE0EEENS1_30default_config_static_selectorELNS0_4arch9wavefront6targetE1EEEvSK_
		.amdhsa_group_segment_fixed_size 0
		.amdhsa_private_segment_fixed_size 0
		.amdhsa_kernarg_size 56
		.amdhsa_user_sgpr_count 2
		.amdhsa_user_sgpr_dispatch_ptr 0
		.amdhsa_user_sgpr_queue_ptr 0
		.amdhsa_user_sgpr_kernarg_segment_ptr 1
		.amdhsa_user_sgpr_dispatch_id 0
		.amdhsa_user_sgpr_kernarg_preload_length 0
		.amdhsa_user_sgpr_kernarg_preload_offset 0
		.amdhsa_user_sgpr_private_segment_size 0
		.amdhsa_uses_dynamic_stack 0
		.amdhsa_enable_private_segment 0
		.amdhsa_system_sgpr_workgroup_id_x 1
		.amdhsa_system_sgpr_workgroup_id_y 0
		.amdhsa_system_sgpr_workgroup_id_z 0
		.amdhsa_system_sgpr_workgroup_info 0
		.amdhsa_system_vgpr_workitem_id 0
		.amdhsa_next_free_vgpr 1
		.amdhsa_next_free_sgpr 0
		.amdhsa_accum_offset 4
		.amdhsa_reserve_vcc 0
		.amdhsa_float_round_mode_32 0
		.amdhsa_float_round_mode_16_64 0
		.amdhsa_float_denorm_mode_32 3
		.amdhsa_float_denorm_mode_16_64 3
		.amdhsa_dx10_clamp 1
		.amdhsa_ieee_mode 1
		.amdhsa_fp16_overflow 0
		.amdhsa_tg_split 0
		.amdhsa_exception_fp_ieee_invalid_op 0
		.amdhsa_exception_fp_denorm_src 0
		.amdhsa_exception_fp_ieee_div_zero 0
		.amdhsa_exception_fp_ieee_overflow 0
		.amdhsa_exception_fp_ieee_underflow 0
		.amdhsa_exception_fp_ieee_inexact 0
		.amdhsa_exception_int_div_zero 0
	.end_amdhsa_kernel
	.section	.text._ZN7rocprim17ROCPRIM_400000_NS6detail17trampoline_kernelINS0_14default_configENS1_22reduce_config_selectorIfEEZNS1_11reduce_implILb1ES3_N6thrust23THRUST_200600_302600_NS17counting_iteratorIfNS8_11hip_rocprim3tagENS8_11use_defaultESC_EEPffNS8_4plusIfEEEE10hipError_tPvRmT1_T2_T3_mT4_P12ihipStream_tbEUlT_E0_NS1_11comp_targetILNS1_3genE10ELNS1_11target_archE1200ELNS1_3gpuE4ELNS1_3repE0EEENS1_30default_config_static_selectorELNS0_4arch9wavefront6targetE1EEEvSK_,"axG",@progbits,_ZN7rocprim17ROCPRIM_400000_NS6detail17trampoline_kernelINS0_14default_configENS1_22reduce_config_selectorIfEEZNS1_11reduce_implILb1ES3_N6thrust23THRUST_200600_302600_NS17counting_iteratorIfNS8_11hip_rocprim3tagENS8_11use_defaultESC_EEPffNS8_4plusIfEEEE10hipError_tPvRmT1_T2_T3_mT4_P12ihipStream_tbEUlT_E0_NS1_11comp_targetILNS1_3genE10ELNS1_11target_archE1200ELNS1_3gpuE4ELNS1_3repE0EEENS1_30default_config_static_selectorELNS0_4arch9wavefront6targetE1EEEvSK_,comdat
.Lfunc_end1007:
	.size	_ZN7rocprim17ROCPRIM_400000_NS6detail17trampoline_kernelINS0_14default_configENS1_22reduce_config_selectorIfEEZNS1_11reduce_implILb1ES3_N6thrust23THRUST_200600_302600_NS17counting_iteratorIfNS8_11hip_rocprim3tagENS8_11use_defaultESC_EEPffNS8_4plusIfEEEE10hipError_tPvRmT1_T2_T3_mT4_P12ihipStream_tbEUlT_E0_NS1_11comp_targetILNS1_3genE10ELNS1_11target_archE1200ELNS1_3gpuE4ELNS1_3repE0EEENS1_30default_config_static_selectorELNS0_4arch9wavefront6targetE1EEEvSK_, .Lfunc_end1007-_ZN7rocprim17ROCPRIM_400000_NS6detail17trampoline_kernelINS0_14default_configENS1_22reduce_config_selectorIfEEZNS1_11reduce_implILb1ES3_N6thrust23THRUST_200600_302600_NS17counting_iteratorIfNS8_11hip_rocprim3tagENS8_11use_defaultESC_EEPffNS8_4plusIfEEEE10hipError_tPvRmT1_T2_T3_mT4_P12ihipStream_tbEUlT_E0_NS1_11comp_targetILNS1_3genE10ELNS1_11target_archE1200ELNS1_3gpuE4ELNS1_3repE0EEENS1_30default_config_static_selectorELNS0_4arch9wavefront6targetE1EEEvSK_
                                        ; -- End function
	.set _ZN7rocprim17ROCPRIM_400000_NS6detail17trampoline_kernelINS0_14default_configENS1_22reduce_config_selectorIfEEZNS1_11reduce_implILb1ES3_N6thrust23THRUST_200600_302600_NS17counting_iteratorIfNS8_11hip_rocprim3tagENS8_11use_defaultESC_EEPffNS8_4plusIfEEEE10hipError_tPvRmT1_T2_T3_mT4_P12ihipStream_tbEUlT_E0_NS1_11comp_targetILNS1_3genE10ELNS1_11target_archE1200ELNS1_3gpuE4ELNS1_3repE0EEENS1_30default_config_static_selectorELNS0_4arch9wavefront6targetE1EEEvSK_.num_vgpr, 0
	.set _ZN7rocprim17ROCPRIM_400000_NS6detail17trampoline_kernelINS0_14default_configENS1_22reduce_config_selectorIfEEZNS1_11reduce_implILb1ES3_N6thrust23THRUST_200600_302600_NS17counting_iteratorIfNS8_11hip_rocprim3tagENS8_11use_defaultESC_EEPffNS8_4plusIfEEEE10hipError_tPvRmT1_T2_T3_mT4_P12ihipStream_tbEUlT_E0_NS1_11comp_targetILNS1_3genE10ELNS1_11target_archE1200ELNS1_3gpuE4ELNS1_3repE0EEENS1_30default_config_static_selectorELNS0_4arch9wavefront6targetE1EEEvSK_.num_agpr, 0
	.set _ZN7rocprim17ROCPRIM_400000_NS6detail17trampoline_kernelINS0_14default_configENS1_22reduce_config_selectorIfEEZNS1_11reduce_implILb1ES3_N6thrust23THRUST_200600_302600_NS17counting_iteratorIfNS8_11hip_rocprim3tagENS8_11use_defaultESC_EEPffNS8_4plusIfEEEE10hipError_tPvRmT1_T2_T3_mT4_P12ihipStream_tbEUlT_E0_NS1_11comp_targetILNS1_3genE10ELNS1_11target_archE1200ELNS1_3gpuE4ELNS1_3repE0EEENS1_30default_config_static_selectorELNS0_4arch9wavefront6targetE1EEEvSK_.numbered_sgpr, 0
	.set _ZN7rocprim17ROCPRIM_400000_NS6detail17trampoline_kernelINS0_14default_configENS1_22reduce_config_selectorIfEEZNS1_11reduce_implILb1ES3_N6thrust23THRUST_200600_302600_NS17counting_iteratorIfNS8_11hip_rocprim3tagENS8_11use_defaultESC_EEPffNS8_4plusIfEEEE10hipError_tPvRmT1_T2_T3_mT4_P12ihipStream_tbEUlT_E0_NS1_11comp_targetILNS1_3genE10ELNS1_11target_archE1200ELNS1_3gpuE4ELNS1_3repE0EEENS1_30default_config_static_selectorELNS0_4arch9wavefront6targetE1EEEvSK_.num_named_barrier, 0
	.set _ZN7rocprim17ROCPRIM_400000_NS6detail17trampoline_kernelINS0_14default_configENS1_22reduce_config_selectorIfEEZNS1_11reduce_implILb1ES3_N6thrust23THRUST_200600_302600_NS17counting_iteratorIfNS8_11hip_rocprim3tagENS8_11use_defaultESC_EEPffNS8_4plusIfEEEE10hipError_tPvRmT1_T2_T3_mT4_P12ihipStream_tbEUlT_E0_NS1_11comp_targetILNS1_3genE10ELNS1_11target_archE1200ELNS1_3gpuE4ELNS1_3repE0EEENS1_30default_config_static_selectorELNS0_4arch9wavefront6targetE1EEEvSK_.private_seg_size, 0
	.set _ZN7rocprim17ROCPRIM_400000_NS6detail17trampoline_kernelINS0_14default_configENS1_22reduce_config_selectorIfEEZNS1_11reduce_implILb1ES3_N6thrust23THRUST_200600_302600_NS17counting_iteratorIfNS8_11hip_rocprim3tagENS8_11use_defaultESC_EEPffNS8_4plusIfEEEE10hipError_tPvRmT1_T2_T3_mT4_P12ihipStream_tbEUlT_E0_NS1_11comp_targetILNS1_3genE10ELNS1_11target_archE1200ELNS1_3gpuE4ELNS1_3repE0EEENS1_30default_config_static_selectorELNS0_4arch9wavefront6targetE1EEEvSK_.uses_vcc, 0
	.set _ZN7rocprim17ROCPRIM_400000_NS6detail17trampoline_kernelINS0_14default_configENS1_22reduce_config_selectorIfEEZNS1_11reduce_implILb1ES3_N6thrust23THRUST_200600_302600_NS17counting_iteratorIfNS8_11hip_rocprim3tagENS8_11use_defaultESC_EEPffNS8_4plusIfEEEE10hipError_tPvRmT1_T2_T3_mT4_P12ihipStream_tbEUlT_E0_NS1_11comp_targetILNS1_3genE10ELNS1_11target_archE1200ELNS1_3gpuE4ELNS1_3repE0EEENS1_30default_config_static_selectorELNS0_4arch9wavefront6targetE1EEEvSK_.uses_flat_scratch, 0
	.set _ZN7rocprim17ROCPRIM_400000_NS6detail17trampoline_kernelINS0_14default_configENS1_22reduce_config_selectorIfEEZNS1_11reduce_implILb1ES3_N6thrust23THRUST_200600_302600_NS17counting_iteratorIfNS8_11hip_rocprim3tagENS8_11use_defaultESC_EEPffNS8_4plusIfEEEE10hipError_tPvRmT1_T2_T3_mT4_P12ihipStream_tbEUlT_E0_NS1_11comp_targetILNS1_3genE10ELNS1_11target_archE1200ELNS1_3gpuE4ELNS1_3repE0EEENS1_30default_config_static_selectorELNS0_4arch9wavefront6targetE1EEEvSK_.has_dyn_sized_stack, 0
	.set _ZN7rocprim17ROCPRIM_400000_NS6detail17trampoline_kernelINS0_14default_configENS1_22reduce_config_selectorIfEEZNS1_11reduce_implILb1ES3_N6thrust23THRUST_200600_302600_NS17counting_iteratorIfNS8_11hip_rocprim3tagENS8_11use_defaultESC_EEPffNS8_4plusIfEEEE10hipError_tPvRmT1_T2_T3_mT4_P12ihipStream_tbEUlT_E0_NS1_11comp_targetILNS1_3genE10ELNS1_11target_archE1200ELNS1_3gpuE4ELNS1_3repE0EEENS1_30default_config_static_selectorELNS0_4arch9wavefront6targetE1EEEvSK_.has_recursion, 0
	.set _ZN7rocprim17ROCPRIM_400000_NS6detail17trampoline_kernelINS0_14default_configENS1_22reduce_config_selectorIfEEZNS1_11reduce_implILb1ES3_N6thrust23THRUST_200600_302600_NS17counting_iteratorIfNS8_11hip_rocprim3tagENS8_11use_defaultESC_EEPffNS8_4plusIfEEEE10hipError_tPvRmT1_T2_T3_mT4_P12ihipStream_tbEUlT_E0_NS1_11comp_targetILNS1_3genE10ELNS1_11target_archE1200ELNS1_3gpuE4ELNS1_3repE0EEENS1_30default_config_static_selectorELNS0_4arch9wavefront6targetE1EEEvSK_.has_indirect_call, 0
	.section	.AMDGPU.csdata,"",@progbits
; Kernel info:
; codeLenInByte = 0
; TotalNumSgprs: 6
; NumVgprs: 0
; NumAgprs: 0
; TotalNumVgprs: 0
; ScratchSize: 0
; MemoryBound: 0
; FloatMode: 240
; IeeeMode: 1
; LDSByteSize: 0 bytes/workgroup (compile time only)
; SGPRBlocks: 0
; VGPRBlocks: 0
; NumSGPRsForWavesPerEU: 6
; NumVGPRsForWavesPerEU: 1
; AccumOffset: 4
; Occupancy: 8
; WaveLimiterHint : 0
; COMPUTE_PGM_RSRC2:SCRATCH_EN: 0
; COMPUTE_PGM_RSRC2:USER_SGPR: 2
; COMPUTE_PGM_RSRC2:TRAP_HANDLER: 0
; COMPUTE_PGM_RSRC2:TGID_X_EN: 1
; COMPUTE_PGM_RSRC2:TGID_Y_EN: 0
; COMPUTE_PGM_RSRC2:TGID_Z_EN: 0
; COMPUTE_PGM_RSRC2:TIDIG_COMP_CNT: 0
; COMPUTE_PGM_RSRC3_GFX90A:ACCUM_OFFSET: 0
; COMPUTE_PGM_RSRC3_GFX90A:TG_SPLIT: 0
	.section	.text._ZN7rocprim17ROCPRIM_400000_NS6detail17trampoline_kernelINS0_14default_configENS1_22reduce_config_selectorIfEEZNS1_11reduce_implILb1ES3_N6thrust23THRUST_200600_302600_NS17counting_iteratorIfNS8_11hip_rocprim3tagENS8_11use_defaultESC_EEPffNS8_4plusIfEEEE10hipError_tPvRmT1_T2_T3_mT4_P12ihipStream_tbEUlT_E0_NS1_11comp_targetILNS1_3genE9ELNS1_11target_archE1100ELNS1_3gpuE3ELNS1_3repE0EEENS1_30default_config_static_selectorELNS0_4arch9wavefront6targetE1EEEvSK_,"axG",@progbits,_ZN7rocprim17ROCPRIM_400000_NS6detail17trampoline_kernelINS0_14default_configENS1_22reduce_config_selectorIfEEZNS1_11reduce_implILb1ES3_N6thrust23THRUST_200600_302600_NS17counting_iteratorIfNS8_11hip_rocprim3tagENS8_11use_defaultESC_EEPffNS8_4plusIfEEEE10hipError_tPvRmT1_T2_T3_mT4_P12ihipStream_tbEUlT_E0_NS1_11comp_targetILNS1_3genE9ELNS1_11target_archE1100ELNS1_3gpuE3ELNS1_3repE0EEENS1_30default_config_static_selectorELNS0_4arch9wavefront6targetE1EEEvSK_,comdat
	.protected	_ZN7rocprim17ROCPRIM_400000_NS6detail17trampoline_kernelINS0_14default_configENS1_22reduce_config_selectorIfEEZNS1_11reduce_implILb1ES3_N6thrust23THRUST_200600_302600_NS17counting_iteratorIfNS8_11hip_rocprim3tagENS8_11use_defaultESC_EEPffNS8_4plusIfEEEE10hipError_tPvRmT1_T2_T3_mT4_P12ihipStream_tbEUlT_E0_NS1_11comp_targetILNS1_3genE9ELNS1_11target_archE1100ELNS1_3gpuE3ELNS1_3repE0EEENS1_30default_config_static_selectorELNS0_4arch9wavefront6targetE1EEEvSK_ ; -- Begin function _ZN7rocprim17ROCPRIM_400000_NS6detail17trampoline_kernelINS0_14default_configENS1_22reduce_config_selectorIfEEZNS1_11reduce_implILb1ES3_N6thrust23THRUST_200600_302600_NS17counting_iteratorIfNS8_11hip_rocprim3tagENS8_11use_defaultESC_EEPffNS8_4plusIfEEEE10hipError_tPvRmT1_T2_T3_mT4_P12ihipStream_tbEUlT_E0_NS1_11comp_targetILNS1_3genE9ELNS1_11target_archE1100ELNS1_3gpuE3ELNS1_3repE0EEENS1_30default_config_static_selectorELNS0_4arch9wavefront6targetE1EEEvSK_
	.globl	_ZN7rocprim17ROCPRIM_400000_NS6detail17trampoline_kernelINS0_14default_configENS1_22reduce_config_selectorIfEEZNS1_11reduce_implILb1ES3_N6thrust23THRUST_200600_302600_NS17counting_iteratorIfNS8_11hip_rocprim3tagENS8_11use_defaultESC_EEPffNS8_4plusIfEEEE10hipError_tPvRmT1_T2_T3_mT4_P12ihipStream_tbEUlT_E0_NS1_11comp_targetILNS1_3genE9ELNS1_11target_archE1100ELNS1_3gpuE3ELNS1_3repE0EEENS1_30default_config_static_selectorELNS0_4arch9wavefront6targetE1EEEvSK_
	.p2align	8
	.type	_ZN7rocprim17ROCPRIM_400000_NS6detail17trampoline_kernelINS0_14default_configENS1_22reduce_config_selectorIfEEZNS1_11reduce_implILb1ES3_N6thrust23THRUST_200600_302600_NS17counting_iteratorIfNS8_11hip_rocprim3tagENS8_11use_defaultESC_EEPffNS8_4plusIfEEEE10hipError_tPvRmT1_T2_T3_mT4_P12ihipStream_tbEUlT_E0_NS1_11comp_targetILNS1_3genE9ELNS1_11target_archE1100ELNS1_3gpuE3ELNS1_3repE0EEENS1_30default_config_static_selectorELNS0_4arch9wavefront6targetE1EEEvSK_,@function
_ZN7rocprim17ROCPRIM_400000_NS6detail17trampoline_kernelINS0_14default_configENS1_22reduce_config_selectorIfEEZNS1_11reduce_implILb1ES3_N6thrust23THRUST_200600_302600_NS17counting_iteratorIfNS8_11hip_rocprim3tagENS8_11use_defaultESC_EEPffNS8_4plusIfEEEE10hipError_tPvRmT1_T2_T3_mT4_P12ihipStream_tbEUlT_E0_NS1_11comp_targetILNS1_3genE9ELNS1_11target_archE1100ELNS1_3gpuE3ELNS1_3repE0EEENS1_30default_config_static_selectorELNS0_4arch9wavefront6targetE1EEEvSK_: ; @_ZN7rocprim17ROCPRIM_400000_NS6detail17trampoline_kernelINS0_14default_configENS1_22reduce_config_selectorIfEEZNS1_11reduce_implILb1ES3_N6thrust23THRUST_200600_302600_NS17counting_iteratorIfNS8_11hip_rocprim3tagENS8_11use_defaultESC_EEPffNS8_4plusIfEEEE10hipError_tPvRmT1_T2_T3_mT4_P12ihipStream_tbEUlT_E0_NS1_11comp_targetILNS1_3genE9ELNS1_11target_archE1100ELNS1_3gpuE3ELNS1_3repE0EEENS1_30default_config_static_selectorELNS0_4arch9wavefront6targetE1EEEvSK_
; %bb.0:
	.section	.rodata,"a",@progbits
	.p2align	6, 0x0
	.amdhsa_kernel _ZN7rocprim17ROCPRIM_400000_NS6detail17trampoline_kernelINS0_14default_configENS1_22reduce_config_selectorIfEEZNS1_11reduce_implILb1ES3_N6thrust23THRUST_200600_302600_NS17counting_iteratorIfNS8_11hip_rocprim3tagENS8_11use_defaultESC_EEPffNS8_4plusIfEEEE10hipError_tPvRmT1_T2_T3_mT4_P12ihipStream_tbEUlT_E0_NS1_11comp_targetILNS1_3genE9ELNS1_11target_archE1100ELNS1_3gpuE3ELNS1_3repE0EEENS1_30default_config_static_selectorELNS0_4arch9wavefront6targetE1EEEvSK_
		.amdhsa_group_segment_fixed_size 0
		.amdhsa_private_segment_fixed_size 0
		.amdhsa_kernarg_size 56
		.amdhsa_user_sgpr_count 2
		.amdhsa_user_sgpr_dispatch_ptr 0
		.amdhsa_user_sgpr_queue_ptr 0
		.amdhsa_user_sgpr_kernarg_segment_ptr 1
		.amdhsa_user_sgpr_dispatch_id 0
		.amdhsa_user_sgpr_kernarg_preload_length 0
		.amdhsa_user_sgpr_kernarg_preload_offset 0
		.amdhsa_user_sgpr_private_segment_size 0
		.amdhsa_uses_dynamic_stack 0
		.amdhsa_enable_private_segment 0
		.amdhsa_system_sgpr_workgroup_id_x 1
		.amdhsa_system_sgpr_workgroup_id_y 0
		.amdhsa_system_sgpr_workgroup_id_z 0
		.amdhsa_system_sgpr_workgroup_info 0
		.amdhsa_system_vgpr_workitem_id 0
		.amdhsa_next_free_vgpr 1
		.amdhsa_next_free_sgpr 0
		.amdhsa_accum_offset 4
		.amdhsa_reserve_vcc 0
		.amdhsa_float_round_mode_32 0
		.amdhsa_float_round_mode_16_64 0
		.amdhsa_float_denorm_mode_32 3
		.amdhsa_float_denorm_mode_16_64 3
		.amdhsa_dx10_clamp 1
		.amdhsa_ieee_mode 1
		.amdhsa_fp16_overflow 0
		.amdhsa_tg_split 0
		.amdhsa_exception_fp_ieee_invalid_op 0
		.amdhsa_exception_fp_denorm_src 0
		.amdhsa_exception_fp_ieee_div_zero 0
		.amdhsa_exception_fp_ieee_overflow 0
		.amdhsa_exception_fp_ieee_underflow 0
		.amdhsa_exception_fp_ieee_inexact 0
		.amdhsa_exception_int_div_zero 0
	.end_amdhsa_kernel
	.section	.text._ZN7rocprim17ROCPRIM_400000_NS6detail17trampoline_kernelINS0_14default_configENS1_22reduce_config_selectorIfEEZNS1_11reduce_implILb1ES3_N6thrust23THRUST_200600_302600_NS17counting_iteratorIfNS8_11hip_rocprim3tagENS8_11use_defaultESC_EEPffNS8_4plusIfEEEE10hipError_tPvRmT1_T2_T3_mT4_P12ihipStream_tbEUlT_E0_NS1_11comp_targetILNS1_3genE9ELNS1_11target_archE1100ELNS1_3gpuE3ELNS1_3repE0EEENS1_30default_config_static_selectorELNS0_4arch9wavefront6targetE1EEEvSK_,"axG",@progbits,_ZN7rocprim17ROCPRIM_400000_NS6detail17trampoline_kernelINS0_14default_configENS1_22reduce_config_selectorIfEEZNS1_11reduce_implILb1ES3_N6thrust23THRUST_200600_302600_NS17counting_iteratorIfNS8_11hip_rocprim3tagENS8_11use_defaultESC_EEPffNS8_4plusIfEEEE10hipError_tPvRmT1_T2_T3_mT4_P12ihipStream_tbEUlT_E0_NS1_11comp_targetILNS1_3genE9ELNS1_11target_archE1100ELNS1_3gpuE3ELNS1_3repE0EEENS1_30default_config_static_selectorELNS0_4arch9wavefront6targetE1EEEvSK_,comdat
.Lfunc_end1008:
	.size	_ZN7rocprim17ROCPRIM_400000_NS6detail17trampoline_kernelINS0_14default_configENS1_22reduce_config_selectorIfEEZNS1_11reduce_implILb1ES3_N6thrust23THRUST_200600_302600_NS17counting_iteratorIfNS8_11hip_rocprim3tagENS8_11use_defaultESC_EEPffNS8_4plusIfEEEE10hipError_tPvRmT1_T2_T3_mT4_P12ihipStream_tbEUlT_E0_NS1_11comp_targetILNS1_3genE9ELNS1_11target_archE1100ELNS1_3gpuE3ELNS1_3repE0EEENS1_30default_config_static_selectorELNS0_4arch9wavefront6targetE1EEEvSK_, .Lfunc_end1008-_ZN7rocprim17ROCPRIM_400000_NS6detail17trampoline_kernelINS0_14default_configENS1_22reduce_config_selectorIfEEZNS1_11reduce_implILb1ES3_N6thrust23THRUST_200600_302600_NS17counting_iteratorIfNS8_11hip_rocprim3tagENS8_11use_defaultESC_EEPffNS8_4plusIfEEEE10hipError_tPvRmT1_T2_T3_mT4_P12ihipStream_tbEUlT_E0_NS1_11comp_targetILNS1_3genE9ELNS1_11target_archE1100ELNS1_3gpuE3ELNS1_3repE0EEENS1_30default_config_static_selectorELNS0_4arch9wavefront6targetE1EEEvSK_
                                        ; -- End function
	.set _ZN7rocprim17ROCPRIM_400000_NS6detail17trampoline_kernelINS0_14default_configENS1_22reduce_config_selectorIfEEZNS1_11reduce_implILb1ES3_N6thrust23THRUST_200600_302600_NS17counting_iteratorIfNS8_11hip_rocprim3tagENS8_11use_defaultESC_EEPffNS8_4plusIfEEEE10hipError_tPvRmT1_T2_T3_mT4_P12ihipStream_tbEUlT_E0_NS1_11comp_targetILNS1_3genE9ELNS1_11target_archE1100ELNS1_3gpuE3ELNS1_3repE0EEENS1_30default_config_static_selectorELNS0_4arch9wavefront6targetE1EEEvSK_.num_vgpr, 0
	.set _ZN7rocprim17ROCPRIM_400000_NS6detail17trampoline_kernelINS0_14default_configENS1_22reduce_config_selectorIfEEZNS1_11reduce_implILb1ES3_N6thrust23THRUST_200600_302600_NS17counting_iteratorIfNS8_11hip_rocprim3tagENS8_11use_defaultESC_EEPffNS8_4plusIfEEEE10hipError_tPvRmT1_T2_T3_mT4_P12ihipStream_tbEUlT_E0_NS1_11comp_targetILNS1_3genE9ELNS1_11target_archE1100ELNS1_3gpuE3ELNS1_3repE0EEENS1_30default_config_static_selectorELNS0_4arch9wavefront6targetE1EEEvSK_.num_agpr, 0
	.set _ZN7rocprim17ROCPRIM_400000_NS6detail17trampoline_kernelINS0_14default_configENS1_22reduce_config_selectorIfEEZNS1_11reduce_implILb1ES3_N6thrust23THRUST_200600_302600_NS17counting_iteratorIfNS8_11hip_rocprim3tagENS8_11use_defaultESC_EEPffNS8_4plusIfEEEE10hipError_tPvRmT1_T2_T3_mT4_P12ihipStream_tbEUlT_E0_NS1_11comp_targetILNS1_3genE9ELNS1_11target_archE1100ELNS1_3gpuE3ELNS1_3repE0EEENS1_30default_config_static_selectorELNS0_4arch9wavefront6targetE1EEEvSK_.numbered_sgpr, 0
	.set _ZN7rocprim17ROCPRIM_400000_NS6detail17trampoline_kernelINS0_14default_configENS1_22reduce_config_selectorIfEEZNS1_11reduce_implILb1ES3_N6thrust23THRUST_200600_302600_NS17counting_iteratorIfNS8_11hip_rocprim3tagENS8_11use_defaultESC_EEPffNS8_4plusIfEEEE10hipError_tPvRmT1_T2_T3_mT4_P12ihipStream_tbEUlT_E0_NS1_11comp_targetILNS1_3genE9ELNS1_11target_archE1100ELNS1_3gpuE3ELNS1_3repE0EEENS1_30default_config_static_selectorELNS0_4arch9wavefront6targetE1EEEvSK_.num_named_barrier, 0
	.set _ZN7rocprim17ROCPRIM_400000_NS6detail17trampoline_kernelINS0_14default_configENS1_22reduce_config_selectorIfEEZNS1_11reduce_implILb1ES3_N6thrust23THRUST_200600_302600_NS17counting_iteratorIfNS8_11hip_rocprim3tagENS8_11use_defaultESC_EEPffNS8_4plusIfEEEE10hipError_tPvRmT1_T2_T3_mT4_P12ihipStream_tbEUlT_E0_NS1_11comp_targetILNS1_3genE9ELNS1_11target_archE1100ELNS1_3gpuE3ELNS1_3repE0EEENS1_30default_config_static_selectorELNS0_4arch9wavefront6targetE1EEEvSK_.private_seg_size, 0
	.set _ZN7rocprim17ROCPRIM_400000_NS6detail17trampoline_kernelINS0_14default_configENS1_22reduce_config_selectorIfEEZNS1_11reduce_implILb1ES3_N6thrust23THRUST_200600_302600_NS17counting_iteratorIfNS8_11hip_rocprim3tagENS8_11use_defaultESC_EEPffNS8_4plusIfEEEE10hipError_tPvRmT1_T2_T3_mT4_P12ihipStream_tbEUlT_E0_NS1_11comp_targetILNS1_3genE9ELNS1_11target_archE1100ELNS1_3gpuE3ELNS1_3repE0EEENS1_30default_config_static_selectorELNS0_4arch9wavefront6targetE1EEEvSK_.uses_vcc, 0
	.set _ZN7rocprim17ROCPRIM_400000_NS6detail17trampoline_kernelINS0_14default_configENS1_22reduce_config_selectorIfEEZNS1_11reduce_implILb1ES3_N6thrust23THRUST_200600_302600_NS17counting_iteratorIfNS8_11hip_rocprim3tagENS8_11use_defaultESC_EEPffNS8_4plusIfEEEE10hipError_tPvRmT1_T2_T3_mT4_P12ihipStream_tbEUlT_E0_NS1_11comp_targetILNS1_3genE9ELNS1_11target_archE1100ELNS1_3gpuE3ELNS1_3repE0EEENS1_30default_config_static_selectorELNS0_4arch9wavefront6targetE1EEEvSK_.uses_flat_scratch, 0
	.set _ZN7rocprim17ROCPRIM_400000_NS6detail17trampoline_kernelINS0_14default_configENS1_22reduce_config_selectorIfEEZNS1_11reduce_implILb1ES3_N6thrust23THRUST_200600_302600_NS17counting_iteratorIfNS8_11hip_rocprim3tagENS8_11use_defaultESC_EEPffNS8_4plusIfEEEE10hipError_tPvRmT1_T2_T3_mT4_P12ihipStream_tbEUlT_E0_NS1_11comp_targetILNS1_3genE9ELNS1_11target_archE1100ELNS1_3gpuE3ELNS1_3repE0EEENS1_30default_config_static_selectorELNS0_4arch9wavefront6targetE1EEEvSK_.has_dyn_sized_stack, 0
	.set _ZN7rocprim17ROCPRIM_400000_NS6detail17trampoline_kernelINS0_14default_configENS1_22reduce_config_selectorIfEEZNS1_11reduce_implILb1ES3_N6thrust23THRUST_200600_302600_NS17counting_iteratorIfNS8_11hip_rocprim3tagENS8_11use_defaultESC_EEPffNS8_4plusIfEEEE10hipError_tPvRmT1_T2_T3_mT4_P12ihipStream_tbEUlT_E0_NS1_11comp_targetILNS1_3genE9ELNS1_11target_archE1100ELNS1_3gpuE3ELNS1_3repE0EEENS1_30default_config_static_selectorELNS0_4arch9wavefront6targetE1EEEvSK_.has_recursion, 0
	.set _ZN7rocprim17ROCPRIM_400000_NS6detail17trampoline_kernelINS0_14default_configENS1_22reduce_config_selectorIfEEZNS1_11reduce_implILb1ES3_N6thrust23THRUST_200600_302600_NS17counting_iteratorIfNS8_11hip_rocprim3tagENS8_11use_defaultESC_EEPffNS8_4plusIfEEEE10hipError_tPvRmT1_T2_T3_mT4_P12ihipStream_tbEUlT_E0_NS1_11comp_targetILNS1_3genE9ELNS1_11target_archE1100ELNS1_3gpuE3ELNS1_3repE0EEENS1_30default_config_static_selectorELNS0_4arch9wavefront6targetE1EEEvSK_.has_indirect_call, 0
	.section	.AMDGPU.csdata,"",@progbits
; Kernel info:
; codeLenInByte = 0
; TotalNumSgprs: 6
; NumVgprs: 0
; NumAgprs: 0
; TotalNumVgprs: 0
; ScratchSize: 0
; MemoryBound: 0
; FloatMode: 240
; IeeeMode: 1
; LDSByteSize: 0 bytes/workgroup (compile time only)
; SGPRBlocks: 0
; VGPRBlocks: 0
; NumSGPRsForWavesPerEU: 6
; NumVGPRsForWavesPerEU: 1
; AccumOffset: 4
; Occupancy: 8
; WaveLimiterHint : 0
; COMPUTE_PGM_RSRC2:SCRATCH_EN: 0
; COMPUTE_PGM_RSRC2:USER_SGPR: 2
; COMPUTE_PGM_RSRC2:TRAP_HANDLER: 0
; COMPUTE_PGM_RSRC2:TGID_X_EN: 1
; COMPUTE_PGM_RSRC2:TGID_Y_EN: 0
; COMPUTE_PGM_RSRC2:TGID_Z_EN: 0
; COMPUTE_PGM_RSRC2:TIDIG_COMP_CNT: 0
; COMPUTE_PGM_RSRC3_GFX90A:ACCUM_OFFSET: 0
; COMPUTE_PGM_RSRC3_GFX90A:TG_SPLIT: 0
	.section	.text._ZN7rocprim17ROCPRIM_400000_NS6detail17trampoline_kernelINS0_14default_configENS1_22reduce_config_selectorIfEEZNS1_11reduce_implILb1ES3_N6thrust23THRUST_200600_302600_NS17counting_iteratorIfNS8_11hip_rocprim3tagENS8_11use_defaultESC_EEPffNS8_4plusIfEEEE10hipError_tPvRmT1_T2_T3_mT4_P12ihipStream_tbEUlT_E0_NS1_11comp_targetILNS1_3genE8ELNS1_11target_archE1030ELNS1_3gpuE2ELNS1_3repE0EEENS1_30default_config_static_selectorELNS0_4arch9wavefront6targetE1EEEvSK_,"axG",@progbits,_ZN7rocprim17ROCPRIM_400000_NS6detail17trampoline_kernelINS0_14default_configENS1_22reduce_config_selectorIfEEZNS1_11reduce_implILb1ES3_N6thrust23THRUST_200600_302600_NS17counting_iteratorIfNS8_11hip_rocprim3tagENS8_11use_defaultESC_EEPffNS8_4plusIfEEEE10hipError_tPvRmT1_T2_T3_mT4_P12ihipStream_tbEUlT_E0_NS1_11comp_targetILNS1_3genE8ELNS1_11target_archE1030ELNS1_3gpuE2ELNS1_3repE0EEENS1_30default_config_static_selectorELNS0_4arch9wavefront6targetE1EEEvSK_,comdat
	.protected	_ZN7rocprim17ROCPRIM_400000_NS6detail17trampoline_kernelINS0_14default_configENS1_22reduce_config_selectorIfEEZNS1_11reduce_implILb1ES3_N6thrust23THRUST_200600_302600_NS17counting_iteratorIfNS8_11hip_rocprim3tagENS8_11use_defaultESC_EEPffNS8_4plusIfEEEE10hipError_tPvRmT1_T2_T3_mT4_P12ihipStream_tbEUlT_E0_NS1_11comp_targetILNS1_3genE8ELNS1_11target_archE1030ELNS1_3gpuE2ELNS1_3repE0EEENS1_30default_config_static_selectorELNS0_4arch9wavefront6targetE1EEEvSK_ ; -- Begin function _ZN7rocprim17ROCPRIM_400000_NS6detail17trampoline_kernelINS0_14default_configENS1_22reduce_config_selectorIfEEZNS1_11reduce_implILb1ES3_N6thrust23THRUST_200600_302600_NS17counting_iteratorIfNS8_11hip_rocprim3tagENS8_11use_defaultESC_EEPffNS8_4plusIfEEEE10hipError_tPvRmT1_T2_T3_mT4_P12ihipStream_tbEUlT_E0_NS1_11comp_targetILNS1_3genE8ELNS1_11target_archE1030ELNS1_3gpuE2ELNS1_3repE0EEENS1_30default_config_static_selectorELNS0_4arch9wavefront6targetE1EEEvSK_
	.globl	_ZN7rocprim17ROCPRIM_400000_NS6detail17trampoline_kernelINS0_14default_configENS1_22reduce_config_selectorIfEEZNS1_11reduce_implILb1ES3_N6thrust23THRUST_200600_302600_NS17counting_iteratorIfNS8_11hip_rocprim3tagENS8_11use_defaultESC_EEPffNS8_4plusIfEEEE10hipError_tPvRmT1_T2_T3_mT4_P12ihipStream_tbEUlT_E0_NS1_11comp_targetILNS1_3genE8ELNS1_11target_archE1030ELNS1_3gpuE2ELNS1_3repE0EEENS1_30default_config_static_selectorELNS0_4arch9wavefront6targetE1EEEvSK_
	.p2align	8
	.type	_ZN7rocprim17ROCPRIM_400000_NS6detail17trampoline_kernelINS0_14default_configENS1_22reduce_config_selectorIfEEZNS1_11reduce_implILb1ES3_N6thrust23THRUST_200600_302600_NS17counting_iteratorIfNS8_11hip_rocprim3tagENS8_11use_defaultESC_EEPffNS8_4plusIfEEEE10hipError_tPvRmT1_T2_T3_mT4_P12ihipStream_tbEUlT_E0_NS1_11comp_targetILNS1_3genE8ELNS1_11target_archE1030ELNS1_3gpuE2ELNS1_3repE0EEENS1_30default_config_static_selectorELNS0_4arch9wavefront6targetE1EEEvSK_,@function
_ZN7rocprim17ROCPRIM_400000_NS6detail17trampoline_kernelINS0_14default_configENS1_22reduce_config_selectorIfEEZNS1_11reduce_implILb1ES3_N6thrust23THRUST_200600_302600_NS17counting_iteratorIfNS8_11hip_rocprim3tagENS8_11use_defaultESC_EEPffNS8_4plusIfEEEE10hipError_tPvRmT1_T2_T3_mT4_P12ihipStream_tbEUlT_E0_NS1_11comp_targetILNS1_3genE8ELNS1_11target_archE1030ELNS1_3gpuE2ELNS1_3repE0EEENS1_30default_config_static_selectorELNS0_4arch9wavefront6targetE1EEEvSK_: ; @_ZN7rocprim17ROCPRIM_400000_NS6detail17trampoline_kernelINS0_14default_configENS1_22reduce_config_selectorIfEEZNS1_11reduce_implILb1ES3_N6thrust23THRUST_200600_302600_NS17counting_iteratorIfNS8_11hip_rocprim3tagENS8_11use_defaultESC_EEPffNS8_4plusIfEEEE10hipError_tPvRmT1_T2_T3_mT4_P12ihipStream_tbEUlT_E0_NS1_11comp_targetILNS1_3genE8ELNS1_11target_archE1030ELNS1_3gpuE2ELNS1_3repE0EEENS1_30default_config_static_selectorELNS0_4arch9wavefront6targetE1EEEvSK_
; %bb.0:
	.section	.rodata,"a",@progbits
	.p2align	6, 0x0
	.amdhsa_kernel _ZN7rocprim17ROCPRIM_400000_NS6detail17trampoline_kernelINS0_14default_configENS1_22reduce_config_selectorIfEEZNS1_11reduce_implILb1ES3_N6thrust23THRUST_200600_302600_NS17counting_iteratorIfNS8_11hip_rocprim3tagENS8_11use_defaultESC_EEPffNS8_4plusIfEEEE10hipError_tPvRmT1_T2_T3_mT4_P12ihipStream_tbEUlT_E0_NS1_11comp_targetILNS1_3genE8ELNS1_11target_archE1030ELNS1_3gpuE2ELNS1_3repE0EEENS1_30default_config_static_selectorELNS0_4arch9wavefront6targetE1EEEvSK_
		.amdhsa_group_segment_fixed_size 0
		.amdhsa_private_segment_fixed_size 0
		.amdhsa_kernarg_size 56
		.amdhsa_user_sgpr_count 2
		.amdhsa_user_sgpr_dispatch_ptr 0
		.amdhsa_user_sgpr_queue_ptr 0
		.amdhsa_user_sgpr_kernarg_segment_ptr 1
		.amdhsa_user_sgpr_dispatch_id 0
		.amdhsa_user_sgpr_kernarg_preload_length 0
		.amdhsa_user_sgpr_kernarg_preload_offset 0
		.amdhsa_user_sgpr_private_segment_size 0
		.amdhsa_uses_dynamic_stack 0
		.amdhsa_enable_private_segment 0
		.amdhsa_system_sgpr_workgroup_id_x 1
		.amdhsa_system_sgpr_workgroup_id_y 0
		.amdhsa_system_sgpr_workgroup_id_z 0
		.amdhsa_system_sgpr_workgroup_info 0
		.amdhsa_system_vgpr_workitem_id 0
		.amdhsa_next_free_vgpr 1
		.amdhsa_next_free_sgpr 0
		.amdhsa_accum_offset 4
		.amdhsa_reserve_vcc 0
		.amdhsa_float_round_mode_32 0
		.amdhsa_float_round_mode_16_64 0
		.amdhsa_float_denorm_mode_32 3
		.amdhsa_float_denorm_mode_16_64 3
		.amdhsa_dx10_clamp 1
		.amdhsa_ieee_mode 1
		.amdhsa_fp16_overflow 0
		.amdhsa_tg_split 0
		.amdhsa_exception_fp_ieee_invalid_op 0
		.amdhsa_exception_fp_denorm_src 0
		.amdhsa_exception_fp_ieee_div_zero 0
		.amdhsa_exception_fp_ieee_overflow 0
		.amdhsa_exception_fp_ieee_underflow 0
		.amdhsa_exception_fp_ieee_inexact 0
		.amdhsa_exception_int_div_zero 0
	.end_amdhsa_kernel
	.section	.text._ZN7rocprim17ROCPRIM_400000_NS6detail17trampoline_kernelINS0_14default_configENS1_22reduce_config_selectorIfEEZNS1_11reduce_implILb1ES3_N6thrust23THRUST_200600_302600_NS17counting_iteratorIfNS8_11hip_rocprim3tagENS8_11use_defaultESC_EEPffNS8_4plusIfEEEE10hipError_tPvRmT1_T2_T3_mT4_P12ihipStream_tbEUlT_E0_NS1_11comp_targetILNS1_3genE8ELNS1_11target_archE1030ELNS1_3gpuE2ELNS1_3repE0EEENS1_30default_config_static_selectorELNS0_4arch9wavefront6targetE1EEEvSK_,"axG",@progbits,_ZN7rocprim17ROCPRIM_400000_NS6detail17trampoline_kernelINS0_14default_configENS1_22reduce_config_selectorIfEEZNS1_11reduce_implILb1ES3_N6thrust23THRUST_200600_302600_NS17counting_iteratorIfNS8_11hip_rocprim3tagENS8_11use_defaultESC_EEPffNS8_4plusIfEEEE10hipError_tPvRmT1_T2_T3_mT4_P12ihipStream_tbEUlT_E0_NS1_11comp_targetILNS1_3genE8ELNS1_11target_archE1030ELNS1_3gpuE2ELNS1_3repE0EEENS1_30default_config_static_selectorELNS0_4arch9wavefront6targetE1EEEvSK_,comdat
.Lfunc_end1009:
	.size	_ZN7rocprim17ROCPRIM_400000_NS6detail17trampoline_kernelINS0_14default_configENS1_22reduce_config_selectorIfEEZNS1_11reduce_implILb1ES3_N6thrust23THRUST_200600_302600_NS17counting_iteratorIfNS8_11hip_rocprim3tagENS8_11use_defaultESC_EEPffNS8_4plusIfEEEE10hipError_tPvRmT1_T2_T3_mT4_P12ihipStream_tbEUlT_E0_NS1_11comp_targetILNS1_3genE8ELNS1_11target_archE1030ELNS1_3gpuE2ELNS1_3repE0EEENS1_30default_config_static_selectorELNS0_4arch9wavefront6targetE1EEEvSK_, .Lfunc_end1009-_ZN7rocprim17ROCPRIM_400000_NS6detail17trampoline_kernelINS0_14default_configENS1_22reduce_config_selectorIfEEZNS1_11reduce_implILb1ES3_N6thrust23THRUST_200600_302600_NS17counting_iteratorIfNS8_11hip_rocprim3tagENS8_11use_defaultESC_EEPffNS8_4plusIfEEEE10hipError_tPvRmT1_T2_T3_mT4_P12ihipStream_tbEUlT_E0_NS1_11comp_targetILNS1_3genE8ELNS1_11target_archE1030ELNS1_3gpuE2ELNS1_3repE0EEENS1_30default_config_static_selectorELNS0_4arch9wavefront6targetE1EEEvSK_
                                        ; -- End function
	.set _ZN7rocprim17ROCPRIM_400000_NS6detail17trampoline_kernelINS0_14default_configENS1_22reduce_config_selectorIfEEZNS1_11reduce_implILb1ES3_N6thrust23THRUST_200600_302600_NS17counting_iteratorIfNS8_11hip_rocprim3tagENS8_11use_defaultESC_EEPffNS8_4plusIfEEEE10hipError_tPvRmT1_T2_T3_mT4_P12ihipStream_tbEUlT_E0_NS1_11comp_targetILNS1_3genE8ELNS1_11target_archE1030ELNS1_3gpuE2ELNS1_3repE0EEENS1_30default_config_static_selectorELNS0_4arch9wavefront6targetE1EEEvSK_.num_vgpr, 0
	.set _ZN7rocprim17ROCPRIM_400000_NS6detail17trampoline_kernelINS0_14default_configENS1_22reduce_config_selectorIfEEZNS1_11reduce_implILb1ES3_N6thrust23THRUST_200600_302600_NS17counting_iteratorIfNS8_11hip_rocprim3tagENS8_11use_defaultESC_EEPffNS8_4plusIfEEEE10hipError_tPvRmT1_T2_T3_mT4_P12ihipStream_tbEUlT_E0_NS1_11comp_targetILNS1_3genE8ELNS1_11target_archE1030ELNS1_3gpuE2ELNS1_3repE0EEENS1_30default_config_static_selectorELNS0_4arch9wavefront6targetE1EEEvSK_.num_agpr, 0
	.set _ZN7rocprim17ROCPRIM_400000_NS6detail17trampoline_kernelINS0_14default_configENS1_22reduce_config_selectorIfEEZNS1_11reduce_implILb1ES3_N6thrust23THRUST_200600_302600_NS17counting_iteratorIfNS8_11hip_rocprim3tagENS8_11use_defaultESC_EEPffNS8_4plusIfEEEE10hipError_tPvRmT1_T2_T3_mT4_P12ihipStream_tbEUlT_E0_NS1_11comp_targetILNS1_3genE8ELNS1_11target_archE1030ELNS1_3gpuE2ELNS1_3repE0EEENS1_30default_config_static_selectorELNS0_4arch9wavefront6targetE1EEEvSK_.numbered_sgpr, 0
	.set _ZN7rocprim17ROCPRIM_400000_NS6detail17trampoline_kernelINS0_14default_configENS1_22reduce_config_selectorIfEEZNS1_11reduce_implILb1ES3_N6thrust23THRUST_200600_302600_NS17counting_iteratorIfNS8_11hip_rocprim3tagENS8_11use_defaultESC_EEPffNS8_4plusIfEEEE10hipError_tPvRmT1_T2_T3_mT4_P12ihipStream_tbEUlT_E0_NS1_11comp_targetILNS1_3genE8ELNS1_11target_archE1030ELNS1_3gpuE2ELNS1_3repE0EEENS1_30default_config_static_selectorELNS0_4arch9wavefront6targetE1EEEvSK_.num_named_barrier, 0
	.set _ZN7rocprim17ROCPRIM_400000_NS6detail17trampoline_kernelINS0_14default_configENS1_22reduce_config_selectorIfEEZNS1_11reduce_implILb1ES3_N6thrust23THRUST_200600_302600_NS17counting_iteratorIfNS8_11hip_rocprim3tagENS8_11use_defaultESC_EEPffNS8_4plusIfEEEE10hipError_tPvRmT1_T2_T3_mT4_P12ihipStream_tbEUlT_E0_NS1_11comp_targetILNS1_3genE8ELNS1_11target_archE1030ELNS1_3gpuE2ELNS1_3repE0EEENS1_30default_config_static_selectorELNS0_4arch9wavefront6targetE1EEEvSK_.private_seg_size, 0
	.set _ZN7rocprim17ROCPRIM_400000_NS6detail17trampoline_kernelINS0_14default_configENS1_22reduce_config_selectorIfEEZNS1_11reduce_implILb1ES3_N6thrust23THRUST_200600_302600_NS17counting_iteratorIfNS8_11hip_rocprim3tagENS8_11use_defaultESC_EEPffNS8_4plusIfEEEE10hipError_tPvRmT1_T2_T3_mT4_P12ihipStream_tbEUlT_E0_NS1_11comp_targetILNS1_3genE8ELNS1_11target_archE1030ELNS1_3gpuE2ELNS1_3repE0EEENS1_30default_config_static_selectorELNS0_4arch9wavefront6targetE1EEEvSK_.uses_vcc, 0
	.set _ZN7rocprim17ROCPRIM_400000_NS6detail17trampoline_kernelINS0_14default_configENS1_22reduce_config_selectorIfEEZNS1_11reduce_implILb1ES3_N6thrust23THRUST_200600_302600_NS17counting_iteratorIfNS8_11hip_rocprim3tagENS8_11use_defaultESC_EEPffNS8_4plusIfEEEE10hipError_tPvRmT1_T2_T3_mT4_P12ihipStream_tbEUlT_E0_NS1_11comp_targetILNS1_3genE8ELNS1_11target_archE1030ELNS1_3gpuE2ELNS1_3repE0EEENS1_30default_config_static_selectorELNS0_4arch9wavefront6targetE1EEEvSK_.uses_flat_scratch, 0
	.set _ZN7rocprim17ROCPRIM_400000_NS6detail17trampoline_kernelINS0_14default_configENS1_22reduce_config_selectorIfEEZNS1_11reduce_implILb1ES3_N6thrust23THRUST_200600_302600_NS17counting_iteratorIfNS8_11hip_rocprim3tagENS8_11use_defaultESC_EEPffNS8_4plusIfEEEE10hipError_tPvRmT1_T2_T3_mT4_P12ihipStream_tbEUlT_E0_NS1_11comp_targetILNS1_3genE8ELNS1_11target_archE1030ELNS1_3gpuE2ELNS1_3repE0EEENS1_30default_config_static_selectorELNS0_4arch9wavefront6targetE1EEEvSK_.has_dyn_sized_stack, 0
	.set _ZN7rocprim17ROCPRIM_400000_NS6detail17trampoline_kernelINS0_14default_configENS1_22reduce_config_selectorIfEEZNS1_11reduce_implILb1ES3_N6thrust23THRUST_200600_302600_NS17counting_iteratorIfNS8_11hip_rocprim3tagENS8_11use_defaultESC_EEPffNS8_4plusIfEEEE10hipError_tPvRmT1_T2_T3_mT4_P12ihipStream_tbEUlT_E0_NS1_11comp_targetILNS1_3genE8ELNS1_11target_archE1030ELNS1_3gpuE2ELNS1_3repE0EEENS1_30default_config_static_selectorELNS0_4arch9wavefront6targetE1EEEvSK_.has_recursion, 0
	.set _ZN7rocprim17ROCPRIM_400000_NS6detail17trampoline_kernelINS0_14default_configENS1_22reduce_config_selectorIfEEZNS1_11reduce_implILb1ES3_N6thrust23THRUST_200600_302600_NS17counting_iteratorIfNS8_11hip_rocprim3tagENS8_11use_defaultESC_EEPffNS8_4plusIfEEEE10hipError_tPvRmT1_T2_T3_mT4_P12ihipStream_tbEUlT_E0_NS1_11comp_targetILNS1_3genE8ELNS1_11target_archE1030ELNS1_3gpuE2ELNS1_3repE0EEENS1_30default_config_static_selectorELNS0_4arch9wavefront6targetE1EEEvSK_.has_indirect_call, 0
	.section	.AMDGPU.csdata,"",@progbits
; Kernel info:
; codeLenInByte = 0
; TotalNumSgprs: 6
; NumVgprs: 0
; NumAgprs: 0
; TotalNumVgprs: 0
; ScratchSize: 0
; MemoryBound: 0
; FloatMode: 240
; IeeeMode: 1
; LDSByteSize: 0 bytes/workgroup (compile time only)
; SGPRBlocks: 0
; VGPRBlocks: 0
; NumSGPRsForWavesPerEU: 6
; NumVGPRsForWavesPerEU: 1
; AccumOffset: 4
; Occupancy: 8
; WaveLimiterHint : 0
; COMPUTE_PGM_RSRC2:SCRATCH_EN: 0
; COMPUTE_PGM_RSRC2:USER_SGPR: 2
; COMPUTE_PGM_RSRC2:TRAP_HANDLER: 0
; COMPUTE_PGM_RSRC2:TGID_X_EN: 1
; COMPUTE_PGM_RSRC2:TGID_Y_EN: 0
; COMPUTE_PGM_RSRC2:TGID_Z_EN: 0
; COMPUTE_PGM_RSRC2:TIDIG_COMP_CNT: 0
; COMPUTE_PGM_RSRC3_GFX90A:ACCUM_OFFSET: 0
; COMPUTE_PGM_RSRC3_GFX90A:TG_SPLIT: 0
	.section	.text._ZN7rocprim17ROCPRIM_400000_NS6detail17trampoline_kernelINS0_14default_configENS1_22reduce_config_selectorIfEEZNS1_11reduce_implILb1ES3_N6thrust23THRUST_200600_302600_NS17counting_iteratorIfNS8_11hip_rocprim3tagENS8_11use_defaultESC_EEPffNS8_4plusIfEEEE10hipError_tPvRmT1_T2_T3_mT4_P12ihipStream_tbEUlT_E1_NS1_11comp_targetILNS1_3genE0ELNS1_11target_archE4294967295ELNS1_3gpuE0ELNS1_3repE0EEENS1_30default_config_static_selectorELNS0_4arch9wavefront6targetE1EEEvSK_,"axG",@progbits,_ZN7rocprim17ROCPRIM_400000_NS6detail17trampoline_kernelINS0_14default_configENS1_22reduce_config_selectorIfEEZNS1_11reduce_implILb1ES3_N6thrust23THRUST_200600_302600_NS17counting_iteratorIfNS8_11hip_rocprim3tagENS8_11use_defaultESC_EEPffNS8_4plusIfEEEE10hipError_tPvRmT1_T2_T3_mT4_P12ihipStream_tbEUlT_E1_NS1_11comp_targetILNS1_3genE0ELNS1_11target_archE4294967295ELNS1_3gpuE0ELNS1_3repE0EEENS1_30default_config_static_selectorELNS0_4arch9wavefront6targetE1EEEvSK_,comdat
	.protected	_ZN7rocprim17ROCPRIM_400000_NS6detail17trampoline_kernelINS0_14default_configENS1_22reduce_config_selectorIfEEZNS1_11reduce_implILb1ES3_N6thrust23THRUST_200600_302600_NS17counting_iteratorIfNS8_11hip_rocprim3tagENS8_11use_defaultESC_EEPffNS8_4plusIfEEEE10hipError_tPvRmT1_T2_T3_mT4_P12ihipStream_tbEUlT_E1_NS1_11comp_targetILNS1_3genE0ELNS1_11target_archE4294967295ELNS1_3gpuE0ELNS1_3repE0EEENS1_30default_config_static_selectorELNS0_4arch9wavefront6targetE1EEEvSK_ ; -- Begin function _ZN7rocprim17ROCPRIM_400000_NS6detail17trampoline_kernelINS0_14default_configENS1_22reduce_config_selectorIfEEZNS1_11reduce_implILb1ES3_N6thrust23THRUST_200600_302600_NS17counting_iteratorIfNS8_11hip_rocprim3tagENS8_11use_defaultESC_EEPffNS8_4plusIfEEEE10hipError_tPvRmT1_T2_T3_mT4_P12ihipStream_tbEUlT_E1_NS1_11comp_targetILNS1_3genE0ELNS1_11target_archE4294967295ELNS1_3gpuE0ELNS1_3repE0EEENS1_30default_config_static_selectorELNS0_4arch9wavefront6targetE1EEEvSK_
	.globl	_ZN7rocprim17ROCPRIM_400000_NS6detail17trampoline_kernelINS0_14default_configENS1_22reduce_config_selectorIfEEZNS1_11reduce_implILb1ES3_N6thrust23THRUST_200600_302600_NS17counting_iteratorIfNS8_11hip_rocprim3tagENS8_11use_defaultESC_EEPffNS8_4plusIfEEEE10hipError_tPvRmT1_T2_T3_mT4_P12ihipStream_tbEUlT_E1_NS1_11comp_targetILNS1_3genE0ELNS1_11target_archE4294967295ELNS1_3gpuE0ELNS1_3repE0EEENS1_30default_config_static_selectorELNS0_4arch9wavefront6targetE1EEEvSK_
	.p2align	8
	.type	_ZN7rocprim17ROCPRIM_400000_NS6detail17trampoline_kernelINS0_14default_configENS1_22reduce_config_selectorIfEEZNS1_11reduce_implILb1ES3_N6thrust23THRUST_200600_302600_NS17counting_iteratorIfNS8_11hip_rocprim3tagENS8_11use_defaultESC_EEPffNS8_4plusIfEEEE10hipError_tPvRmT1_T2_T3_mT4_P12ihipStream_tbEUlT_E1_NS1_11comp_targetILNS1_3genE0ELNS1_11target_archE4294967295ELNS1_3gpuE0ELNS1_3repE0EEENS1_30default_config_static_selectorELNS0_4arch9wavefront6targetE1EEEvSK_,@function
_ZN7rocprim17ROCPRIM_400000_NS6detail17trampoline_kernelINS0_14default_configENS1_22reduce_config_selectorIfEEZNS1_11reduce_implILb1ES3_N6thrust23THRUST_200600_302600_NS17counting_iteratorIfNS8_11hip_rocprim3tagENS8_11use_defaultESC_EEPffNS8_4plusIfEEEE10hipError_tPvRmT1_T2_T3_mT4_P12ihipStream_tbEUlT_E1_NS1_11comp_targetILNS1_3genE0ELNS1_11target_archE4294967295ELNS1_3gpuE0ELNS1_3repE0EEENS1_30default_config_static_selectorELNS0_4arch9wavefront6targetE1EEEvSK_: ; @_ZN7rocprim17ROCPRIM_400000_NS6detail17trampoline_kernelINS0_14default_configENS1_22reduce_config_selectorIfEEZNS1_11reduce_implILb1ES3_N6thrust23THRUST_200600_302600_NS17counting_iteratorIfNS8_11hip_rocprim3tagENS8_11use_defaultESC_EEPffNS8_4plusIfEEEE10hipError_tPvRmT1_T2_T3_mT4_P12ihipStream_tbEUlT_E1_NS1_11comp_targetILNS1_3genE0ELNS1_11target_archE4294967295ELNS1_3gpuE0ELNS1_3repE0EEENS1_30default_config_static_selectorELNS0_4arch9wavefront6targetE1EEEvSK_
; %bb.0:
	s_load_dwordx2 s[66:67], s[0:1], 0x4
	s_load_dwordx4 s[68:71], s[0:1], 0x10
	s_waitcnt lgkmcnt(0)
	s_cmp_lt_i32 s66, 8
	s_cbranch_scc1 .LBB1010_11
; %bb.1:
	s_cmp_gt_i32 s66, 15
	s_cbranch_scc0 .LBB1010_12
; %bb.2:
	s_cmp_gt_i32 s66, 31
	s_cbranch_scc0 .LBB1010_13
; %bb.3:
	s_cmp_eq_u32 s66, 32
	s_mov_b64 s[72:73], 0
	s_cbranch_scc0 .LBB1010_14
; %bb.4:
	s_lshl_b32 s6, s2, 13
	v_cvt_f32_u32_e32 v1, s6
	s_mov_b32 s3, 0
	s_lshr_b64 s[4:5], s[68:69], 13
	s_cmp_lg_u64 s[4:5], s[2:3]
	v_add_f32_e32 v2, s67, v1
	v_cvt_f32_ubyte0_e32 v1, v0
	v_add_f32_e32 v3, v2, v1
	s_cbranch_scc0 .LBB1010_23
; %bb.5:
	v_add_f32_e32 v1, 0x43800000, v3
	v_add_f32_e32 v4, 0x44000000, v3
	v_add_f32_e32 v1, v3, v1
	v_add_f32_e32 v5, 0x44400000, v3
	v_add_f32_e32 v1, v4, v1
	v_add_f32_e32 v6, 0x44800000, v3
	v_add_f32_e32 v1, v5, v1
	v_add_f32_e32 v7, 0x44a00000, v3
	v_add_f32_e32 v1, v6, v1
	v_add_f32_e32 v8, 0x44c00000, v3
	v_add_f32_e32 v1, v7, v1
	v_add_f32_e32 v9, 0x44e00000, v3
	v_add_f32_e32 v1, v8, v1
	v_add_f32_e32 v10, 0x45000000, v3
	v_add_f32_e32 v1, v9, v1
	v_add_f32_e32 v11, 0x45100000, v3
	v_add_f32_e32 v1, v10, v1
	v_add_f32_e32 v12, 0x45200000, v3
	v_add_f32_e32 v1, v11, v1
	v_add_f32_e32 v13, 0x45300000, v3
	v_add_f32_e32 v1, v12, v1
	v_add_f32_e32 v14, 0x45400000, v3
	v_add_f32_e32 v1, v13, v1
	v_add_f32_e32 v15, 0x45500000, v3
	v_add_f32_e32 v1, v14, v1
	v_add_f32_e32 v16, 0x45600000, v3
	v_add_f32_e32 v1, v15, v1
	v_add_f32_e32 v17, 0x45700000, v3
	v_add_f32_e32 v1, v16, v1
	v_add_f32_e32 v18, 0x45800000, v3
	v_add_f32_e32 v1, v17, v1
	v_add_f32_e32 v19, 0x45880000, v3
	v_add_f32_e32 v1, v18, v1
	v_add_f32_e32 v20, 0x45900000, v3
	v_add_f32_e32 v1, v19, v1
	v_add_f32_e32 v21, 0x45980000, v3
	v_add_f32_e32 v1, v20, v1
	v_add_f32_e32 v22, 0x45a00000, v3
	v_add_f32_e32 v1, v21, v1
	v_add_f32_e32 v23, 0x45a80000, v3
	v_add_f32_e32 v1, v22, v1
	v_add_f32_e32 v24, 0x45b00000, v3
	v_add_f32_e32 v1, v23, v1
	v_add_f32_e32 v25, 0x45b80000, v3
	v_add_f32_e32 v1, v24, v1
	v_add_f32_e32 v26, 0x45c00000, v3
	v_add_f32_e32 v1, v25, v1
	v_add_f32_e32 v27, 0x45c80000, v3
	v_add_f32_e32 v1, v26, v1
	v_add_f32_e32 v28, 0x45d00000, v3
	v_add_f32_e32 v1, v27, v1
	v_add_f32_e32 v29, 0x45d80000, v3
	v_add_f32_e32 v1, v28, v1
	v_add_f32_e32 v30, 0x45e00000, v3
	v_add_f32_e32 v1, v29, v1
	v_add_f32_e32 v31, 0x45e80000, v3
	v_add_f32_e32 v1, v30, v1
	v_add_f32_e32 v32, 0x45f00000, v3
	v_add_f32_e32 v1, v31, v1
	v_add_f32_e32 v33, 0x45f80000, v3
	v_add_f32_e32 v1, v32, v1
	v_add_f32_e32 v1, v33, v1
	v_mbcnt_lo_u32_b32 v4, -1, 0
	v_mbcnt_hi_u32_b32 v4, -1, v4
	v_add_f32_dpp v1, v1, v1 quad_perm:[1,0,3,2] row_mask:0xf bank_mask:0xf bound_ctrl:1
	v_lshlrev_b32_e32 v5, 2, v4
	v_or_b32_e32 v6, 0xfc, v5
	v_add_f32_dpp v1, v1, v1 quad_perm:[2,3,0,1] row_mask:0xf bank_mask:0xf bound_ctrl:1
	v_cmp_eq_u32_e32 vcc, 0, v4
	s_nop 0
	v_add_f32_dpp v1, v1, v1 row_ror:4 row_mask:0xf bank_mask:0xf bound_ctrl:1
	s_nop 1
	v_add_f32_dpp v1, v1, v1 row_ror:8 row_mask:0xf bank_mask:0xf bound_ctrl:1
	s_nop 1
	v_add_f32_dpp v1, v1, v1 row_bcast:15 row_mask:0xf bank_mask:0xf bound_ctrl:1
	s_nop 1
	v_add_f32_dpp v1, v1, v1 row_bcast:31 row_mask:0xf bank_mask:0xf bound_ctrl:1
	ds_bpermute_b32 v1, v6, v1
	s_and_saveexec_b64 s[4:5], vcc
	s_cbranch_execz .LBB1010_7
; %bb.6:
	v_lshrrev_b32_e32 v6, 4, v0
	v_and_b32_e32 v6, 12, v6
	s_waitcnt lgkmcnt(0)
	ds_write_b32 v6, v1 offset:48
.LBB1010_7:
	s_or_b64 exec, exec, s[4:5]
	v_cmp_gt_u32_e32 vcc, 64, v0
	s_waitcnt lgkmcnt(0)
	s_barrier
	s_and_saveexec_b64 s[4:5], vcc
	s_cbranch_execz .LBB1010_9
; %bb.8:
	v_and_b32_e32 v1, 3, v4
	v_lshlrev_b32_e32 v6, 2, v1
	ds_read_b32 v6, v6 offset:48
	v_cmp_ne_u32_e32 vcc, 3, v1
	s_nop 1
	v_addc_co_u32_e32 v1, vcc, 0, v4, vcc
	v_lshlrev_b32_e32 v1, 2, v1
	s_waitcnt lgkmcnt(0)
	ds_bpermute_b32 v1, v1, v6
	v_or_b32_e32 v4, 8, v5
	s_waitcnt lgkmcnt(0)
	v_add_f32_e32 v1, v6, v1
	ds_bpermute_b32 v4, v4, v1
	s_waitcnt lgkmcnt(0)
	v_add_f32_e32 v1, v1, v4
.LBB1010_9:
	s_or_b64 exec, exec, s[4:5]
.LBB1010_10:
	v_cmp_eq_u32_e64 s[4:5], 0, v0
	s_and_b64 vcc, exec, s[72:73]
	s_cbranch_vccnz .LBB1010_15
	s_branch .LBB1010_29
.LBB1010_11:
	s_mov_b64 s[4:5], 0
                                        ; implicit-def: $vgpr1
	s_cbranch_execnz .LBB1010_54
	s_branch .LBB1010_100
.LBB1010_12:
	s_mov_b64 s[4:5], 0
                                        ; implicit-def: $vgpr1
	s_cbranch_execnz .LBB1010_38
	s_branch .LBB1010_46
.LBB1010_13:
	s_mov_b64 s[72:73], -1
.LBB1010_14:
	s_mov_b64 s[4:5], 0
                                        ; implicit-def: $vgpr1
	s_and_b64 vcc, exec, s[72:73]
	s_cbranch_vccz .LBB1010_29
.LBB1010_15:
	s_cmp_eq_u32 s66, 16
	s_cbranch_scc0 .LBB1010_22
; %bb.16:
	s_lshl_b32 s6, s2, 12
	v_cvt_f32_u32_e32 v1, s6
	s_mov_b32 s3, 0
	s_lshr_b64 s[4:5], s[68:69], 12
	s_cmp_lg_u64 s[4:5], s[2:3]
	v_cvt_f32_ubyte0_e32 v3, v0
	v_add_f32_e32 v2, s67, v1
	s_cbranch_scc0 .LBB1010_30
; %bb.17:
	v_add_f32_e32 v1, v2, v3
	v_add_f32_e32 v4, 0x43800000, v1
	;; [unrolled: 1-line block ×31, first 2 shown]
	v_mbcnt_lo_u32_b32 v4, -1, 0
	v_mbcnt_hi_u32_b32 v4, -1, v4
	v_add_f32_dpp v1, v1, v1 quad_perm:[1,0,3,2] row_mask:0xf bank_mask:0xf bound_ctrl:1
	v_lshlrev_b32_e32 v5, 2, v4
	v_or_b32_e32 v6, 0xfc, v5
	v_add_f32_dpp v1, v1, v1 quad_perm:[2,3,0,1] row_mask:0xf bank_mask:0xf bound_ctrl:1
	v_cmp_eq_u32_e32 vcc, 0, v4
	s_nop 0
	v_add_f32_dpp v1, v1, v1 row_ror:4 row_mask:0xf bank_mask:0xf bound_ctrl:1
	s_nop 1
	v_add_f32_dpp v1, v1, v1 row_ror:8 row_mask:0xf bank_mask:0xf bound_ctrl:1
	s_nop 1
	v_add_f32_dpp v1, v1, v1 row_bcast:15 row_mask:0xf bank_mask:0xf bound_ctrl:1
	s_nop 1
	v_add_f32_dpp v1, v1, v1 row_bcast:31 row_mask:0xf bank_mask:0xf bound_ctrl:1
	ds_bpermute_b32 v1, v6, v1
	s_and_saveexec_b64 s[4:5], vcc
	s_cbranch_execz .LBB1010_19
; %bb.18:
	v_lshrrev_b32_e32 v6, 4, v0
	v_and_b32_e32 v6, 12, v6
	s_waitcnt lgkmcnt(0)
	ds_write_b32 v6, v1
.LBB1010_19:
	s_or_b64 exec, exec, s[4:5]
	v_cmp_gt_u32_e32 vcc, 64, v0
	s_waitcnt lgkmcnt(0)
	s_barrier
	s_and_saveexec_b64 s[4:5], vcc
	s_cbranch_execz .LBB1010_21
; %bb.20:
	v_and_b32_e32 v1, 3, v4
	v_lshlrev_b32_e32 v6, 2, v1
	ds_read_b32 v6, v6
	v_cmp_ne_u32_e32 vcc, 3, v1
	s_nop 1
	v_addc_co_u32_e32 v1, vcc, 0, v4, vcc
	v_lshlrev_b32_e32 v1, 2, v1
	s_waitcnt lgkmcnt(0)
	ds_bpermute_b32 v1, v1, v6
	v_or_b32_e32 v4, 8, v5
	s_waitcnt lgkmcnt(0)
	v_add_f32_e32 v1, v6, v1
	ds_bpermute_b32 v4, v4, v1
	s_waitcnt lgkmcnt(0)
	v_add_f32_e32 v1, v1, v4
.LBB1010_21:
	s_or_b64 exec, exec, s[4:5]
	s_mov_b64 s[4:5], 0
	s_branch .LBB1010_31
.LBB1010_22:
                                        ; implicit-def: $vgpr1
	s_branch .LBB1010_46
.LBB1010_23:
                                        ; implicit-def: $vgpr1
	s_cbranch_execz .LBB1010_10
; %bb.24:
	v_or_b32_e32 v1, 0x100, v0
	v_cvt_f32_u32_e32 v4, v1
	s_sub_i32 s33, s68, s6
	v_cmp_gt_u32_e32 vcc, s33, v0
	v_or_b32_e32 v5, 0x200, v0
	v_add_f32_e32 v4, v2, v4
	v_cndmask_b32_e32 v3, 0, v3, vcc
	v_cmp_gt_u32_e32 vcc, s33, v1
	v_cvt_f32_u32_e32 v6, v5
	v_cmp_gt_u32_e64 s[4:5], s33, v5
	v_cndmask_b32_e32 v1, 0, v4, vcc
	v_or_b32_e32 v4, 0x300, v0
	v_cvt_f32_u32_e32 v7, v4
	v_add_f32_e32 v6, v2, v6
	v_cndmask_b32_e64 v5, 0, v6, s[4:5]
	v_cmp_gt_u32_e64 s[6:7], s33, v4
	v_add_f32_e32 v6, v2, v7
	v_or_b32_e32 v7, 0x400, v0
	v_cvt_f32_u32_e32 v8, v7
	v_cndmask_b32_e64 v4, 0, v6, s[6:7]
	v_or_b32_e32 v6, 0x500, v0
	v_cvt_f32_u32_e32 v9, v6
	v_add_f32_e32 v8, v2, v8
	v_cmp_gt_u32_e64 s[8:9], s33, v7
	v_cmp_gt_u32_e64 s[10:11], s33, v6
	v_add_f32_e32 v1, v3, v1
	v_cndmask_b32_e64 v7, 0, v8, s[8:9]
	v_add_f32_e32 v8, v2, v9
	v_or_b32_e32 v9, 0x600, v0
	v_cvt_f32_u32_e32 v10, v9
	v_cndmask_b32_e64 v6, 0, v8, s[10:11]
	v_or_b32_e32 v8, 0x700, v0
	v_cvt_f32_u32_e32 v11, v8
	v_add_f32_e32 v10, v2, v10
	v_cmp_gt_u32_e64 s[12:13], s33, v9
	v_cmp_gt_u32_e64 s[14:15], s33, v8
	v_cndmask_b32_e32 v1, v3, v1, vcc
	v_cndmask_b32_e64 v9, 0, v10, s[12:13]
	v_add_f32_e32 v10, v2, v11
	v_or_b32_e32 v11, 0x800, v0
	v_cvt_f32_u32_e32 v12, v11
	v_cndmask_b32_e64 v8, 0, v10, s[14:15]
	v_or_b32_e32 v10, 0x900, v0
	v_cvt_f32_u32_e32 v13, v10
	v_add_f32_e32 v12, v2, v12
	v_cmp_gt_u32_e64 s[16:17], s33, v11
	v_cmp_gt_u32_e64 s[18:19], s33, v10
	v_add_f32_e32 v3, v5, v1
	v_cndmask_b32_e64 v11, 0, v12, s[16:17]
	v_add_f32_e32 v12, v2, v13
	v_or_b32_e32 v13, 0xa00, v0
	v_cvt_f32_u32_e32 v14, v13
	v_cndmask_b32_e64 v10, 0, v12, s[18:19]
	v_or_b32_e32 v12, 0xb00, v0
	v_cvt_f32_u32_e32 v15, v12
	v_add_f32_e32 v14, v2, v14
	v_cmp_gt_u32_e64 s[20:21], s33, v13
	v_cmp_gt_u32_e64 s[22:23], s33, v12
	v_cndmask_b32_e64 v1, v1, v3, s[4:5]
	v_cndmask_b32_e64 v13, 0, v14, s[20:21]
	v_add_f32_e32 v14, v2, v15
	v_or_b32_e32 v15, 0xc00, v0
	v_cvt_f32_u32_e32 v16, v15
	v_cndmask_b32_e64 v12, 0, v14, s[22:23]
	v_or_b32_e32 v14, 0xd00, v0
	v_cvt_f32_u32_e32 v17, v14
	v_add_f32_e32 v16, v2, v16
	v_cmp_gt_u32_e64 s[24:25], s33, v15
	v_cmp_gt_u32_e64 s[26:27], s33, v14
	v_add_f32_e32 v3, v4, v1
	v_cndmask_b32_e64 v15, 0, v16, s[24:25]
	v_add_f32_e32 v16, v2, v17
	v_or_b32_e32 v17, 0xe00, v0
	v_cvt_f32_u32_e32 v18, v17
	v_cndmask_b32_e64 v14, 0, v16, s[26:27]
	v_or_b32_e32 v16, 0xf00, v0
	v_cvt_f32_u32_e32 v19, v16
	v_cndmask_b32_e64 v1, v1, v3, s[6:7]
	v_add_f32_e32 v3, v7, v1
	v_cndmask_b32_e64 v1, v1, v3, s[8:9]
	v_add_f32_e32 v18, v2, v18
	v_cmp_gt_u32_e64 s[28:29], s33, v17
	v_add_f32_e32 v3, v6, v1
	v_cmp_gt_u32_e64 s[30:31], s33, v16
	v_cndmask_b32_e64 v17, 0, v18, s[28:29]
	v_add_f32_e32 v18, v2, v19
	v_or_b32_e32 v19, 0x1000, v0
	v_cndmask_b32_e64 v1, v1, v3, s[10:11]
	v_cvt_f32_u32_e32 v20, v19
	v_cndmask_b32_e64 v16, 0, v18, s[30:31]
	v_or_b32_e32 v18, 0x1100, v0
	v_add_f32_e32 v3, v9, v1
	v_cvt_f32_u32_e32 v21, v18
	v_cndmask_b32_e64 v1, v1, v3, s[12:13]
	v_add_f32_e32 v3, v8, v1
	v_cndmask_b32_e64 v1, v1, v3, s[14:15]
	v_add_f32_e32 v20, v2, v20
	v_cmp_gt_u32_e64 s[34:35], s33, v19
	v_add_f32_e32 v3, v11, v1
	v_cmp_gt_u32_e64 s[36:37], s33, v18
	v_cndmask_b32_e64 v19, 0, v20, s[34:35]
	v_add_f32_e32 v20, v2, v21
	v_or_b32_e32 v21, 0x1200, v0
	v_cndmask_b32_e64 v1, v1, v3, s[16:17]
	v_cvt_f32_u32_e32 v22, v21
	v_cndmask_b32_e64 v18, 0, v20, s[36:37]
	v_or_b32_e32 v20, 0x1300, v0
	v_add_f32_e32 v3, v10, v1
	;; [unrolled: 16-line block ×7, first 2 shown]
	v_cvt_f32_u32_e32 v33, v30
	v_cndmask_b32_e64 v1, v1, v3, s[50:51]
	v_add_f32_e32 v3, v26, v1
	v_cndmask_b32_e64 v1, v1, v3, s[52:53]
	v_add_f32_e32 v32, v2, v32
	v_cmp_gt_u32_e64 s[58:59], s33, v31
	v_add_f32_e32 v3, v29, v1
	v_cndmask_b32_e64 v1, v1, v3, s[54:55]
	v_cndmask_b32_e64 v31, 0, v32, s[58:59]
	v_add_f32_e32 v32, v2, v33
	v_or_b32_e32 v33, 0x1e00, v0
	v_cvt_f32_u32_e32 v34, v33
	v_cmp_gt_u32_e64 s[60:61], s33, v30
	v_add_f32_e32 v3, v28, v1
	v_cndmask_b32_e64 v1, v1, v3, s[56:57]
	v_cndmask_b32_e64 v30, 0, v32, s[60:61]
	v_or_b32_e32 v32, 0x1f00, v0
	v_cvt_f32_u32_e32 v35, v32
	v_add_f32_e32 v3, v31, v1
	v_cndmask_b32_e64 v1, v1, v3, s[58:59]
	v_add_f32_e32 v34, v2, v34
	v_cmp_gt_u32_e64 s[62:63], s33, v33
	v_add_f32_e32 v3, v30, v1
	v_cndmask_b32_e64 v1, v1, v3, s[60:61]
	v_cndmask_b32_e64 v33, 0, v34, s[62:63]
	v_add_f32_e32 v2, v2, v35
	v_cmp_gt_u32_e64 s[64:65], s33, v32
	v_add_f32_e32 v3, v33, v1
	v_cndmask_b32_e64 v1, v1, v3, s[62:63]
	v_cndmask_b32_e64 v2, 0, v2, s[64:65]
	v_add_f32_e32 v2, v2, v1
	v_cndmask_b32_e64 v1, v1, v2, s[64:65]
	v_mbcnt_lo_u32_b32 v2, -1, 0
	v_mbcnt_hi_u32_b32 v2, -1, v2
	v_and_b32_e32 v4, 63, v2
	v_cmp_ne_u32_e32 vcc, 63, v4
	s_min_u32 s8, s33, 0x100
	v_and_b32_e32 v5, 0xc0, v0
	v_addc_co_u32_e32 v3, vcc, 0, v2, vcc
	v_lshlrev_b32_e32 v3, 2, v3
	ds_bpermute_b32 v3, v3, v1
	v_sub_u32_e64 v5, s8, v5 clamp
	v_add_u32_e32 v6, 1, v4
	v_cmp_gt_u32_e64 s[4:5], 62, v4
	v_cmp_lt_u32_e32 vcc, v6, v5
	s_waitcnt lgkmcnt(0)
	v_add_f32_e32 v3, v1, v3
	v_cndmask_b32_e64 v6, 0, 2, s[4:5]
	v_cndmask_b32_e32 v3, v1, v3, vcc
	v_add_lshl_u32 v6, v6, v2, 2
	ds_bpermute_b32 v6, v6, v3
	v_add_u32_e32 v7, 2, v4
	v_cmp_lt_u32_e64 s[4:5], v7, v5
	v_add_u32_e32 v7, 4, v4
	s_waitcnt lgkmcnt(0)
	v_add_f32_e32 v6, v3, v6
	v_cndmask_b32_e64 v3, v3, v6, s[4:5]
	v_cmp_gt_u32_e64 s[4:5], 60, v4
	s_nop 1
	v_cndmask_b32_e64 v6, 0, 4, s[4:5]
	v_add_lshl_u32 v6, v6, v2, 2
	ds_bpermute_b32 v6, v6, v3
	v_cmp_lt_u32_e64 s[4:5], v7, v5
	v_add_u32_e32 v7, 8, v4
	s_waitcnt lgkmcnt(0)
	v_add_f32_e32 v6, v3, v6
	v_cndmask_b32_e64 v3, v3, v6, s[4:5]
	v_cmp_gt_u32_e64 s[4:5], 56, v4
	s_nop 1
	v_cndmask_b32_e64 v6, 0, 8, s[4:5]
	v_add_lshl_u32 v6, v6, v2, 2
	ds_bpermute_b32 v6, v6, v3
	v_cmp_lt_u32_e64 s[4:5], v7, v5
	v_add_u32_e32 v7, 16, v4
	s_waitcnt lgkmcnt(0)
	v_add_f32_e32 v6, v3, v6
	v_cndmask_b32_e64 v3, v3, v6, s[4:5]
	v_cmp_gt_u32_e64 s[4:5], 48, v4
	v_add_u32_e32 v4, 32, v4
	s_nop 0
	v_cndmask_b32_e64 v6, 0, 16, s[4:5]
	v_add_lshl_u32 v6, v6, v2, 2
	ds_bpermute_b32 v6, v6, v3
	v_cmp_lt_u32_e64 s[4:5], v7, v5
	s_waitcnt lgkmcnt(0)
	v_add_f32_e32 v6, v3, v6
	v_cndmask_b32_e64 v6, v3, v6, s[4:5]
	v_lshlrev_b32_e32 v3, 2, v2
	v_or_b32_e32 v7, 0x80, v3
	ds_bpermute_b32 v7, v7, v6
	v_cmp_lt_u32_e64 s[4:5], v4, v5
	s_waitcnt lgkmcnt(0)
	v_add_f32_e32 v7, v6, v7
	v_cndmask_b32_e64 v4, v6, v7, s[4:5]
	v_cndmask_b32_e32 v1, v1, v4, vcc
	v_cmp_eq_u32_e32 vcc, 0, v2
	s_and_saveexec_b64 s[4:5], vcc
; %bb.25:
	v_lshrrev_b32_e32 v4, 4, v0
	v_and_b32_e32 v4, 12, v4
	ds_write_b32 v4, v1 offset:96
; %bb.26:
	s_or_b64 exec, exec, s[4:5]
	v_cmp_gt_u32_e32 vcc, 4, v0
	s_waitcnt lgkmcnt(0)
	s_barrier
	s_and_saveexec_b64 s[6:7], vcc
	s_cbranch_execz .LBB1010_28
; %bb.27:
	ds_read_b32 v1, v3 offset:96
	v_and_b32_e32 v4, 3, v2
	v_cmp_ne_u32_e32 vcc, 3, v4
	s_add_i32 s8, s8, 63
	s_lshr_b32 s4, s8, 6
	v_addc_co_u32_e32 v2, vcc, 0, v2, vcc
	v_lshlrev_b32_e32 v2, 2, v2
	s_waitcnt lgkmcnt(0)
	ds_bpermute_b32 v2, v2, v1
	v_add_u32_e32 v5, 1, v4
	v_cmp_gt_u32_e32 vcc, s4, v5
	v_or_b32_e32 v3, 8, v3
	v_add_u32_e32 v4, 2, v4
	s_waitcnt lgkmcnt(0)
	v_add_f32_e32 v2, v1, v2
	v_cndmask_b32_e32 v2, v1, v2, vcc
	ds_bpermute_b32 v3, v3, v2
	v_cmp_gt_u32_e64 s[4:5], s4, v4
	s_waitcnt lgkmcnt(0)
	v_add_f32_e32 v3, v2, v3
	v_cndmask_b32_e64 v2, v2, v3, s[4:5]
	v_cndmask_b32_e32 v1, v1, v2, vcc
.LBB1010_28:
	s_or_b64 exec, exec, s[6:7]
	v_cmp_eq_u32_e64 s[4:5], 0, v0
	s_and_b64 vcc, exec, s[72:73]
	s_cbranch_vccnz .LBB1010_15
.LBB1010_29:
	s_branch .LBB1010_46
.LBB1010_30:
	s_mov_b64 s[4:5], -1
                                        ; implicit-def: $vgpr1
.LBB1010_31:
	s_and_b64 vcc, exec, s[4:5]
	s_cbranch_vccz .LBB1010_37
; %bb.32:
	v_or_b32_e32 v1, 0x100, v0
	v_cvt_f32_u32_e32 v4, v1
	s_sub_i32 s33, s68, s6
	v_add_f32_e32 v3, v2, v3
	v_cmp_gt_u32_e32 vcc, s33, v0
	v_add_f32_e32 v4, v2, v4
	v_or_b32_e32 v5, 0x200, v0
	v_cndmask_b32_e32 v3, 0, v3, vcc
	v_cmp_gt_u32_e32 vcc, s33, v1
	v_cvt_f32_u32_e32 v6, v5
	v_cmp_gt_u32_e64 s[4:5], s33, v5
	v_cndmask_b32_e32 v1, 0, v4, vcc
	v_or_b32_e32 v4, 0x300, v0
	v_cvt_f32_u32_e32 v7, v4
	v_add_f32_e32 v6, v2, v6
	v_cndmask_b32_e64 v5, 0, v6, s[4:5]
	v_cmp_gt_u32_e64 s[6:7], s33, v4
	v_add_f32_e32 v6, v2, v7
	v_or_b32_e32 v7, 0x400, v0
	v_cvt_f32_u32_e32 v8, v7
	v_cndmask_b32_e64 v4, 0, v6, s[6:7]
	v_or_b32_e32 v6, 0x500, v0
	v_cvt_f32_u32_e32 v9, v6
	v_add_f32_e32 v8, v2, v8
	v_cmp_gt_u32_e64 s[8:9], s33, v7
	v_cmp_gt_u32_e64 s[10:11], s33, v6
	v_add_f32_e32 v1, v3, v1
	v_cndmask_b32_e64 v7, 0, v8, s[8:9]
	v_add_f32_e32 v8, v2, v9
	v_or_b32_e32 v9, 0x600, v0
	v_cvt_f32_u32_e32 v10, v9
	v_cndmask_b32_e64 v6, 0, v8, s[10:11]
	v_or_b32_e32 v8, 0x700, v0
	v_cvt_f32_u32_e32 v11, v8
	v_add_f32_e32 v10, v2, v10
	v_cmp_gt_u32_e64 s[12:13], s33, v9
	v_cmp_gt_u32_e64 s[14:15], s33, v8
	v_cndmask_b32_e32 v1, v3, v1, vcc
	v_cndmask_b32_e64 v9, 0, v10, s[12:13]
	v_add_f32_e32 v10, v2, v11
	v_or_b32_e32 v11, 0x800, v0
	v_cvt_f32_u32_e32 v12, v11
	v_cndmask_b32_e64 v8, 0, v10, s[14:15]
	v_or_b32_e32 v10, 0x900, v0
	v_add_f32_e32 v3, v5, v1
	v_cvt_f32_u32_e32 v13, v10
	v_cndmask_b32_e64 v1, v1, v3, s[4:5]
	v_add_f32_e32 v3, v4, v1
	v_cndmask_b32_e64 v1, v1, v3, s[6:7]
	v_add_f32_e32 v12, v2, v12
	v_cmp_gt_u32_e64 s[16:17], s33, v11
	v_add_f32_e32 v3, v7, v1
	v_cmp_gt_u32_e64 s[18:19], s33, v10
	v_cndmask_b32_e64 v11, 0, v12, s[16:17]
	v_add_f32_e32 v12, v2, v13
	v_or_b32_e32 v13, 0xa00, v0
	v_cndmask_b32_e64 v1, v1, v3, s[8:9]
	v_cvt_f32_u32_e32 v14, v13
	v_cndmask_b32_e64 v10, 0, v12, s[18:19]
	v_or_b32_e32 v12, 0xb00, v0
	v_add_f32_e32 v3, v6, v1
	v_cvt_f32_u32_e32 v15, v12
	v_cndmask_b32_e64 v1, v1, v3, s[10:11]
	v_add_f32_e32 v3, v9, v1
	v_cndmask_b32_e64 v1, v1, v3, s[12:13]
	v_add_f32_e32 v14, v2, v14
	v_cmp_gt_u32_e64 s[20:21], s33, v13
	v_add_f32_e32 v3, v8, v1
	v_cmp_gt_u32_e64 s[22:23], s33, v12
	v_cndmask_b32_e64 v13, 0, v14, s[20:21]
	v_add_f32_e32 v14, v2, v15
	v_or_b32_e32 v15, 0xc00, v0
	v_cndmask_b32_e64 v1, v1, v3, s[14:15]
	v_cvt_f32_u32_e32 v16, v15
	v_cndmask_b32_e64 v12, 0, v14, s[22:23]
	v_or_b32_e32 v14, 0xd00, v0
	v_add_f32_e32 v3, v11, v1
	v_cvt_f32_u32_e32 v17, v14
	v_cndmask_b32_e64 v1, v1, v3, s[16:17]
	v_add_f32_e32 v3, v10, v1
	v_cndmask_b32_e64 v1, v1, v3, s[18:19]
	v_add_f32_e32 v16, v2, v16
	v_cmp_gt_u32_e64 s[24:25], s33, v15
	v_add_f32_e32 v3, v13, v1
	v_cndmask_b32_e64 v1, v1, v3, s[20:21]
	v_cndmask_b32_e64 v15, 0, v16, s[24:25]
	v_add_f32_e32 v16, v2, v17
	v_or_b32_e32 v17, 0xe00, v0
	v_cvt_f32_u32_e32 v18, v17
	v_cmp_gt_u32_e64 s[26:27], s33, v14
	v_add_f32_e32 v3, v12, v1
	v_cndmask_b32_e64 v1, v1, v3, s[22:23]
	v_cndmask_b32_e64 v14, 0, v16, s[26:27]
	v_or_b32_e32 v16, 0xf00, v0
	v_cvt_f32_u32_e32 v19, v16
	v_add_f32_e32 v3, v15, v1
	v_cndmask_b32_e64 v1, v1, v3, s[24:25]
	v_add_f32_e32 v18, v2, v18
	v_cmp_gt_u32_e64 s[28:29], s33, v17
	v_add_f32_e32 v3, v14, v1
	v_cndmask_b32_e64 v1, v1, v3, s[26:27]
	v_cndmask_b32_e64 v17, 0, v18, s[28:29]
	v_add_f32_e32 v2, v2, v19
	v_cmp_gt_u32_e64 s[30:31], s33, v16
	v_add_f32_e32 v3, v17, v1
	v_cndmask_b32_e64 v1, v1, v3, s[28:29]
	v_cndmask_b32_e64 v2, 0, v2, s[30:31]
	v_add_f32_e32 v2, v2, v1
	v_cndmask_b32_e64 v1, v1, v2, s[30:31]
	v_mbcnt_lo_u32_b32 v2, -1, 0
	v_mbcnt_hi_u32_b32 v2, -1, v2
	v_and_b32_e32 v4, 63, v2
	v_cmp_ne_u32_e32 vcc, 63, v4
	s_min_u32 s8, s33, 0x100
	v_and_b32_e32 v5, 0xc0, v0
	v_addc_co_u32_e32 v3, vcc, 0, v2, vcc
	v_lshlrev_b32_e32 v3, 2, v3
	ds_bpermute_b32 v3, v3, v1
	v_sub_u32_e64 v5, s8, v5 clamp
	v_add_u32_e32 v6, 1, v4
	v_cmp_gt_u32_e64 s[4:5], 62, v4
	v_cmp_lt_u32_e32 vcc, v6, v5
	s_waitcnt lgkmcnt(0)
	v_add_f32_e32 v3, v1, v3
	v_cndmask_b32_e64 v6, 0, 2, s[4:5]
	v_cndmask_b32_e32 v3, v1, v3, vcc
	v_add_lshl_u32 v6, v6, v2, 2
	ds_bpermute_b32 v6, v6, v3
	v_add_u32_e32 v7, 2, v4
	v_cmp_lt_u32_e64 s[4:5], v7, v5
	v_add_u32_e32 v7, 4, v4
	s_waitcnt lgkmcnt(0)
	v_add_f32_e32 v6, v3, v6
	v_cndmask_b32_e64 v3, v3, v6, s[4:5]
	v_cmp_gt_u32_e64 s[4:5], 60, v4
	s_nop 1
	v_cndmask_b32_e64 v6, 0, 4, s[4:5]
	v_add_lshl_u32 v6, v6, v2, 2
	ds_bpermute_b32 v6, v6, v3
	v_cmp_lt_u32_e64 s[4:5], v7, v5
	v_add_u32_e32 v7, 8, v4
	s_waitcnt lgkmcnt(0)
	v_add_f32_e32 v6, v3, v6
	v_cndmask_b32_e64 v3, v3, v6, s[4:5]
	v_cmp_gt_u32_e64 s[4:5], 56, v4
	s_nop 1
	v_cndmask_b32_e64 v6, 0, 8, s[4:5]
	v_add_lshl_u32 v6, v6, v2, 2
	ds_bpermute_b32 v6, v6, v3
	v_cmp_lt_u32_e64 s[4:5], v7, v5
	v_add_u32_e32 v7, 16, v4
	s_waitcnt lgkmcnt(0)
	v_add_f32_e32 v6, v3, v6
	v_cndmask_b32_e64 v3, v3, v6, s[4:5]
	v_cmp_gt_u32_e64 s[4:5], 48, v4
	v_add_u32_e32 v4, 32, v4
	s_nop 0
	v_cndmask_b32_e64 v6, 0, 16, s[4:5]
	v_add_lshl_u32 v6, v6, v2, 2
	ds_bpermute_b32 v6, v6, v3
	v_cmp_lt_u32_e64 s[4:5], v7, v5
	s_waitcnt lgkmcnt(0)
	v_add_f32_e32 v6, v3, v6
	v_cndmask_b32_e64 v6, v3, v6, s[4:5]
	v_lshlrev_b32_e32 v3, 2, v2
	v_or_b32_e32 v7, 0x80, v3
	ds_bpermute_b32 v7, v7, v6
	v_cmp_lt_u32_e64 s[4:5], v4, v5
	s_waitcnt lgkmcnt(0)
	v_add_f32_e32 v7, v6, v7
	v_cndmask_b32_e64 v4, v6, v7, s[4:5]
	v_cndmask_b32_e32 v1, v1, v4, vcc
	v_cmp_eq_u32_e32 vcc, 0, v2
	s_and_saveexec_b64 s[4:5], vcc
; %bb.33:
	v_lshrrev_b32_e32 v4, 4, v0
	v_and_b32_e32 v4, 12, v4
	ds_write_b32 v4, v1 offset:96
; %bb.34:
	s_or_b64 exec, exec, s[4:5]
	v_cmp_gt_u32_e32 vcc, 4, v0
	s_waitcnt lgkmcnt(0)
	s_barrier
	s_and_saveexec_b64 s[6:7], vcc
	s_cbranch_execz .LBB1010_36
; %bb.35:
	ds_read_b32 v1, v3 offset:96
	v_and_b32_e32 v4, 3, v2
	v_cmp_ne_u32_e32 vcc, 3, v4
	s_add_i32 s8, s8, 63
	s_lshr_b32 s4, s8, 6
	v_addc_co_u32_e32 v2, vcc, 0, v2, vcc
	v_lshlrev_b32_e32 v2, 2, v2
	s_waitcnt lgkmcnt(0)
	ds_bpermute_b32 v2, v2, v1
	v_add_u32_e32 v5, 1, v4
	v_cmp_gt_u32_e32 vcc, s4, v5
	v_or_b32_e32 v3, 8, v3
	v_add_u32_e32 v4, 2, v4
	s_waitcnt lgkmcnt(0)
	v_add_f32_e32 v2, v1, v2
	v_cndmask_b32_e32 v2, v1, v2, vcc
	ds_bpermute_b32 v3, v3, v2
	v_cmp_gt_u32_e64 s[4:5], s4, v4
	s_waitcnt lgkmcnt(0)
	v_add_f32_e32 v3, v2, v3
	v_cndmask_b32_e64 v2, v2, v3, s[4:5]
	v_cndmask_b32_e32 v1, v1, v2, vcc
.LBB1010_36:
	s_or_b64 exec, exec, s[6:7]
.LBB1010_37:
	v_cmp_eq_u32_e64 s[4:5], 0, v0
	s_branch .LBB1010_46
.LBB1010_38:
	s_cmp_eq_u32 s66, 8
	s_cbranch_scc0 .LBB1010_45
; %bb.39:
	s_lshl_b32 s6, s2, 11
	v_cvt_f32_u32_e32 v1, s6
	s_mov_b32 s3, 0
	s_lshr_b64 s[4:5], s[68:69], 11
	s_cmp_lg_u64 s[4:5], s[2:3]
	v_cvt_f32_ubyte0_e32 v3, v0
	v_add_f32_e32 v2, s67, v1
	s_cbranch_scc0 .LBB1010_47
; %bb.40:
	v_add_f32_e32 v1, v2, v3
	v_add_f32_e32 v4, 0x43800000, v1
	v_add_f32_e32 v5, 0x44000000, v1
	v_add_f32_e32 v6, 0x44400000, v1
	v_add_f32_e32 v7, 0x44800000, v1
	v_add_f32_e32 v8, 0x44a00000, v1
	v_add_f32_e32 v9, 0x44c00000, v1
	v_add_f32_e32 v10, 0x44e00000, v1
	v_add_f32_e32 v1, v1, v4
	v_add_f32_e32 v1, v5, v1
	v_add_f32_e32 v1, v6, v1
	v_add_f32_e32 v1, v7, v1
	v_add_f32_e32 v1, v8, v1
	v_add_f32_e32 v1, v9, v1
	v_add_f32_e32 v1, v10, v1
	v_mbcnt_lo_u32_b32 v4, -1, 0
	v_mbcnt_hi_u32_b32 v4, -1, v4
	v_add_f32_dpp v1, v1, v1 quad_perm:[1,0,3,2] row_mask:0xf bank_mask:0xf bound_ctrl:1
	v_lshlrev_b32_e32 v5, 2, v4
	v_or_b32_e32 v6, 0xfc, v5
	v_add_f32_dpp v1, v1, v1 quad_perm:[2,3,0,1] row_mask:0xf bank_mask:0xf bound_ctrl:1
	v_cmp_eq_u32_e32 vcc, 0, v4
	s_nop 0
	v_add_f32_dpp v1, v1, v1 row_ror:4 row_mask:0xf bank_mask:0xf bound_ctrl:1
	s_nop 1
	v_add_f32_dpp v1, v1, v1 row_ror:8 row_mask:0xf bank_mask:0xf bound_ctrl:1
	s_nop 1
	v_add_f32_dpp v1, v1, v1 row_bcast:15 row_mask:0xf bank_mask:0xf bound_ctrl:1
	s_nop 1
	v_add_f32_dpp v1, v1, v1 row_bcast:31 row_mask:0xf bank_mask:0xf bound_ctrl:1
	ds_bpermute_b32 v1, v6, v1
	s_and_saveexec_b64 s[4:5], vcc
	s_cbranch_execz .LBB1010_42
; %bb.41:
	v_lshrrev_b32_e32 v6, 4, v0
	v_and_b32_e32 v6, 12, v6
	s_waitcnt lgkmcnt(0)
	ds_write_b32 v6, v1 offset:80
.LBB1010_42:
	s_or_b64 exec, exec, s[4:5]
	v_cmp_gt_u32_e32 vcc, 64, v0
	s_waitcnt lgkmcnt(0)
	s_barrier
	s_and_saveexec_b64 s[4:5], vcc
	s_cbranch_execz .LBB1010_44
; %bb.43:
	v_and_b32_e32 v1, 3, v4
	v_lshlrev_b32_e32 v6, 2, v1
	ds_read_b32 v6, v6 offset:80
	v_cmp_ne_u32_e32 vcc, 3, v1
	s_nop 1
	v_addc_co_u32_e32 v1, vcc, 0, v4, vcc
	v_lshlrev_b32_e32 v1, 2, v1
	s_waitcnt lgkmcnt(0)
	ds_bpermute_b32 v1, v1, v6
	v_or_b32_e32 v4, 8, v5
	s_waitcnt lgkmcnt(0)
	v_add_f32_e32 v1, v6, v1
	ds_bpermute_b32 v4, v4, v1
	s_waitcnt lgkmcnt(0)
	v_add_f32_e32 v1, v1, v4
.LBB1010_44:
	s_or_b64 exec, exec, s[4:5]
	s_branch .LBB1010_53
.LBB1010_45:
                                        ; implicit-def: $vgpr1
.LBB1010_46:
	s_branch .LBB1010_100
.LBB1010_47:
                                        ; implicit-def: $vgpr1
	s_cbranch_execz .LBB1010_53
; %bb.48:
	v_or_b32_e32 v1, 0x100, v0
	v_cvt_f32_u32_e32 v4, v1
	s_sub_i32 s16, s68, s6
	v_add_f32_e32 v3, v2, v3
	v_cmp_gt_u32_e32 vcc, s16, v0
	v_add_f32_e32 v4, v2, v4
	v_or_b32_e32 v5, 0x200, v0
	v_cndmask_b32_e32 v3, 0, v3, vcc
	v_cmp_gt_u32_e32 vcc, s16, v1
	v_cvt_f32_u32_e32 v6, v5
	v_cmp_gt_u32_e64 s[4:5], s16, v5
	v_cndmask_b32_e32 v1, 0, v4, vcc
	v_or_b32_e32 v4, 0x300, v0
	v_cvt_f32_u32_e32 v7, v4
	v_add_f32_e32 v6, v2, v6
	v_cndmask_b32_e64 v5, 0, v6, s[4:5]
	v_cmp_gt_u32_e64 s[6:7], s16, v4
	v_add_f32_e32 v6, v2, v7
	v_or_b32_e32 v7, 0x400, v0
	v_cvt_f32_u32_e32 v8, v7
	v_cndmask_b32_e64 v4, 0, v6, s[6:7]
	v_or_b32_e32 v6, 0x500, v0
	v_cvt_f32_u32_e32 v9, v6
	v_add_f32_e32 v1, v3, v1
	v_cndmask_b32_e32 v1, v3, v1, vcc
	v_add_f32_e32 v8, v2, v8
	v_cmp_gt_u32_e64 s[8:9], s16, v7
	v_add_f32_e32 v3, v5, v1
	v_cndmask_b32_e64 v1, v1, v3, s[4:5]
	v_cndmask_b32_e64 v7, 0, v8, s[8:9]
	v_add_f32_e32 v8, v2, v9
	v_or_b32_e32 v9, 0x600, v0
	v_cvt_f32_u32_e32 v10, v9
	v_cmp_gt_u32_e64 s[10:11], s16, v6
	v_add_f32_e32 v3, v4, v1
	v_cndmask_b32_e64 v1, v1, v3, s[6:7]
	v_cndmask_b32_e64 v6, 0, v8, s[10:11]
	v_or_b32_e32 v8, 0x700, v0
	v_cvt_f32_u32_e32 v11, v8
	v_add_f32_e32 v3, v7, v1
	v_cndmask_b32_e64 v1, v1, v3, s[8:9]
	v_add_f32_e32 v10, v2, v10
	v_cmp_gt_u32_e64 s[12:13], s16, v9
	v_add_f32_e32 v3, v6, v1
	v_cndmask_b32_e64 v1, v1, v3, s[10:11]
	v_cndmask_b32_e64 v9, 0, v10, s[12:13]
	v_add_f32_e32 v2, v2, v11
	v_cmp_gt_u32_e64 s[14:15], s16, v8
	v_add_f32_e32 v3, v9, v1
	v_cndmask_b32_e64 v1, v1, v3, s[12:13]
	v_cndmask_b32_e64 v2, 0, v2, s[14:15]
	v_add_f32_e32 v2, v2, v1
	v_cndmask_b32_e64 v1, v1, v2, s[14:15]
	v_mbcnt_lo_u32_b32 v2, -1, 0
	v_mbcnt_hi_u32_b32 v2, -1, v2
	v_and_b32_e32 v4, 63, v2
	v_cmp_ne_u32_e32 vcc, 63, v4
	s_min_u32 s8, s16, 0x100
	v_and_b32_e32 v5, 0xc0, v0
	v_addc_co_u32_e32 v3, vcc, 0, v2, vcc
	v_lshlrev_b32_e32 v3, 2, v3
	ds_bpermute_b32 v3, v3, v1
	v_sub_u32_e64 v5, s8, v5 clamp
	v_add_u32_e32 v6, 1, v4
	v_cmp_gt_u32_e64 s[4:5], 62, v4
	v_cmp_lt_u32_e32 vcc, v6, v5
	s_waitcnt lgkmcnt(0)
	v_add_f32_e32 v3, v1, v3
	v_cndmask_b32_e64 v6, 0, 2, s[4:5]
	v_cndmask_b32_e32 v3, v1, v3, vcc
	v_add_lshl_u32 v6, v6, v2, 2
	ds_bpermute_b32 v6, v6, v3
	v_add_u32_e32 v7, 2, v4
	v_cmp_lt_u32_e64 s[4:5], v7, v5
	v_add_u32_e32 v7, 4, v4
	s_waitcnt lgkmcnt(0)
	v_add_f32_e32 v6, v3, v6
	v_cndmask_b32_e64 v3, v3, v6, s[4:5]
	v_cmp_gt_u32_e64 s[4:5], 60, v4
	s_nop 1
	v_cndmask_b32_e64 v6, 0, 4, s[4:5]
	v_add_lshl_u32 v6, v6, v2, 2
	ds_bpermute_b32 v6, v6, v3
	v_cmp_lt_u32_e64 s[4:5], v7, v5
	v_add_u32_e32 v7, 8, v4
	s_waitcnt lgkmcnt(0)
	v_add_f32_e32 v6, v3, v6
	v_cndmask_b32_e64 v3, v3, v6, s[4:5]
	v_cmp_gt_u32_e64 s[4:5], 56, v4
	s_nop 1
	v_cndmask_b32_e64 v6, 0, 8, s[4:5]
	v_add_lshl_u32 v6, v6, v2, 2
	ds_bpermute_b32 v6, v6, v3
	v_cmp_lt_u32_e64 s[4:5], v7, v5
	v_add_u32_e32 v7, 16, v4
	s_waitcnt lgkmcnt(0)
	v_add_f32_e32 v6, v3, v6
	v_cndmask_b32_e64 v3, v3, v6, s[4:5]
	v_cmp_gt_u32_e64 s[4:5], 48, v4
	v_add_u32_e32 v4, 32, v4
	s_nop 0
	v_cndmask_b32_e64 v6, 0, 16, s[4:5]
	v_add_lshl_u32 v6, v6, v2, 2
	ds_bpermute_b32 v6, v6, v3
	v_cmp_lt_u32_e64 s[4:5], v7, v5
	s_waitcnt lgkmcnt(0)
	v_add_f32_e32 v6, v3, v6
	v_cndmask_b32_e64 v6, v3, v6, s[4:5]
	v_lshlrev_b32_e32 v3, 2, v2
	v_or_b32_e32 v7, 0x80, v3
	ds_bpermute_b32 v7, v7, v6
	v_cmp_lt_u32_e64 s[4:5], v4, v5
	s_waitcnt lgkmcnt(0)
	v_add_f32_e32 v7, v6, v7
	v_cndmask_b32_e64 v4, v6, v7, s[4:5]
	v_cndmask_b32_e32 v1, v1, v4, vcc
	v_cmp_eq_u32_e32 vcc, 0, v2
	s_and_saveexec_b64 s[4:5], vcc
; %bb.49:
	v_lshrrev_b32_e32 v4, 4, v0
	v_and_b32_e32 v4, 12, v4
	ds_write_b32 v4, v1 offset:96
; %bb.50:
	s_or_b64 exec, exec, s[4:5]
	v_cmp_gt_u32_e32 vcc, 4, v0
	s_waitcnt lgkmcnt(0)
	s_barrier
	s_and_saveexec_b64 s[6:7], vcc
	s_cbranch_execz .LBB1010_52
; %bb.51:
	ds_read_b32 v1, v3 offset:96
	v_and_b32_e32 v4, 3, v2
	v_cmp_ne_u32_e32 vcc, 3, v4
	s_add_i32 s8, s8, 63
	s_lshr_b32 s4, s8, 6
	v_addc_co_u32_e32 v2, vcc, 0, v2, vcc
	v_lshlrev_b32_e32 v2, 2, v2
	s_waitcnt lgkmcnt(0)
	ds_bpermute_b32 v2, v2, v1
	v_add_u32_e32 v5, 1, v4
	v_cmp_gt_u32_e32 vcc, s4, v5
	v_or_b32_e32 v3, 8, v3
	v_add_u32_e32 v4, 2, v4
	s_waitcnt lgkmcnt(0)
	v_add_f32_e32 v2, v1, v2
	v_cndmask_b32_e32 v2, v1, v2, vcc
	ds_bpermute_b32 v3, v3, v2
	v_cmp_gt_u32_e64 s[4:5], s4, v4
	s_waitcnt lgkmcnt(0)
	v_add_f32_e32 v3, v2, v3
	v_cndmask_b32_e64 v2, v2, v3, s[4:5]
	v_cndmask_b32_e32 v1, v1, v2, vcc
.LBB1010_52:
	s_or_b64 exec, exec, s[6:7]
.LBB1010_53:
	v_cmp_eq_u32_e64 s[4:5], 0, v0
	s_branch .LBB1010_100
.LBB1010_54:
	s_cmp_gt_i32 s66, 1
	s_cbranch_scc0 .LBB1010_63
; %bb.55:
	s_cmp_gt_i32 s66, 3
	s_cbranch_scc0 .LBB1010_64
; %bb.56:
	s_cmp_eq_u32 s66, 4
	s_cbranch_scc0 .LBB1010_65
; %bb.57:
	s_lshl_b32 s6, s2, 10
	v_cvt_f32_u32_e32 v1, s6
	s_mov_b32 s3, 0
	s_lshr_b64 s[4:5], s[68:69], 10
	s_cmp_lg_u64 s[4:5], s[2:3]
	v_cvt_f32_ubyte0_e32 v3, v0
	v_add_f32_e32 v2, s67, v1
	s_cbranch_scc0 .LBB1010_67
; %bb.58:
	v_add_f32_e32 v1, v2, v3
	v_add_f32_e32 v4, 0x43800000, v1
	;; [unrolled: 1-line block ×7, first 2 shown]
	v_mbcnt_lo_u32_b32 v4, -1, 0
	v_mbcnt_hi_u32_b32 v4, -1, v4
	v_add_f32_dpp v1, v1, v1 quad_perm:[1,0,3,2] row_mask:0xf bank_mask:0xf bound_ctrl:1
	v_lshlrev_b32_e32 v5, 2, v4
	v_or_b32_e32 v6, 0xfc, v5
	v_add_f32_dpp v1, v1, v1 quad_perm:[2,3,0,1] row_mask:0xf bank_mask:0xf bound_ctrl:1
	v_cmp_eq_u32_e32 vcc, 0, v4
	s_nop 0
	v_add_f32_dpp v1, v1, v1 row_ror:4 row_mask:0xf bank_mask:0xf bound_ctrl:1
	s_nop 1
	v_add_f32_dpp v1, v1, v1 row_ror:8 row_mask:0xf bank_mask:0xf bound_ctrl:1
	s_nop 1
	v_add_f32_dpp v1, v1, v1 row_bcast:15 row_mask:0xf bank_mask:0xf bound_ctrl:1
	s_nop 1
	v_add_f32_dpp v1, v1, v1 row_bcast:31 row_mask:0xf bank_mask:0xf bound_ctrl:1
	ds_bpermute_b32 v1, v6, v1
	s_and_saveexec_b64 s[4:5], vcc
	s_cbranch_execz .LBB1010_60
; %bb.59:
	v_lshrrev_b32_e32 v6, 4, v0
	v_and_b32_e32 v6, 12, v6
	s_waitcnt lgkmcnt(0)
	ds_write_b32 v6, v1 offset:64
.LBB1010_60:
	s_or_b64 exec, exec, s[4:5]
	v_cmp_gt_u32_e32 vcc, 64, v0
	s_waitcnt lgkmcnt(0)
	s_barrier
	s_and_saveexec_b64 s[4:5], vcc
	s_cbranch_execz .LBB1010_62
; %bb.61:
	v_and_b32_e32 v1, 3, v4
	v_lshlrev_b32_e32 v6, 2, v1
	ds_read_b32 v6, v6 offset:64
	v_cmp_ne_u32_e32 vcc, 3, v1
	s_nop 1
	v_addc_co_u32_e32 v1, vcc, 0, v4, vcc
	v_lshlrev_b32_e32 v1, 2, v1
	s_waitcnt lgkmcnt(0)
	ds_bpermute_b32 v1, v1, v6
	v_or_b32_e32 v4, 8, v5
	s_waitcnt lgkmcnt(0)
	v_add_f32_e32 v1, v6, v1
	ds_bpermute_b32 v4, v4, v1
	s_waitcnt lgkmcnt(0)
	v_add_f32_e32 v1, v1, v4
.LBB1010_62:
	s_or_b64 exec, exec, s[4:5]
	s_mov_b64 s[4:5], 0
	s_branch .LBB1010_68
.LBB1010_63:
                                        ; implicit-def: $vgpr1
	s_cbranch_execnz .LBB1010_91
	s_branch .LBB1010_100
.LBB1010_64:
                                        ; implicit-def: $vgpr1
	s_cbranch_execz .LBB1010_66
	s_branch .LBB1010_75
.LBB1010_65:
                                        ; implicit-def: $vgpr1
.LBB1010_66:
	s_branch .LBB1010_100
.LBB1010_67:
	s_mov_b64 s[4:5], -1
                                        ; implicit-def: $vgpr1
.LBB1010_68:
	s_and_b64 vcc, exec, s[4:5]
	s_cbranch_vccz .LBB1010_74
; %bb.69:
	v_or_b32_e32 v1, 0x100, v0
	v_cvt_f32_u32_e32 v4, v1
	s_sub_i32 s8, s68, s6
	v_add_f32_e32 v3, v2, v3
	v_cmp_gt_u32_e32 vcc, s8, v0
	v_or_b32_e32 v5, 0x200, v0
	v_add_f32_e32 v4, v2, v4
	v_cndmask_b32_e32 v3, 0, v3, vcc
	v_cvt_f32_u32_e32 v6, v5
	v_cmp_gt_u32_e32 vcc, s8, v1
	v_cmp_gt_u32_e64 s[4:5], s8, v5
	v_add_f32_e32 v6, v2, v6
	v_cndmask_b32_e32 v1, 0, v4, vcc
	v_or_b32_e32 v4, 0x300, v0
	v_cvt_f32_u32_e32 v7, v4
	v_add_f32_e32 v1, v3, v1
	v_cndmask_b32_e64 v5, 0, v6, s[4:5]
	v_cndmask_b32_e32 v1, v3, v1, vcc
	v_add_f32_e32 v2, v2, v7
	v_cmp_gt_u32_e64 s[6:7], s8, v4
	v_add_f32_e32 v3, v5, v1
	v_cndmask_b32_e64 v1, v1, v3, s[4:5]
	v_cndmask_b32_e64 v2, 0, v2, s[6:7]
	v_add_f32_e32 v2, v2, v1
	v_cndmask_b32_e64 v1, v1, v2, s[6:7]
	v_mbcnt_lo_u32_b32 v2, -1, 0
	v_mbcnt_hi_u32_b32 v2, -1, v2
	v_and_b32_e32 v4, 63, v2
	v_cmp_ne_u32_e32 vcc, 63, v4
	s_min_u32 s8, s8, 0x100
	v_and_b32_e32 v5, 0xc0, v0
	v_addc_co_u32_e32 v3, vcc, 0, v2, vcc
	v_lshlrev_b32_e32 v3, 2, v3
	ds_bpermute_b32 v3, v3, v1
	v_sub_u32_e64 v5, s8, v5 clamp
	v_add_u32_e32 v6, 1, v4
	v_cmp_gt_u32_e64 s[4:5], 62, v4
	v_cmp_lt_u32_e32 vcc, v6, v5
	s_waitcnt lgkmcnt(0)
	v_add_f32_e32 v3, v1, v3
	v_cndmask_b32_e64 v6, 0, 2, s[4:5]
	v_cndmask_b32_e32 v3, v1, v3, vcc
	v_add_lshl_u32 v6, v6, v2, 2
	ds_bpermute_b32 v6, v6, v3
	v_add_u32_e32 v7, 2, v4
	v_cmp_lt_u32_e64 s[4:5], v7, v5
	v_add_u32_e32 v7, 4, v4
	s_waitcnt lgkmcnt(0)
	v_add_f32_e32 v6, v3, v6
	v_cndmask_b32_e64 v3, v3, v6, s[4:5]
	v_cmp_gt_u32_e64 s[4:5], 60, v4
	s_nop 1
	v_cndmask_b32_e64 v6, 0, 4, s[4:5]
	v_add_lshl_u32 v6, v6, v2, 2
	ds_bpermute_b32 v6, v6, v3
	v_cmp_lt_u32_e64 s[4:5], v7, v5
	v_add_u32_e32 v7, 8, v4
	s_waitcnt lgkmcnt(0)
	v_add_f32_e32 v6, v3, v6
	v_cndmask_b32_e64 v3, v3, v6, s[4:5]
	v_cmp_gt_u32_e64 s[4:5], 56, v4
	s_nop 1
	v_cndmask_b32_e64 v6, 0, 8, s[4:5]
	v_add_lshl_u32 v6, v6, v2, 2
	ds_bpermute_b32 v6, v6, v3
	v_cmp_lt_u32_e64 s[4:5], v7, v5
	v_add_u32_e32 v7, 16, v4
	s_waitcnt lgkmcnt(0)
	v_add_f32_e32 v6, v3, v6
	v_cndmask_b32_e64 v3, v3, v6, s[4:5]
	v_cmp_gt_u32_e64 s[4:5], 48, v4
	v_add_u32_e32 v4, 32, v4
	s_nop 0
	v_cndmask_b32_e64 v6, 0, 16, s[4:5]
	v_add_lshl_u32 v6, v6, v2, 2
	ds_bpermute_b32 v6, v6, v3
	v_cmp_lt_u32_e64 s[4:5], v7, v5
	s_waitcnt lgkmcnt(0)
	v_add_f32_e32 v6, v3, v6
	v_cndmask_b32_e64 v6, v3, v6, s[4:5]
	v_lshlrev_b32_e32 v3, 2, v2
	v_or_b32_e32 v7, 0x80, v3
	ds_bpermute_b32 v7, v7, v6
	v_cmp_lt_u32_e64 s[4:5], v4, v5
	s_waitcnt lgkmcnt(0)
	v_add_f32_e32 v7, v6, v7
	v_cndmask_b32_e64 v4, v6, v7, s[4:5]
	v_cndmask_b32_e32 v1, v1, v4, vcc
	v_cmp_eq_u32_e32 vcc, 0, v2
	s_and_saveexec_b64 s[4:5], vcc
; %bb.70:
	v_lshrrev_b32_e32 v4, 4, v0
	v_and_b32_e32 v4, 12, v4
	ds_write_b32 v4, v1 offset:96
; %bb.71:
	s_or_b64 exec, exec, s[4:5]
	v_cmp_gt_u32_e32 vcc, 4, v0
	s_waitcnt lgkmcnt(0)
	s_barrier
	s_and_saveexec_b64 s[6:7], vcc
	s_cbranch_execz .LBB1010_73
; %bb.72:
	ds_read_b32 v1, v3 offset:96
	v_and_b32_e32 v4, 3, v2
	v_cmp_ne_u32_e32 vcc, 3, v4
	s_add_i32 s8, s8, 63
	s_lshr_b32 s4, s8, 6
	v_addc_co_u32_e32 v2, vcc, 0, v2, vcc
	v_lshlrev_b32_e32 v2, 2, v2
	s_waitcnt lgkmcnt(0)
	ds_bpermute_b32 v2, v2, v1
	v_add_u32_e32 v5, 1, v4
	v_cmp_gt_u32_e32 vcc, s4, v5
	v_or_b32_e32 v3, 8, v3
	v_add_u32_e32 v4, 2, v4
	s_waitcnt lgkmcnt(0)
	v_add_f32_e32 v2, v1, v2
	v_cndmask_b32_e32 v2, v1, v2, vcc
	ds_bpermute_b32 v3, v3, v2
	v_cmp_gt_u32_e64 s[4:5], s4, v4
	s_waitcnt lgkmcnt(0)
	v_add_f32_e32 v3, v2, v3
	v_cndmask_b32_e64 v2, v2, v3, s[4:5]
	v_cndmask_b32_e32 v1, v1, v2, vcc
.LBB1010_73:
	s_or_b64 exec, exec, s[6:7]
.LBB1010_74:
	v_cmp_eq_u32_e64 s[4:5], 0, v0
	s_branch .LBB1010_66
.LBB1010_75:
	s_cmp_eq_u32 s66, 2
	s_cbranch_scc0 .LBB1010_82
; %bb.76:
	s_lshl_b32 s6, s2, 9
	v_cvt_f32_u32_e32 v1, s6
	s_mov_b32 s3, 0
	s_lshr_b64 s[4:5], s[68:69], 9
	s_cmp_lg_u64 s[4:5], s[2:3]
	v_add_f32_e32 v2, s67, v1
	s_cbranch_scc0 .LBB1010_83
; %bb.77:
	v_cvt_f32_ubyte0_e32 v1, v0
	v_add_f32_e32 v1, v2, v1
	v_add_f32_e32 v3, 0x43800000, v1
	;; [unrolled: 1-line block ×3, first 2 shown]
	v_mbcnt_lo_u32_b32 v3, -1, 0
	v_mbcnt_hi_u32_b32 v3, -1, v3
	v_add_f32_dpp v1, v1, v1 quad_perm:[1,0,3,2] row_mask:0xf bank_mask:0xf bound_ctrl:1
	v_lshlrev_b32_e32 v4, 2, v3
	v_or_b32_e32 v5, 0xfc, v4
	v_add_f32_dpp v1, v1, v1 quad_perm:[2,3,0,1] row_mask:0xf bank_mask:0xf bound_ctrl:1
	v_cmp_eq_u32_e32 vcc, 0, v3
	s_nop 0
	v_add_f32_dpp v1, v1, v1 row_ror:4 row_mask:0xf bank_mask:0xf bound_ctrl:1
	s_nop 1
	v_add_f32_dpp v1, v1, v1 row_ror:8 row_mask:0xf bank_mask:0xf bound_ctrl:1
	s_nop 1
	v_add_f32_dpp v1, v1, v1 row_bcast:15 row_mask:0xf bank_mask:0xf bound_ctrl:1
	s_nop 1
	v_add_f32_dpp v1, v1, v1 row_bcast:31 row_mask:0xf bank_mask:0xf bound_ctrl:1
	ds_bpermute_b32 v1, v5, v1
	s_and_saveexec_b64 s[4:5], vcc
	s_cbranch_execz .LBB1010_79
; %bb.78:
	v_lshrrev_b32_e32 v5, 4, v0
	v_and_b32_e32 v5, 12, v5
	s_waitcnt lgkmcnt(0)
	ds_write_b32 v5, v1 offset:32
.LBB1010_79:
	s_or_b64 exec, exec, s[4:5]
	v_cmp_gt_u32_e32 vcc, 64, v0
	s_waitcnt lgkmcnt(0)
	s_barrier
	s_and_saveexec_b64 s[4:5], vcc
	s_cbranch_execz .LBB1010_81
; %bb.80:
	v_and_b32_e32 v1, 3, v3
	v_lshlrev_b32_e32 v5, 2, v1
	ds_read_b32 v5, v5 offset:32
	v_cmp_ne_u32_e32 vcc, 3, v1
	s_nop 1
	v_addc_co_u32_e32 v1, vcc, 0, v3, vcc
	v_lshlrev_b32_e32 v1, 2, v1
	s_waitcnt lgkmcnt(0)
	ds_bpermute_b32 v1, v1, v5
	v_or_b32_e32 v3, 8, v4
	s_waitcnt lgkmcnt(0)
	v_add_f32_e32 v1, v5, v1
	ds_bpermute_b32 v3, v3, v1
	s_waitcnt lgkmcnt(0)
	v_add_f32_e32 v1, v1, v3
.LBB1010_81:
	s_or_b64 exec, exec, s[4:5]
	s_mov_b64 s[4:5], 0
	s_branch .LBB1010_84
.LBB1010_82:
                                        ; implicit-def: $vgpr1
	s_branch .LBB1010_100
.LBB1010_83:
	s_mov_b64 s[4:5], -1
                                        ; implicit-def: $vgpr1
.LBB1010_84:
	s_and_b64 vcc, exec, s[4:5]
	s_cbranch_vccz .LBB1010_90
; %bb.85:
	v_cvt_f32_u32_e32 v1, v0
	v_or_b32_e32 v3, 0x100, v0
	v_cvt_f32_u32_e32 v4, v3
	s_sub_i32 s4, s68, s6
	v_add_f32_e32 v1, v2, v1
	v_cmp_gt_u32_e32 vcc, s4, v0
	v_add_f32_e32 v2, v2, v4
	s_min_u32 s8, s4, 0x100
	v_cndmask_b32_e32 v1, 0, v1, vcc
	v_cmp_gt_u32_e32 vcc, s4, v3
	v_and_b32_e32 v5, 0xc0, v0
	v_sub_u32_e64 v5, s8, v5 clamp
	v_cndmask_b32_e32 v2, 0, v2, vcc
	v_add_f32_e32 v2, v2, v1
	v_cndmask_b32_e32 v1, v1, v2, vcc
	v_mbcnt_lo_u32_b32 v2, -1, 0
	v_mbcnt_hi_u32_b32 v2, -1, v2
	v_and_b32_e32 v4, 63, v2
	v_cmp_ne_u32_e32 vcc, 63, v4
	v_add_u32_e32 v6, 1, v4
	v_cmp_gt_u32_e64 s[4:5], 62, v4
	v_addc_co_u32_e32 v3, vcc, 0, v2, vcc
	v_lshlrev_b32_e32 v3, 2, v3
	ds_bpermute_b32 v3, v3, v1
	v_cmp_lt_u32_e32 vcc, v6, v5
	v_cndmask_b32_e64 v6, 0, 2, s[4:5]
	v_add_lshl_u32 v6, v6, v2, 2
	v_add_u32_e32 v7, 2, v4
	s_waitcnt lgkmcnt(0)
	v_add_f32_e32 v3, v1, v3
	v_cndmask_b32_e32 v3, v1, v3, vcc
	ds_bpermute_b32 v6, v6, v3
	v_cmp_lt_u32_e64 s[4:5], v7, v5
	v_add_u32_e32 v7, 4, v4
	s_waitcnt lgkmcnt(0)
	v_add_f32_e32 v6, v3, v6
	v_cndmask_b32_e64 v3, v3, v6, s[4:5]
	v_cmp_gt_u32_e64 s[4:5], 60, v4
	s_nop 1
	v_cndmask_b32_e64 v6, 0, 4, s[4:5]
	v_add_lshl_u32 v6, v6, v2, 2
	ds_bpermute_b32 v6, v6, v3
	v_cmp_lt_u32_e64 s[4:5], v7, v5
	v_add_u32_e32 v7, 8, v4
	s_waitcnt lgkmcnt(0)
	v_add_f32_e32 v6, v3, v6
	v_cndmask_b32_e64 v3, v3, v6, s[4:5]
	v_cmp_gt_u32_e64 s[4:5], 56, v4
	s_nop 1
	v_cndmask_b32_e64 v6, 0, 8, s[4:5]
	v_add_lshl_u32 v6, v6, v2, 2
	ds_bpermute_b32 v6, v6, v3
	v_cmp_lt_u32_e64 s[4:5], v7, v5
	v_add_u32_e32 v7, 16, v4
	s_waitcnt lgkmcnt(0)
	v_add_f32_e32 v6, v3, v6
	v_cndmask_b32_e64 v3, v3, v6, s[4:5]
	v_cmp_gt_u32_e64 s[4:5], 48, v4
	v_add_u32_e32 v4, 32, v4
	s_nop 0
	v_cndmask_b32_e64 v6, 0, 16, s[4:5]
	v_add_lshl_u32 v6, v6, v2, 2
	ds_bpermute_b32 v6, v6, v3
	v_cmp_lt_u32_e64 s[4:5], v7, v5
	s_waitcnt lgkmcnt(0)
	v_add_f32_e32 v6, v3, v6
	v_cndmask_b32_e64 v6, v3, v6, s[4:5]
	v_lshlrev_b32_e32 v3, 2, v2
	v_or_b32_e32 v7, 0x80, v3
	ds_bpermute_b32 v7, v7, v6
	v_cmp_lt_u32_e64 s[4:5], v4, v5
	s_waitcnt lgkmcnt(0)
	v_add_f32_e32 v7, v6, v7
	v_cndmask_b32_e64 v4, v6, v7, s[4:5]
	v_cndmask_b32_e32 v1, v1, v4, vcc
	v_cmp_eq_u32_e32 vcc, 0, v2
	s_and_saveexec_b64 s[4:5], vcc
; %bb.86:
	v_lshrrev_b32_e32 v4, 4, v0
	v_and_b32_e32 v4, 12, v4
	ds_write_b32 v4, v1 offset:96
; %bb.87:
	s_or_b64 exec, exec, s[4:5]
	v_cmp_gt_u32_e32 vcc, 4, v0
	s_waitcnt lgkmcnt(0)
	s_barrier
	s_and_saveexec_b64 s[6:7], vcc
	s_cbranch_execz .LBB1010_89
; %bb.88:
	ds_read_b32 v1, v3 offset:96
	v_and_b32_e32 v4, 3, v2
	v_cmp_ne_u32_e32 vcc, 3, v4
	s_add_i32 s8, s8, 63
	s_lshr_b32 s4, s8, 6
	v_addc_co_u32_e32 v2, vcc, 0, v2, vcc
	v_lshlrev_b32_e32 v2, 2, v2
	s_waitcnt lgkmcnt(0)
	ds_bpermute_b32 v2, v2, v1
	v_add_u32_e32 v5, 1, v4
	v_cmp_gt_u32_e32 vcc, s4, v5
	v_or_b32_e32 v3, 8, v3
	v_add_u32_e32 v4, 2, v4
	s_waitcnt lgkmcnt(0)
	v_add_f32_e32 v2, v1, v2
	v_cndmask_b32_e32 v2, v1, v2, vcc
	ds_bpermute_b32 v3, v3, v2
	v_cmp_gt_u32_e64 s[4:5], s4, v4
	s_waitcnt lgkmcnt(0)
	v_add_f32_e32 v3, v2, v3
	v_cndmask_b32_e64 v2, v2, v3, s[4:5]
	v_cndmask_b32_e32 v1, v1, v2, vcc
.LBB1010_89:
	s_or_b64 exec, exec, s[6:7]
.LBB1010_90:
	v_cmp_eq_u32_e64 s[4:5], 0, v0
	s_branch .LBB1010_100
.LBB1010_91:
	s_cmp_eq_u32 s66, 1
	s_cbranch_scc0 .LBB1010_99
; %bb.92:
	s_lshl_b32 s6, s2, 8
	v_cvt_f32_u32_e32 v1, s6
	s_mov_b32 s3, 0
	s_lshr_b64 s[4:5], s[68:69], 8
	s_cmp_lg_u64 s[4:5], s[2:3]
	v_cvt_f32_ubyte0_e32 v2, v0
	v_add_f32_e32 v4, s67, v1
	v_mbcnt_lo_u32_b32 v3, -1, 0
	s_cbranch_scc0 .LBB1010_103
; %bb.93:
	v_add_f32_e32 v1, v4, v2
	v_mbcnt_hi_u32_b32 v5, -1, v3
	v_lshlrev_b32_e32 v6, 2, v5
	v_add_f32_dpp v1, v1, v1 quad_perm:[1,0,3,2] row_mask:0xf bank_mask:0xf bound_ctrl:1
	v_or_b32_e32 v7, 0xfc, v6
	v_cmp_eq_u32_e32 vcc, 0, v5
	v_add_f32_dpp v1, v1, v1 quad_perm:[2,3,0,1] row_mask:0xf bank_mask:0xf bound_ctrl:1
	s_nop 1
	v_add_f32_dpp v1, v1, v1 row_ror:4 row_mask:0xf bank_mask:0xf bound_ctrl:1
	s_nop 1
	v_add_f32_dpp v1, v1, v1 row_ror:8 row_mask:0xf bank_mask:0xf bound_ctrl:1
	s_nop 1
	v_add_f32_dpp v1, v1, v1 row_bcast:15 row_mask:0xf bank_mask:0xf bound_ctrl:1
	s_nop 1
	v_add_f32_dpp v1, v1, v1 row_bcast:31 row_mask:0xf bank_mask:0xf bound_ctrl:1
	ds_bpermute_b32 v1, v7, v1
	s_and_saveexec_b64 s[4:5], vcc
	s_cbranch_execz .LBB1010_95
; %bb.94:
	v_lshrrev_b32_e32 v7, 4, v0
	v_and_b32_e32 v7, 12, v7
	s_waitcnt lgkmcnt(0)
	ds_write_b32 v7, v1 offset:16
.LBB1010_95:
	s_or_b64 exec, exec, s[4:5]
	v_cmp_gt_u32_e32 vcc, 64, v0
	s_waitcnt lgkmcnt(0)
	s_barrier
	s_and_saveexec_b64 s[4:5], vcc
	s_cbranch_execz .LBB1010_97
; %bb.96:
	v_and_b32_e32 v1, 3, v5
	v_lshlrev_b32_e32 v7, 2, v1
	ds_read_b32 v7, v7 offset:16
	v_cmp_ne_u32_e32 vcc, 3, v1
	s_nop 1
	v_addc_co_u32_e32 v1, vcc, 0, v5, vcc
	v_lshlrev_b32_e32 v1, 2, v1
	s_waitcnt lgkmcnt(0)
	ds_bpermute_b32 v1, v1, v7
	v_or_b32_e32 v5, 8, v6
	s_waitcnt lgkmcnt(0)
	v_add_f32_e32 v1, v7, v1
	ds_bpermute_b32 v5, v5, v1
	s_waitcnt lgkmcnt(0)
	v_add_f32_e32 v1, v1, v5
.LBB1010_97:
	s_or_b64 exec, exec, s[4:5]
.LBB1010_98:
	v_cmp_eq_u32_e64 s[4:5], 0, v0
	s_and_saveexec_b64 s[6:7], s[4:5]
	s_cbranch_execnz .LBB1010_101
	s_branch .LBB1010_102
.LBB1010_99:
                                        ; implicit-def: $vgpr1
                                        ; implicit-def: $sgpr2_sgpr3
.LBB1010_100:
	s_and_saveexec_b64 s[6:7], s[4:5]
	s_cbranch_execz .LBB1010_102
.LBB1010_101:
	s_load_dword s4, s[0:1], 0x20
	s_lshl_b64 s[0:1], s[2:3], 2
	s_add_u32 s0, s70, s0
	s_addc_u32 s1, s71, s1
	s_cmp_eq_u64 s[68:69], 0
	s_waitcnt lgkmcnt(0)
	v_add_f32_e32 v1, s4, v1
	v_mov_b32_e32 v2, s4
	s_cselect_b64 vcc, -1, 0
	v_mov_b32_e32 v0, 0
	v_cndmask_b32_e32 v1, v1, v2, vcc
	global_store_dword v0, v1, s[0:1]
.LBB1010_102:
	s_endpgm
.LBB1010_103:
                                        ; implicit-def: $vgpr1
	s_cbranch_execz .LBB1010_98
; %bb.104:
	v_add_f32_e32 v1, v4, v2
	v_mbcnt_hi_u32_b32 v2, -1, v3
	v_and_b32_e32 v4, 63, v2
	v_cmp_ne_u32_e32 vcc, 63, v4
	s_sub_i32 s4, s68, s6
	s_min_u32 s8, s4, 0x100
	v_addc_co_u32_e32 v3, vcc, 0, v2, vcc
	v_lshlrev_b32_e32 v3, 2, v3
	ds_bpermute_b32 v3, v3, v1
	v_and_b32_e32 v5, 0xc0, v0
	v_sub_u32_e64 v5, s8, v5 clamp
	v_add_u32_e32 v6, 1, v4
	v_cmp_gt_u32_e64 s[4:5], 62, v4
	s_waitcnt lgkmcnt(0)
	v_add_f32_e32 v3, v1, v3
	v_cmp_lt_u32_e32 vcc, v6, v5
	v_cndmask_b32_e64 v6, 0, 2, s[4:5]
	v_add_lshl_u32 v6, v6, v2, 2
	v_cndmask_b32_e32 v3, v1, v3, vcc
	ds_bpermute_b32 v6, v6, v3
	v_add_u32_e32 v7, 2, v4
	v_cmp_lt_u32_e64 s[4:5], v7, v5
	v_add_u32_e32 v7, 4, v4
	s_waitcnt lgkmcnt(0)
	v_add_f32_e32 v6, v3, v6
	v_cndmask_b32_e64 v3, v3, v6, s[4:5]
	v_cmp_gt_u32_e64 s[4:5], 60, v4
	s_nop 1
	v_cndmask_b32_e64 v6, 0, 4, s[4:5]
	v_add_lshl_u32 v6, v6, v2, 2
	ds_bpermute_b32 v6, v6, v3
	v_cmp_lt_u32_e64 s[4:5], v7, v5
	v_add_u32_e32 v7, 8, v4
	s_waitcnt lgkmcnt(0)
	v_add_f32_e32 v6, v3, v6
	v_cndmask_b32_e64 v3, v3, v6, s[4:5]
	v_cmp_gt_u32_e64 s[4:5], 56, v4
	s_nop 1
	v_cndmask_b32_e64 v6, 0, 8, s[4:5]
	v_add_lshl_u32 v6, v6, v2, 2
	ds_bpermute_b32 v6, v6, v3
	v_cmp_lt_u32_e64 s[4:5], v7, v5
	v_add_u32_e32 v7, 16, v4
	s_waitcnt lgkmcnt(0)
	v_add_f32_e32 v6, v3, v6
	v_cndmask_b32_e64 v3, v3, v6, s[4:5]
	v_cmp_gt_u32_e64 s[4:5], 48, v4
	v_add_u32_e32 v4, 32, v4
	s_nop 0
	v_cndmask_b32_e64 v6, 0, 16, s[4:5]
	v_add_lshl_u32 v6, v6, v2, 2
	ds_bpermute_b32 v6, v6, v3
	v_cmp_lt_u32_e64 s[4:5], v7, v5
	s_waitcnt lgkmcnt(0)
	v_add_f32_e32 v6, v3, v6
	v_cndmask_b32_e64 v6, v3, v6, s[4:5]
	v_lshlrev_b32_e32 v3, 2, v2
	v_or_b32_e32 v7, 0x80, v3
	ds_bpermute_b32 v7, v7, v6
	v_cmp_lt_u32_e64 s[4:5], v4, v5
	s_waitcnt lgkmcnt(0)
	v_add_f32_e32 v7, v6, v7
	v_cndmask_b32_e64 v4, v6, v7, s[4:5]
	v_cndmask_b32_e32 v1, v1, v4, vcc
	v_cmp_eq_u32_e32 vcc, 0, v2
	s_and_saveexec_b64 s[4:5], vcc
; %bb.105:
	v_lshrrev_b32_e32 v4, 4, v0
	v_and_b32_e32 v4, 12, v4
	ds_write_b32 v4, v1 offset:96
; %bb.106:
	s_or_b64 exec, exec, s[4:5]
	v_cmp_gt_u32_e32 vcc, 4, v0
	s_waitcnt lgkmcnt(0)
	s_barrier
	s_and_saveexec_b64 s[6:7], vcc
	s_cbranch_execz .LBB1010_108
; %bb.107:
	ds_read_b32 v1, v3 offset:96
	v_and_b32_e32 v4, 3, v2
	v_cmp_ne_u32_e32 vcc, 3, v4
	s_add_i32 s8, s8, 63
	s_lshr_b32 s4, s8, 6
	v_addc_co_u32_e32 v2, vcc, 0, v2, vcc
	v_lshlrev_b32_e32 v2, 2, v2
	s_waitcnt lgkmcnt(0)
	ds_bpermute_b32 v2, v2, v1
	v_add_u32_e32 v5, 1, v4
	v_cmp_gt_u32_e32 vcc, s4, v5
	v_or_b32_e32 v3, 8, v3
	v_add_u32_e32 v4, 2, v4
	s_waitcnt lgkmcnt(0)
	v_add_f32_e32 v2, v1, v2
	v_cndmask_b32_e32 v2, v1, v2, vcc
	ds_bpermute_b32 v3, v3, v2
	v_cmp_gt_u32_e64 s[4:5], s4, v4
	s_waitcnt lgkmcnt(0)
	v_add_f32_e32 v3, v2, v3
	v_cndmask_b32_e64 v2, v2, v3, s[4:5]
	v_cndmask_b32_e32 v1, v1, v2, vcc
.LBB1010_108:
	s_or_b64 exec, exec, s[6:7]
	v_cmp_eq_u32_e64 s[4:5], 0, v0
	s_and_saveexec_b64 s[6:7], s[4:5]
	s_cbranch_execnz .LBB1010_101
	s_branch .LBB1010_102
	.section	.rodata,"a",@progbits
	.p2align	6, 0x0
	.amdhsa_kernel _ZN7rocprim17ROCPRIM_400000_NS6detail17trampoline_kernelINS0_14default_configENS1_22reduce_config_selectorIfEEZNS1_11reduce_implILb1ES3_N6thrust23THRUST_200600_302600_NS17counting_iteratorIfNS8_11hip_rocprim3tagENS8_11use_defaultESC_EEPffNS8_4plusIfEEEE10hipError_tPvRmT1_T2_T3_mT4_P12ihipStream_tbEUlT_E1_NS1_11comp_targetILNS1_3genE0ELNS1_11target_archE4294967295ELNS1_3gpuE0ELNS1_3repE0EEENS1_30default_config_static_selectorELNS0_4arch9wavefront6targetE1EEEvSK_
		.amdhsa_group_segment_fixed_size 112
		.amdhsa_private_segment_fixed_size 0
		.amdhsa_kernarg_size 40
		.amdhsa_user_sgpr_count 2
		.amdhsa_user_sgpr_dispatch_ptr 0
		.amdhsa_user_sgpr_queue_ptr 0
		.amdhsa_user_sgpr_kernarg_segment_ptr 1
		.amdhsa_user_sgpr_dispatch_id 0
		.amdhsa_user_sgpr_kernarg_preload_length 0
		.amdhsa_user_sgpr_kernarg_preload_offset 0
		.amdhsa_user_sgpr_private_segment_size 0
		.amdhsa_uses_dynamic_stack 0
		.amdhsa_enable_private_segment 0
		.amdhsa_system_sgpr_workgroup_id_x 1
		.amdhsa_system_sgpr_workgroup_id_y 0
		.amdhsa_system_sgpr_workgroup_id_z 0
		.amdhsa_system_sgpr_workgroup_info 0
		.amdhsa_system_vgpr_workitem_id 0
		.amdhsa_next_free_vgpr 36
		.amdhsa_next_free_sgpr 74
		.amdhsa_accum_offset 36
		.amdhsa_reserve_vcc 1
		.amdhsa_float_round_mode_32 0
		.amdhsa_float_round_mode_16_64 0
		.amdhsa_float_denorm_mode_32 3
		.amdhsa_float_denorm_mode_16_64 3
		.amdhsa_dx10_clamp 1
		.amdhsa_ieee_mode 1
		.amdhsa_fp16_overflow 0
		.amdhsa_tg_split 0
		.amdhsa_exception_fp_ieee_invalid_op 0
		.amdhsa_exception_fp_denorm_src 0
		.amdhsa_exception_fp_ieee_div_zero 0
		.amdhsa_exception_fp_ieee_overflow 0
		.amdhsa_exception_fp_ieee_underflow 0
		.amdhsa_exception_fp_ieee_inexact 0
		.amdhsa_exception_int_div_zero 0
	.end_amdhsa_kernel
	.section	.text._ZN7rocprim17ROCPRIM_400000_NS6detail17trampoline_kernelINS0_14default_configENS1_22reduce_config_selectorIfEEZNS1_11reduce_implILb1ES3_N6thrust23THRUST_200600_302600_NS17counting_iteratorIfNS8_11hip_rocprim3tagENS8_11use_defaultESC_EEPffNS8_4plusIfEEEE10hipError_tPvRmT1_T2_T3_mT4_P12ihipStream_tbEUlT_E1_NS1_11comp_targetILNS1_3genE0ELNS1_11target_archE4294967295ELNS1_3gpuE0ELNS1_3repE0EEENS1_30default_config_static_selectorELNS0_4arch9wavefront6targetE1EEEvSK_,"axG",@progbits,_ZN7rocprim17ROCPRIM_400000_NS6detail17trampoline_kernelINS0_14default_configENS1_22reduce_config_selectorIfEEZNS1_11reduce_implILb1ES3_N6thrust23THRUST_200600_302600_NS17counting_iteratorIfNS8_11hip_rocprim3tagENS8_11use_defaultESC_EEPffNS8_4plusIfEEEE10hipError_tPvRmT1_T2_T3_mT4_P12ihipStream_tbEUlT_E1_NS1_11comp_targetILNS1_3genE0ELNS1_11target_archE4294967295ELNS1_3gpuE0ELNS1_3repE0EEENS1_30default_config_static_selectorELNS0_4arch9wavefront6targetE1EEEvSK_,comdat
.Lfunc_end1010:
	.size	_ZN7rocprim17ROCPRIM_400000_NS6detail17trampoline_kernelINS0_14default_configENS1_22reduce_config_selectorIfEEZNS1_11reduce_implILb1ES3_N6thrust23THRUST_200600_302600_NS17counting_iteratorIfNS8_11hip_rocprim3tagENS8_11use_defaultESC_EEPffNS8_4plusIfEEEE10hipError_tPvRmT1_T2_T3_mT4_P12ihipStream_tbEUlT_E1_NS1_11comp_targetILNS1_3genE0ELNS1_11target_archE4294967295ELNS1_3gpuE0ELNS1_3repE0EEENS1_30default_config_static_selectorELNS0_4arch9wavefront6targetE1EEEvSK_, .Lfunc_end1010-_ZN7rocprim17ROCPRIM_400000_NS6detail17trampoline_kernelINS0_14default_configENS1_22reduce_config_selectorIfEEZNS1_11reduce_implILb1ES3_N6thrust23THRUST_200600_302600_NS17counting_iteratorIfNS8_11hip_rocprim3tagENS8_11use_defaultESC_EEPffNS8_4plusIfEEEE10hipError_tPvRmT1_T2_T3_mT4_P12ihipStream_tbEUlT_E1_NS1_11comp_targetILNS1_3genE0ELNS1_11target_archE4294967295ELNS1_3gpuE0ELNS1_3repE0EEENS1_30default_config_static_selectorELNS0_4arch9wavefront6targetE1EEEvSK_
                                        ; -- End function
	.set _ZN7rocprim17ROCPRIM_400000_NS6detail17trampoline_kernelINS0_14default_configENS1_22reduce_config_selectorIfEEZNS1_11reduce_implILb1ES3_N6thrust23THRUST_200600_302600_NS17counting_iteratorIfNS8_11hip_rocprim3tagENS8_11use_defaultESC_EEPffNS8_4plusIfEEEE10hipError_tPvRmT1_T2_T3_mT4_P12ihipStream_tbEUlT_E1_NS1_11comp_targetILNS1_3genE0ELNS1_11target_archE4294967295ELNS1_3gpuE0ELNS1_3repE0EEENS1_30default_config_static_selectorELNS0_4arch9wavefront6targetE1EEEvSK_.num_vgpr, 36
	.set _ZN7rocprim17ROCPRIM_400000_NS6detail17trampoline_kernelINS0_14default_configENS1_22reduce_config_selectorIfEEZNS1_11reduce_implILb1ES3_N6thrust23THRUST_200600_302600_NS17counting_iteratorIfNS8_11hip_rocprim3tagENS8_11use_defaultESC_EEPffNS8_4plusIfEEEE10hipError_tPvRmT1_T2_T3_mT4_P12ihipStream_tbEUlT_E1_NS1_11comp_targetILNS1_3genE0ELNS1_11target_archE4294967295ELNS1_3gpuE0ELNS1_3repE0EEENS1_30default_config_static_selectorELNS0_4arch9wavefront6targetE1EEEvSK_.num_agpr, 0
	.set _ZN7rocprim17ROCPRIM_400000_NS6detail17trampoline_kernelINS0_14default_configENS1_22reduce_config_selectorIfEEZNS1_11reduce_implILb1ES3_N6thrust23THRUST_200600_302600_NS17counting_iteratorIfNS8_11hip_rocprim3tagENS8_11use_defaultESC_EEPffNS8_4plusIfEEEE10hipError_tPvRmT1_T2_T3_mT4_P12ihipStream_tbEUlT_E1_NS1_11comp_targetILNS1_3genE0ELNS1_11target_archE4294967295ELNS1_3gpuE0ELNS1_3repE0EEENS1_30default_config_static_selectorELNS0_4arch9wavefront6targetE1EEEvSK_.numbered_sgpr, 74
	.set _ZN7rocprim17ROCPRIM_400000_NS6detail17trampoline_kernelINS0_14default_configENS1_22reduce_config_selectorIfEEZNS1_11reduce_implILb1ES3_N6thrust23THRUST_200600_302600_NS17counting_iteratorIfNS8_11hip_rocprim3tagENS8_11use_defaultESC_EEPffNS8_4plusIfEEEE10hipError_tPvRmT1_T2_T3_mT4_P12ihipStream_tbEUlT_E1_NS1_11comp_targetILNS1_3genE0ELNS1_11target_archE4294967295ELNS1_3gpuE0ELNS1_3repE0EEENS1_30default_config_static_selectorELNS0_4arch9wavefront6targetE1EEEvSK_.num_named_barrier, 0
	.set _ZN7rocprim17ROCPRIM_400000_NS6detail17trampoline_kernelINS0_14default_configENS1_22reduce_config_selectorIfEEZNS1_11reduce_implILb1ES3_N6thrust23THRUST_200600_302600_NS17counting_iteratorIfNS8_11hip_rocprim3tagENS8_11use_defaultESC_EEPffNS8_4plusIfEEEE10hipError_tPvRmT1_T2_T3_mT4_P12ihipStream_tbEUlT_E1_NS1_11comp_targetILNS1_3genE0ELNS1_11target_archE4294967295ELNS1_3gpuE0ELNS1_3repE0EEENS1_30default_config_static_selectorELNS0_4arch9wavefront6targetE1EEEvSK_.private_seg_size, 0
	.set _ZN7rocprim17ROCPRIM_400000_NS6detail17trampoline_kernelINS0_14default_configENS1_22reduce_config_selectorIfEEZNS1_11reduce_implILb1ES3_N6thrust23THRUST_200600_302600_NS17counting_iteratorIfNS8_11hip_rocprim3tagENS8_11use_defaultESC_EEPffNS8_4plusIfEEEE10hipError_tPvRmT1_T2_T3_mT4_P12ihipStream_tbEUlT_E1_NS1_11comp_targetILNS1_3genE0ELNS1_11target_archE4294967295ELNS1_3gpuE0ELNS1_3repE0EEENS1_30default_config_static_selectorELNS0_4arch9wavefront6targetE1EEEvSK_.uses_vcc, 1
	.set _ZN7rocprim17ROCPRIM_400000_NS6detail17trampoline_kernelINS0_14default_configENS1_22reduce_config_selectorIfEEZNS1_11reduce_implILb1ES3_N6thrust23THRUST_200600_302600_NS17counting_iteratorIfNS8_11hip_rocprim3tagENS8_11use_defaultESC_EEPffNS8_4plusIfEEEE10hipError_tPvRmT1_T2_T3_mT4_P12ihipStream_tbEUlT_E1_NS1_11comp_targetILNS1_3genE0ELNS1_11target_archE4294967295ELNS1_3gpuE0ELNS1_3repE0EEENS1_30default_config_static_selectorELNS0_4arch9wavefront6targetE1EEEvSK_.uses_flat_scratch, 0
	.set _ZN7rocprim17ROCPRIM_400000_NS6detail17trampoline_kernelINS0_14default_configENS1_22reduce_config_selectorIfEEZNS1_11reduce_implILb1ES3_N6thrust23THRUST_200600_302600_NS17counting_iteratorIfNS8_11hip_rocprim3tagENS8_11use_defaultESC_EEPffNS8_4plusIfEEEE10hipError_tPvRmT1_T2_T3_mT4_P12ihipStream_tbEUlT_E1_NS1_11comp_targetILNS1_3genE0ELNS1_11target_archE4294967295ELNS1_3gpuE0ELNS1_3repE0EEENS1_30default_config_static_selectorELNS0_4arch9wavefront6targetE1EEEvSK_.has_dyn_sized_stack, 0
	.set _ZN7rocprim17ROCPRIM_400000_NS6detail17trampoline_kernelINS0_14default_configENS1_22reduce_config_selectorIfEEZNS1_11reduce_implILb1ES3_N6thrust23THRUST_200600_302600_NS17counting_iteratorIfNS8_11hip_rocprim3tagENS8_11use_defaultESC_EEPffNS8_4plusIfEEEE10hipError_tPvRmT1_T2_T3_mT4_P12ihipStream_tbEUlT_E1_NS1_11comp_targetILNS1_3genE0ELNS1_11target_archE4294967295ELNS1_3gpuE0ELNS1_3repE0EEENS1_30default_config_static_selectorELNS0_4arch9wavefront6targetE1EEEvSK_.has_recursion, 0
	.set _ZN7rocprim17ROCPRIM_400000_NS6detail17trampoline_kernelINS0_14default_configENS1_22reduce_config_selectorIfEEZNS1_11reduce_implILb1ES3_N6thrust23THRUST_200600_302600_NS17counting_iteratorIfNS8_11hip_rocprim3tagENS8_11use_defaultESC_EEPffNS8_4plusIfEEEE10hipError_tPvRmT1_T2_T3_mT4_P12ihipStream_tbEUlT_E1_NS1_11comp_targetILNS1_3genE0ELNS1_11target_archE4294967295ELNS1_3gpuE0ELNS1_3repE0EEENS1_30default_config_static_selectorELNS0_4arch9wavefront6targetE1EEEvSK_.has_indirect_call, 0
	.section	.AMDGPU.csdata,"",@progbits
; Kernel info:
; codeLenInByte = 8564
; TotalNumSgprs: 80
; NumVgprs: 36
; NumAgprs: 0
; TotalNumVgprs: 36
; ScratchSize: 0
; MemoryBound: 0
; FloatMode: 240
; IeeeMode: 1
; LDSByteSize: 112 bytes/workgroup (compile time only)
; SGPRBlocks: 9
; VGPRBlocks: 4
; NumSGPRsForWavesPerEU: 80
; NumVGPRsForWavesPerEU: 36
; AccumOffset: 36
; Occupancy: 8
; WaveLimiterHint : 0
; COMPUTE_PGM_RSRC2:SCRATCH_EN: 0
; COMPUTE_PGM_RSRC2:USER_SGPR: 2
; COMPUTE_PGM_RSRC2:TRAP_HANDLER: 0
; COMPUTE_PGM_RSRC2:TGID_X_EN: 1
; COMPUTE_PGM_RSRC2:TGID_Y_EN: 0
; COMPUTE_PGM_RSRC2:TGID_Z_EN: 0
; COMPUTE_PGM_RSRC2:TIDIG_COMP_CNT: 0
; COMPUTE_PGM_RSRC3_GFX90A:ACCUM_OFFSET: 8
; COMPUTE_PGM_RSRC3_GFX90A:TG_SPLIT: 0
	.section	.text._ZN7rocprim17ROCPRIM_400000_NS6detail17trampoline_kernelINS0_14default_configENS1_22reduce_config_selectorIfEEZNS1_11reduce_implILb1ES3_N6thrust23THRUST_200600_302600_NS17counting_iteratorIfNS8_11hip_rocprim3tagENS8_11use_defaultESC_EEPffNS8_4plusIfEEEE10hipError_tPvRmT1_T2_T3_mT4_P12ihipStream_tbEUlT_E1_NS1_11comp_targetILNS1_3genE5ELNS1_11target_archE942ELNS1_3gpuE9ELNS1_3repE0EEENS1_30default_config_static_selectorELNS0_4arch9wavefront6targetE1EEEvSK_,"axG",@progbits,_ZN7rocprim17ROCPRIM_400000_NS6detail17trampoline_kernelINS0_14default_configENS1_22reduce_config_selectorIfEEZNS1_11reduce_implILb1ES3_N6thrust23THRUST_200600_302600_NS17counting_iteratorIfNS8_11hip_rocprim3tagENS8_11use_defaultESC_EEPffNS8_4plusIfEEEE10hipError_tPvRmT1_T2_T3_mT4_P12ihipStream_tbEUlT_E1_NS1_11comp_targetILNS1_3genE5ELNS1_11target_archE942ELNS1_3gpuE9ELNS1_3repE0EEENS1_30default_config_static_selectorELNS0_4arch9wavefront6targetE1EEEvSK_,comdat
	.protected	_ZN7rocprim17ROCPRIM_400000_NS6detail17trampoline_kernelINS0_14default_configENS1_22reduce_config_selectorIfEEZNS1_11reduce_implILb1ES3_N6thrust23THRUST_200600_302600_NS17counting_iteratorIfNS8_11hip_rocprim3tagENS8_11use_defaultESC_EEPffNS8_4plusIfEEEE10hipError_tPvRmT1_T2_T3_mT4_P12ihipStream_tbEUlT_E1_NS1_11comp_targetILNS1_3genE5ELNS1_11target_archE942ELNS1_3gpuE9ELNS1_3repE0EEENS1_30default_config_static_selectorELNS0_4arch9wavefront6targetE1EEEvSK_ ; -- Begin function _ZN7rocprim17ROCPRIM_400000_NS6detail17trampoline_kernelINS0_14default_configENS1_22reduce_config_selectorIfEEZNS1_11reduce_implILb1ES3_N6thrust23THRUST_200600_302600_NS17counting_iteratorIfNS8_11hip_rocprim3tagENS8_11use_defaultESC_EEPffNS8_4plusIfEEEE10hipError_tPvRmT1_T2_T3_mT4_P12ihipStream_tbEUlT_E1_NS1_11comp_targetILNS1_3genE5ELNS1_11target_archE942ELNS1_3gpuE9ELNS1_3repE0EEENS1_30default_config_static_selectorELNS0_4arch9wavefront6targetE1EEEvSK_
	.globl	_ZN7rocprim17ROCPRIM_400000_NS6detail17trampoline_kernelINS0_14default_configENS1_22reduce_config_selectorIfEEZNS1_11reduce_implILb1ES3_N6thrust23THRUST_200600_302600_NS17counting_iteratorIfNS8_11hip_rocprim3tagENS8_11use_defaultESC_EEPffNS8_4plusIfEEEE10hipError_tPvRmT1_T2_T3_mT4_P12ihipStream_tbEUlT_E1_NS1_11comp_targetILNS1_3genE5ELNS1_11target_archE942ELNS1_3gpuE9ELNS1_3repE0EEENS1_30default_config_static_selectorELNS0_4arch9wavefront6targetE1EEEvSK_
	.p2align	8
	.type	_ZN7rocprim17ROCPRIM_400000_NS6detail17trampoline_kernelINS0_14default_configENS1_22reduce_config_selectorIfEEZNS1_11reduce_implILb1ES3_N6thrust23THRUST_200600_302600_NS17counting_iteratorIfNS8_11hip_rocprim3tagENS8_11use_defaultESC_EEPffNS8_4plusIfEEEE10hipError_tPvRmT1_T2_T3_mT4_P12ihipStream_tbEUlT_E1_NS1_11comp_targetILNS1_3genE5ELNS1_11target_archE942ELNS1_3gpuE9ELNS1_3repE0EEENS1_30default_config_static_selectorELNS0_4arch9wavefront6targetE1EEEvSK_,@function
_ZN7rocprim17ROCPRIM_400000_NS6detail17trampoline_kernelINS0_14default_configENS1_22reduce_config_selectorIfEEZNS1_11reduce_implILb1ES3_N6thrust23THRUST_200600_302600_NS17counting_iteratorIfNS8_11hip_rocprim3tagENS8_11use_defaultESC_EEPffNS8_4plusIfEEEE10hipError_tPvRmT1_T2_T3_mT4_P12ihipStream_tbEUlT_E1_NS1_11comp_targetILNS1_3genE5ELNS1_11target_archE942ELNS1_3gpuE9ELNS1_3repE0EEENS1_30default_config_static_selectorELNS0_4arch9wavefront6targetE1EEEvSK_: ; @_ZN7rocprim17ROCPRIM_400000_NS6detail17trampoline_kernelINS0_14default_configENS1_22reduce_config_selectorIfEEZNS1_11reduce_implILb1ES3_N6thrust23THRUST_200600_302600_NS17counting_iteratorIfNS8_11hip_rocprim3tagENS8_11use_defaultESC_EEPffNS8_4plusIfEEEE10hipError_tPvRmT1_T2_T3_mT4_P12ihipStream_tbEUlT_E1_NS1_11comp_targetILNS1_3genE5ELNS1_11target_archE942ELNS1_3gpuE9ELNS1_3repE0EEENS1_30default_config_static_selectorELNS0_4arch9wavefront6targetE1EEEvSK_
; %bb.0:
	.section	.rodata,"a",@progbits
	.p2align	6, 0x0
	.amdhsa_kernel _ZN7rocprim17ROCPRIM_400000_NS6detail17trampoline_kernelINS0_14default_configENS1_22reduce_config_selectorIfEEZNS1_11reduce_implILb1ES3_N6thrust23THRUST_200600_302600_NS17counting_iteratorIfNS8_11hip_rocprim3tagENS8_11use_defaultESC_EEPffNS8_4plusIfEEEE10hipError_tPvRmT1_T2_T3_mT4_P12ihipStream_tbEUlT_E1_NS1_11comp_targetILNS1_3genE5ELNS1_11target_archE942ELNS1_3gpuE9ELNS1_3repE0EEENS1_30default_config_static_selectorELNS0_4arch9wavefront6targetE1EEEvSK_
		.amdhsa_group_segment_fixed_size 0
		.amdhsa_private_segment_fixed_size 0
		.amdhsa_kernarg_size 40
		.amdhsa_user_sgpr_count 2
		.amdhsa_user_sgpr_dispatch_ptr 0
		.amdhsa_user_sgpr_queue_ptr 0
		.amdhsa_user_sgpr_kernarg_segment_ptr 1
		.amdhsa_user_sgpr_dispatch_id 0
		.amdhsa_user_sgpr_kernarg_preload_length 0
		.amdhsa_user_sgpr_kernarg_preload_offset 0
		.amdhsa_user_sgpr_private_segment_size 0
		.amdhsa_uses_dynamic_stack 0
		.amdhsa_enable_private_segment 0
		.amdhsa_system_sgpr_workgroup_id_x 1
		.amdhsa_system_sgpr_workgroup_id_y 0
		.amdhsa_system_sgpr_workgroup_id_z 0
		.amdhsa_system_sgpr_workgroup_info 0
		.amdhsa_system_vgpr_workitem_id 0
		.amdhsa_next_free_vgpr 1
		.amdhsa_next_free_sgpr 0
		.amdhsa_accum_offset 4
		.amdhsa_reserve_vcc 0
		.amdhsa_float_round_mode_32 0
		.amdhsa_float_round_mode_16_64 0
		.amdhsa_float_denorm_mode_32 3
		.amdhsa_float_denorm_mode_16_64 3
		.amdhsa_dx10_clamp 1
		.amdhsa_ieee_mode 1
		.amdhsa_fp16_overflow 0
		.amdhsa_tg_split 0
		.amdhsa_exception_fp_ieee_invalid_op 0
		.amdhsa_exception_fp_denorm_src 0
		.amdhsa_exception_fp_ieee_div_zero 0
		.amdhsa_exception_fp_ieee_overflow 0
		.amdhsa_exception_fp_ieee_underflow 0
		.amdhsa_exception_fp_ieee_inexact 0
		.amdhsa_exception_int_div_zero 0
	.end_amdhsa_kernel
	.section	.text._ZN7rocprim17ROCPRIM_400000_NS6detail17trampoline_kernelINS0_14default_configENS1_22reduce_config_selectorIfEEZNS1_11reduce_implILb1ES3_N6thrust23THRUST_200600_302600_NS17counting_iteratorIfNS8_11hip_rocprim3tagENS8_11use_defaultESC_EEPffNS8_4plusIfEEEE10hipError_tPvRmT1_T2_T3_mT4_P12ihipStream_tbEUlT_E1_NS1_11comp_targetILNS1_3genE5ELNS1_11target_archE942ELNS1_3gpuE9ELNS1_3repE0EEENS1_30default_config_static_selectorELNS0_4arch9wavefront6targetE1EEEvSK_,"axG",@progbits,_ZN7rocprim17ROCPRIM_400000_NS6detail17trampoline_kernelINS0_14default_configENS1_22reduce_config_selectorIfEEZNS1_11reduce_implILb1ES3_N6thrust23THRUST_200600_302600_NS17counting_iteratorIfNS8_11hip_rocprim3tagENS8_11use_defaultESC_EEPffNS8_4plusIfEEEE10hipError_tPvRmT1_T2_T3_mT4_P12ihipStream_tbEUlT_E1_NS1_11comp_targetILNS1_3genE5ELNS1_11target_archE942ELNS1_3gpuE9ELNS1_3repE0EEENS1_30default_config_static_selectorELNS0_4arch9wavefront6targetE1EEEvSK_,comdat
.Lfunc_end1011:
	.size	_ZN7rocprim17ROCPRIM_400000_NS6detail17trampoline_kernelINS0_14default_configENS1_22reduce_config_selectorIfEEZNS1_11reduce_implILb1ES3_N6thrust23THRUST_200600_302600_NS17counting_iteratorIfNS8_11hip_rocprim3tagENS8_11use_defaultESC_EEPffNS8_4plusIfEEEE10hipError_tPvRmT1_T2_T3_mT4_P12ihipStream_tbEUlT_E1_NS1_11comp_targetILNS1_3genE5ELNS1_11target_archE942ELNS1_3gpuE9ELNS1_3repE0EEENS1_30default_config_static_selectorELNS0_4arch9wavefront6targetE1EEEvSK_, .Lfunc_end1011-_ZN7rocprim17ROCPRIM_400000_NS6detail17trampoline_kernelINS0_14default_configENS1_22reduce_config_selectorIfEEZNS1_11reduce_implILb1ES3_N6thrust23THRUST_200600_302600_NS17counting_iteratorIfNS8_11hip_rocprim3tagENS8_11use_defaultESC_EEPffNS8_4plusIfEEEE10hipError_tPvRmT1_T2_T3_mT4_P12ihipStream_tbEUlT_E1_NS1_11comp_targetILNS1_3genE5ELNS1_11target_archE942ELNS1_3gpuE9ELNS1_3repE0EEENS1_30default_config_static_selectorELNS0_4arch9wavefront6targetE1EEEvSK_
                                        ; -- End function
	.set _ZN7rocprim17ROCPRIM_400000_NS6detail17trampoline_kernelINS0_14default_configENS1_22reduce_config_selectorIfEEZNS1_11reduce_implILb1ES3_N6thrust23THRUST_200600_302600_NS17counting_iteratorIfNS8_11hip_rocprim3tagENS8_11use_defaultESC_EEPffNS8_4plusIfEEEE10hipError_tPvRmT1_T2_T3_mT4_P12ihipStream_tbEUlT_E1_NS1_11comp_targetILNS1_3genE5ELNS1_11target_archE942ELNS1_3gpuE9ELNS1_3repE0EEENS1_30default_config_static_selectorELNS0_4arch9wavefront6targetE1EEEvSK_.num_vgpr, 0
	.set _ZN7rocprim17ROCPRIM_400000_NS6detail17trampoline_kernelINS0_14default_configENS1_22reduce_config_selectorIfEEZNS1_11reduce_implILb1ES3_N6thrust23THRUST_200600_302600_NS17counting_iteratorIfNS8_11hip_rocprim3tagENS8_11use_defaultESC_EEPffNS8_4plusIfEEEE10hipError_tPvRmT1_T2_T3_mT4_P12ihipStream_tbEUlT_E1_NS1_11comp_targetILNS1_3genE5ELNS1_11target_archE942ELNS1_3gpuE9ELNS1_3repE0EEENS1_30default_config_static_selectorELNS0_4arch9wavefront6targetE1EEEvSK_.num_agpr, 0
	.set _ZN7rocprim17ROCPRIM_400000_NS6detail17trampoline_kernelINS0_14default_configENS1_22reduce_config_selectorIfEEZNS1_11reduce_implILb1ES3_N6thrust23THRUST_200600_302600_NS17counting_iteratorIfNS8_11hip_rocprim3tagENS8_11use_defaultESC_EEPffNS8_4plusIfEEEE10hipError_tPvRmT1_T2_T3_mT4_P12ihipStream_tbEUlT_E1_NS1_11comp_targetILNS1_3genE5ELNS1_11target_archE942ELNS1_3gpuE9ELNS1_3repE0EEENS1_30default_config_static_selectorELNS0_4arch9wavefront6targetE1EEEvSK_.numbered_sgpr, 0
	.set _ZN7rocprim17ROCPRIM_400000_NS6detail17trampoline_kernelINS0_14default_configENS1_22reduce_config_selectorIfEEZNS1_11reduce_implILb1ES3_N6thrust23THRUST_200600_302600_NS17counting_iteratorIfNS8_11hip_rocprim3tagENS8_11use_defaultESC_EEPffNS8_4plusIfEEEE10hipError_tPvRmT1_T2_T3_mT4_P12ihipStream_tbEUlT_E1_NS1_11comp_targetILNS1_3genE5ELNS1_11target_archE942ELNS1_3gpuE9ELNS1_3repE0EEENS1_30default_config_static_selectorELNS0_4arch9wavefront6targetE1EEEvSK_.num_named_barrier, 0
	.set _ZN7rocprim17ROCPRIM_400000_NS6detail17trampoline_kernelINS0_14default_configENS1_22reduce_config_selectorIfEEZNS1_11reduce_implILb1ES3_N6thrust23THRUST_200600_302600_NS17counting_iteratorIfNS8_11hip_rocprim3tagENS8_11use_defaultESC_EEPffNS8_4plusIfEEEE10hipError_tPvRmT1_T2_T3_mT4_P12ihipStream_tbEUlT_E1_NS1_11comp_targetILNS1_3genE5ELNS1_11target_archE942ELNS1_3gpuE9ELNS1_3repE0EEENS1_30default_config_static_selectorELNS0_4arch9wavefront6targetE1EEEvSK_.private_seg_size, 0
	.set _ZN7rocprim17ROCPRIM_400000_NS6detail17trampoline_kernelINS0_14default_configENS1_22reduce_config_selectorIfEEZNS1_11reduce_implILb1ES3_N6thrust23THRUST_200600_302600_NS17counting_iteratorIfNS8_11hip_rocprim3tagENS8_11use_defaultESC_EEPffNS8_4plusIfEEEE10hipError_tPvRmT1_T2_T3_mT4_P12ihipStream_tbEUlT_E1_NS1_11comp_targetILNS1_3genE5ELNS1_11target_archE942ELNS1_3gpuE9ELNS1_3repE0EEENS1_30default_config_static_selectorELNS0_4arch9wavefront6targetE1EEEvSK_.uses_vcc, 0
	.set _ZN7rocprim17ROCPRIM_400000_NS6detail17trampoline_kernelINS0_14default_configENS1_22reduce_config_selectorIfEEZNS1_11reduce_implILb1ES3_N6thrust23THRUST_200600_302600_NS17counting_iteratorIfNS8_11hip_rocprim3tagENS8_11use_defaultESC_EEPffNS8_4plusIfEEEE10hipError_tPvRmT1_T2_T3_mT4_P12ihipStream_tbEUlT_E1_NS1_11comp_targetILNS1_3genE5ELNS1_11target_archE942ELNS1_3gpuE9ELNS1_3repE0EEENS1_30default_config_static_selectorELNS0_4arch9wavefront6targetE1EEEvSK_.uses_flat_scratch, 0
	.set _ZN7rocprim17ROCPRIM_400000_NS6detail17trampoline_kernelINS0_14default_configENS1_22reduce_config_selectorIfEEZNS1_11reduce_implILb1ES3_N6thrust23THRUST_200600_302600_NS17counting_iteratorIfNS8_11hip_rocprim3tagENS8_11use_defaultESC_EEPffNS8_4plusIfEEEE10hipError_tPvRmT1_T2_T3_mT4_P12ihipStream_tbEUlT_E1_NS1_11comp_targetILNS1_3genE5ELNS1_11target_archE942ELNS1_3gpuE9ELNS1_3repE0EEENS1_30default_config_static_selectorELNS0_4arch9wavefront6targetE1EEEvSK_.has_dyn_sized_stack, 0
	.set _ZN7rocprim17ROCPRIM_400000_NS6detail17trampoline_kernelINS0_14default_configENS1_22reduce_config_selectorIfEEZNS1_11reduce_implILb1ES3_N6thrust23THRUST_200600_302600_NS17counting_iteratorIfNS8_11hip_rocprim3tagENS8_11use_defaultESC_EEPffNS8_4plusIfEEEE10hipError_tPvRmT1_T2_T3_mT4_P12ihipStream_tbEUlT_E1_NS1_11comp_targetILNS1_3genE5ELNS1_11target_archE942ELNS1_3gpuE9ELNS1_3repE0EEENS1_30default_config_static_selectorELNS0_4arch9wavefront6targetE1EEEvSK_.has_recursion, 0
	.set _ZN7rocprim17ROCPRIM_400000_NS6detail17trampoline_kernelINS0_14default_configENS1_22reduce_config_selectorIfEEZNS1_11reduce_implILb1ES3_N6thrust23THRUST_200600_302600_NS17counting_iteratorIfNS8_11hip_rocprim3tagENS8_11use_defaultESC_EEPffNS8_4plusIfEEEE10hipError_tPvRmT1_T2_T3_mT4_P12ihipStream_tbEUlT_E1_NS1_11comp_targetILNS1_3genE5ELNS1_11target_archE942ELNS1_3gpuE9ELNS1_3repE0EEENS1_30default_config_static_selectorELNS0_4arch9wavefront6targetE1EEEvSK_.has_indirect_call, 0
	.section	.AMDGPU.csdata,"",@progbits
; Kernel info:
; codeLenInByte = 0
; TotalNumSgprs: 6
; NumVgprs: 0
; NumAgprs: 0
; TotalNumVgprs: 0
; ScratchSize: 0
; MemoryBound: 0
; FloatMode: 240
; IeeeMode: 1
; LDSByteSize: 0 bytes/workgroup (compile time only)
; SGPRBlocks: 0
; VGPRBlocks: 0
; NumSGPRsForWavesPerEU: 6
; NumVGPRsForWavesPerEU: 1
; AccumOffset: 4
; Occupancy: 8
; WaveLimiterHint : 0
; COMPUTE_PGM_RSRC2:SCRATCH_EN: 0
; COMPUTE_PGM_RSRC2:USER_SGPR: 2
; COMPUTE_PGM_RSRC2:TRAP_HANDLER: 0
; COMPUTE_PGM_RSRC2:TGID_X_EN: 1
; COMPUTE_PGM_RSRC2:TGID_Y_EN: 0
; COMPUTE_PGM_RSRC2:TGID_Z_EN: 0
; COMPUTE_PGM_RSRC2:TIDIG_COMP_CNT: 0
; COMPUTE_PGM_RSRC3_GFX90A:ACCUM_OFFSET: 0
; COMPUTE_PGM_RSRC3_GFX90A:TG_SPLIT: 0
	.section	.text._ZN7rocprim17ROCPRIM_400000_NS6detail17trampoline_kernelINS0_14default_configENS1_22reduce_config_selectorIfEEZNS1_11reduce_implILb1ES3_N6thrust23THRUST_200600_302600_NS17counting_iteratorIfNS8_11hip_rocprim3tagENS8_11use_defaultESC_EEPffNS8_4plusIfEEEE10hipError_tPvRmT1_T2_T3_mT4_P12ihipStream_tbEUlT_E1_NS1_11comp_targetILNS1_3genE4ELNS1_11target_archE910ELNS1_3gpuE8ELNS1_3repE0EEENS1_30default_config_static_selectorELNS0_4arch9wavefront6targetE1EEEvSK_,"axG",@progbits,_ZN7rocprim17ROCPRIM_400000_NS6detail17trampoline_kernelINS0_14default_configENS1_22reduce_config_selectorIfEEZNS1_11reduce_implILb1ES3_N6thrust23THRUST_200600_302600_NS17counting_iteratorIfNS8_11hip_rocprim3tagENS8_11use_defaultESC_EEPffNS8_4plusIfEEEE10hipError_tPvRmT1_T2_T3_mT4_P12ihipStream_tbEUlT_E1_NS1_11comp_targetILNS1_3genE4ELNS1_11target_archE910ELNS1_3gpuE8ELNS1_3repE0EEENS1_30default_config_static_selectorELNS0_4arch9wavefront6targetE1EEEvSK_,comdat
	.protected	_ZN7rocprim17ROCPRIM_400000_NS6detail17trampoline_kernelINS0_14default_configENS1_22reduce_config_selectorIfEEZNS1_11reduce_implILb1ES3_N6thrust23THRUST_200600_302600_NS17counting_iteratorIfNS8_11hip_rocprim3tagENS8_11use_defaultESC_EEPffNS8_4plusIfEEEE10hipError_tPvRmT1_T2_T3_mT4_P12ihipStream_tbEUlT_E1_NS1_11comp_targetILNS1_3genE4ELNS1_11target_archE910ELNS1_3gpuE8ELNS1_3repE0EEENS1_30default_config_static_selectorELNS0_4arch9wavefront6targetE1EEEvSK_ ; -- Begin function _ZN7rocprim17ROCPRIM_400000_NS6detail17trampoline_kernelINS0_14default_configENS1_22reduce_config_selectorIfEEZNS1_11reduce_implILb1ES3_N6thrust23THRUST_200600_302600_NS17counting_iteratorIfNS8_11hip_rocprim3tagENS8_11use_defaultESC_EEPffNS8_4plusIfEEEE10hipError_tPvRmT1_T2_T3_mT4_P12ihipStream_tbEUlT_E1_NS1_11comp_targetILNS1_3genE4ELNS1_11target_archE910ELNS1_3gpuE8ELNS1_3repE0EEENS1_30default_config_static_selectorELNS0_4arch9wavefront6targetE1EEEvSK_
	.globl	_ZN7rocprim17ROCPRIM_400000_NS6detail17trampoline_kernelINS0_14default_configENS1_22reduce_config_selectorIfEEZNS1_11reduce_implILb1ES3_N6thrust23THRUST_200600_302600_NS17counting_iteratorIfNS8_11hip_rocprim3tagENS8_11use_defaultESC_EEPffNS8_4plusIfEEEE10hipError_tPvRmT1_T2_T3_mT4_P12ihipStream_tbEUlT_E1_NS1_11comp_targetILNS1_3genE4ELNS1_11target_archE910ELNS1_3gpuE8ELNS1_3repE0EEENS1_30default_config_static_selectorELNS0_4arch9wavefront6targetE1EEEvSK_
	.p2align	8
	.type	_ZN7rocprim17ROCPRIM_400000_NS6detail17trampoline_kernelINS0_14default_configENS1_22reduce_config_selectorIfEEZNS1_11reduce_implILb1ES3_N6thrust23THRUST_200600_302600_NS17counting_iteratorIfNS8_11hip_rocprim3tagENS8_11use_defaultESC_EEPffNS8_4plusIfEEEE10hipError_tPvRmT1_T2_T3_mT4_P12ihipStream_tbEUlT_E1_NS1_11comp_targetILNS1_3genE4ELNS1_11target_archE910ELNS1_3gpuE8ELNS1_3repE0EEENS1_30default_config_static_selectorELNS0_4arch9wavefront6targetE1EEEvSK_,@function
_ZN7rocprim17ROCPRIM_400000_NS6detail17trampoline_kernelINS0_14default_configENS1_22reduce_config_selectorIfEEZNS1_11reduce_implILb1ES3_N6thrust23THRUST_200600_302600_NS17counting_iteratorIfNS8_11hip_rocprim3tagENS8_11use_defaultESC_EEPffNS8_4plusIfEEEE10hipError_tPvRmT1_T2_T3_mT4_P12ihipStream_tbEUlT_E1_NS1_11comp_targetILNS1_3genE4ELNS1_11target_archE910ELNS1_3gpuE8ELNS1_3repE0EEENS1_30default_config_static_selectorELNS0_4arch9wavefront6targetE1EEEvSK_: ; @_ZN7rocprim17ROCPRIM_400000_NS6detail17trampoline_kernelINS0_14default_configENS1_22reduce_config_selectorIfEEZNS1_11reduce_implILb1ES3_N6thrust23THRUST_200600_302600_NS17counting_iteratorIfNS8_11hip_rocprim3tagENS8_11use_defaultESC_EEPffNS8_4plusIfEEEE10hipError_tPvRmT1_T2_T3_mT4_P12ihipStream_tbEUlT_E1_NS1_11comp_targetILNS1_3genE4ELNS1_11target_archE910ELNS1_3gpuE8ELNS1_3repE0EEENS1_30default_config_static_selectorELNS0_4arch9wavefront6targetE1EEEvSK_
; %bb.0:
	.section	.rodata,"a",@progbits
	.p2align	6, 0x0
	.amdhsa_kernel _ZN7rocprim17ROCPRIM_400000_NS6detail17trampoline_kernelINS0_14default_configENS1_22reduce_config_selectorIfEEZNS1_11reduce_implILb1ES3_N6thrust23THRUST_200600_302600_NS17counting_iteratorIfNS8_11hip_rocprim3tagENS8_11use_defaultESC_EEPffNS8_4plusIfEEEE10hipError_tPvRmT1_T2_T3_mT4_P12ihipStream_tbEUlT_E1_NS1_11comp_targetILNS1_3genE4ELNS1_11target_archE910ELNS1_3gpuE8ELNS1_3repE0EEENS1_30default_config_static_selectorELNS0_4arch9wavefront6targetE1EEEvSK_
		.amdhsa_group_segment_fixed_size 0
		.amdhsa_private_segment_fixed_size 0
		.amdhsa_kernarg_size 40
		.amdhsa_user_sgpr_count 2
		.amdhsa_user_sgpr_dispatch_ptr 0
		.amdhsa_user_sgpr_queue_ptr 0
		.amdhsa_user_sgpr_kernarg_segment_ptr 1
		.amdhsa_user_sgpr_dispatch_id 0
		.amdhsa_user_sgpr_kernarg_preload_length 0
		.amdhsa_user_sgpr_kernarg_preload_offset 0
		.amdhsa_user_sgpr_private_segment_size 0
		.amdhsa_uses_dynamic_stack 0
		.amdhsa_enable_private_segment 0
		.amdhsa_system_sgpr_workgroup_id_x 1
		.amdhsa_system_sgpr_workgroup_id_y 0
		.amdhsa_system_sgpr_workgroup_id_z 0
		.amdhsa_system_sgpr_workgroup_info 0
		.amdhsa_system_vgpr_workitem_id 0
		.amdhsa_next_free_vgpr 1
		.amdhsa_next_free_sgpr 0
		.amdhsa_accum_offset 4
		.amdhsa_reserve_vcc 0
		.amdhsa_float_round_mode_32 0
		.amdhsa_float_round_mode_16_64 0
		.amdhsa_float_denorm_mode_32 3
		.amdhsa_float_denorm_mode_16_64 3
		.amdhsa_dx10_clamp 1
		.amdhsa_ieee_mode 1
		.amdhsa_fp16_overflow 0
		.amdhsa_tg_split 0
		.amdhsa_exception_fp_ieee_invalid_op 0
		.amdhsa_exception_fp_denorm_src 0
		.amdhsa_exception_fp_ieee_div_zero 0
		.amdhsa_exception_fp_ieee_overflow 0
		.amdhsa_exception_fp_ieee_underflow 0
		.amdhsa_exception_fp_ieee_inexact 0
		.amdhsa_exception_int_div_zero 0
	.end_amdhsa_kernel
	.section	.text._ZN7rocprim17ROCPRIM_400000_NS6detail17trampoline_kernelINS0_14default_configENS1_22reduce_config_selectorIfEEZNS1_11reduce_implILb1ES3_N6thrust23THRUST_200600_302600_NS17counting_iteratorIfNS8_11hip_rocprim3tagENS8_11use_defaultESC_EEPffNS8_4plusIfEEEE10hipError_tPvRmT1_T2_T3_mT4_P12ihipStream_tbEUlT_E1_NS1_11comp_targetILNS1_3genE4ELNS1_11target_archE910ELNS1_3gpuE8ELNS1_3repE0EEENS1_30default_config_static_selectorELNS0_4arch9wavefront6targetE1EEEvSK_,"axG",@progbits,_ZN7rocprim17ROCPRIM_400000_NS6detail17trampoline_kernelINS0_14default_configENS1_22reduce_config_selectorIfEEZNS1_11reduce_implILb1ES3_N6thrust23THRUST_200600_302600_NS17counting_iteratorIfNS8_11hip_rocprim3tagENS8_11use_defaultESC_EEPffNS8_4plusIfEEEE10hipError_tPvRmT1_T2_T3_mT4_P12ihipStream_tbEUlT_E1_NS1_11comp_targetILNS1_3genE4ELNS1_11target_archE910ELNS1_3gpuE8ELNS1_3repE0EEENS1_30default_config_static_selectorELNS0_4arch9wavefront6targetE1EEEvSK_,comdat
.Lfunc_end1012:
	.size	_ZN7rocprim17ROCPRIM_400000_NS6detail17trampoline_kernelINS0_14default_configENS1_22reduce_config_selectorIfEEZNS1_11reduce_implILb1ES3_N6thrust23THRUST_200600_302600_NS17counting_iteratorIfNS8_11hip_rocprim3tagENS8_11use_defaultESC_EEPffNS8_4plusIfEEEE10hipError_tPvRmT1_T2_T3_mT4_P12ihipStream_tbEUlT_E1_NS1_11comp_targetILNS1_3genE4ELNS1_11target_archE910ELNS1_3gpuE8ELNS1_3repE0EEENS1_30default_config_static_selectorELNS0_4arch9wavefront6targetE1EEEvSK_, .Lfunc_end1012-_ZN7rocprim17ROCPRIM_400000_NS6detail17trampoline_kernelINS0_14default_configENS1_22reduce_config_selectorIfEEZNS1_11reduce_implILb1ES3_N6thrust23THRUST_200600_302600_NS17counting_iteratorIfNS8_11hip_rocprim3tagENS8_11use_defaultESC_EEPffNS8_4plusIfEEEE10hipError_tPvRmT1_T2_T3_mT4_P12ihipStream_tbEUlT_E1_NS1_11comp_targetILNS1_3genE4ELNS1_11target_archE910ELNS1_3gpuE8ELNS1_3repE0EEENS1_30default_config_static_selectorELNS0_4arch9wavefront6targetE1EEEvSK_
                                        ; -- End function
	.set _ZN7rocprim17ROCPRIM_400000_NS6detail17trampoline_kernelINS0_14default_configENS1_22reduce_config_selectorIfEEZNS1_11reduce_implILb1ES3_N6thrust23THRUST_200600_302600_NS17counting_iteratorIfNS8_11hip_rocprim3tagENS8_11use_defaultESC_EEPffNS8_4plusIfEEEE10hipError_tPvRmT1_T2_T3_mT4_P12ihipStream_tbEUlT_E1_NS1_11comp_targetILNS1_3genE4ELNS1_11target_archE910ELNS1_3gpuE8ELNS1_3repE0EEENS1_30default_config_static_selectorELNS0_4arch9wavefront6targetE1EEEvSK_.num_vgpr, 0
	.set _ZN7rocprim17ROCPRIM_400000_NS6detail17trampoline_kernelINS0_14default_configENS1_22reduce_config_selectorIfEEZNS1_11reduce_implILb1ES3_N6thrust23THRUST_200600_302600_NS17counting_iteratorIfNS8_11hip_rocprim3tagENS8_11use_defaultESC_EEPffNS8_4plusIfEEEE10hipError_tPvRmT1_T2_T3_mT4_P12ihipStream_tbEUlT_E1_NS1_11comp_targetILNS1_3genE4ELNS1_11target_archE910ELNS1_3gpuE8ELNS1_3repE0EEENS1_30default_config_static_selectorELNS0_4arch9wavefront6targetE1EEEvSK_.num_agpr, 0
	.set _ZN7rocprim17ROCPRIM_400000_NS6detail17trampoline_kernelINS0_14default_configENS1_22reduce_config_selectorIfEEZNS1_11reduce_implILb1ES3_N6thrust23THRUST_200600_302600_NS17counting_iteratorIfNS8_11hip_rocprim3tagENS8_11use_defaultESC_EEPffNS8_4plusIfEEEE10hipError_tPvRmT1_T2_T3_mT4_P12ihipStream_tbEUlT_E1_NS1_11comp_targetILNS1_3genE4ELNS1_11target_archE910ELNS1_3gpuE8ELNS1_3repE0EEENS1_30default_config_static_selectorELNS0_4arch9wavefront6targetE1EEEvSK_.numbered_sgpr, 0
	.set _ZN7rocprim17ROCPRIM_400000_NS6detail17trampoline_kernelINS0_14default_configENS1_22reduce_config_selectorIfEEZNS1_11reduce_implILb1ES3_N6thrust23THRUST_200600_302600_NS17counting_iteratorIfNS8_11hip_rocprim3tagENS8_11use_defaultESC_EEPffNS8_4plusIfEEEE10hipError_tPvRmT1_T2_T3_mT4_P12ihipStream_tbEUlT_E1_NS1_11comp_targetILNS1_3genE4ELNS1_11target_archE910ELNS1_3gpuE8ELNS1_3repE0EEENS1_30default_config_static_selectorELNS0_4arch9wavefront6targetE1EEEvSK_.num_named_barrier, 0
	.set _ZN7rocprim17ROCPRIM_400000_NS6detail17trampoline_kernelINS0_14default_configENS1_22reduce_config_selectorIfEEZNS1_11reduce_implILb1ES3_N6thrust23THRUST_200600_302600_NS17counting_iteratorIfNS8_11hip_rocprim3tagENS8_11use_defaultESC_EEPffNS8_4plusIfEEEE10hipError_tPvRmT1_T2_T3_mT4_P12ihipStream_tbEUlT_E1_NS1_11comp_targetILNS1_3genE4ELNS1_11target_archE910ELNS1_3gpuE8ELNS1_3repE0EEENS1_30default_config_static_selectorELNS0_4arch9wavefront6targetE1EEEvSK_.private_seg_size, 0
	.set _ZN7rocprim17ROCPRIM_400000_NS6detail17trampoline_kernelINS0_14default_configENS1_22reduce_config_selectorIfEEZNS1_11reduce_implILb1ES3_N6thrust23THRUST_200600_302600_NS17counting_iteratorIfNS8_11hip_rocprim3tagENS8_11use_defaultESC_EEPffNS8_4plusIfEEEE10hipError_tPvRmT1_T2_T3_mT4_P12ihipStream_tbEUlT_E1_NS1_11comp_targetILNS1_3genE4ELNS1_11target_archE910ELNS1_3gpuE8ELNS1_3repE0EEENS1_30default_config_static_selectorELNS0_4arch9wavefront6targetE1EEEvSK_.uses_vcc, 0
	.set _ZN7rocprim17ROCPRIM_400000_NS6detail17trampoline_kernelINS0_14default_configENS1_22reduce_config_selectorIfEEZNS1_11reduce_implILb1ES3_N6thrust23THRUST_200600_302600_NS17counting_iteratorIfNS8_11hip_rocprim3tagENS8_11use_defaultESC_EEPffNS8_4plusIfEEEE10hipError_tPvRmT1_T2_T3_mT4_P12ihipStream_tbEUlT_E1_NS1_11comp_targetILNS1_3genE4ELNS1_11target_archE910ELNS1_3gpuE8ELNS1_3repE0EEENS1_30default_config_static_selectorELNS0_4arch9wavefront6targetE1EEEvSK_.uses_flat_scratch, 0
	.set _ZN7rocprim17ROCPRIM_400000_NS6detail17trampoline_kernelINS0_14default_configENS1_22reduce_config_selectorIfEEZNS1_11reduce_implILb1ES3_N6thrust23THRUST_200600_302600_NS17counting_iteratorIfNS8_11hip_rocprim3tagENS8_11use_defaultESC_EEPffNS8_4plusIfEEEE10hipError_tPvRmT1_T2_T3_mT4_P12ihipStream_tbEUlT_E1_NS1_11comp_targetILNS1_3genE4ELNS1_11target_archE910ELNS1_3gpuE8ELNS1_3repE0EEENS1_30default_config_static_selectorELNS0_4arch9wavefront6targetE1EEEvSK_.has_dyn_sized_stack, 0
	.set _ZN7rocprim17ROCPRIM_400000_NS6detail17trampoline_kernelINS0_14default_configENS1_22reduce_config_selectorIfEEZNS1_11reduce_implILb1ES3_N6thrust23THRUST_200600_302600_NS17counting_iteratorIfNS8_11hip_rocprim3tagENS8_11use_defaultESC_EEPffNS8_4plusIfEEEE10hipError_tPvRmT1_T2_T3_mT4_P12ihipStream_tbEUlT_E1_NS1_11comp_targetILNS1_3genE4ELNS1_11target_archE910ELNS1_3gpuE8ELNS1_3repE0EEENS1_30default_config_static_selectorELNS0_4arch9wavefront6targetE1EEEvSK_.has_recursion, 0
	.set _ZN7rocprim17ROCPRIM_400000_NS6detail17trampoline_kernelINS0_14default_configENS1_22reduce_config_selectorIfEEZNS1_11reduce_implILb1ES3_N6thrust23THRUST_200600_302600_NS17counting_iteratorIfNS8_11hip_rocprim3tagENS8_11use_defaultESC_EEPffNS8_4plusIfEEEE10hipError_tPvRmT1_T2_T3_mT4_P12ihipStream_tbEUlT_E1_NS1_11comp_targetILNS1_3genE4ELNS1_11target_archE910ELNS1_3gpuE8ELNS1_3repE0EEENS1_30default_config_static_selectorELNS0_4arch9wavefront6targetE1EEEvSK_.has_indirect_call, 0
	.section	.AMDGPU.csdata,"",@progbits
; Kernel info:
; codeLenInByte = 0
; TotalNumSgprs: 6
; NumVgprs: 0
; NumAgprs: 0
; TotalNumVgprs: 0
; ScratchSize: 0
; MemoryBound: 0
; FloatMode: 240
; IeeeMode: 1
; LDSByteSize: 0 bytes/workgroup (compile time only)
; SGPRBlocks: 0
; VGPRBlocks: 0
; NumSGPRsForWavesPerEU: 6
; NumVGPRsForWavesPerEU: 1
; AccumOffset: 4
; Occupancy: 8
; WaveLimiterHint : 0
; COMPUTE_PGM_RSRC2:SCRATCH_EN: 0
; COMPUTE_PGM_RSRC2:USER_SGPR: 2
; COMPUTE_PGM_RSRC2:TRAP_HANDLER: 0
; COMPUTE_PGM_RSRC2:TGID_X_EN: 1
; COMPUTE_PGM_RSRC2:TGID_Y_EN: 0
; COMPUTE_PGM_RSRC2:TGID_Z_EN: 0
; COMPUTE_PGM_RSRC2:TIDIG_COMP_CNT: 0
; COMPUTE_PGM_RSRC3_GFX90A:ACCUM_OFFSET: 0
; COMPUTE_PGM_RSRC3_GFX90A:TG_SPLIT: 0
	.section	.text._ZN7rocprim17ROCPRIM_400000_NS6detail17trampoline_kernelINS0_14default_configENS1_22reduce_config_selectorIfEEZNS1_11reduce_implILb1ES3_N6thrust23THRUST_200600_302600_NS17counting_iteratorIfNS8_11hip_rocprim3tagENS8_11use_defaultESC_EEPffNS8_4plusIfEEEE10hipError_tPvRmT1_T2_T3_mT4_P12ihipStream_tbEUlT_E1_NS1_11comp_targetILNS1_3genE3ELNS1_11target_archE908ELNS1_3gpuE7ELNS1_3repE0EEENS1_30default_config_static_selectorELNS0_4arch9wavefront6targetE1EEEvSK_,"axG",@progbits,_ZN7rocprim17ROCPRIM_400000_NS6detail17trampoline_kernelINS0_14default_configENS1_22reduce_config_selectorIfEEZNS1_11reduce_implILb1ES3_N6thrust23THRUST_200600_302600_NS17counting_iteratorIfNS8_11hip_rocprim3tagENS8_11use_defaultESC_EEPffNS8_4plusIfEEEE10hipError_tPvRmT1_T2_T3_mT4_P12ihipStream_tbEUlT_E1_NS1_11comp_targetILNS1_3genE3ELNS1_11target_archE908ELNS1_3gpuE7ELNS1_3repE0EEENS1_30default_config_static_selectorELNS0_4arch9wavefront6targetE1EEEvSK_,comdat
	.protected	_ZN7rocprim17ROCPRIM_400000_NS6detail17trampoline_kernelINS0_14default_configENS1_22reduce_config_selectorIfEEZNS1_11reduce_implILb1ES3_N6thrust23THRUST_200600_302600_NS17counting_iteratorIfNS8_11hip_rocprim3tagENS8_11use_defaultESC_EEPffNS8_4plusIfEEEE10hipError_tPvRmT1_T2_T3_mT4_P12ihipStream_tbEUlT_E1_NS1_11comp_targetILNS1_3genE3ELNS1_11target_archE908ELNS1_3gpuE7ELNS1_3repE0EEENS1_30default_config_static_selectorELNS0_4arch9wavefront6targetE1EEEvSK_ ; -- Begin function _ZN7rocprim17ROCPRIM_400000_NS6detail17trampoline_kernelINS0_14default_configENS1_22reduce_config_selectorIfEEZNS1_11reduce_implILb1ES3_N6thrust23THRUST_200600_302600_NS17counting_iteratorIfNS8_11hip_rocprim3tagENS8_11use_defaultESC_EEPffNS8_4plusIfEEEE10hipError_tPvRmT1_T2_T3_mT4_P12ihipStream_tbEUlT_E1_NS1_11comp_targetILNS1_3genE3ELNS1_11target_archE908ELNS1_3gpuE7ELNS1_3repE0EEENS1_30default_config_static_selectorELNS0_4arch9wavefront6targetE1EEEvSK_
	.globl	_ZN7rocprim17ROCPRIM_400000_NS6detail17trampoline_kernelINS0_14default_configENS1_22reduce_config_selectorIfEEZNS1_11reduce_implILb1ES3_N6thrust23THRUST_200600_302600_NS17counting_iteratorIfNS8_11hip_rocprim3tagENS8_11use_defaultESC_EEPffNS8_4plusIfEEEE10hipError_tPvRmT1_T2_T3_mT4_P12ihipStream_tbEUlT_E1_NS1_11comp_targetILNS1_3genE3ELNS1_11target_archE908ELNS1_3gpuE7ELNS1_3repE0EEENS1_30default_config_static_selectorELNS0_4arch9wavefront6targetE1EEEvSK_
	.p2align	8
	.type	_ZN7rocprim17ROCPRIM_400000_NS6detail17trampoline_kernelINS0_14default_configENS1_22reduce_config_selectorIfEEZNS1_11reduce_implILb1ES3_N6thrust23THRUST_200600_302600_NS17counting_iteratorIfNS8_11hip_rocprim3tagENS8_11use_defaultESC_EEPffNS8_4plusIfEEEE10hipError_tPvRmT1_T2_T3_mT4_P12ihipStream_tbEUlT_E1_NS1_11comp_targetILNS1_3genE3ELNS1_11target_archE908ELNS1_3gpuE7ELNS1_3repE0EEENS1_30default_config_static_selectorELNS0_4arch9wavefront6targetE1EEEvSK_,@function
_ZN7rocprim17ROCPRIM_400000_NS6detail17trampoline_kernelINS0_14default_configENS1_22reduce_config_selectorIfEEZNS1_11reduce_implILb1ES3_N6thrust23THRUST_200600_302600_NS17counting_iteratorIfNS8_11hip_rocprim3tagENS8_11use_defaultESC_EEPffNS8_4plusIfEEEE10hipError_tPvRmT1_T2_T3_mT4_P12ihipStream_tbEUlT_E1_NS1_11comp_targetILNS1_3genE3ELNS1_11target_archE908ELNS1_3gpuE7ELNS1_3repE0EEENS1_30default_config_static_selectorELNS0_4arch9wavefront6targetE1EEEvSK_: ; @_ZN7rocprim17ROCPRIM_400000_NS6detail17trampoline_kernelINS0_14default_configENS1_22reduce_config_selectorIfEEZNS1_11reduce_implILb1ES3_N6thrust23THRUST_200600_302600_NS17counting_iteratorIfNS8_11hip_rocprim3tagENS8_11use_defaultESC_EEPffNS8_4plusIfEEEE10hipError_tPvRmT1_T2_T3_mT4_P12ihipStream_tbEUlT_E1_NS1_11comp_targetILNS1_3genE3ELNS1_11target_archE908ELNS1_3gpuE7ELNS1_3repE0EEENS1_30default_config_static_selectorELNS0_4arch9wavefront6targetE1EEEvSK_
; %bb.0:
	.section	.rodata,"a",@progbits
	.p2align	6, 0x0
	.amdhsa_kernel _ZN7rocprim17ROCPRIM_400000_NS6detail17trampoline_kernelINS0_14default_configENS1_22reduce_config_selectorIfEEZNS1_11reduce_implILb1ES3_N6thrust23THRUST_200600_302600_NS17counting_iteratorIfNS8_11hip_rocprim3tagENS8_11use_defaultESC_EEPffNS8_4plusIfEEEE10hipError_tPvRmT1_T2_T3_mT4_P12ihipStream_tbEUlT_E1_NS1_11comp_targetILNS1_3genE3ELNS1_11target_archE908ELNS1_3gpuE7ELNS1_3repE0EEENS1_30default_config_static_selectorELNS0_4arch9wavefront6targetE1EEEvSK_
		.amdhsa_group_segment_fixed_size 0
		.amdhsa_private_segment_fixed_size 0
		.amdhsa_kernarg_size 40
		.amdhsa_user_sgpr_count 2
		.amdhsa_user_sgpr_dispatch_ptr 0
		.amdhsa_user_sgpr_queue_ptr 0
		.amdhsa_user_sgpr_kernarg_segment_ptr 1
		.amdhsa_user_sgpr_dispatch_id 0
		.amdhsa_user_sgpr_kernarg_preload_length 0
		.amdhsa_user_sgpr_kernarg_preload_offset 0
		.amdhsa_user_sgpr_private_segment_size 0
		.amdhsa_uses_dynamic_stack 0
		.amdhsa_enable_private_segment 0
		.amdhsa_system_sgpr_workgroup_id_x 1
		.amdhsa_system_sgpr_workgroup_id_y 0
		.amdhsa_system_sgpr_workgroup_id_z 0
		.amdhsa_system_sgpr_workgroup_info 0
		.amdhsa_system_vgpr_workitem_id 0
		.amdhsa_next_free_vgpr 1
		.amdhsa_next_free_sgpr 0
		.amdhsa_accum_offset 4
		.amdhsa_reserve_vcc 0
		.amdhsa_float_round_mode_32 0
		.amdhsa_float_round_mode_16_64 0
		.amdhsa_float_denorm_mode_32 3
		.amdhsa_float_denorm_mode_16_64 3
		.amdhsa_dx10_clamp 1
		.amdhsa_ieee_mode 1
		.amdhsa_fp16_overflow 0
		.amdhsa_tg_split 0
		.amdhsa_exception_fp_ieee_invalid_op 0
		.amdhsa_exception_fp_denorm_src 0
		.amdhsa_exception_fp_ieee_div_zero 0
		.amdhsa_exception_fp_ieee_overflow 0
		.amdhsa_exception_fp_ieee_underflow 0
		.amdhsa_exception_fp_ieee_inexact 0
		.amdhsa_exception_int_div_zero 0
	.end_amdhsa_kernel
	.section	.text._ZN7rocprim17ROCPRIM_400000_NS6detail17trampoline_kernelINS0_14default_configENS1_22reduce_config_selectorIfEEZNS1_11reduce_implILb1ES3_N6thrust23THRUST_200600_302600_NS17counting_iteratorIfNS8_11hip_rocprim3tagENS8_11use_defaultESC_EEPffNS8_4plusIfEEEE10hipError_tPvRmT1_T2_T3_mT4_P12ihipStream_tbEUlT_E1_NS1_11comp_targetILNS1_3genE3ELNS1_11target_archE908ELNS1_3gpuE7ELNS1_3repE0EEENS1_30default_config_static_selectorELNS0_4arch9wavefront6targetE1EEEvSK_,"axG",@progbits,_ZN7rocprim17ROCPRIM_400000_NS6detail17trampoline_kernelINS0_14default_configENS1_22reduce_config_selectorIfEEZNS1_11reduce_implILb1ES3_N6thrust23THRUST_200600_302600_NS17counting_iteratorIfNS8_11hip_rocprim3tagENS8_11use_defaultESC_EEPffNS8_4plusIfEEEE10hipError_tPvRmT1_T2_T3_mT4_P12ihipStream_tbEUlT_E1_NS1_11comp_targetILNS1_3genE3ELNS1_11target_archE908ELNS1_3gpuE7ELNS1_3repE0EEENS1_30default_config_static_selectorELNS0_4arch9wavefront6targetE1EEEvSK_,comdat
.Lfunc_end1013:
	.size	_ZN7rocprim17ROCPRIM_400000_NS6detail17trampoline_kernelINS0_14default_configENS1_22reduce_config_selectorIfEEZNS1_11reduce_implILb1ES3_N6thrust23THRUST_200600_302600_NS17counting_iteratorIfNS8_11hip_rocprim3tagENS8_11use_defaultESC_EEPffNS8_4plusIfEEEE10hipError_tPvRmT1_T2_T3_mT4_P12ihipStream_tbEUlT_E1_NS1_11comp_targetILNS1_3genE3ELNS1_11target_archE908ELNS1_3gpuE7ELNS1_3repE0EEENS1_30default_config_static_selectorELNS0_4arch9wavefront6targetE1EEEvSK_, .Lfunc_end1013-_ZN7rocprim17ROCPRIM_400000_NS6detail17trampoline_kernelINS0_14default_configENS1_22reduce_config_selectorIfEEZNS1_11reduce_implILb1ES3_N6thrust23THRUST_200600_302600_NS17counting_iteratorIfNS8_11hip_rocprim3tagENS8_11use_defaultESC_EEPffNS8_4plusIfEEEE10hipError_tPvRmT1_T2_T3_mT4_P12ihipStream_tbEUlT_E1_NS1_11comp_targetILNS1_3genE3ELNS1_11target_archE908ELNS1_3gpuE7ELNS1_3repE0EEENS1_30default_config_static_selectorELNS0_4arch9wavefront6targetE1EEEvSK_
                                        ; -- End function
	.set _ZN7rocprim17ROCPRIM_400000_NS6detail17trampoline_kernelINS0_14default_configENS1_22reduce_config_selectorIfEEZNS1_11reduce_implILb1ES3_N6thrust23THRUST_200600_302600_NS17counting_iteratorIfNS8_11hip_rocprim3tagENS8_11use_defaultESC_EEPffNS8_4plusIfEEEE10hipError_tPvRmT1_T2_T3_mT4_P12ihipStream_tbEUlT_E1_NS1_11comp_targetILNS1_3genE3ELNS1_11target_archE908ELNS1_3gpuE7ELNS1_3repE0EEENS1_30default_config_static_selectorELNS0_4arch9wavefront6targetE1EEEvSK_.num_vgpr, 0
	.set _ZN7rocprim17ROCPRIM_400000_NS6detail17trampoline_kernelINS0_14default_configENS1_22reduce_config_selectorIfEEZNS1_11reduce_implILb1ES3_N6thrust23THRUST_200600_302600_NS17counting_iteratorIfNS8_11hip_rocprim3tagENS8_11use_defaultESC_EEPffNS8_4plusIfEEEE10hipError_tPvRmT1_T2_T3_mT4_P12ihipStream_tbEUlT_E1_NS1_11comp_targetILNS1_3genE3ELNS1_11target_archE908ELNS1_3gpuE7ELNS1_3repE0EEENS1_30default_config_static_selectorELNS0_4arch9wavefront6targetE1EEEvSK_.num_agpr, 0
	.set _ZN7rocprim17ROCPRIM_400000_NS6detail17trampoline_kernelINS0_14default_configENS1_22reduce_config_selectorIfEEZNS1_11reduce_implILb1ES3_N6thrust23THRUST_200600_302600_NS17counting_iteratorIfNS8_11hip_rocprim3tagENS8_11use_defaultESC_EEPffNS8_4plusIfEEEE10hipError_tPvRmT1_T2_T3_mT4_P12ihipStream_tbEUlT_E1_NS1_11comp_targetILNS1_3genE3ELNS1_11target_archE908ELNS1_3gpuE7ELNS1_3repE0EEENS1_30default_config_static_selectorELNS0_4arch9wavefront6targetE1EEEvSK_.numbered_sgpr, 0
	.set _ZN7rocprim17ROCPRIM_400000_NS6detail17trampoline_kernelINS0_14default_configENS1_22reduce_config_selectorIfEEZNS1_11reduce_implILb1ES3_N6thrust23THRUST_200600_302600_NS17counting_iteratorIfNS8_11hip_rocprim3tagENS8_11use_defaultESC_EEPffNS8_4plusIfEEEE10hipError_tPvRmT1_T2_T3_mT4_P12ihipStream_tbEUlT_E1_NS1_11comp_targetILNS1_3genE3ELNS1_11target_archE908ELNS1_3gpuE7ELNS1_3repE0EEENS1_30default_config_static_selectorELNS0_4arch9wavefront6targetE1EEEvSK_.num_named_barrier, 0
	.set _ZN7rocprim17ROCPRIM_400000_NS6detail17trampoline_kernelINS0_14default_configENS1_22reduce_config_selectorIfEEZNS1_11reduce_implILb1ES3_N6thrust23THRUST_200600_302600_NS17counting_iteratorIfNS8_11hip_rocprim3tagENS8_11use_defaultESC_EEPffNS8_4plusIfEEEE10hipError_tPvRmT1_T2_T3_mT4_P12ihipStream_tbEUlT_E1_NS1_11comp_targetILNS1_3genE3ELNS1_11target_archE908ELNS1_3gpuE7ELNS1_3repE0EEENS1_30default_config_static_selectorELNS0_4arch9wavefront6targetE1EEEvSK_.private_seg_size, 0
	.set _ZN7rocprim17ROCPRIM_400000_NS6detail17trampoline_kernelINS0_14default_configENS1_22reduce_config_selectorIfEEZNS1_11reduce_implILb1ES3_N6thrust23THRUST_200600_302600_NS17counting_iteratorIfNS8_11hip_rocprim3tagENS8_11use_defaultESC_EEPffNS8_4plusIfEEEE10hipError_tPvRmT1_T2_T3_mT4_P12ihipStream_tbEUlT_E1_NS1_11comp_targetILNS1_3genE3ELNS1_11target_archE908ELNS1_3gpuE7ELNS1_3repE0EEENS1_30default_config_static_selectorELNS0_4arch9wavefront6targetE1EEEvSK_.uses_vcc, 0
	.set _ZN7rocprim17ROCPRIM_400000_NS6detail17trampoline_kernelINS0_14default_configENS1_22reduce_config_selectorIfEEZNS1_11reduce_implILb1ES3_N6thrust23THRUST_200600_302600_NS17counting_iteratorIfNS8_11hip_rocprim3tagENS8_11use_defaultESC_EEPffNS8_4plusIfEEEE10hipError_tPvRmT1_T2_T3_mT4_P12ihipStream_tbEUlT_E1_NS1_11comp_targetILNS1_3genE3ELNS1_11target_archE908ELNS1_3gpuE7ELNS1_3repE0EEENS1_30default_config_static_selectorELNS0_4arch9wavefront6targetE1EEEvSK_.uses_flat_scratch, 0
	.set _ZN7rocprim17ROCPRIM_400000_NS6detail17trampoline_kernelINS0_14default_configENS1_22reduce_config_selectorIfEEZNS1_11reduce_implILb1ES3_N6thrust23THRUST_200600_302600_NS17counting_iteratorIfNS8_11hip_rocprim3tagENS8_11use_defaultESC_EEPffNS8_4plusIfEEEE10hipError_tPvRmT1_T2_T3_mT4_P12ihipStream_tbEUlT_E1_NS1_11comp_targetILNS1_3genE3ELNS1_11target_archE908ELNS1_3gpuE7ELNS1_3repE0EEENS1_30default_config_static_selectorELNS0_4arch9wavefront6targetE1EEEvSK_.has_dyn_sized_stack, 0
	.set _ZN7rocprim17ROCPRIM_400000_NS6detail17trampoline_kernelINS0_14default_configENS1_22reduce_config_selectorIfEEZNS1_11reduce_implILb1ES3_N6thrust23THRUST_200600_302600_NS17counting_iteratorIfNS8_11hip_rocprim3tagENS8_11use_defaultESC_EEPffNS8_4plusIfEEEE10hipError_tPvRmT1_T2_T3_mT4_P12ihipStream_tbEUlT_E1_NS1_11comp_targetILNS1_3genE3ELNS1_11target_archE908ELNS1_3gpuE7ELNS1_3repE0EEENS1_30default_config_static_selectorELNS0_4arch9wavefront6targetE1EEEvSK_.has_recursion, 0
	.set _ZN7rocprim17ROCPRIM_400000_NS6detail17trampoline_kernelINS0_14default_configENS1_22reduce_config_selectorIfEEZNS1_11reduce_implILb1ES3_N6thrust23THRUST_200600_302600_NS17counting_iteratorIfNS8_11hip_rocprim3tagENS8_11use_defaultESC_EEPffNS8_4plusIfEEEE10hipError_tPvRmT1_T2_T3_mT4_P12ihipStream_tbEUlT_E1_NS1_11comp_targetILNS1_3genE3ELNS1_11target_archE908ELNS1_3gpuE7ELNS1_3repE0EEENS1_30default_config_static_selectorELNS0_4arch9wavefront6targetE1EEEvSK_.has_indirect_call, 0
	.section	.AMDGPU.csdata,"",@progbits
; Kernel info:
; codeLenInByte = 0
; TotalNumSgprs: 6
; NumVgprs: 0
; NumAgprs: 0
; TotalNumVgprs: 0
; ScratchSize: 0
; MemoryBound: 0
; FloatMode: 240
; IeeeMode: 1
; LDSByteSize: 0 bytes/workgroup (compile time only)
; SGPRBlocks: 0
; VGPRBlocks: 0
; NumSGPRsForWavesPerEU: 6
; NumVGPRsForWavesPerEU: 1
; AccumOffset: 4
; Occupancy: 8
; WaveLimiterHint : 0
; COMPUTE_PGM_RSRC2:SCRATCH_EN: 0
; COMPUTE_PGM_RSRC2:USER_SGPR: 2
; COMPUTE_PGM_RSRC2:TRAP_HANDLER: 0
; COMPUTE_PGM_RSRC2:TGID_X_EN: 1
; COMPUTE_PGM_RSRC2:TGID_Y_EN: 0
; COMPUTE_PGM_RSRC2:TGID_Z_EN: 0
; COMPUTE_PGM_RSRC2:TIDIG_COMP_CNT: 0
; COMPUTE_PGM_RSRC3_GFX90A:ACCUM_OFFSET: 0
; COMPUTE_PGM_RSRC3_GFX90A:TG_SPLIT: 0
	.section	.text._ZN7rocprim17ROCPRIM_400000_NS6detail17trampoline_kernelINS0_14default_configENS1_22reduce_config_selectorIfEEZNS1_11reduce_implILb1ES3_N6thrust23THRUST_200600_302600_NS17counting_iteratorIfNS8_11hip_rocprim3tagENS8_11use_defaultESC_EEPffNS8_4plusIfEEEE10hipError_tPvRmT1_T2_T3_mT4_P12ihipStream_tbEUlT_E1_NS1_11comp_targetILNS1_3genE2ELNS1_11target_archE906ELNS1_3gpuE6ELNS1_3repE0EEENS1_30default_config_static_selectorELNS0_4arch9wavefront6targetE1EEEvSK_,"axG",@progbits,_ZN7rocprim17ROCPRIM_400000_NS6detail17trampoline_kernelINS0_14default_configENS1_22reduce_config_selectorIfEEZNS1_11reduce_implILb1ES3_N6thrust23THRUST_200600_302600_NS17counting_iteratorIfNS8_11hip_rocprim3tagENS8_11use_defaultESC_EEPffNS8_4plusIfEEEE10hipError_tPvRmT1_T2_T3_mT4_P12ihipStream_tbEUlT_E1_NS1_11comp_targetILNS1_3genE2ELNS1_11target_archE906ELNS1_3gpuE6ELNS1_3repE0EEENS1_30default_config_static_selectorELNS0_4arch9wavefront6targetE1EEEvSK_,comdat
	.protected	_ZN7rocprim17ROCPRIM_400000_NS6detail17trampoline_kernelINS0_14default_configENS1_22reduce_config_selectorIfEEZNS1_11reduce_implILb1ES3_N6thrust23THRUST_200600_302600_NS17counting_iteratorIfNS8_11hip_rocprim3tagENS8_11use_defaultESC_EEPffNS8_4plusIfEEEE10hipError_tPvRmT1_T2_T3_mT4_P12ihipStream_tbEUlT_E1_NS1_11comp_targetILNS1_3genE2ELNS1_11target_archE906ELNS1_3gpuE6ELNS1_3repE0EEENS1_30default_config_static_selectorELNS0_4arch9wavefront6targetE1EEEvSK_ ; -- Begin function _ZN7rocprim17ROCPRIM_400000_NS6detail17trampoline_kernelINS0_14default_configENS1_22reduce_config_selectorIfEEZNS1_11reduce_implILb1ES3_N6thrust23THRUST_200600_302600_NS17counting_iteratorIfNS8_11hip_rocprim3tagENS8_11use_defaultESC_EEPffNS8_4plusIfEEEE10hipError_tPvRmT1_T2_T3_mT4_P12ihipStream_tbEUlT_E1_NS1_11comp_targetILNS1_3genE2ELNS1_11target_archE906ELNS1_3gpuE6ELNS1_3repE0EEENS1_30default_config_static_selectorELNS0_4arch9wavefront6targetE1EEEvSK_
	.globl	_ZN7rocprim17ROCPRIM_400000_NS6detail17trampoline_kernelINS0_14default_configENS1_22reduce_config_selectorIfEEZNS1_11reduce_implILb1ES3_N6thrust23THRUST_200600_302600_NS17counting_iteratorIfNS8_11hip_rocprim3tagENS8_11use_defaultESC_EEPffNS8_4plusIfEEEE10hipError_tPvRmT1_T2_T3_mT4_P12ihipStream_tbEUlT_E1_NS1_11comp_targetILNS1_3genE2ELNS1_11target_archE906ELNS1_3gpuE6ELNS1_3repE0EEENS1_30default_config_static_selectorELNS0_4arch9wavefront6targetE1EEEvSK_
	.p2align	8
	.type	_ZN7rocprim17ROCPRIM_400000_NS6detail17trampoline_kernelINS0_14default_configENS1_22reduce_config_selectorIfEEZNS1_11reduce_implILb1ES3_N6thrust23THRUST_200600_302600_NS17counting_iteratorIfNS8_11hip_rocprim3tagENS8_11use_defaultESC_EEPffNS8_4plusIfEEEE10hipError_tPvRmT1_T2_T3_mT4_P12ihipStream_tbEUlT_E1_NS1_11comp_targetILNS1_3genE2ELNS1_11target_archE906ELNS1_3gpuE6ELNS1_3repE0EEENS1_30default_config_static_selectorELNS0_4arch9wavefront6targetE1EEEvSK_,@function
_ZN7rocprim17ROCPRIM_400000_NS6detail17trampoline_kernelINS0_14default_configENS1_22reduce_config_selectorIfEEZNS1_11reduce_implILb1ES3_N6thrust23THRUST_200600_302600_NS17counting_iteratorIfNS8_11hip_rocprim3tagENS8_11use_defaultESC_EEPffNS8_4plusIfEEEE10hipError_tPvRmT1_T2_T3_mT4_P12ihipStream_tbEUlT_E1_NS1_11comp_targetILNS1_3genE2ELNS1_11target_archE906ELNS1_3gpuE6ELNS1_3repE0EEENS1_30default_config_static_selectorELNS0_4arch9wavefront6targetE1EEEvSK_: ; @_ZN7rocprim17ROCPRIM_400000_NS6detail17trampoline_kernelINS0_14default_configENS1_22reduce_config_selectorIfEEZNS1_11reduce_implILb1ES3_N6thrust23THRUST_200600_302600_NS17counting_iteratorIfNS8_11hip_rocprim3tagENS8_11use_defaultESC_EEPffNS8_4plusIfEEEE10hipError_tPvRmT1_T2_T3_mT4_P12ihipStream_tbEUlT_E1_NS1_11comp_targetILNS1_3genE2ELNS1_11target_archE906ELNS1_3gpuE6ELNS1_3repE0EEENS1_30default_config_static_selectorELNS0_4arch9wavefront6targetE1EEEvSK_
; %bb.0:
	.section	.rodata,"a",@progbits
	.p2align	6, 0x0
	.amdhsa_kernel _ZN7rocprim17ROCPRIM_400000_NS6detail17trampoline_kernelINS0_14default_configENS1_22reduce_config_selectorIfEEZNS1_11reduce_implILb1ES3_N6thrust23THRUST_200600_302600_NS17counting_iteratorIfNS8_11hip_rocprim3tagENS8_11use_defaultESC_EEPffNS8_4plusIfEEEE10hipError_tPvRmT1_T2_T3_mT4_P12ihipStream_tbEUlT_E1_NS1_11comp_targetILNS1_3genE2ELNS1_11target_archE906ELNS1_3gpuE6ELNS1_3repE0EEENS1_30default_config_static_selectorELNS0_4arch9wavefront6targetE1EEEvSK_
		.amdhsa_group_segment_fixed_size 0
		.amdhsa_private_segment_fixed_size 0
		.amdhsa_kernarg_size 40
		.amdhsa_user_sgpr_count 2
		.amdhsa_user_sgpr_dispatch_ptr 0
		.amdhsa_user_sgpr_queue_ptr 0
		.amdhsa_user_sgpr_kernarg_segment_ptr 1
		.amdhsa_user_sgpr_dispatch_id 0
		.amdhsa_user_sgpr_kernarg_preload_length 0
		.amdhsa_user_sgpr_kernarg_preload_offset 0
		.amdhsa_user_sgpr_private_segment_size 0
		.amdhsa_uses_dynamic_stack 0
		.amdhsa_enable_private_segment 0
		.amdhsa_system_sgpr_workgroup_id_x 1
		.amdhsa_system_sgpr_workgroup_id_y 0
		.amdhsa_system_sgpr_workgroup_id_z 0
		.amdhsa_system_sgpr_workgroup_info 0
		.amdhsa_system_vgpr_workitem_id 0
		.amdhsa_next_free_vgpr 1
		.amdhsa_next_free_sgpr 0
		.amdhsa_accum_offset 4
		.amdhsa_reserve_vcc 0
		.amdhsa_float_round_mode_32 0
		.amdhsa_float_round_mode_16_64 0
		.amdhsa_float_denorm_mode_32 3
		.amdhsa_float_denorm_mode_16_64 3
		.amdhsa_dx10_clamp 1
		.amdhsa_ieee_mode 1
		.amdhsa_fp16_overflow 0
		.amdhsa_tg_split 0
		.amdhsa_exception_fp_ieee_invalid_op 0
		.amdhsa_exception_fp_denorm_src 0
		.amdhsa_exception_fp_ieee_div_zero 0
		.amdhsa_exception_fp_ieee_overflow 0
		.amdhsa_exception_fp_ieee_underflow 0
		.amdhsa_exception_fp_ieee_inexact 0
		.amdhsa_exception_int_div_zero 0
	.end_amdhsa_kernel
	.section	.text._ZN7rocprim17ROCPRIM_400000_NS6detail17trampoline_kernelINS0_14default_configENS1_22reduce_config_selectorIfEEZNS1_11reduce_implILb1ES3_N6thrust23THRUST_200600_302600_NS17counting_iteratorIfNS8_11hip_rocprim3tagENS8_11use_defaultESC_EEPffNS8_4plusIfEEEE10hipError_tPvRmT1_T2_T3_mT4_P12ihipStream_tbEUlT_E1_NS1_11comp_targetILNS1_3genE2ELNS1_11target_archE906ELNS1_3gpuE6ELNS1_3repE0EEENS1_30default_config_static_selectorELNS0_4arch9wavefront6targetE1EEEvSK_,"axG",@progbits,_ZN7rocprim17ROCPRIM_400000_NS6detail17trampoline_kernelINS0_14default_configENS1_22reduce_config_selectorIfEEZNS1_11reduce_implILb1ES3_N6thrust23THRUST_200600_302600_NS17counting_iteratorIfNS8_11hip_rocprim3tagENS8_11use_defaultESC_EEPffNS8_4plusIfEEEE10hipError_tPvRmT1_T2_T3_mT4_P12ihipStream_tbEUlT_E1_NS1_11comp_targetILNS1_3genE2ELNS1_11target_archE906ELNS1_3gpuE6ELNS1_3repE0EEENS1_30default_config_static_selectorELNS0_4arch9wavefront6targetE1EEEvSK_,comdat
.Lfunc_end1014:
	.size	_ZN7rocprim17ROCPRIM_400000_NS6detail17trampoline_kernelINS0_14default_configENS1_22reduce_config_selectorIfEEZNS1_11reduce_implILb1ES3_N6thrust23THRUST_200600_302600_NS17counting_iteratorIfNS8_11hip_rocprim3tagENS8_11use_defaultESC_EEPffNS8_4plusIfEEEE10hipError_tPvRmT1_T2_T3_mT4_P12ihipStream_tbEUlT_E1_NS1_11comp_targetILNS1_3genE2ELNS1_11target_archE906ELNS1_3gpuE6ELNS1_3repE0EEENS1_30default_config_static_selectorELNS0_4arch9wavefront6targetE1EEEvSK_, .Lfunc_end1014-_ZN7rocprim17ROCPRIM_400000_NS6detail17trampoline_kernelINS0_14default_configENS1_22reduce_config_selectorIfEEZNS1_11reduce_implILb1ES3_N6thrust23THRUST_200600_302600_NS17counting_iteratorIfNS8_11hip_rocprim3tagENS8_11use_defaultESC_EEPffNS8_4plusIfEEEE10hipError_tPvRmT1_T2_T3_mT4_P12ihipStream_tbEUlT_E1_NS1_11comp_targetILNS1_3genE2ELNS1_11target_archE906ELNS1_3gpuE6ELNS1_3repE0EEENS1_30default_config_static_selectorELNS0_4arch9wavefront6targetE1EEEvSK_
                                        ; -- End function
	.set _ZN7rocprim17ROCPRIM_400000_NS6detail17trampoline_kernelINS0_14default_configENS1_22reduce_config_selectorIfEEZNS1_11reduce_implILb1ES3_N6thrust23THRUST_200600_302600_NS17counting_iteratorIfNS8_11hip_rocprim3tagENS8_11use_defaultESC_EEPffNS8_4plusIfEEEE10hipError_tPvRmT1_T2_T3_mT4_P12ihipStream_tbEUlT_E1_NS1_11comp_targetILNS1_3genE2ELNS1_11target_archE906ELNS1_3gpuE6ELNS1_3repE0EEENS1_30default_config_static_selectorELNS0_4arch9wavefront6targetE1EEEvSK_.num_vgpr, 0
	.set _ZN7rocprim17ROCPRIM_400000_NS6detail17trampoline_kernelINS0_14default_configENS1_22reduce_config_selectorIfEEZNS1_11reduce_implILb1ES3_N6thrust23THRUST_200600_302600_NS17counting_iteratorIfNS8_11hip_rocprim3tagENS8_11use_defaultESC_EEPffNS8_4plusIfEEEE10hipError_tPvRmT1_T2_T3_mT4_P12ihipStream_tbEUlT_E1_NS1_11comp_targetILNS1_3genE2ELNS1_11target_archE906ELNS1_3gpuE6ELNS1_3repE0EEENS1_30default_config_static_selectorELNS0_4arch9wavefront6targetE1EEEvSK_.num_agpr, 0
	.set _ZN7rocprim17ROCPRIM_400000_NS6detail17trampoline_kernelINS0_14default_configENS1_22reduce_config_selectorIfEEZNS1_11reduce_implILb1ES3_N6thrust23THRUST_200600_302600_NS17counting_iteratorIfNS8_11hip_rocprim3tagENS8_11use_defaultESC_EEPffNS8_4plusIfEEEE10hipError_tPvRmT1_T2_T3_mT4_P12ihipStream_tbEUlT_E1_NS1_11comp_targetILNS1_3genE2ELNS1_11target_archE906ELNS1_3gpuE6ELNS1_3repE0EEENS1_30default_config_static_selectorELNS0_4arch9wavefront6targetE1EEEvSK_.numbered_sgpr, 0
	.set _ZN7rocprim17ROCPRIM_400000_NS6detail17trampoline_kernelINS0_14default_configENS1_22reduce_config_selectorIfEEZNS1_11reduce_implILb1ES3_N6thrust23THRUST_200600_302600_NS17counting_iteratorIfNS8_11hip_rocprim3tagENS8_11use_defaultESC_EEPffNS8_4plusIfEEEE10hipError_tPvRmT1_T2_T3_mT4_P12ihipStream_tbEUlT_E1_NS1_11comp_targetILNS1_3genE2ELNS1_11target_archE906ELNS1_3gpuE6ELNS1_3repE0EEENS1_30default_config_static_selectorELNS0_4arch9wavefront6targetE1EEEvSK_.num_named_barrier, 0
	.set _ZN7rocprim17ROCPRIM_400000_NS6detail17trampoline_kernelINS0_14default_configENS1_22reduce_config_selectorIfEEZNS1_11reduce_implILb1ES3_N6thrust23THRUST_200600_302600_NS17counting_iteratorIfNS8_11hip_rocprim3tagENS8_11use_defaultESC_EEPffNS8_4plusIfEEEE10hipError_tPvRmT1_T2_T3_mT4_P12ihipStream_tbEUlT_E1_NS1_11comp_targetILNS1_3genE2ELNS1_11target_archE906ELNS1_3gpuE6ELNS1_3repE0EEENS1_30default_config_static_selectorELNS0_4arch9wavefront6targetE1EEEvSK_.private_seg_size, 0
	.set _ZN7rocprim17ROCPRIM_400000_NS6detail17trampoline_kernelINS0_14default_configENS1_22reduce_config_selectorIfEEZNS1_11reduce_implILb1ES3_N6thrust23THRUST_200600_302600_NS17counting_iteratorIfNS8_11hip_rocprim3tagENS8_11use_defaultESC_EEPffNS8_4plusIfEEEE10hipError_tPvRmT1_T2_T3_mT4_P12ihipStream_tbEUlT_E1_NS1_11comp_targetILNS1_3genE2ELNS1_11target_archE906ELNS1_3gpuE6ELNS1_3repE0EEENS1_30default_config_static_selectorELNS0_4arch9wavefront6targetE1EEEvSK_.uses_vcc, 0
	.set _ZN7rocprim17ROCPRIM_400000_NS6detail17trampoline_kernelINS0_14default_configENS1_22reduce_config_selectorIfEEZNS1_11reduce_implILb1ES3_N6thrust23THRUST_200600_302600_NS17counting_iteratorIfNS8_11hip_rocprim3tagENS8_11use_defaultESC_EEPffNS8_4plusIfEEEE10hipError_tPvRmT1_T2_T3_mT4_P12ihipStream_tbEUlT_E1_NS1_11comp_targetILNS1_3genE2ELNS1_11target_archE906ELNS1_3gpuE6ELNS1_3repE0EEENS1_30default_config_static_selectorELNS0_4arch9wavefront6targetE1EEEvSK_.uses_flat_scratch, 0
	.set _ZN7rocprim17ROCPRIM_400000_NS6detail17trampoline_kernelINS0_14default_configENS1_22reduce_config_selectorIfEEZNS1_11reduce_implILb1ES3_N6thrust23THRUST_200600_302600_NS17counting_iteratorIfNS8_11hip_rocprim3tagENS8_11use_defaultESC_EEPffNS8_4plusIfEEEE10hipError_tPvRmT1_T2_T3_mT4_P12ihipStream_tbEUlT_E1_NS1_11comp_targetILNS1_3genE2ELNS1_11target_archE906ELNS1_3gpuE6ELNS1_3repE0EEENS1_30default_config_static_selectorELNS0_4arch9wavefront6targetE1EEEvSK_.has_dyn_sized_stack, 0
	.set _ZN7rocprim17ROCPRIM_400000_NS6detail17trampoline_kernelINS0_14default_configENS1_22reduce_config_selectorIfEEZNS1_11reduce_implILb1ES3_N6thrust23THRUST_200600_302600_NS17counting_iteratorIfNS8_11hip_rocprim3tagENS8_11use_defaultESC_EEPffNS8_4plusIfEEEE10hipError_tPvRmT1_T2_T3_mT4_P12ihipStream_tbEUlT_E1_NS1_11comp_targetILNS1_3genE2ELNS1_11target_archE906ELNS1_3gpuE6ELNS1_3repE0EEENS1_30default_config_static_selectorELNS0_4arch9wavefront6targetE1EEEvSK_.has_recursion, 0
	.set _ZN7rocprim17ROCPRIM_400000_NS6detail17trampoline_kernelINS0_14default_configENS1_22reduce_config_selectorIfEEZNS1_11reduce_implILb1ES3_N6thrust23THRUST_200600_302600_NS17counting_iteratorIfNS8_11hip_rocprim3tagENS8_11use_defaultESC_EEPffNS8_4plusIfEEEE10hipError_tPvRmT1_T2_T3_mT4_P12ihipStream_tbEUlT_E1_NS1_11comp_targetILNS1_3genE2ELNS1_11target_archE906ELNS1_3gpuE6ELNS1_3repE0EEENS1_30default_config_static_selectorELNS0_4arch9wavefront6targetE1EEEvSK_.has_indirect_call, 0
	.section	.AMDGPU.csdata,"",@progbits
; Kernel info:
; codeLenInByte = 0
; TotalNumSgprs: 6
; NumVgprs: 0
; NumAgprs: 0
; TotalNumVgprs: 0
; ScratchSize: 0
; MemoryBound: 0
; FloatMode: 240
; IeeeMode: 1
; LDSByteSize: 0 bytes/workgroup (compile time only)
; SGPRBlocks: 0
; VGPRBlocks: 0
; NumSGPRsForWavesPerEU: 6
; NumVGPRsForWavesPerEU: 1
; AccumOffset: 4
; Occupancy: 8
; WaveLimiterHint : 0
; COMPUTE_PGM_RSRC2:SCRATCH_EN: 0
; COMPUTE_PGM_RSRC2:USER_SGPR: 2
; COMPUTE_PGM_RSRC2:TRAP_HANDLER: 0
; COMPUTE_PGM_RSRC2:TGID_X_EN: 1
; COMPUTE_PGM_RSRC2:TGID_Y_EN: 0
; COMPUTE_PGM_RSRC2:TGID_Z_EN: 0
; COMPUTE_PGM_RSRC2:TIDIG_COMP_CNT: 0
; COMPUTE_PGM_RSRC3_GFX90A:ACCUM_OFFSET: 0
; COMPUTE_PGM_RSRC3_GFX90A:TG_SPLIT: 0
	.section	.text._ZN7rocprim17ROCPRIM_400000_NS6detail17trampoline_kernelINS0_14default_configENS1_22reduce_config_selectorIfEEZNS1_11reduce_implILb1ES3_N6thrust23THRUST_200600_302600_NS17counting_iteratorIfNS8_11hip_rocprim3tagENS8_11use_defaultESC_EEPffNS8_4plusIfEEEE10hipError_tPvRmT1_T2_T3_mT4_P12ihipStream_tbEUlT_E1_NS1_11comp_targetILNS1_3genE10ELNS1_11target_archE1201ELNS1_3gpuE5ELNS1_3repE0EEENS1_30default_config_static_selectorELNS0_4arch9wavefront6targetE1EEEvSK_,"axG",@progbits,_ZN7rocprim17ROCPRIM_400000_NS6detail17trampoline_kernelINS0_14default_configENS1_22reduce_config_selectorIfEEZNS1_11reduce_implILb1ES3_N6thrust23THRUST_200600_302600_NS17counting_iteratorIfNS8_11hip_rocprim3tagENS8_11use_defaultESC_EEPffNS8_4plusIfEEEE10hipError_tPvRmT1_T2_T3_mT4_P12ihipStream_tbEUlT_E1_NS1_11comp_targetILNS1_3genE10ELNS1_11target_archE1201ELNS1_3gpuE5ELNS1_3repE0EEENS1_30default_config_static_selectorELNS0_4arch9wavefront6targetE1EEEvSK_,comdat
	.protected	_ZN7rocprim17ROCPRIM_400000_NS6detail17trampoline_kernelINS0_14default_configENS1_22reduce_config_selectorIfEEZNS1_11reduce_implILb1ES3_N6thrust23THRUST_200600_302600_NS17counting_iteratorIfNS8_11hip_rocprim3tagENS8_11use_defaultESC_EEPffNS8_4plusIfEEEE10hipError_tPvRmT1_T2_T3_mT4_P12ihipStream_tbEUlT_E1_NS1_11comp_targetILNS1_3genE10ELNS1_11target_archE1201ELNS1_3gpuE5ELNS1_3repE0EEENS1_30default_config_static_selectorELNS0_4arch9wavefront6targetE1EEEvSK_ ; -- Begin function _ZN7rocprim17ROCPRIM_400000_NS6detail17trampoline_kernelINS0_14default_configENS1_22reduce_config_selectorIfEEZNS1_11reduce_implILb1ES3_N6thrust23THRUST_200600_302600_NS17counting_iteratorIfNS8_11hip_rocprim3tagENS8_11use_defaultESC_EEPffNS8_4plusIfEEEE10hipError_tPvRmT1_T2_T3_mT4_P12ihipStream_tbEUlT_E1_NS1_11comp_targetILNS1_3genE10ELNS1_11target_archE1201ELNS1_3gpuE5ELNS1_3repE0EEENS1_30default_config_static_selectorELNS0_4arch9wavefront6targetE1EEEvSK_
	.globl	_ZN7rocprim17ROCPRIM_400000_NS6detail17trampoline_kernelINS0_14default_configENS1_22reduce_config_selectorIfEEZNS1_11reduce_implILb1ES3_N6thrust23THRUST_200600_302600_NS17counting_iteratorIfNS8_11hip_rocprim3tagENS8_11use_defaultESC_EEPffNS8_4plusIfEEEE10hipError_tPvRmT1_T2_T3_mT4_P12ihipStream_tbEUlT_E1_NS1_11comp_targetILNS1_3genE10ELNS1_11target_archE1201ELNS1_3gpuE5ELNS1_3repE0EEENS1_30default_config_static_selectorELNS0_4arch9wavefront6targetE1EEEvSK_
	.p2align	8
	.type	_ZN7rocprim17ROCPRIM_400000_NS6detail17trampoline_kernelINS0_14default_configENS1_22reduce_config_selectorIfEEZNS1_11reduce_implILb1ES3_N6thrust23THRUST_200600_302600_NS17counting_iteratorIfNS8_11hip_rocprim3tagENS8_11use_defaultESC_EEPffNS8_4plusIfEEEE10hipError_tPvRmT1_T2_T3_mT4_P12ihipStream_tbEUlT_E1_NS1_11comp_targetILNS1_3genE10ELNS1_11target_archE1201ELNS1_3gpuE5ELNS1_3repE0EEENS1_30default_config_static_selectorELNS0_4arch9wavefront6targetE1EEEvSK_,@function
_ZN7rocprim17ROCPRIM_400000_NS6detail17trampoline_kernelINS0_14default_configENS1_22reduce_config_selectorIfEEZNS1_11reduce_implILb1ES3_N6thrust23THRUST_200600_302600_NS17counting_iteratorIfNS8_11hip_rocprim3tagENS8_11use_defaultESC_EEPffNS8_4plusIfEEEE10hipError_tPvRmT1_T2_T3_mT4_P12ihipStream_tbEUlT_E1_NS1_11comp_targetILNS1_3genE10ELNS1_11target_archE1201ELNS1_3gpuE5ELNS1_3repE0EEENS1_30default_config_static_selectorELNS0_4arch9wavefront6targetE1EEEvSK_: ; @_ZN7rocprim17ROCPRIM_400000_NS6detail17trampoline_kernelINS0_14default_configENS1_22reduce_config_selectorIfEEZNS1_11reduce_implILb1ES3_N6thrust23THRUST_200600_302600_NS17counting_iteratorIfNS8_11hip_rocprim3tagENS8_11use_defaultESC_EEPffNS8_4plusIfEEEE10hipError_tPvRmT1_T2_T3_mT4_P12ihipStream_tbEUlT_E1_NS1_11comp_targetILNS1_3genE10ELNS1_11target_archE1201ELNS1_3gpuE5ELNS1_3repE0EEENS1_30default_config_static_selectorELNS0_4arch9wavefront6targetE1EEEvSK_
; %bb.0:
	.section	.rodata,"a",@progbits
	.p2align	6, 0x0
	.amdhsa_kernel _ZN7rocprim17ROCPRIM_400000_NS6detail17trampoline_kernelINS0_14default_configENS1_22reduce_config_selectorIfEEZNS1_11reduce_implILb1ES3_N6thrust23THRUST_200600_302600_NS17counting_iteratorIfNS8_11hip_rocprim3tagENS8_11use_defaultESC_EEPffNS8_4plusIfEEEE10hipError_tPvRmT1_T2_T3_mT4_P12ihipStream_tbEUlT_E1_NS1_11comp_targetILNS1_3genE10ELNS1_11target_archE1201ELNS1_3gpuE5ELNS1_3repE0EEENS1_30default_config_static_selectorELNS0_4arch9wavefront6targetE1EEEvSK_
		.amdhsa_group_segment_fixed_size 0
		.amdhsa_private_segment_fixed_size 0
		.amdhsa_kernarg_size 40
		.amdhsa_user_sgpr_count 2
		.amdhsa_user_sgpr_dispatch_ptr 0
		.amdhsa_user_sgpr_queue_ptr 0
		.amdhsa_user_sgpr_kernarg_segment_ptr 1
		.amdhsa_user_sgpr_dispatch_id 0
		.amdhsa_user_sgpr_kernarg_preload_length 0
		.amdhsa_user_sgpr_kernarg_preload_offset 0
		.amdhsa_user_sgpr_private_segment_size 0
		.amdhsa_uses_dynamic_stack 0
		.amdhsa_enable_private_segment 0
		.amdhsa_system_sgpr_workgroup_id_x 1
		.amdhsa_system_sgpr_workgroup_id_y 0
		.amdhsa_system_sgpr_workgroup_id_z 0
		.amdhsa_system_sgpr_workgroup_info 0
		.amdhsa_system_vgpr_workitem_id 0
		.amdhsa_next_free_vgpr 1
		.amdhsa_next_free_sgpr 0
		.amdhsa_accum_offset 4
		.amdhsa_reserve_vcc 0
		.amdhsa_float_round_mode_32 0
		.amdhsa_float_round_mode_16_64 0
		.amdhsa_float_denorm_mode_32 3
		.amdhsa_float_denorm_mode_16_64 3
		.amdhsa_dx10_clamp 1
		.amdhsa_ieee_mode 1
		.amdhsa_fp16_overflow 0
		.amdhsa_tg_split 0
		.amdhsa_exception_fp_ieee_invalid_op 0
		.amdhsa_exception_fp_denorm_src 0
		.amdhsa_exception_fp_ieee_div_zero 0
		.amdhsa_exception_fp_ieee_overflow 0
		.amdhsa_exception_fp_ieee_underflow 0
		.amdhsa_exception_fp_ieee_inexact 0
		.amdhsa_exception_int_div_zero 0
	.end_amdhsa_kernel
	.section	.text._ZN7rocprim17ROCPRIM_400000_NS6detail17trampoline_kernelINS0_14default_configENS1_22reduce_config_selectorIfEEZNS1_11reduce_implILb1ES3_N6thrust23THRUST_200600_302600_NS17counting_iteratorIfNS8_11hip_rocprim3tagENS8_11use_defaultESC_EEPffNS8_4plusIfEEEE10hipError_tPvRmT1_T2_T3_mT4_P12ihipStream_tbEUlT_E1_NS1_11comp_targetILNS1_3genE10ELNS1_11target_archE1201ELNS1_3gpuE5ELNS1_3repE0EEENS1_30default_config_static_selectorELNS0_4arch9wavefront6targetE1EEEvSK_,"axG",@progbits,_ZN7rocprim17ROCPRIM_400000_NS6detail17trampoline_kernelINS0_14default_configENS1_22reduce_config_selectorIfEEZNS1_11reduce_implILb1ES3_N6thrust23THRUST_200600_302600_NS17counting_iteratorIfNS8_11hip_rocprim3tagENS8_11use_defaultESC_EEPffNS8_4plusIfEEEE10hipError_tPvRmT1_T2_T3_mT4_P12ihipStream_tbEUlT_E1_NS1_11comp_targetILNS1_3genE10ELNS1_11target_archE1201ELNS1_3gpuE5ELNS1_3repE0EEENS1_30default_config_static_selectorELNS0_4arch9wavefront6targetE1EEEvSK_,comdat
.Lfunc_end1015:
	.size	_ZN7rocprim17ROCPRIM_400000_NS6detail17trampoline_kernelINS0_14default_configENS1_22reduce_config_selectorIfEEZNS1_11reduce_implILb1ES3_N6thrust23THRUST_200600_302600_NS17counting_iteratorIfNS8_11hip_rocprim3tagENS8_11use_defaultESC_EEPffNS8_4plusIfEEEE10hipError_tPvRmT1_T2_T3_mT4_P12ihipStream_tbEUlT_E1_NS1_11comp_targetILNS1_3genE10ELNS1_11target_archE1201ELNS1_3gpuE5ELNS1_3repE0EEENS1_30default_config_static_selectorELNS0_4arch9wavefront6targetE1EEEvSK_, .Lfunc_end1015-_ZN7rocprim17ROCPRIM_400000_NS6detail17trampoline_kernelINS0_14default_configENS1_22reduce_config_selectorIfEEZNS1_11reduce_implILb1ES3_N6thrust23THRUST_200600_302600_NS17counting_iteratorIfNS8_11hip_rocprim3tagENS8_11use_defaultESC_EEPffNS8_4plusIfEEEE10hipError_tPvRmT1_T2_T3_mT4_P12ihipStream_tbEUlT_E1_NS1_11comp_targetILNS1_3genE10ELNS1_11target_archE1201ELNS1_3gpuE5ELNS1_3repE0EEENS1_30default_config_static_selectorELNS0_4arch9wavefront6targetE1EEEvSK_
                                        ; -- End function
	.set _ZN7rocprim17ROCPRIM_400000_NS6detail17trampoline_kernelINS0_14default_configENS1_22reduce_config_selectorIfEEZNS1_11reduce_implILb1ES3_N6thrust23THRUST_200600_302600_NS17counting_iteratorIfNS8_11hip_rocprim3tagENS8_11use_defaultESC_EEPffNS8_4plusIfEEEE10hipError_tPvRmT1_T2_T3_mT4_P12ihipStream_tbEUlT_E1_NS1_11comp_targetILNS1_3genE10ELNS1_11target_archE1201ELNS1_3gpuE5ELNS1_3repE0EEENS1_30default_config_static_selectorELNS0_4arch9wavefront6targetE1EEEvSK_.num_vgpr, 0
	.set _ZN7rocprim17ROCPRIM_400000_NS6detail17trampoline_kernelINS0_14default_configENS1_22reduce_config_selectorIfEEZNS1_11reduce_implILb1ES3_N6thrust23THRUST_200600_302600_NS17counting_iteratorIfNS8_11hip_rocprim3tagENS8_11use_defaultESC_EEPffNS8_4plusIfEEEE10hipError_tPvRmT1_T2_T3_mT4_P12ihipStream_tbEUlT_E1_NS1_11comp_targetILNS1_3genE10ELNS1_11target_archE1201ELNS1_3gpuE5ELNS1_3repE0EEENS1_30default_config_static_selectorELNS0_4arch9wavefront6targetE1EEEvSK_.num_agpr, 0
	.set _ZN7rocprim17ROCPRIM_400000_NS6detail17trampoline_kernelINS0_14default_configENS1_22reduce_config_selectorIfEEZNS1_11reduce_implILb1ES3_N6thrust23THRUST_200600_302600_NS17counting_iteratorIfNS8_11hip_rocprim3tagENS8_11use_defaultESC_EEPffNS8_4plusIfEEEE10hipError_tPvRmT1_T2_T3_mT4_P12ihipStream_tbEUlT_E1_NS1_11comp_targetILNS1_3genE10ELNS1_11target_archE1201ELNS1_3gpuE5ELNS1_3repE0EEENS1_30default_config_static_selectorELNS0_4arch9wavefront6targetE1EEEvSK_.numbered_sgpr, 0
	.set _ZN7rocprim17ROCPRIM_400000_NS6detail17trampoline_kernelINS0_14default_configENS1_22reduce_config_selectorIfEEZNS1_11reduce_implILb1ES3_N6thrust23THRUST_200600_302600_NS17counting_iteratorIfNS8_11hip_rocprim3tagENS8_11use_defaultESC_EEPffNS8_4plusIfEEEE10hipError_tPvRmT1_T2_T3_mT4_P12ihipStream_tbEUlT_E1_NS1_11comp_targetILNS1_3genE10ELNS1_11target_archE1201ELNS1_3gpuE5ELNS1_3repE0EEENS1_30default_config_static_selectorELNS0_4arch9wavefront6targetE1EEEvSK_.num_named_barrier, 0
	.set _ZN7rocprim17ROCPRIM_400000_NS6detail17trampoline_kernelINS0_14default_configENS1_22reduce_config_selectorIfEEZNS1_11reduce_implILb1ES3_N6thrust23THRUST_200600_302600_NS17counting_iteratorIfNS8_11hip_rocprim3tagENS8_11use_defaultESC_EEPffNS8_4plusIfEEEE10hipError_tPvRmT1_T2_T3_mT4_P12ihipStream_tbEUlT_E1_NS1_11comp_targetILNS1_3genE10ELNS1_11target_archE1201ELNS1_3gpuE5ELNS1_3repE0EEENS1_30default_config_static_selectorELNS0_4arch9wavefront6targetE1EEEvSK_.private_seg_size, 0
	.set _ZN7rocprim17ROCPRIM_400000_NS6detail17trampoline_kernelINS0_14default_configENS1_22reduce_config_selectorIfEEZNS1_11reduce_implILb1ES3_N6thrust23THRUST_200600_302600_NS17counting_iteratorIfNS8_11hip_rocprim3tagENS8_11use_defaultESC_EEPffNS8_4plusIfEEEE10hipError_tPvRmT1_T2_T3_mT4_P12ihipStream_tbEUlT_E1_NS1_11comp_targetILNS1_3genE10ELNS1_11target_archE1201ELNS1_3gpuE5ELNS1_3repE0EEENS1_30default_config_static_selectorELNS0_4arch9wavefront6targetE1EEEvSK_.uses_vcc, 0
	.set _ZN7rocprim17ROCPRIM_400000_NS6detail17trampoline_kernelINS0_14default_configENS1_22reduce_config_selectorIfEEZNS1_11reduce_implILb1ES3_N6thrust23THRUST_200600_302600_NS17counting_iteratorIfNS8_11hip_rocprim3tagENS8_11use_defaultESC_EEPffNS8_4plusIfEEEE10hipError_tPvRmT1_T2_T3_mT4_P12ihipStream_tbEUlT_E1_NS1_11comp_targetILNS1_3genE10ELNS1_11target_archE1201ELNS1_3gpuE5ELNS1_3repE0EEENS1_30default_config_static_selectorELNS0_4arch9wavefront6targetE1EEEvSK_.uses_flat_scratch, 0
	.set _ZN7rocprim17ROCPRIM_400000_NS6detail17trampoline_kernelINS0_14default_configENS1_22reduce_config_selectorIfEEZNS1_11reduce_implILb1ES3_N6thrust23THRUST_200600_302600_NS17counting_iteratorIfNS8_11hip_rocprim3tagENS8_11use_defaultESC_EEPffNS8_4plusIfEEEE10hipError_tPvRmT1_T2_T3_mT4_P12ihipStream_tbEUlT_E1_NS1_11comp_targetILNS1_3genE10ELNS1_11target_archE1201ELNS1_3gpuE5ELNS1_3repE0EEENS1_30default_config_static_selectorELNS0_4arch9wavefront6targetE1EEEvSK_.has_dyn_sized_stack, 0
	.set _ZN7rocprim17ROCPRIM_400000_NS6detail17trampoline_kernelINS0_14default_configENS1_22reduce_config_selectorIfEEZNS1_11reduce_implILb1ES3_N6thrust23THRUST_200600_302600_NS17counting_iteratorIfNS8_11hip_rocprim3tagENS8_11use_defaultESC_EEPffNS8_4plusIfEEEE10hipError_tPvRmT1_T2_T3_mT4_P12ihipStream_tbEUlT_E1_NS1_11comp_targetILNS1_3genE10ELNS1_11target_archE1201ELNS1_3gpuE5ELNS1_3repE0EEENS1_30default_config_static_selectorELNS0_4arch9wavefront6targetE1EEEvSK_.has_recursion, 0
	.set _ZN7rocprim17ROCPRIM_400000_NS6detail17trampoline_kernelINS0_14default_configENS1_22reduce_config_selectorIfEEZNS1_11reduce_implILb1ES3_N6thrust23THRUST_200600_302600_NS17counting_iteratorIfNS8_11hip_rocprim3tagENS8_11use_defaultESC_EEPffNS8_4plusIfEEEE10hipError_tPvRmT1_T2_T3_mT4_P12ihipStream_tbEUlT_E1_NS1_11comp_targetILNS1_3genE10ELNS1_11target_archE1201ELNS1_3gpuE5ELNS1_3repE0EEENS1_30default_config_static_selectorELNS0_4arch9wavefront6targetE1EEEvSK_.has_indirect_call, 0
	.section	.AMDGPU.csdata,"",@progbits
; Kernel info:
; codeLenInByte = 0
; TotalNumSgprs: 6
; NumVgprs: 0
; NumAgprs: 0
; TotalNumVgprs: 0
; ScratchSize: 0
; MemoryBound: 0
; FloatMode: 240
; IeeeMode: 1
; LDSByteSize: 0 bytes/workgroup (compile time only)
; SGPRBlocks: 0
; VGPRBlocks: 0
; NumSGPRsForWavesPerEU: 6
; NumVGPRsForWavesPerEU: 1
; AccumOffset: 4
; Occupancy: 8
; WaveLimiterHint : 0
; COMPUTE_PGM_RSRC2:SCRATCH_EN: 0
; COMPUTE_PGM_RSRC2:USER_SGPR: 2
; COMPUTE_PGM_RSRC2:TRAP_HANDLER: 0
; COMPUTE_PGM_RSRC2:TGID_X_EN: 1
; COMPUTE_PGM_RSRC2:TGID_Y_EN: 0
; COMPUTE_PGM_RSRC2:TGID_Z_EN: 0
; COMPUTE_PGM_RSRC2:TIDIG_COMP_CNT: 0
; COMPUTE_PGM_RSRC3_GFX90A:ACCUM_OFFSET: 0
; COMPUTE_PGM_RSRC3_GFX90A:TG_SPLIT: 0
	.section	.text._ZN7rocprim17ROCPRIM_400000_NS6detail17trampoline_kernelINS0_14default_configENS1_22reduce_config_selectorIfEEZNS1_11reduce_implILb1ES3_N6thrust23THRUST_200600_302600_NS17counting_iteratorIfNS8_11hip_rocprim3tagENS8_11use_defaultESC_EEPffNS8_4plusIfEEEE10hipError_tPvRmT1_T2_T3_mT4_P12ihipStream_tbEUlT_E1_NS1_11comp_targetILNS1_3genE10ELNS1_11target_archE1200ELNS1_3gpuE4ELNS1_3repE0EEENS1_30default_config_static_selectorELNS0_4arch9wavefront6targetE1EEEvSK_,"axG",@progbits,_ZN7rocprim17ROCPRIM_400000_NS6detail17trampoline_kernelINS0_14default_configENS1_22reduce_config_selectorIfEEZNS1_11reduce_implILb1ES3_N6thrust23THRUST_200600_302600_NS17counting_iteratorIfNS8_11hip_rocprim3tagENS8_11use_defaultESC_EEPffNS8_4plusIfEEEE10hipError_tPvRmT1_T2_T3_mT4_P12ihipStream_tbEUlT_E1_NS1_11comp_targetILNS1_3genE10ELNS1_11target_archE1200ELNS1_3gpuE4ELNS1_3repE0EEENS1_30default_config_static_selectorELNS0_4arch9wavefront6targetE1EEEvSK_,comdat
	.protected	_ZN7rocprim17ROCPRIM_400000_NS6detail17trampoline_kernelINS0_14default_configENS1_22reduce_config_selectorIfEEZNS1_11reduce_implILb1ES3_N6thrust23THRUST_200600_302600_NS17counting_iteratorIfNS8_11hip_rocprim3tagENS8_11use_defaultESC_EEPffNS8_4plusIfEEEE10hipError_tPvRmT1_T2_T3_mT4_P12ihipStream_tbEUlT_E1_NS1_11comp_targetILNS1_3genE10ELNS1_11target_archE1200ELNS1_3gpuE4ELNS1_3repE0EEENS1_30default_config_static_selectorELNS0_4arch9wavefront6targetE1EEEvSK_ ; -- Begin function _ZN7rocprim17ROCPRIM_400000_NS6detail17trampoline_kernelINS0_14default_configENS1_22reduce_config_selectorIfEEZNS1_11reduce_implILb1ES3_N6thrust23THRUST_200600_302600_NS17counting_iteratorIfNS8_11hip_rocprim3tagENS8_11use_defaultESC_EEPffNS8_4plusIfEEEE10hipError_tPvRmT1_T2_T3_mT4_P12ihipStream_tbEUlT_E1_NS1_11comp_targetILNS1_3genE10ELNS1_11target_archE1200ELNS1_3gpuE4ELNS1_3repE0EEENS1_30default_config_static_selectorELNS0_4arch9wavefront6targetE1EEEvSK_
	.globl	_ZN7rocprim17ROCPRIM_400000_NS6detail17trampoline_kernelINS0_14default_configENS1_22reduce_config_selectorIfEEZNS1_11reduce_implILb1ES3_N6thrust23THRUST_200600_302600_NS17counting_iteratorIfNS8_11hip_rocprim3tagENS8_11use_defaultESC_EEPffNS8_4plusIfEEEE10hipError_tPvRmT1_T2_T3_mT4_P12ihipStream_tbEUlT_E1_NS1_11comp_targetILNS1_3genE10ELNS1_11target_archE1200ELNS1_3gpuE4ELNS1_3repE0EEENS1_30default_config_static_selectorELNS0_4arch9wavefront6targetE1EEEvSK_
	.p2align	8
	.type	_ZN7rocprim17ROCPRIM_400000_NS6detail17trampoline_kernelINS0_14default_configENS1_22reduce_config_selectorIfEEZNS1_11reduce_implILb1ES3_N6thrust23THRUST_200600_302600_NS17counting_iteratorIfNS8_11hip_rocprim3tagENS8_11use_defaultESC_EEPffNS8_4plusIfEEEE10hipError_tPvRmT1_T2_T3_mT4_P12ihipStream_tbEUlT_E1_NS1_11comp_targetILNS1_3genE10ELNS1_11target_archE1200ELNS1_3gpuE4ELNS1_3repE0EEENS1_30default_config_static_selectorELNS0_4arch9wavefront6targetE1EEEvSK_,@function
_ZN7rocprim17ROCPRIM_400000_NS6detail17trampoline_kernelINS0_14default_configENS1_22reduce_config_selectorIfEEZNS1_11reduce_implILb1ES3_N6thrust23THRUST_200600_302600_NS17counting_iteratorIfNS8_11hip_rocprim3tagENS8_11use_defaultESC_EEPffNS8_4plusIfEEEE10hipError_tPvRmT1_T2_T3_mT4_P12ihipStream_tbEUlT_E1_NS1_11comp_targetILNS1_3genE10ELNS1_11target_archE1200ELNS1_3gpuE4ELNS1_3repE0EEENS1_30default_config_static_selectorELNS0_4arch9wavefront6targetE1EEEvSK_: ; @_ZN7rocprim17ROCPRIM_400000_NS6detail17trampoline_kernelINS0_14default_configENS1_22reduce_config_selectorIfEEZNS1_11reduce_implILb1ES3_N6thrust23THRUST_200600_302600_NS17counting_iteratorIfNS8_11hip_rocprim3tagENS8_11use_defaultESC_EEPffNS8_4plusIfEEEE10hipError_tPvRmT1_T2_T3_mT4_P12ihipStream_tbEUlT_E1_NS1_11comp_targetILNS1_3genE10ELNS1_11target_archE1200ELNS1_3gpuE4ELNS1_3repE0EEENS1_30default_config_static_selectorELNS0_4arch9wavefront6targetE1EEEvSK_
; %bb.0:
	.section	.rodata,"a",@progbits
	.p2align	6, 0x0
	.amdhsa_kernel _ZN7rocprim17ROCPRIM_400000_NS6detail17trampoline_kernelINS0_14default_configENS1_22reduce_config_selectorIfEEZNS1_11reduce_implILb1ES3_N6thrust23THRUST_200600_302600_NS17counting_iteratorIfNS8_11hip_rocprim3tagENS8_11use_defaultESC_EEPffNS8_4plusIfEEEE10hipError_tPvRmT1_T2_T3_mT4_P12ihipStream_tbEUlT_E1_NS1_11comp_targetILNS1_3genE10ELNS1_11target_archE1200ELNS1_3gpuE4ELNS1_3repE0EEENS1_30default_config_static_selectorELNS0_4arch9wavefront6targetE1EEEvSK_
		.amdhsa_group_segment_fixed_size 0
		.amdhsa_private_segment_fixed_size 0
		.amdhsa_kernarg_size 40
		.amdhsa_user_sgpr_count 2
		.amdhsa_user_sgpr_dispatch_ptr 0
		.amdhsa_user_sgpr_queue_ptr 0
		.amdhsa_user_sgpr_kernarg_segment_ptr 1
		.amdhsa_user_sgpr_dispatch_id 0
		.amdhsa_user_sgpr_kernarg_preload_length 0
		.amdhsa_user_sgpr_kernarg_preload_offset 0
		.amdhsa_user_sgpr_private_segment_size 0
		.amdhsa_uses_dynamic_stack 0
		.amdhsa_enable_private_segment 0
		.amdhsa_system_sgpr_workgroup_id_x 1
		.amdhsa_system_sgpr_workgroup_id_y 0
		.amdhsa_system_sgpr_workgroup_id_z 0
		.amdhsa_system_sgpr_workgroup_info 0
		.amdhsa_system_vgpr_workitem_id 0
		.amdhsa_next_free_vgpr 1
		.amdhsa_next_free_sgpr 0
		.amdhsa_accum_offset 4
		.amdhsa_reserve_vcc 0
		.amdhsa_float_round_mode_32 0
		.amdhsa_float_round_mode_16_64 0
		.amdhsa_float_denorm_mode_32 3
		.amdhsa_float_denorm_mode_16_64 3
		.amdhsa_dx10_clamp 1
		.amdhsa_ieee_mode 1
		.amdhsa_fp16_overflow 0
		.amdhsa_tg_split 0
		.amdhsa_exception_fp_ieee_invalid_op 0
		.amdhsa_exception_fp_denorm_src 0
		.amdhsa_exception_fp_ieee_div_zero 0
		.amdhsa_exception_fp_ieee_overflow 0
		.amdhsa_exception_fp_ieee_underflow 0
		.amdhsa_exception_fp_ieee_inexact 0
		.amdhsa_exception_int_div_zero 0
	.end_amdhsa_kernel
	.section	.text._ZN7rocprim17ROCPRIM_400000_NS6detail17trampoline_kernelINS0_14default_configENS1_22reduce_config_selectorIfEEZNS1_11reduce_implILb1ES3_N6thrust23THRUST_200600_302600_NS17counting_iteratorIfNS8_11hip_rocprim3tagENS8_11use_defaultESC_EEPffNS8_4plusIfEEEE10hipError_tPvRmT1_T2_T3_mT4_P12ihipStream_tbEUlT_E1_NS1_11comp_targetILNS1_3genE10ELNS1_11target_archE1200ELNS1_3gpuE4ELNS1_3repE0EEENS1_30default_config_static_selectorELNS0_4arch9wavefront6targetE1EEEvSK_,"axG",@progbits,_ZN7rocprim17ROCPRIM_400000_NS6detail17trampoline_kernelINS0_14default_configENS1_22reduce_config_selectorIfEEZNS1_11reduce_implILb1ES3_N6thrust23THRUST_200600_302600_NS17counting_iteratorIfNS8_11hip_rocprim3tagENS8_11use_defaultESC_EEPffNS8_4plusIfEEEE10hipError_tPvRmT1_T2_T3_mT4_P12ihipStream_tbEUlT_E1_NS1_11comp_targetILNS1_3genE10ELNS1_11target_archE1200ELNS1_3gpuE4ELNS1_3repE0EEENS1_30default_config_static_selectorELNS0_4arch9wavefront6targetE1EEEvSK_,comdat
.Lfunc_end1016:
	.size	_ZN7rocprim17ROCPRIM_400000_NS6detail17trampoline_kernelINS0_14default_configENS1_22reduce_config_selectorIfEEZNS1_11reduce_implILb1ES3_N6thrust23THRUST_200600_302600_NS17counting_iteratorIfNS8_11hip_rocprim3tagENS8_11use_defaultESC_EEPffNS8_4plusIfEEEE10hipError_tPvRmT1_T2_T3_mT4_P12ihipStream_tbEUlT_E1_NS1_11comp_targetILNS1_3genE10ELNS1_11target_archE1200ELNS1_3gpuE4ELNS1_3repE0EEENS1_30default_config_static_selectorELNS0_4arch9wavefront6targetE1EEEvSK_, .Lfunc_end1016-_ZN7rocprim17ROCPRIM_400000_NS6detail17trampoline_kernelINS0_14default_configENS1_22reduce_config_selectorIfEEZNS1_11reduce_implILb1ES3_N6thrust23THRUST_200600_302600_NS17counting_iteratorIfNS8_11hip_rocprim3tagENS8_11use_defaultESC_EEPffNS8_4plusIfEEEE10hipError_tPvRmT1_T2_T3_mT4_P12ihipStream_tbEUlT_E1_NS1_11comp_targetILNS1_3genE10ELNS1_11target_archE1200ELNS1_3gpuE4ELNS1_3repE0EEENS1_30default_config_static_selectorELNS0_4arch9wavefront6targetE1EEEvSK_
                                        ; -- End function
	.set _ZN7rocprim17ROCPRIM_400000_NS6detail17trampoline_kernelINS0_14default_configENS1_22reduce_config_selectorIfEEZNS1_11reduce_implILb1ES3_N6thrust23THRUST_200600_302600_NS17counting_iteratorIfNS8_11hip_rocprim3tagENS8_11use_defaultESC_EEPffNS8_4plusIfEEEE10hipError_tPvRmT1_T2_T3_mT4_P12ihipStream_tbEUlT_E1_NS1_11comp_targetILNS1_3genE10ELNS1_11target_archE1200ELNS1_3gpuE4ELNS1_3repE0EEENS1_30default_config_static_selectorELNS0_4arch9wavefront6targetE1EEEvSK_.num_vgpr, 0
	.set _ZN7rocprim17ROCPRIM_400000_NS6detail17trampoline_kernelINS0_14default_configENS1_22reduce_config_selectorIfEEZNS1_11reduce_implILb1ES3_N6thrust23THRUST_200600_302600_NS17counting_iteratorIfNS8_11hip_rocprim3tagENS8_11use_defaultESC_EEPffNS8_4plusIfEEEE10hipError_tPvRmT1_T2_T3_mT4_P12ihipStream_tbEUlT_E1_NS1_11comp_targetILNS1_3genE10ELNS1_11target_archE1200ELNS1_3gpuE4ELNS1_3repE0EEENS1_30default_config_static_selectorELNS0_4arch9wavefront6targetE1EEEvSK_.num_agpr, 0
	.set _ZN7rocprim17ROCPRIM_400000_NS6detail17trampoline_kernelINS0_14default_configENS1_22reduce_config_selectorIfEEZNS1_11reduce_implILb1ES3_N6thrust23THRUST_200600_302600_NS17counting_iteratorIfNS8_11hip_rocprim3tagENS8_11use_defaultESC_EEPffNS8_4plusIfEEEE10hipError_tPvRmT1_T2_T3_mT4_P12ihipStream_tbEUlT_E1_NS1_11comp_targetILNS1_3genE10ELNS1_11target_archE1200ELNS1_3gpuE4ELNS1_3repE0EEENS1_30default_config_static_selectorELNS0_4arch9wavefront6targetE1EEEvSK_.numbered_sgpr, 0
	.set _ZN7rocprim17ROCPRIM_400000_NS6detail17trampoline_kernelINS0_14default_configENS1_22reduce_config_selectorIfEEZNS1_11reduce_implILb1ES3_N6thrust23THRUST_200600_302600_NS17counting_iteratorIfNS8_11hip_rocprim3tagENS8_11use_defaultESC_EEPffNS8_4plusIfEEEE10hipError_tPvRmT1_T2_T3_mT4_P12ihipStream_tbEUlT_E1_NS1_11comp_targetILNS1_3genE10ELNS1_11target_archE1200ELNS1_3gpuE4ELNS1_3repE0EEENS1_30default_config_static_selectorELNS0_4arch9wavefront6targetE1EEEvSK_.num_named_barrier, 0
	.set _ZN7rocprim17ROCPRIM_400000_NS6detail17trampoline_kernelINS0_14default_configENS1_22reduce_config_selectorIfEEZNS1_11reduce_implILb1ES3_N6thrust23THRUST_200600_302600_NS17counting_iteratorIfNS8_11hip_rocprim3tagENS8_11use_defaultESC_EEPffNS8_4plusIfEEEE10hipError_tPvRmT1_T2_T3_mT4_P12ihipStream_tbEUlT_E1_NS1_11comp_targetILNS1_3genE10ELNS1_11target_archE1200ELNS1_3gpuE4ELNS1_3repE0EEENS1_30default_config_static_selectorELNS0_4arch9wavefront6targetE1EEEvSK_.private_seg_size, 0
	.set _ZN7rocprim17ROCPRIM_400000_NS6detail17trampoline_kernelINS0_14default_configENS1_22reduce_config_selectorIfEEZNS1_11reduce_implILb1ES3_N6thrust23THRUST_200600_302600_NS17counting_iteratorIfNS8_11hip_rocprim3tagENS8_11use_defaultESC_EEPffNS8_4plusIfEEEE10hipError_tPvRmT1_T2_T3_mT4_P12ihipStream_tbEUlT_E1_NS1_11comp_targetILNS1_3genE10ELNS1_11target_archE1200ELNS1_3gpuE4ELNS1_3repE0EEENS1_30default_config_static_selectorELNS0_4arch9wavefront6targetE1EEEvSK_.uses_vcc, 0
	.set _ZN7rocprim17ROCPRIM_400000_NS6detail17trampoline_kernelINS0_14default_configENS1_22reduce_config_selectorIfEEZNS1_11reduce_implILb1ES3_N6thrust23THRUST_200600_302600_NS17counting_iteratorIfNS8_11hip_rocprim3tagENS8_11use_defaultESC_EEPffNS8_4plusIfEEEE10hipError_tPvRmT1_T2_T3_mT4_P12ihipStream_tbEUlT_E1_NS1_11comp_targetILNS1_3genE10ELNS1_11target_archE1200ELNS1_3gpuE4ELNS1_3repE0EEENS1_30default_config_static_selectorELNS0_4arch9wavefront6targetE1EEEvSK_.uses_flat_scratch, 0
	.set _ZN7rocprim17ROCPRIM_400000_NS6detail17trampoline_kernelINS0_14default_configENS1_22reduce_config_selectorIfEEZNS1_11reduce_implILb1ES3_N6thrust23THRUST_200600_302600_NS17counting_iteratorIfNS8_11hip_rocprim3tagENS8_11use_defaultESC_EEPffNS8_4plusIfEEEE10hipError_tPvRmT1_T2_T3_mT4_P12ihipStream_tbEUlT_E1_NS1_11comp_targetILNS1_3genE10ELNS1_11target_archE1200ELNS1_3gpuE4ELNS1_3repE0EEENS1_30default_config_static_selectorELNS0_4arch9wavefront6targetE1EEEvSK_.has_dyn_sized_stack, 0
	.set _ZN7rocprim17ROCPRIM_400000_NS6detail17trampoline_kernelINS0_14default_configENS1_22reduce_config_selectorIfEEZNS1_11reduce_implILb1ES3_N6thrust23THRUST_200600_302600_NS17counting_iteratorIfNS8_11hip_rocprim3tagENS8_11use_defaultESC_EEPffNS8_4plusIfEEEE10hipError_tPvRmT1_T2_T3_mT4_P12ihipStream_tbEUlT_E1_NS1_11comp_targetILNS1_3genE10ELNS1_11target_archE1200ELNS1_3gpuE4ELNS1_3repE0EEENS1_30default_config_static_selectorELNS0_4arch9wavefront6targetE1EEEvSK_.has_recursion, 0
	.set _ZN7rocprim17ROCPRIM_400000_NS6detail17trampoline_kernelINS0_14default_configENS1_22reduce_config_selectorIfEEZNS1_11reduce_implILb1ES3_N6thrust23THRUST_200600_302600_NS17counting_iteratorIfNS8_11hip_rocprim3tagENS8_11use_defaultESC_EEPffNS8_4plusIfEEEE10hipError_tPvRmT1_T2_T3_mT4_P12ihipStream_tbEUlT_E1_NS1_11comp_targetILNS1_3genE10ELNS1_11target_archE1200ELNS1_3gpuE4ELNS1_3repE0EEENS1_30default_config_static_selectorELNS0_4arch9wavefront6targetE1EEEvSK_.has_indirect_call, 0
	.section	.AMDGPU.csdata,"",@progbits
; Kernel info:
; codeLenInByte = 0
; TotalNumSgprs: 6
; NumVgprs: 0
; NumAgprs: 0
; TotalNumVgprs: 0
; ScratchSize: 0
; MemoryBound: 0
; FloatMode: 240
; IeeeMode: 1
; LDSByteSize: 0 bytes/workgroup (compile time only)
; SGPRBlocks: 0
; VGPRBlocks: 0
; NumSGPRsForWavesPerEU: 6
; NumVGPRsForWavesPerEU: 1
; AccumOffset: 4
; Occupancy: 8
; WaveLimiterHint : 0
; COMPUTE_PGM_RSRC2:SCRATCH_EN: 0
; COMPUTE_PGM_RSRC2:USER_SGPR: 2
; COMPUTE_PGM_RSRC2:TRAP_HANDLER: 0
; COMPUTE_PGM_RSRC2:TGID_X_EN: 1
; COMPUTE_PGM_RSRC2:TGID_Y_EN: 0
; COMPUTE_PGM_RSRC2:TGID_Z_EN: 0
; COMPUTE_PGM_RSRC2:TIDIG_COMP_CNT: 0
; COMPUTE_PGM_RSRC3_GFX90A:ACCUM_OFFSET: 0
; COMPUTE_PGM_RSRC3_GFX90A:TG_SPLIT: 0
	.section	.text._ZN7rocprim17ROCPRIM_400000_NS6detail17trampoline_kernelINS0_14default_configENS1_22reduce_config_selectorIfEEZNS1_11reduce_implILb1ES3_N6thrust23THRUST_200600_302600_NS17counting_iteratorIfNS8_11hip_rocprim3tagENS8_11use_defaultESC_EEPffNS8_4plusIfEEEE10hipError_tPvRmT1_T2_T3_mT4_P12ihipStream_tbEUlT_E1_NS1_11comp_targetILNS1_3genE9ELNS1_11target_archE1100ELNS1_3gpuE3ELNS1_3repE0EEENS1_30default_config_static_selectorELNS0_4arch9wavefront6targetE1EEEvSK_,"axG",@progbits,_ZN7rocprim17ROCPRIM_400000_NS6detail17trampoline_kernelINS0_14default_configENS1_22reduce_config_selectorIfEEZNS1_11reduce_implILb1ES3_N6thrust23THRUST_200600_302600_NS17counting_iteratorIfNS8_11hip_rocprim3tagENS8_11use_defaultESC_EEPffNS8_4plusIfEEEE10hipError_tPvRmT1_T2_T3_mT4_P12ihipStream_tbEUlT_E1_NS1_11comp_targetILNS1_3genE9ELNS1_11target_archE1100ELNS1_3gpuE3ELNS1_3repE0EEENS1_30default_config_static_selectorELNS0_4arch9wavefront6targetE1EEEvSK_,comdat
	.protected	_ZN7rocprim17ROCPRIM_400000_NS6detail17trampoline_kernelINS0_14default_configENS1_22reduce_config_selectorIfEEZNS1_11reduce_implILb1ES3_N6thrust23THRUST_200600_302600_NS17counting_iteratorIfNS8_11hip_rocprim3tagENS8_11use_defaultESC_EEPffNS8_4plusIfEEEE10hipError_tPvRmT1_T2_T3_mT4_P12ihipStream_tbEUlT_E1_NS1_11comp_targetILNS1_3genE9ELNS1_11target_archE1100ELNS1_3gpuE3ELNS1_3repE0EEENS1_30default_config_static_selectorELNS0_4arch9wavefront6targetE1EEEvSK_ ; -- Begin function _ZN7rocprim17ROCPRIM_400000_NS6detail17trampoline_kernelINS0_14default_configENS1_22reduce_config_selectorIfEEZNS1_11reduce_implILb1ES3_N6thrust23THRUST_200600_302600_NS17counting_iteratorIfNS8_11hip_rocprim3tagENS8_11use_defaultESC_EEPffNS8_4plusIfEEEE10hipError_tPvRmT1_T2_T3_mT4_P12ihipStream_tbEUlT_E1_NS1_11comp_targetILNS1_3genE9ELNS1_11target_archE1100ELNS1_3gpuE3ELNS1_3repE0EEENS1_30default_config_static_selectorELNS0_4arch9wavefront6targetE1EEEvSK_
	.globl	_ZN7rocprim17ROCPRIM_400000_NS6detail17trampoline_kernelINS0_14default_configENS1_22reduce_config_selectorIfEEZNS1_11reduce_implILb1ES3_N6thrust23THRUST_200600_302600_NS17counting_iteratorIfNS8_11hip_rocprim3tagENS8_11use_defaultESC_EEPffNS8_4plusIfEEEE10hipError_tPvRmT1_T2_T3_mT4_P12ihipStream_tbEUlT_E1_NS1_11comp_targetILNS1_3genE9ELNS1_11target_archE1100ELNS1_3gpuE3ELNS1_3repE0EEENS1_30default_config_static_selectorELNS0_4arch9wavefront6targetE1EEEvSK_
	.p2align	8
	.type	_ZN7rocprim17ROCPRIM_400000_NS6detail17trampoline_kernelINS0_14default_configENS1_22reduce_config_selectorIfEEZNS1_11reduce_implILb1ES3_N6thrust23THRUST_200600_302600_NS17counting_iteratorIfNS8_11hip_rocprim3tagENS8_11use_defaultESC_EEPffNS8_4plusIfEEEE10hipError_tPvRmT1_T2_T3_mT4_P12ihipStream_tbEUlT_E1_NS1_11comp_targetILNS1_3genE9ELNS1_11target_archE1100ELNS1_3gpuE3ELNS1_3repE0EEENS1_30default_config_static_selectorELNS0_4arch9wavefront6targetE1EEEvSK_,@function
_ZN7rocprim17ROCPRIM_400000_NS6detail17trampoline_kernelINS0_14default_configENS1_22reduce_config_selectorIfEEZNS1_11reduce_implILb1ES3_N6thrust23THRUST_200600_302600_NS17counting_iteratorIfNS8_11hip_rocprim3tagENS8_11use_defaultESC_EEPffNS8_4plusIfEEEE10hipError_tPvRmT1_T2_T3_mT4_P12ihipStream_tbEUlT_E1_NS1_11comp_targetILNS1_3genE9ELNS1_11target_archE1100ELNS1_3gpuE3ELNS1_3repE0EEENS1_30default_config_static_selectorELNS0_4arch9wavefront6targetE1EEEvSK_: ; @_ZN7rocprim17ROCPRIM_400000_NS6detail17trampoline_kernelINS0_14default_configENS1_22reduce_config_selectorIfEEZNS1_11reduce_implILb1ES3_N6thrust23THRUST_200600_302600_NS17counting_iteratorIfNS8_11hip_rocprim3tagENS8_11use_defaultESC_EEPffNS8_4plusIfEEEE10hipError_tPvRmT1_T2_T3_mT4_P12ihipStream_tbEUlT_E1_NS1_11comp_targetILNS1_3genE9ELNS1_11target_archE1100ELNS1_3gpuE3ELNS1_3repE0EEENS1_30default_config_static_selectorELNS0_4arch9wavefront6targetE1EEEvSK_
; %bb.0:
	.section	.rodata,"a",@progbits
	.p2align	6, 0x0
	.amdhsa_kernel _ZN7rocprim17ROCPRIM_400000_NS6detail17trampoline_kernelINS0_14default_configENS1_22reduce_config_selectorIfEEZNS1_11reduce_implILb1ES3_N6thrust23THRUST_200600_302600_NS17counting_iteratorIfNS8_11hip_rocprim3tagENS8_11use_defaultESC_EEPffNS8_4plusIfEEEE10hipError_tPvRmT1_T2_T3_mT4_P12ihipStream_tbEUlT_E1_NS1_11comp_targetILNS1_3genE9ELNS1_11target_archE1100ELNS1_3gpuE3ELNS1_3repE0EEENS1_30default_config_static_selectorELNS0_4arch9wavefront6targetE1EEEvSK_
		.amdhsa_group_segment_fixed_size 0
		.amdhsa_private_segment_fixed_size 0
		.amdhsa_kernarg_size 40
		.amdhsa_user_sgpr_count 2
		.amdhsa_user_sgpr_dispatch_ptr 0
		.amdhsa_user_sgpr_queue_ptr 0
		.amdhsa_user_sgpr_kernarg_segment_ptr 1
		.amdhsa_user_sgpr_dispatch_id 0
		.amdhsa_user_sgpr_kernarg_preload_length 0
		.amdhsa_user_sgpr_kernarg_preload_offset 0
		.amdhsa_user_sgpr_private_segment_size 0
		.amdhsa_uses_dynamic_stack 0
		.amdhsa_enable_private_segment 0
		.amdhsa_system_sgpr_workgroup_id_x 1
		.amdhsa_system_sgpr_workgroup_id_y 0
		.amdhsa_system_sgpr_workgroup_id_z 0
		.amdhsa_system_sgpr_workgroup_info 0
		.amdhsa_system_vgpr_workitem_id 0
		.amdhsa_next_free_vgpr 1
		.amdhsa_next_free_sgpr 0
		.amdhsa_accum_offset 4
		.amdhsa_reserve_vcc 0
		.amdhsa_float_round_mode_32 0
		.amdhsa_float_round_mode_16_64 0
		.amdhsa_float_denorm_mode_32 3
		.amdhsa_float_denorm_mode_16_64 3
		.amdhsa_dx10_clamp 1
		.amdhsa_ieee_mode 1
		.amdhsa_fp16_overflow 0
		.amdhsa_tg_split 0
		.amdhsa_exception_fp_ieee_invalid_op 0
		.amdhsa_exception_fp_denorm_src 0
		.amdhsa_exception_fp_ieee_div_zero 0
		.amdhsa_exception_fp_ieee_overflow 0
		.amdhsa_exception_fp_ieee_underflow 0
		.amdhsa_exception_fp_ieee_inexact 0
		.amdhsa_exception_int_div_zero 0
	.end_amdhsa_kernel
	.section	.text._ZN7rocprim17ROCPRIM_400000_NS6detail17trampoline_kernelINS0_14default_configENS1_22reduce_config_selectorIfEEZNS1_11reduce_implILb1ES3_N6thrust23THRUST_200600_302600_NS17counting_iteratorIfNS8_11hip_rocprim3tagENS8_11use_defaultESC_EEPffNS8_4plusIfEEEE10hipError_tPvRmT1_T2_T3_mT4_P12ihipStream_tbEUlT_E1_NS1_11comp_targetILNS1_3genE9ELNS1_11target_archE1100ELNS1_3gpuE3ELNS1_3repE0EEENS1_30default_config_static_selectorELNS0_4arch9wavefront6targetE1EEEvSK_,"axG",@progbits,_ZN7rocprim17ROCPRIM_400000_NS6detail17trampoline_kernelINS0_14default_configENS1_22reduce_config_selectorIfEEZNS1_11reduce_implILb1ES3_N6thrust23THRUST_200600_302600_NS17counting_iteratorIfNS8_11hip_rocprim3tagENS8_11use_defaultESC_EEPffNS8_4plusIfEEEE10hipError_tPvRmT1_T2_T3_mT4_P12ihipStream_tbEUlT_E1_NS1_11comp_targetILNS1_3genE9ELNS1_11target_archE1100ELNS1_3gpuE3ELNS1_3repE0EEENS1_30default_config_static_selectorELNS0_4arch9wavefront6targetE1EEEvSK_,comdat
.Lfunc_end1017:
	.size	_ZN7rocprim17ROCPRIM_400000_NS6detail17trampoline_kernelINS0_14default_configENS1_22reduce_config_selectorIfEEZNS1_11reduce_implILb1ES3_N6thrust23THRUST_200600_302600_NS17counting_iteratorIfNS8_11hip_rocprim3tagENS8_11use_defaultESC_EEPffNS8_4plusIfEEEE10hipError_tPvRmT1_T2_T3_mT4_P12ihipStream_tbEUlT_E1_NS1_11comp_targetILNS1_3genE9ELNS1_11target_archE1100ELNS1_3gpuE3ELNS1_3repE0EEENS1_30default_config_static_selectorELNS0_4arch9wavefront6targetE1EEEvSK_, .Lfunc_end1017-_ZN7rocprim17ROCPRIM_400000_NS6detail17trampoline_kernelINS0_14default_configENS1_22reduce_config_selectorIfEEZNS1_11reduce_implILb1ES3_N6thrust23THRUST_200600_302600_NS17counting_iteratorIfNS8_11hip_rocprim3tagENS8_11use_defaultESC_EEPffNS8_4plusIfEEEE10hipError_tPvRmT1_T2_T3_mT4_P12ihipStream_tbEUlT_E1_NS1_11comp_targetILNS1_3genE9ELNS1_11target_archE1100ELNS1_3gpuE3ELNS1_3repE0EEENS1_30default_config_static_selectorELNS0_4arch9wavefront6targetE1EEEvSK_
                                        ; -- End function
	.set _ZN7rocprim17ROCPRIM_400000_NS6detail17trampoline_kernelINS0_14default_configENS1_22reduce_config_selectorIfEEZNS1_11reduce_implILb1ES3_N6thrust23THRUST_200600_302600_NS17counting_iteratorIfNS8_11hip_rocprim3tagENS8_11use_defaultESC_EEPffNS8_4plusIfEEEE10hipError_tPvRmT1_T2_T3_mT4_P12ihipStream_tbEUlT_E1_NS1_11comp_targetILNS1_3genE9ELNS1_11target_archE1100ELNS1_3gpuE3ELNS1_3repE0EEENS1_30default_config_static_selectorELNS0_4arch9wavefront6targetE1EEEvSK_.num_vgpr, 0
	.set _ZN7rocprim17ROCPRIM_400000_NS6detail17trampoline_kernelINS0_14default_configENS1_22reduce_config_selectorIfEEZNS1_11reduce_implILb1ES3_N6thrust23THRUST_200600_302600_NS17counting_iteratorIfNS8_11hip_rocprim3tagENS8_11use_defaultESC_EEPffNS8_4plusIfEEEE10hipError_tPvRmT1_T2_T3_mT4_P12ihipStream_tbEUlT_E1_NS1_11comp_targetILNS1_3genE9ELNS1_11target_archE1100ELNS1_3gpuE3ELNS1_3repE0EEENS1_30default_config_static_selectorELNS0_4arch9wavefront6targetE1EEEvSK_.num_agpr, 0
	.set _ZN7rocprim17ROCPRIM_400000_NS6detail17trampoline_kernelINS0_14default_configENS1_22reduce_config_selectorIfEEZNS1_11reduce_implILb1ES3_N6thrust23THRUST_200600_302600_NS17counting_iteratorIfNS8_11hip_rocprim3tagENS8_11use_defaultESC_EEPffNS8_4plusIfEEEE10hipError_tPvRmT1_T2_T3_mT4_P12ihipStream_tbEUlT_E1_NS1_11comp_targetILNS1_3genE9ELNS1_11target_archE1100ELNS1_3gpuE3ELNS1_3repE0EEENS1_30default_config_static_selectorELNS0_4arch9wavefront6targetE1EEEvSK_.numbered_sgpr, 0
	.set _ZN7rocprim17ROCPRIM_400000_NS6detail17trampoline_kernelINS0_14default_configENS1_22reduce_config_selectorIfEEZNS1_11reduce_implILb1ES3_N6thrust23THRUST_200600_302600_NS17counting_iteratorIfNS8_11hip_rocprim3tagENS8_11use_defaultESC_EEPffNS8_4plusIfEEEE10hipError_tPvRmT1_T2_T3_mT4_P12ihipStream_tbEUlT_E1_NS1_11comp_targetILNS1_3genE9ELNS1_11target_archE1100ELNS1_3gpuE3ELNS1_3repE0EEENS1_30default_config_static_selectorELNS0_4arch9wavefront6targetE1EEEvSK_.num_named_barrier, 0
	.set _ZN7rocprim17ROCPRIM_400000_NS6detail17trampoline_kernelINS0_14default_configENS1_22reduce_config_selectorIfEEZNS1_11reduce_implILb1ES3_N6thrust23THRUST_200600_302600_NS17counting_iteratorIfNS8_11hip_rocprim3tagENS8_11use_defaultESC_EEPffNS8_4plusIfEEEE10hipError_tPvRmT1_T2_T3_mT4_P12ihipStream_tbEUlT_E1_NS1_11comp_targetILNS1_3genE9ELNS1_11target_archE1100ELNS1_3gpuE3ELNS1_3repE0EEENS1_30default_config_static_selectorELNS0_4arch9wavefront6targetE1EEEvSK_.private_seg_size, 0
	.set _ZN7rocprim17ROCPRIM_400000_NS6detail17trampoline_kernelINS0_14default_configENS1_22reduce_config_selectorIfEEZNS1_11reduce_implILb1ES3_N6thrust23THRUST_200600_302600_NS17counting_iteratorIfNS8_11hip_rocprim3tagENS8_11use_defaultESC_EEPffNS8_4plusIfEEEE10hipError_tPvRmT1_T2_T3_mT4_P12ihipStream_tbEUlT_E1_NS1_11comp_targetILNS1_3genE9ELNS1_11target_archE1100ELNS1_3gpuE3ELNS1_3repE0EEENS1_30default_config_static_selectorELNS0_4arch9wavefront6targetE1EEEvSK_.uses_vcc, 0
	.set _ZN7rocprim17ROCPRIM_400000_NS6detail17trampoline_kernelINS0_14default_configENS1_22reduce_config_selectorIfEEZNS1_11reduce_implILb1ES3_N6thrust23THRUST_200600_302600_NS17counting_iteratorIfNS8_11hip_rocprim3tagENS8_11use_defaultESC_EEPffNS8_4plusIfEEEE10hipError_tPvRmT1_T2_T3_mT4_P12ihipStream_tbEUlT_E1_NS1_11comp_targetILNS1_3genE9ELNS1_11target_archE1100ELNS1_3gpuE3ELNS1_3repE0EEENS1_30default_config_static_selectorELNS0_4arch9wavefront6targetE1EEEvSK_.uses_flat_scratch, 0
	.set _ZN7rocprim17ROCPRIM_400000_NS6detail17trampoline_kernelINS0_14default_configENS1_22reduce_config_selectorIfEEZNS1_11reduce_implILb1ES3_N6thrust23THRUST_200600_302600_NS17counting_iteratorIfNS8_11hip_rocprim3tagENS8_11use_defaultESC_EEPffNS8_4plusIfEEEE10hipError_tPvRmT1_T2_T3_mT4_P12ihipStream_tbEUlT_E1_NS1_11comp_targetILNS1_3genE9ELNS1_11target_archE1100ELNS1_3gpuE3ELNS1_3repE0EEENS1_30default_config_static_selectorELNS0_4arch9wavefront6targetE1EEEvSK_.has_dyn_sized_stack, 0
	.set _ZN7rocprim17ROCPRIM_400000_NS6detail17trampoline_kernelINS0_14default_configENS1_22reduce_config_selectorIfEEZNS1_11reduce_implILb1ES3_N6thrust23THRUST_200600_302600_NS17counting_iteratorIfNS8_11hip_rocprim3tagENS8_11use_defaultESC_EEPffNS8_4plusIfEEEE10hipError_tPvRmT1_T2_T3_mT4_P12ihipStream_tbEUlT_E1_NS1_11comp_targetILNS1_3genE9ELNS1_11target_archE1100ELNS1_3gpuE3ELNS1_3repE0EEENS1_30default_config_static_selectorELNS0_4arch9wavefront6targetE1EEEvSK_.has_recursion, 0
	.set _ZN7rocprim17ROCPRIM_400000_NS6detail17trampoline_kernelINS0_14default_configENS1_22reduce_config_selectorIfEEZNS1_11reduce_implILb1ES3_N6thrust23THRUST_200600_302600_NS17counting_iteratorIfNS8_11hip_rocprim3tagENS8_11use_defaultESC_EEPffNS8_4plusIfEEEE10hipError_tPvRmT1_T2_T3_mT4_P12ihipStream_tbEUlT_E1_NS1_11comp_targetILNS1_3genE9ELNS1_11target_archE1100ELNS1_3gpuE3ELNS1_3repE0EEENS1_30default_config_static_selectorELNS0_4arch9wavefront6targetE1EEEvSK_.has_indirect_call, 0
	.section	.AMDGPU.csdata,"",@progbits
; Kernel info:
; codeLenInByte = 0
; TotalNumSgprs: 6
; NumVgprs: 0
; NumAgprs: 0
; TotalNumVgprs: 0
; ScratchSize: 0
; MemoryBound: 0
; FloatMode: 240
; IeeeMode: 1
; LDSByteSize: 0 bytes/workgroup (compile time only)
; SGPRBlocks: 0
; VGPRBlocks: 0
; NumSGPRsForWavesPerEU: 6
; NumVGPRsForWavesPerEU: 1
; AccumOffset: 4
; Occupancy: 8
; WaveLimiterHint : 0
; COMPUTE_PGM_RSRC2:SCRATCH_EN: 0
; COMPUTE_PGM_RSRC2:USER_SGPR: 2
; COMPUTE_PGM_RSRC2:TRAP_HANDLER: 0
; COMPUTE_PGM_RSRC2:TGID_X_EN: 1
; COMPUTE_PGM_RSRC2:TGID_Y_EN: 0
; COMPUTE_PGM_RSRC2:TGID_Z_EN: 0
; COMPUTE_PGM_RSRC2:TIDIG_COMP_CNT: 0
; COMPUTE_PGM_RSRC3_GFX90A:ACCUM_OFFSET: 0
; COMPUTE_PGM_RSRC3_GFX90A:TG_SPLIT: 0
	.section	.text._ZN7rocprim17ROCPRIM_400000_NS6detail17trampoline_kernelINS0_14default_configENS1_22reduce_config_selectorIfEEZNS1_11reduce_implILb1ES3_N6thrust23THRUST_200600_302600_NS17counting_iteratorIfNS8_11hip_rocprim3tagENS8_11use_defaultESC_EEPffNS8_4plusIfEEEE10hipError_tPvRmT1_T2_T3_mT4_P12ihipStream_tbEUlT_E1_NS1_11comp_targetILNS1_3genE8ELNS1_11target_archE1030ELNS1_3gpuE2ELNS1_3repE0EEENS1_30default_config_static_selectorELNS0_4arch9wavefront6targetE1EEEvSK_,"axG",@progbits,_ZN7rocprim17ROCPRIM_400000_NS6detail17trampoline_kernelINS0_14default_configENS1_22reduce_config_selectorIfEEZNS1_11reduce_implILb1ES3_N6thrust23THRUST_200600_302600_NS17counting_iteratorIfNS8_11hip_rocprim3tagENS8_11use_defaultESC_EEPffNS8_4plusIfEEEE10hipError_tPvRmT1_T2_T3_mT4_P12ihipStream_tbEUlT_E1_NS1_11comp_targetILNS1_3genE8ELNS1_11target_archE1030ELNS1_3gpuE2ELNS1_3repE0EEENS1_30default_config_static_selectorELNS0_4arch9wavefront6targetE1EEEvSK_,comdat
	.protected	_ZN7rocprim17ROCPRIM_400000_NS6detail17trampoline_kernelINS0_14default_configENS1_22reduce_config_selectorIfEEZNS1_11reduce_implILb1ES3_N6thrust23THRUST_200600_302600_NS17counting_iteratorIfNS8_11hip_rocprim3tagENS8_11use_defaultESC_EEPffNS8_4plusIfEEEE10hipError_tPvRmT1_T2_T3_mT4_P12ihipStream_tbEUlT_E1_NS1_11comp_targetILNS1_3genE8ELNS1_11target_archE1030ELNS1_3gpuE2ELNS1_3repE0EEENS1_30default_config_static_selectorELNS0_4arch9wavefront6targetE1EEEvSK_ ; -- Begin function _ZN7rocprim17ROCPRIM_400000_NS6detail17trampoline_kernelINS0_14default_configENS1_22reduce_config_selectorIfEEZNS1_11reduce_implILb1ES3_N6thrust23THRUST_200600_302600_NS17counting_iteratorIfNS8_11hip_rocprim3tagENS8_11use_defaultESC_EEPffNS8_4plusIfEEEE10hipError_tPvRmT1_T2_T3_mT4_P12ihipStream_tbEUlT_E1_NS1_11comp_targetILNS1_3genE8ELNS1_11target_archE1030ELNS1_3gpuE2ELNS1_3repE0EEENS1_30default_config_static_selectorELNS0_4arch9wavefront6targetE1EEEvSK_
	.globl	_ZN7rocprim17ROCPRIM_400000_NS6detail17trampoline_kernelINS0_14default_configENS1_22reduce_config_selectorIfEEZNS1_11reduce_implILb1ES3_N6thrust23THRUST_200600_302600_NS17counting_iteratorIfNS8_11hip_rocprim3tagENS8_11use_defaultESC_EEPffNS8_4plusIfEEEE10hipError_tPvRmT1_T2_T3_mT4_P12ihipStream_tbEUlT_E1_NS1_11comp_targetILNS1_3genE8ELNS1_11target_archE1030ELNS1_3gpuE2ELNS1_3repE0EEENS1_30default_config_static_selectorELNS0_4arch9wavefront6targetE1EEEvSK_
	.p2align	8
	.type	_ZN7rocprim17ROCPRIM_400000_NS6detail17trampoline_kernelINS0_14default_configENS1_22reduce_config_selectorIfEEZNS1_11reduce_implILb1ES3_N6thrust23THRUST_200600_302600_NS17counting_iteratorIfNS8_11hip_rocprim3tagENS8_11use_defaultESC_EEPffNS8_4plusIfEEEE10hipError_tPvRmT1_T2_T3_mT4_P12ihipStream_tbEUlT_E1_NS1_11comp_targetILNS1_3genE8ELNS1_11target_archE1030ELNS1_3gpuE2ELNS1_3repE0EEENS1_30default_config_static_selectorELNS0_4arch9wavefront6targetE1EEEvSK_,@function
_ZN7rocprim17ROCPRIM_400000_NS6detail17trampoline_kernelINS0_14default_configENS1_22reduce_config_selectorIfEEZNS1_11reduce_implILb1ES3_N6thrust23THRUST_200600_302600_NS17counting_iteratorIfNS8_11hip_rocprim3tagENS8_11use_defaultESC_EEPffNS8_4plusIfEEEE10hipError_tPvRmT1_T2_T3_mT4_P12ihipStream_tbEUlT_E1_NS1_11comp_targetILNS1_3genE8ELNS1_11target_archE1030ELNS1_3gpuE2ELNS1_3repE0EEENS1_30default_config_static_selectorELNS0_4arch9wavefront6targetE1EEEvSK_: ; @_ZN7rocprim17ROCPRIM_400000_NS6detail17trampoline_kernelINS0_14default_configENS1_22reduce_config_selectorIfEEZNS1_11reduce_implILb1ES3_N6thrust23THRUST_200600_302600_NS17counting_iteratorIfNS8_11hip_rocprim3tagENS8_11use_defaultESC_EEPffNS8_4plusIfEEEE10hipError_tPvRmT1_T2_T3_mT4_P12ihipStream_tbEUlT_E1_NS1_11comp_targetILNS1_3genE8ELNS1_11target_archE1030ELNS1_3gpuE2ELNS1_3repE0EEENS1_30default_config_static_selectorELNS0_4arch9wavefront6targetE1EEEvSK_
; %bb.0:
	.section	.rodata,"a",@progbits
	.p2align	6, 0x0
	.amdhsa_kernel _ZN7rocprim17ROCPRIM_400000_NS6detail17trampoline_kernelINS0_14default_configENS1_22reduce_config_selectorIfEEZNS1_11reduce_implILb1ES3_N6thrust23THRUST_200600_302600_NS17counting_iteratorIfNS8_11hip_rocprim3tagENS8_11use_defaultESC_EEPffNS8_4plusIfEEEE10hipError_tPvRmT1_T2_T3_mT4_P12ihipStream_tbEUlT_E1_NS1_11comp_targetILNS1_3genE8ELNS1_11target_archE1030ELNS1_3gpuE2ELNS1_3repE0EEENS1_30default_config_static_selectorELNS0_4arch9wavefront6targetE1EEEvSK_
		.amdhsa_group_segment_fixed_size 0
		.amdhsa_private_segment_fixed_size 0
		.amdhsa_kernarg_size 40
		.amdhsa_user_sgpr_count 2
		.amdhsa_user_sgpr_dispatch_ptr 0
		.amdhsa_user_sgpr_queue_ptr 0
		.amdhsa_user_sgpr_kernarg_segment_ptr 1
		.amdhsa_user_sgpr_dispatch_id 0
		.amdhsa_user_sgpr_kernarg_preload_length 0
		.amdhsa_user_sgpr_kernarg_preload_offset 0
		.amdhsa_user_sgpr_private_segment_size 0
		.amdhsa_uses_dynamic_stack 0
		.amdhsa_enable_private_segment 0
		.amdhsa_system_sgpr_workgroup_id_x 1
		.amdhsa_system_sgpr_workgroup_id_y 0
		.amdhsa_system_sgpr_workgroup_id_z 0
		.amdhsa_system_sgpr_workgroup_info 0
		.amdhsa_system_vgpr_workitem_id 0
		.amdhsa_next_free_vgpr 1
		.amdhsa_next_free_sgpr 0
		.amdhsa_accum_offset 4
		.amdhsa_reserve_vcc 0
		.amdhsa_float_round_mode_32 0
		.amdhsa_float_round_mode_16_64 0
		.amdhsa_float_denorm_mode_32 3
		.amdhsa_float_denorm_mode_16_64 3
		.amdhsa_dx10_clamp 1
		.amdhsa_ieee_mode 1
		.amdhsa_fp16_overflow 0
		.amdhsa_tg_split 0
		.amdhsa_exception_fp_ieee_invalid_op 0
		.amdhsa_exception_fp_denorm_src 0
		.amdhsa_exception_fp_ieee_div_zero 0
		.amdhsa_exception_fp_ieee_overflow 0
		.amdhsa_exception_fp_ieee_underflow 0
		.amdhsa_exception_fp_ieee_inexact 0
		.amdhsa_exception_int_div_zero 0
	.end_amdhsa_kernel
	.section	.text._ZN7rocprim17ROCPRIM_400000_NS6detail17trampoline_kernelINS0_14default_configENS1_22reduce_config_selectorIfEEZNS1_11reduce_implILb1ES3_N6thrust23THRUST_200600_302600_NS17counting_iteratorIfNS8_11hip_rocprim3tagENS8_11use_defaultESC_EEPffNS8_4plusIfEEEE10hipError_tPvRmT1_T2_T3_mT4_P12ihipStream_tbEUlT_E1_NS1_11comp_targetILNS1_3genE8ELNS1_11target_archE1030ELNS1_3gpuE2ELNS1_3repE0EEENS1_30default_config_static_selectorELNS0_4arch9wavefront6targetE1EEEvSK_,"axG",@progbits,_ZN7rocprim17ROCPRIM_400000_NS6detail17trampoline_kernelINS0_14default_configENS1_22reduce_config_selectorIfEEZNS1_11reduce_implILb1ES3_N6thrust23THRUST_200600_302600_NS17counting_iteratorIfNS8_11hip_rocprim3tagENS8_11use_defaultESC_EEPffNS8_4plusIfEEEE10hipError_tPvRmT1_T2_T3_mT4_P12ihipStream_tbEUlT_E1_NS1_11comp_targetILNS1_3genE8ELNS1_11target_archE1030ELNS1_3gpuE2ELNS1_3repE0EEENS1_30default_config_static_selectorELNS0_4arch9wavefront6targetE1EEEvSK_,comdat
.Lfunc_end1018:
	.size	_ZN7rocprim17ROCPRIM_400000_NS6detail17trampoline_kernelINS0_14default_configENS1_22reduce_config_selectorIfEEZNS1_11reduce_implILb1ES3_N6thrust23THRUST_200600_302600_NS17counting_iteratorIfNS8_11hip_rocprim3tagENS8_11use_defaultESC_EEPffNS8_4plusIfEEEE10hipError_tPvRmT1_T2_T3_mT4_P12ihipStream_tbEUlT_E1_NS1_11comp_targetILNS1_3genE8ELNS1_11target_archE1030ELNS1_3gpuE2ELNS1_3repE0EEENS1_30default_config_static_selectorELNS0_4arch9wavefront6targetE1EEEvSK_, .Lfunc_end1018-_ZN7rocprim17ROCPRIM_400000_NS6detail17trampoline_kernelINS0_14default_configENS1_22reduce_config_selectorIfEEZNS1_11reduce_implILb1ES3_N6thrust23THRUST_200600_302600_NS17counting_iteratorIfNS8_11hip_rocprim3tagENS8_11use_defaultESC_EEPffNS8_4plusIfEEEE10hipError_tPvRmT1_T2_T3_mT4_P12ihipStream_tbEUlT_E1_NS1_11comp_targetILNS1_3genE8ELNS1_11target_archE1030ELNS1_3gpuE2ELNS1_3repE0EEENS1_30default_config_static_selectorELNS0_4arch9wavefront6targetE1EEEvSK_
                                        ; -- End function
	.set _ZN7rocprim17ROCPRIM_400000_NS6detail17trampoline_kernelINS0_14default_configENS1_22reduce_config_selectorIfEEZNS1_11reduce_implILb1ES3_N6thrust23THRUST_200600_302600_NS17counting_iteratorIfNS8_11hip_rocprim3tagENS8_11use_defaultESC_EEPffNS8_4plusIfEEEE10hipError_tPvRmT1_T2_T3_mT4_P12ihipStream_tbEUlT_E1_NS1_11comp_targetILNS1_3genE8ELNS1_11target_archE1030ELNS1_3gpuE2ELNS1_3repE0EEENS1_30default_config_static_selectorELNS0_4arch9wavefront6targetE1EEEvSK_.num_vgpr, 0
	.set _ZN7rocprim17ROCPRIM_400000_NS6detail17trampoline_kernelINS0_14default_configENS1_22reduce_config_selectorIfEEZNS1_11reduce_implILb1ES3_N6thrust23THRUST_200600_302600_NS17counting_iteratorIfNS8_11hip_rocprim3tagENS8_11use_defaultESC_EEPffNS8_4plusIfEEEE10hipError_tPvRmT1_T2_T3_mT4_P12ihipStream_tbEUlT_E1_NS1_11comp_targetILNS1_3genE8ELNS1_11target_archE1030ELNS1_3gpuE2ELNS1_3repE0EEENS1_30default_config_static_selectorELNS0_4arch9wavefront6targetE1EEEvSK_.num_agpr, 0
	.set _ZN7rocprim17ROCPRIM_400000_NS6detail17trampoline_kernelINS0_14default_configENS1_22reduce_config_selectorIfEEZNS1_11reduce_implILb1ES3_N6thrust23THRUST_200600_302600_NS17counting_iteratorIfNS8_11hip_rocprim3tagENS8_11use_defaultESC_EEPffNS8_4plusIfEEEE10hipError_tPvRmT1_T2_T3_mT4_P12ihipStream_tbEUlT_E1_NS1_11comp_targetILNS1_3genE8ELNS1_11target_archE1030ELNS1_3gpuE2ELNS1_3repE0EEENS1_30default_config_static_selectorELNS0_4arch9wavefront6targetE1EEEvSK_.numbered_sgpr, 0
	.set _ZN7rocprim17ROCPRIM_400000_NS6detail17trampoline_kernelINS0_14default_configENS1_22reduce_config_selectorIfEEZNS1_11reduce_implILb1ES3_N6thrust23THRUST_200600_302600_NS17counting_iteratorIfNS8_11hip_rocprim3tagENS8_11use_defaultESC_EEPffNS8_4plusIfEEEE10hipError_tPvRmT1_T2_T3_mT4_P12ihipStream_tbEUlT_E1_NS1_11comp_targetILNS1_3genE8ELNS1_11target_archE1030ELNS1_3gpuE2ELNS1_3repE0EEENS1_30default_config_static_selectorELNS0_4arch9wavefront6targetE1EEEvSK_.num_named_barrier, 0
	.set _ZN7rocprim17ROCPRIM_400000_NS6detail17trampoline_kernelINS0_14default_configENS1_22reduce_config_selectorIfEEZNS1_11reduce_implILb1ES3_N6thrust23THRUST_200600_302600_NS17counting_iteratorIfNS8_11hip_rocprim3tagENS8_11use_defaultESC_EEPffNS8_4plusIfEEEE10hipError_tPvRmT1_T2_T3_mT4_P12ihipStream_tbEUlT_E1_NS1_11comp_targetILNS1_3genE8ELNS1_11target_archE1030ELNS1_3gpuE2ELNS1_3repE0EEENS1_30default_config_static_selectorELNS0_4arch9wavefront6targetE1EEEvSK_.private_seg_size, 0
	.set _ZN7rocprim17ROCPRIM_400000_NS6detail17trampoline_kernelINS0_14default_configENS1_22reduce_config_selectorIfEEZNS1_11reduce_implILb1ES3_N6thrust23THRUST_200600_302600_NS17counting_iteratorIfNS8_11hip_rocprim3tagENS8_11use_defaultESC_EEPffNS8_4plusIfEEEE10hipError_tPvRmT1_T2_T3_mT4_P12ihipStream_tbEUlT_E1_NS1_11comp_targetILNS1_3genE8ELNS1_11target_archE1030ELNS1_3gpuE2ELNS1_3repE0EEENS1_30default_config_static_selectorELNS0_4arch9wavefront6targetE1EEEvSK_.uses_vcc, 0
	.set _ZN7rocprim17ROCPRIM_400000_NS6detail17trampoline_kernelINS0_14default_configENS1_22reduce_config_selectorIfEEZNS1_11reduce_implILb1ES3_N6thrust23THRUST_200600_302600_NS17counting_iteratorIfNS8_11hip_rocprim3tagENS8_11use_defaultESC_EEPffNS8_4plusIfEEEE10hipError_tPvRmT1_T2_T3_mT4_P12ihipStream_tbEUlT_E1_NS1_11comp_targetILNS1_3genE8ELNS1_11target_archE1030ELNS1_3gpuE2ELNS1_3repE0EEENS1_30default_config_static_selectorELNS0_4arch9wavefront6targetE1EEEvSK_.uses_flat_scratch, 0
	.set _ZN7rocprim17ROCPRIM_400000_NS6detail17trampoline_kernelINS0_14default_configENS1_22reduce_config_selectorIfEEZNS1_11reduce_implILb1ES3_N6thrust23THRUST_200600_302600_NS17counting_iteratorIfNS8_11hip_rocprim3tagENS8_11use_defaultESC_EEPffNS8_4plusIfEEEE10hipError_tPvRmT1_T2_T3_mT4_P12ihipStream_tbEUlT_E1_NS1_11comp_targetILNS1_3genE8ELNS1_11target_archE1030ELNS1_3gpuE2ELNS1_3repE0EEENS1_30default_config_static_selectorELNS0_4arch9wavefront6targetE1EEEvSK_.has_dyn_sized_stack, 0
	.set _ZN7rocprim17ROCPRIM_400000_NS6detail17trampoline_kernelINS0_14default_configENS1_22reduce_config_selectorIfEEZNS1_11reduce_implILb1ES3_N6thrust23THRUST_200600_302600_NS17counting_iteratorIfNS8_11hip_rocprim3tagENS8_11use_defaultESC_EEPffNS8_4plusIfEEEE10hipError_tPvRmT1_T2_T3_mT4_P12ihipStream_tbEUlT_E1_NS1_11comp_targetILNS1_3genE8ELNS1_11target_archE1030ELNS1_3gpuE2ELNS1_3repE0EEENS1_30default_config_static_selectorELNS0_4arch9wavefront6targetE1EEEvSK_.has_recursion, 0
	.set _ZN7rocprim17ROCPRIM_400000_NS6detail17trampoline_kernelINS0_14default_configENS1_22reduce_config_selectorIfEEZNS1_11reduce_implILb1ES3_N6thrust23THRUST_200600_302600_NS17counting_iteratorIfNS8_11hip_rocprim3tagENS8_11use_defaultESC_EEPffNS8_4plusIfEEEE10hipError_tPvRmT1_T2_T3_mT4_P12ihipStream_tbEUlT_E1_NS1_11comp_targetILNS1_3genE8ELNS1_11target_archE1030ELNS1_3gpuE2ELNS1_3repE0EEENS1_30default_config_static_selectorELNS0_4arch9wavefront6targetE1EEEvSK_.has_indirect_call, 0
	.section	.AMDGPU.csdata,"",@progbits
; Kernel info:
; codeLenInByte = 0
; TotalNumSgprs: 6
; NumVgprs: 0
; NumAgprs: 0
; TotalNumVgprs: 0
; ScratchSize: 0
; MemoryBound: 0
; FloatMode: 240
; IeeeMode: 1
; LDSByteSize: 0 bytes/workgroup (compile time only)
; SGPRBlocks: 0
; VGPRBlocks: 0
; NumSGPRsForWavesPerEU: 6
; NumVGPRsForWavesPerEU: 1
; AccumOffset: 4
; Occupancy: 8
; WaveLimiterHint : 0
; COMPUTE_PGM_RSRC2:SCRATCH_EN: 0
; COMPUTE_PGM_RSRC2:USER_SGPR: 2
; COMPUTE_PGM_RSRC2:TRAP_HANDLER: 0
; COMPUTE_PGM_RSRC2:TGID_X_EN: 1
; COMPUTE_PGM_RSRC2:TGID_Y_EN: 0
; COMPUTE_PGM_RSRC2:TGID_Z_EN: 0
; COMPUTE_PGM_RSRC2:TIDIG_COMP_CNT: 0
; COMPUTE_PGM_RSRC3_GFX90A:ACCUM_OFFSET: 0
; COMPUTE_PGM_RSRC3_GFX90A:TG_SPLIT: 0
	.section	.text._ZN7rocprim17ROCPRIM_400000_NS6detail17trampoline_kernelINS0_14default_configENS1_22reduce_config_selectorIyEEZNS1_11reduce_implILb1ES3_N6thrust23THRUST_200600_302600_NS17counting_iteratorIyNS8_11hip_rocprim3tagENS8_11use_defaultESC_EEPyyNS8_4plusIyEEEE10hipError_tPvRmT1_T2_T3_mT4_P12ihipStream_tbEUlT_E0_NS1_11comp_targetILNS1_3genE0ELNS1_11target_archE4294967295ELNS1_3gpuE0ELNS1_3repE0EEENS1_30default_config_static_selectorELNS0_4arch9wavefront6targetE1EEEvSK_,"axG",@progbits,_ZN7rocprim17ROCPRIM_400000_NS6detail17trampoline_kernelINS0_14default_configENS1_22reduce_config_selectorIyEEZNS1_11reduce_implILb1ES3_N6thrust23THRUST_200600_302600_NS17counting_iteratorIyNS8_11hip_rocprim3tagENS8_11use_defaultESC_EEPyyNS8_4plusIyEEEE10hipError_tPvRmT1_T2_T3_mT4_P12ihipStream_tbEUlT_E0_NS1_11comp_targetILNS1_3genE0ELNS1_11target_archE4294967295ELNS1_3gpuE0ELNS1_3repE0EEENS1_30default_config_static_selectorELNS0_4arch9wavefront6targetE1EEEvSK_,comdat
	.protected	_ZN7rocprim17ROCPRIM_400000_NS6detail17trampoline_kernelINS0_14default_configENS1_22reduce_config_selectorIyEEZNS1_11reduce_implILb1ES3_N6thrust23THRUST_200600_302600_NS17counting_iteratorIyNS8_11hip_rocprim3tagENS8_11use_defaultESC_EEPyyNS8_4plusIyEEEE10hipError_tPvRmT1_T2_T3_mT4_P12ihipStream_tbEUlT_E0_NS1_11comp_targetILNS1_3genE0ELNS1_11target_archE4294967295ELNS1_3gpuE0ELNS1_3repE0EEENS1_30default_config_static_selectorELNS0_4arch9wavefront6targetE1EEEvSK_ ; -- Begin function _ZN7rocprim17ROCPRIM_400000_NS6detail17trampoline_kernelINS0_14default_configENS1_22reduce_config_selectorIyEEZNS1_11reduce_implILb1ES3_N6thrust23THRUST_200600_302600_NS17counting_iteratorIyNS8_11hip_rocprim3tagENS8_11use_defaultESC_EEPyyNS8_4plusIyEEEE10hipError_tPvRmT1_T2_T3_mT4_P12ihipStream_tbEUlT_E0_NS1_11comp_targetILNS1_3genE0ELNS1_11target_archE4294967295ELNS1_3gpuE0ELNS1_3repE0EEENS1_30default_config_static_selectorELNS0_4arch9wavefront6targetE1EEEvSK_
	.globl	_ZN7rocprim17ROCPRIM_400000_NS6detail17trampoline_kernelINS0_14default_configENS1_22reduce_config_selectorIyEEZNS1_11reduce_implILb1ES3_N6thrust23THRUST_200600_302600_NS17counting_iteratorIyNS8_11hip_rocprim3tagENS8_11use_defaultESC_EEPyyNS8_4plusIyEEEE10hipError_tPvRmT1_T2_T3_mT4_P12ihipStream_tbEUlT_E0_NS1_11comp_targetILNS1_3genE0ELNS1_11target_archE4294967295ELNS1_3gpuE0ELNS1_3repE0EEENS1_30default_config_static_selectorELNS0_4arch9wavefront6targetE1EEEvSK_
	.p2align	8
	.type	_ZN7rocprim17ROCPRIM_400000_NS6detail17trampoline_kernelINS0_14default_configENS1_22reduce_config_selectorIyEEZNS1_11reduce_implILb1ES3_N6thrust23THRUST_200600_302600_NS17counting_iteratorIyNS8_11hip_rocprim3tagENS8_11use_defaultESC_EEPyyNS8_4plusIyEEEE10hipError_tPvRmT1_T2_T3_mT4_P12ihipStream_tbEUlT_E0_NS1_11comp_targetILNS1_3genE0ELNS1_11target_archE4294967295ELNS1_3gpuE0ELNS1_3repE0EEENS1_30default_config_static_selectorELNS0_4arch9wavefront6targetE1EEEvSK_,@function
_ZN7rocprim17ROCPRIM_400000_NS6detail17trampoline_kernelINS0_14default_configENS1_22reduce_config_selectorIyEEZNS1_11reduce_implILb1ES3_N6thrust23THRUST_200600_302600_NS17counting_iteratorIyNS8_11hip_rocprim3tagENS8_11use_defaultESC_EEPyyNS8_4plusIyEEEE10hipError_tPvRmT1_T2_T3_mT4_P12ihipStream_tbEUlT_E0_NS1_11comp_targetILNS1_3genE0ELNS1_11target_archE4294967295ELNS1_3gpuE0ELNS1_3repE0EEENS1_30default_config_static_selectorELNS0_4arch9wavefront6targetE1EEEvSK_: ; @_ZN7rocprim17ROCPRIM_400000_NS6detail17trampoline_kernelINS0_14default_configENS1_22reduce_config_selectorIyEEZNS1_11reduce_implILb1ES3_N6thrust23THRUST_200600_302600_NS17counting_iteratorIyNS8_11hip_rocprim3tagENS8_11use_defaultESC_EEPyyNS8_4plusIyEEEE10hipError_tPvRmT1_T2_T3_mT4_P12ihipStream_tbEUlT_E0_NS1_11comp_targetILNS1_3genE0ELNS1_11target_archE4294967295ELNS1_3gpuE0ELNS1_3repE0EEENS1_30default_config_static_selectorELNS0_4arch9wavefront6targetE1EEEvSK_
; %bb.0:
	s_load_dwordx8 s[4:11], s[0:1], 0x0
	s_load_dwordx4 s[12:15], s[0:1], 0x20
	s_load_dwordx2 s[16:17], s[0:1], 0x30
	s_mov_b32 s3, 0
	v_mbcnt_lo_u32_b32 v4, -1, 0
	s_waitcnt lgkmcnt(0)
	s_add_u32 s4, s6, s4
	s_addc_u32 s5, s7, s5
	s_lshl_b32 s6, s2, 12
	s_lshr_b64 s[0:1], s[8:9], 12
	s_cmp_lg_u64 s[0:1], s[2:3]
	s_cbranch_scc0 .LBB1019_6
; %bb.1:
	s_add_u32 s0, s4, s6
	s_addc_u32 s1, s5, 0
	v_mov_b32_e32 v1, 0
	v_lshl_add_u64 v[2:3], s[0:1], 0, v[0:1]
	v_mov_b64_e32 v[6:7], 0x7800
	v_lshl_add_u64 v[2:3], v[2:3], 4, v[6:7]
	v_mov_b32_e32 v7, v1
	v_mov_b32_e32 v8, v1
	v_mov_b32_dpp v6, v2 quad_perm:[1,0,3,2] row_mask:0xf bank_mask:0xf bound_ctrl:1
	v_mov_b32_dpp v9, v3 quad_perm:[1,0,3,2] row_mask:0xf bank_mask:0xf bound_ctrl:1
	v_lshl_add_u64 v[2:3], v[2:3], 0, v[6:7]
	v_lshl_add_u64 v[6:7], v[8:9], 0, v[2:3]
	v_mov_b32_e32 v3, v1
	v_mov_b32_dpp v2, v2 quad_perm:[2,3,0,1] row_mask:0xf bank_mask:0xf bound_ctrl:1
	v_mov_b32_dpp v9, v7 quad_perm:[2,3,0,1] row_mask:0xf bank_mask:0xf bound_ctrl:1
	v_lshl_add_u64 v[2:3], v[6:7], 0, v[2:3]
	v_lshl_add_u64 v[6:7], v[2:3], 0, v[8:9]
	v_mov_b32_e32 v3, v1
	v_mov_b32_dpp v2, v2 row_ror:4 row_mask:0xf bank_mask:0xf bound_ctrl:1
	v_mov_b32_dpp v9, v7 row_ror:4 row_mask:0xf bank_mask:0xf bound_ctrl:1
	v_lshl_add_u64 v[2:3], v[6:7], 0, v[2:3]
	v_lshl_add_u64 v[6:7], v[2:3], 0, v[8:9]
	v_mov_b32_e32 v3, v1
	v_mov_b32_dpp v2, v2 row_ror:8 row_mask:0xf bank_mask:0xf bound_ctrl:1
	v_mov_b32_dpp v9, v7 row_ror:8 row_mask:0xf bank_mask:0xf bound_ctrl:1
	v_lshl_add_u64 v[2:3], v[6:7], 0, v[2:3]
	v_lshl_add_u64 v[6:7], v[2:3], 0, v[8:9]
	v_mov_b32_e32 v3, v1
	v_mov_b32_dpp v2, v2 row_bcast:15 row_mask:0xf bank_mask:0xf bound_ctrl:1
	v_mov_b32_dpp v9, v7 row_bcast:15 row_mask:0xf bank_mask:0xf bound_ctrl:1
	v_lshl_add_u64 v[2:3], v[6:7], 0, v[2:3]
	v_mbcnt_hi_u32_b32 v5, -1, v4
	v_lshl_add_u64 v[6:7], v[2:3], 0, v[8:9]
	v_mov_b32_dpp v2, v2 row_bcast:31 row_mask:0xf bank_mask:0xf bound_ctrl:1
	v_mov_b32_e32 v3, v1
	v_lshl_add_u64 v[2:3], v[6:7], 0, v[2:3]
	v_lshlrev_b32_e32 v1, 2, v5
	v_or_b32_e32 v6, 0xfc, v1
	v_add_u32_dpp v3, v7, v3 row_bcast:31 row_mask:0xf bank_mask:0xf bound_ctrl:1
	ds_bpermute_b32 v2, v6, v2
	ds_bpermute_b32 v3, v6, v3
	v_cmp_eq_u32_e32 vcc, 0, v5
	s_and_saveexec_b64 s[0:1], vcc
	s_cbranch_execz .LBB1019_3
; %bb.2:
	v_lshrrev_b32_e32 v6, 3, v0
	v_and_b32_e32 v6, 24, v6
	s_waitcnt lgkmcnt(0)
	ds_write_b64 v6, v[2:3]
.LBB1019_3:
	s_or_b64 exec, exec, s[0:1]
	v_cmp_gt_u32_e32 vcc, 64, v0
	s_waitcnt lgkmcnt(0)
	s_barrier
	s_and_saveexec_b64 s[0:1], vcc
	s_cbranch_execz .LBB1019_5
; %bb.4:
	v_and_b32_e32 v6, 3, v5
	v_lshlrev_b32_e32 v2, 3, v6
	ds_read_b64 v[2:3], v2
	v_cmp_ne_u32_e32 vcc, 3, v6
	v_mov_b32_e32 v8, 0
	v_mov_b32_e32 v7, v8
	v_addc_co_u32_e32 v5, vcc, 0, v5, vcc
	v_lshlrev_b32_e32 v5, 2, v5
	s_waitcnt lgkmcnt(0)
	ds_bpermute_b32 v6, v5, v2
	ds_bpermute_b32 v9, v5, v3
	v_or_b32_e32 v1, 8, v1
	s_waitcnt lgkmcnt(1)
	v_lshl_add_u64 v[2:3], v[2:3], 0, v[6:7]
	s_waitcnt lgkmcnt(0)
	v_lshl_add_u64 v[6:7], v[8:9], 0, v[2:3]
	ds_bpermute_b32 v2, v1, v2
	ds_bpermute_b32 v9, v1, v7
	v_mov_b32_e32 v3, v8
	s_waitcnt lgkmcnt(1)
	v_lshl_add_u64 v[2:3], v[6:7], 0, v[2:3]
	s_waitcnt lgkmcnt(0)
	v_lshl_add_u64 v[2:3], v[2:3], 0, v[8:9]
.LBB1019_5:
	s_or_b64 exec, exec, s[0:1]
	s_branch .LBB1019_16
.LBB1019_6:
                                        ; implicit-def: $vgpr2_vgpr3
	s_cbranch_execz .LBB1019_16
; %bb.7:
	s_sub_i32 s7, s8, s6
	s_add_u32 s0, s4, s6
	s_addc_u32 s1, s5, 0
	v_mov_b32_e32 v1, 0
	v_lshl_add_u64 v[2:3], s[0:1], 0, v[0:1]
	v_cmp_gt_u32_e32 vcc, s7, v0
	v_or_b32_e32 v6, 0x100, v0
	v_mov_b32_e32 v7, v1
	v_cndmask_b32_e32 v3, 0, v3, vcc
	v_cndmask_b32_e32 v2, 0, v2, vcc
	v_lshl_add_u64 v[8:9], s[0:1], 0, v[6:7]
	v_or_b32_e32 v10, 0x200, v0
	v_mov_b32_e32 v11, v1
	v_cmp_gt_u32_e32 vcc, s7, v6
	v_lshl_add_u64 v[12:13], s[0:1], 0, v[10:11]
	v_or_b32_e32 v14, 0x300, v0
	v_mov_b32_e32 v15, v1
	v_cndmask_b32_e32 v7, 0, v9, vcc
	v_cndmask_b32_e32 v6, 0, v8, vcc
	v_cmp_gt_u32_e32 vcc, s7, v10
	v_lshl_add_u64 v[16:17], s[0:1], 0, v[14:15]
	v_or_b32_e32 v18, 0x400, v0
	v_mov_b32_e32 v19, v1
	v_cndmask_b32_e32 v11, 0, v13, vcc
	v_cndmask_b32_e32 v10, 0, v12, vcc
	;; [unrolled: 6-line block ×13, first 2 shown]
	v_cmp_gt_u32_e32 vcc, s7, v58
	v_lshl_add_u64 v[16:17], s[0:1], 0, v[12:13]
	s_min_u32 s6, s7, 0x100
	v_cndmask_b32_e32 v9, 0, v9, vcc
	v_cndmask_b32_e32 v8, 0, v8, vcc
	v_cmp_gt_u32_e32 vcc, s7, v12
	s_nop 1
	v_cndmask_b32_e32 v13, 0, v17, vcc
	v_cndmask_b32_e32 v12, 0, v16, vcc
	v_lshl_add_u64 v[8:9], v[12:13], 0, v[8:9]
	v_lshl_add_u64 v[8:9], v[8:9], 0, v[34:35]
	v_lshl_add_u64 v[8:9], v[8:9], 0, v[36:37]
	v_lshl_add_u64 v[2:3], v[8:9], 0, v[2:3]
	v_lshl_add_u64 v[2:3], v[2:3], 0, v[6:7]
	v_lshl_add_u64 v[2:3], v[2:3], 0, v[10:11]
	v_lshl_add_u64 v[2:3], v[2:3], 0, v[14:15]
	v_lshl_add_u64 v[2:3], v[2:3], 0, v[18:19]
	v_lshl_add_u64 v[2:3], v[2:3], 0, v[20:21]
	v_lshl_add_u64 v[2:3], v[2:3], 0, v[22:23]
	v_lshl_add_u64 v[2:3], v[2:3], 0, v[24:25]
	v_mbcnt_hi_u32_b32 v8, -1, v4
	v_lshl_add_u64 v[2:3], v[2:3], 0, v[26:27]
	v_and_b32_e32 v10, 63, v8
	v_lshl_add_u64 v[2:3], v[2:3], 0, v[28:29]
	v_and_b32_e32 v4, 0xc0, v0
	v_cmp_ne_u32_e32 vcc, 63, v10
	v_lshl_add_u64 v[2:3], v[2:3], 0, v[30:31]
	v_sub_u32_e64 v9, s6, v4 clamp
	v_addc_co_u32_e32 v4, vcc, 0, v8, vcc
	v_lshl_add_u64 v[2:3], v[2:3], 0, v[32:33]
	v_lshlrev_b32_e32 v5, 2, v4
	ds_bpermute_b32 v4, v5, v2
	ds_bpermute_b32 v7, v5, v3
	v_add_u32_e32 v11, 1, v10
	v_mov_b32_e32 v5, v1
	v_mov_b32_e32 v6, v1
	s_waitcnt lgkmcnt(1)
	v_lshl_add_u64 v[4:5], v[2:3], 0, v[4:5]
	v_cmp_lt_u32_e64 s[0:1], v11, v9
	v_cmp_gt_u32_e32 vcc, 62, v10
	s_waitcnt lgkmcnt(0)
	v_lshl_add_u64 v[6:7], v[6:7], 0, v[4:5]
	v_cndmask_b32_e64 v1, v2, v4, s[0:1]
	v_cndmask_b32_e64 v4, 0, 2, vcc
	v_cndmask_b32_e64 v5, v3, v7, s[0:1]
	v_add_lshl_u32 v4, v4, v8, 2
	ds_bpermute_b32 v12, v4, v1
	ds_bpermute_b32 v13, v4, v5
	v_cndmask_b32_e64 v4, v2, v6, s[0:1]
	v_add_u32_e32 v11, 2, v10
	v_cmp_lt_u32_e32 vcc, v11, v9
	v_cmp_gt_u32_e64 s[4:5], 60, v10
	s_waitcnt lgkmcnt(0)
	v_lshl_add_u64 v[6:7], v[12:13], 0, v[4:5]
	v_cndmask_b32_e32 v5, v5, v7, vcc
	v_cndmask_b32_e64 v7, 0, 4, s[4:5]
	v_cndmask_b32_e32 v1, v1, v6, vcc
	v_add_lshl_u32 v7, v7, v8, 2
	ds_bpermute_b32 v12, v7, v1
	ds_bpermute_b32 v13, v7, v5
	v_cndmask_b32_e32 v4, v4, v6, vcc
	v_add_u32_e32 v11, 4, v10
	v_cmp_lt_u32_e32 vcc, v11, v9
	v_cmp_gt_u32_e64 s[4:5], 56, v10
	s_waitcnt lgkmcnt(0)
	v_lshl_add_u64 v[6:7], v[12:13], 0, v[4:5]
	v_cndmask_b32_e32 v5, v5, v7, vcc
	v_cndmask_b32_e64 v7, 0, 8, s[4:5]
	v_cndmask_b32_e32 v1, v1, v6, vcc
	v_add_lshl_u32 v7, v7, v8, 2
	ds_bpermute_b32 v12, v7, v1
	ds_bpermute_b32 v13, v7, v5
	v_cndmask_b32_e32 v4, v4, v6, vcc
	;; [unrolled: 12-line block ×3, first 2 shown]
	v_add_u32_e32 v11, 16, v10
	v_cmp_lt_u32_e32 vcc, v11, v9
	s_waitcnt lgkmcnt(0)
	v_lshl_add_u64 v[6:7], v[12:13], 0, v[4:5]
	v_cndmask_b32_e32 v11, v1, v6, vcc
	v_lshlrev_b32_e32 v1, 2, v8
	v_cndmask_b32_e32 v12, v5, v7, vcc
	v_or_b32_e32 v13, 0x80, v1
	ds_bpermute_b32 v11, v13, v11
	ds_bpermute_b32 v12, v13, v12
	s_and_saveexec_b64 s[4:5], s[0:1]
	s_cbranch_execz .LBB1019_9
; %bb.8:
	v_add_u32_e32 v10, 32, v10
	v_cndmask_b32_e32 v3, v5, v7, vcc
	v_cndmask_b32_e32 v2, v4, v6, vcc
	v_cmp_lt_u32_e32 vcc, v10, v9
	s_waitcnt lgkmcnt(0)
	s_nop 0
	v_cndmask_b32_e32 v5, 0, v12, vcc
	v_cndmask_b32_e32 v4, 0, v11, vcc
	v_lshl_add_u64 v[2:3], v[4:5], 0, v[2:3]
.LBB1019_9:
	s_or_b64 exec, exec, s[4:5]
	v_cmp_eq_u32_e32 vcc, 0, v8
	s_and_saveexec_b64 s[0:1], vcc
; %bb.10:
	v_lshrrev_b32_e32 v4, 3, v0
	v_and_b32_e32 v4, 24, v4
	ds_write_b64 v4, v[2:3] offset:32
; %bb.11:
	s_or_b64 exec, exec, s[0:1]
	v_cmp_gt_u32_e32 vcc, 4, v0
	s_waitcnt lgkmcnt(0)
	s_barrier
	s_and_saveexec_b64 s[0:1], vcc
	s_cbranch_execz .LBB1019_15
; %bb.12:
	v_lshlrev_b32_e32 v2, 3, v8
	ds_read_b64 v[2:3], v2 offset:32
	v_and_b32_e32 v6, 3, v8
	v_cmp_ne_u32_e32 vcc, 3, v6
	s_add_i32 s6, s6, 63
	s_lshr_b32 s6, s6, 6
	v_addc_co_u32_e32 v4, vcc, 0, v8, vcc
	v_lshlrev_b32_e32 v5, 2, v4
	s_waitcnt lgkmcnt(0)
	ds_bpermute_b32 v4, v5, v2
	ds_bpermute_b32 v9, v5, v3
	v_mov_b32_e32 v8, 0
	v_mov_b32_e32 v5, v8
	v_add_u32_e32 v7, 1, v6
	s_waitcnt lgkmcnt(1)
	v_lshl_add_u64 v[10:11], v[2:3], 0, v[4:5]
	s_waitcnt lgkmcnt(0)
	v_lshl_add_u64 v[4:5], v[8:9], 0, v[10:11]
	v_cmp_gt_u32_e32 vcc, s6, v7
	v_or_b32_e32 v9, 8, v1
	s_nop 0
	v_cndmask_b32_e32 v7, v3, v5, vcc
	v_cndmask_b32_e32 v8, v2, v10, vcc
	ds_bpermute_b32 v1, v9, v8
	ds_bpermute_b32 v7, v9, v7
	s_and_saveexec_b64 s[4:5], vcc
	s_cbranch_execz .LBB1019_14
; %bb.13:
	v_add_u32_e32 v2, 2, v6
	v_cmp_gt_u32_e32 vcc, s6, v2
	s_waitcnt lgkmcnt(0)
	s_nop 0
	v_cndmask_b32_e32 v3, 0, v7, vcc
	v_cndmask_b32_e32 v2, 0, v1, vcc
	v_lshl_add_u64 v[2:3], v[2:3], 0, v[4:5]
.LBB1019_14:
	s_or_b64 exec, exec, s[4:5]
.LBB1019_15:
	s_or_b64 exec, exec, s[0:1]
.LBB1019_16:
	v_cmp_eq_u32_e32 vcc, 0, v0
	s_and_saveexec_b64 s[0:1], vcc
	s_cbranch_execnz .LBB1019_18
; %bb.17:
	s_endpgm
.LBB1019_18:
	s_mul_i32 s0, s14, s13
	s_mul_hi_u32 s1, s14, s12
	s_add_i32 s0, s1, s0
	s_mul_i32 s1, s15, s12
	s_add_i32 s1, s0, s1
	s_mul_i32 s0, s14, s12
	s_lshl_b64 s[0:1], s[0:1], 3
	s_add_u32 s4, s10, s0
	s_addc_u32 s5, s11, s1
	s_cmp_eq_u64 s[8:9], 0
	v_mov_b32_e32 v0, s17
	s_cselect_b64 vcc, -1, 0
	s_lshl_b64 s[0:1], s[2:3], 3
	s_waitcnt lgkmcnt(1)
	v_cndmask_b32_e32 v1, v3, v0, vcc
	v_mov_b32_e32 v0, s16
	s_add_u32 s0, s4, s0
	v_cndmask_b32_e32 v0, v2, v0, vcc
	s_addc_u32 s1, s5, s1
	v_mov_b32_e32 v2, 0
	global_store_dwordx2 v2, v[0:1], s[0:1]
	s_endpgm
	.section	.rodata,"a",@progbits
	.p2align	6, 0x0
	.amdhsa_kernel _ZN7rocprim17ROCPRIM_400000_NS6detail17trampoline_kernelINS0_14default_configENS1_22reduce_config_selectorIyEEZNS1_11reduce_implILb1ES3_N6thrust23THRUST_200600_302600_NS17counting_iteratorIyNS8_11hip_rocprim3tagENS8_11use_defaultESC_EEPyyNS8_4plusIyEEEE10hipError_tPvRmT1_T2_T3_mT4_P12ihipStream_tbEUlT_E0_NS1_11comp_targetILNS1_3genE0ELNS1_11target_archE4294967295ELNS1_3gpuE0ELNS1_3repE0EEENS1_30default_config_static_selectorELNS0_4arch9wavefront6targetE1EEEvSK_
		.amdhsa_group_segment_fixed_size 64
		.amdhsa_private_segment_fixed_size 0
		.amdhsa_kernarg_size 64
		.amdhsa_user_sgpr_count 2
		.amdhsa_user_sgpr_dispatch_ptr 0
		.amdhsa_user_sgpr_queue_ptr 0
		.amdhsa_user_sgpr_kernarg_segment_ptr 1
		.amdhsa_user_sgpr_dispatch_id 0
		.amdhsa_user_sgpr_kernarg_preload_length 0
		.amdhsa_user_sgpr_kernarg_preload_offset 0
		.amdhsa_user_sgpr_private_segment_size 0
		.amdhsa_uses_dynamic_stack 0
		.amdhsa_enable_private_segment 0
		.amdhsa_system_sgpr_workgroup_id_x 1
		.amdhsa_system_sgpr_workgroup_id_y 0
		.amdhsa_system_sgpr_workgroup_id_z 0
		.amdhsa_system_sgpr_workgroup_info 0
		.amdhsa_system_vgpr_workitem_id 0
		.amdhsa_next_free_vgpr 60
		.amdhsa_next_free_sgpr 18
		.amdhsa_accum_offset 60
		.amdhsa_reserve_vcc 1
		.amdhsa_float_round_mode_32 0
		.amdhsa_float_round_mode_16_64 0
		.amdhsa_float_denorm_mode_32 3
		.amdhsa_float_denorm_mode_16_64 3
		.amdhsa_dx10_clamp 1
		.amdhsa_ieee_mode 1
		.amdhsa_fp16_overflow 0
		.amdhsa_tg_split 0
		.amdhsa_exception_fp_ieee_invalid_op 0
		.amdhsa_exception_fp_denorm_src 0
		.amdhsa_exception_fp_ieee_div_zero 0
		.amdhsa_exception_fp_ieee_overflow 0
		.amdhsa_exception_fp_ieee_underflow 0
		.amdhsa_exception_fp_ieee_inexact 0
		.amdhsa_exception_int_div_zero 0
	.end_amdhsa_kernel
	.section	.text._ZN7rocprim17ROCPRIM_400000_NS6detail17trampoline_kernelINS0_14default_configENS1_22reduce_config_selectorIyEEZNS1_11reduce_implILb1ES3_N6thrust23THRUST_200600_302600_NS17counting_iteratorIyNS8_11hip_rocprim3tagENS8_11use_defaultESC_EEPyyNS8_4plusIyEEEE10hipError_tPvRmT1_T2_T3_mT4_P12ihipStream_tbEUlT_E0_NS1_11comp_targetILNS1_3genE0ELNS1_11target_archE4294967295ELNS1_3gpuE0ELNS1_3repE0EEENS1_30default_config_static_selectorELNS0_4arch9wavefront6targetE1EEEvSK_,"axG",@progbits,_ZN7rocprim17ROCPRIM_400000_NS6detail17trampoline_kernelINS0_14default_configENS1_22reduce_config_selectorIyEEZNS1_11reduce_implILb1ES3_N6thrust23THRUST_200600_302600_NS17counting_iteratorIyNS8_11hip_rocprim3tagENS8_11use_defaultESC_EEPyyNS8_4plusIyEEEE10hipError_tPvRmT1_T2_T3_mT4_P12ihipStream_tbEUlT_E0_NS1_11comp_targetILNS1_3genE0ELNS1_11target_archE4294967295ELNS1_3gpuE0ELNS1_3repE0EEENS1_30default_config_static_selectorELNS0_4arch9wavefront6targetE1EEEvSK_,comdat
.Lfunc_end1019:
	.size	_ZN7rocprim17ROCPRIM_400000_NS6detail17trampoline_kernelINS0_14default_configENS1_22reduce_config_selectorIyEEZNS1_11reduce_implILb1ES3_N6thrust23THRUST_200600_302600_NS17counting_iteratorIyNS8_11hip_rocprim3tagENS8_11use_defaultESC_EEPyyNS8_4plusIyEEEE10hipError_tPvRmT1_T2_T3_mT4_P12ihipStream_tbEUlT_E0_NS1_11comp_targetILNS1_3genE0ELNS1_11target_archE4294967295ELNS1_3gpuE0ELNS1_3repE0EEENS1_30default_config_static_selectorELNS0_4arch9wavefront6targetE1EEEvSK_, .Lfunc_end1019-_ZN7rocprim17ROCPRIM_400000_NS6detail17trampoline_kernelINS0_14default_configENS1_22reduce_config_selectorIyEEZNS1_11reduce_implILb1ES3_N6thrust23THRUST_200600_302600_NS17counting_iteratorIyNS8_11hip_rocprim3tagENS8_11use_defaultESC_EEPyyNS8_4plusIyEEEE10hipError_tPvRmT1_T2_T3_mT4_P12ihipStream_tbEUlT_E0_NS1_11comp_targetILNS1_3genE0ELNS1_11target_archE4294967295ELNS1_3gpuE0ELNS1_3repE0EEENS1_30default_config_static_selectorELNS0_4arch9wavefront6targetE1EEEvSK_
                                        ; -- End function
	.set _ZN7rocprim17ROCPRIM_400000_NS6detail17trampoline_kernelINS0_14default_configENS1_22reduce_config_selectorIyEEZNS1_11reduce_implILb1ES3_N6thrust23THRUST_200600_302600_NS17counting_iteratorIyNS8_11hip_rocprim3tagENS8_11use_defaultESC_EEPyyNS8_4plusIyEEEE10hipError_tPvRmT1_T2_T3_mT4_P12ihipStream_tbEUlT_E0_NS1_11comp_targetILNS1_3genE0ELNS1_11target_archE4294967295ELNS1_3gpuE0ELNS1_3repE0EEENS1_30default_config_static_selectorELNS0_4arch9wavefront6targetE1EEEvSK_.num_vgpr, 60
	.set _ZN7rocprim17ROCPRIM_400000_NS6detail17trampoline_kernelINS0_14default_configENS1_22reduce_config_selectorIyEEZNS1_11reduce_implILb1ES3_N6thrust23THRUST_200600_302600_NS17counting_iteratorIyNS8_11hip_rocprim3tagENS8_11use_defaultESC_EEPyyNS8_4plusIyEEEE10hipError_tPvRmT1_T2_T3_mT4_P12ihipStream_tbEUlT_E0_NS1_11comp_targetILNS1_3genE0ELNS1_11target_archE4294967295ELNS1_3gpuE0ELNS1_3repE0EEENS1_30default_config_static_selectorELNS0_4arch9wavefront6targetE1EEEvSK_.num_agpr, 0
	.set _ZN7rocprim17ROCPRIM_400000_NS6detail17trampoline_kernelINS0_14default_configENS1_22reduce_config_selectorIyEEZNS1_11reduce_implILb1ES3_N6thrust23THRUST_200600_302600_NS17counting_iteratorIyNS8_11hip_rocprim3tagENS8_11use_defaultESC_EEPyyNS8_4plusIyEEEE10hipError_tPvRmT1_T2_T3_mT4_P12ihipStream_tbEUlT_E0_NS1_11comp_targetILNS1_3genE0ELNS1_11target_archE4294967295ELNS1_3gpuE0ELNS1_3repE0EEENS1_30default_config_static_selectorELNS0_4arch9wavefront6targetE1EEEvSK_.numbered_sgpr, 18
	.set _ZN7rocprim17ROCPRIM_400000_NS6detail17trampoline_kernelINS0_14default_configENS1_22reduce_config_selectorIyEEZNS1_11reduce_implILb1ES3_N6thrust23THRUST_200600_302600_NS17counting_iteratorIyNS8_11hip_rocprim3tagENS8_11use_defaultESC_EEPyyNS8_4plusIyEEEE10hipError_tPvRmT1_T2_T3_mT4_P12ihipStream_tbEUlT_E0_NS1_11comp_targetILNS1_3genE0ELNS1_11target_archE4294967295ELNS1_3gpuE0ELNS1_3repE0EEENS1_30default_config_static_selectorELNS0_4arch9wavefront6targetE1EEEvSK_.num_named_barrier, 0
	.set _ZN7rocprim17ROCPRIM_400000_NS6detail17trampoline_kernelINS0_14default_configENS1_22reduce_config_selectorIyEEZNS1_11reduce_implILb1ES3_N6thrust23THRUST_200600_302600_NS17counting_iteratorIyNS8_11hip_rocprim3tagENS8_11use_defaultESC_EEPyyNS8_4plusIyEEEE10hipError_tPvRmT1_T2_T3_mT4_P12ihipStream_tbEUlT_E0_NS1_11comp_targetILNS1_3genE0ELNS1_11target_archE4294967295ELNS1_3gpuE0ELNS1_3repE0EEENS1_30default_config_static_selectorELNS0_4arch9wavefront6targetE1EEEvSK_.private_seg_size, 0
	.set _ZN7rocprim17ROCPRIM_400000_NS6detail17trampoline_kernelINS0_14default_configENS1_22reduce_config_selectorIyEEZNS1_11reduce_implILb1ES3_N6thrust23THRUST_200600_302600_NS17counting_iteratorIyNS8_11hip_rocprim3tagENS8_11use_defaultESC_EEPyyNS8_4plusIyEEEE10hipError_tPvRmT1_T2_T3_mT4_P12ihipStream_tbEUlT_E0_NS1_11comp_targetILNS1_3genE0ELNS1_11target_archE4294967295ELNS1_3gpuE0ELNS1_3repE0EEENS1_30default_config_static_selectorELNS0_4arch9wavefront6targetE1EEEvSK_.uses_vcc, 1
	.set _ZN7rocprim17ROCPRIM_400000_NS6detail17trampoline_kernelINS0_14default_configENS1_22reduce_config_selectorIyEEZNS1_11reduce_implILb1ES3_N6thrust23THRUST_200600_302600_NS17counting_iteratorIyNS8_11hip_rocprim3tagENS8_11use_defaultESC_EEPyyNS8_4plusIyEEEE10hipError_tPvRmT1_T2_T3_mT4_P12ihipStream_tbEUlT_E0_NS1_11comp_targetILNS1_3genE0ELNS1_11target_archE4294967295ELNS1_3gpuE0ELNS1_3repE0EEENS1_30default_config_static_selectorELNS0_4arch9wavefront6targetE1EEEvSK_.uses_flat_scratch, 0
	.set _ZN7rocprim17ROCPRIM_400000_NS6detail17trampoline_kernelINS0_14default_configENS1_22reduce_config_selectorIyEEZNS1_11reduce_implILb1ES3_N6thrust23THRUST_200600_302600_NS17counting_iteratorIyNS8_11hip_rocprim3tagENS8_11use_defaultESC_EEPyyNS8_4plusIyEEEE10hipError_tPvRmT1_T2_T3_mT4_P12ihipStream_tbEUlT_E0_NS1_11comp_targetILNS1_3genE0ELNS1_11target_archE4294967295ELNS1_3gpuE0ELNS1_3repE0EEENS1_30default_config_static_selectorELNS0_4arch9wavefront6targetE1EEEvSK_.has_dyn_sized_stack, 0
	.set _ZN7rocprim17ROCPRIM_400000_NS6detail17trampoline_kernelINS0_14default_configENS1_22reduce_config_selectorIyEEZNS1_11reduce_implILb1ES3_N6thrust23THRUST_200600_302600_NS17counting_iteratorIyNS8_11hip_rocprim3tagENS8_11use_defaultESC_EEPyyNS8_4plusIyEEEE10hipError_tPvRmT1_T2_T3_mT4_P12ihipStream_tbEUlT_E0_NS1_11comp_targetILNS1_3genE0ELNS1_11target_archE4294967295ELNS1_3gpuE0ELNS1_3repE0EEENS1_30default_config_static_selectorELNS0_4arch9wavefront6targetE1EEEvSK_.has_recursion, 0
	.set _ZN7rocprim17ROCPRIM_400000_NS6detail17trampoline_kernelINS0_14default_configENS1_22reduce_config_selectorIyEEZNS1_11reduce_implILb1ES3_N6thrust23THRUST_200600_302600_NS17counting_iteratorIyNS8_11hip_rocprim3tagENS8_11use_defaultESC_EEPyyNS8_4plusIyEEEE10hipError_tPvRmT1_T2_T3_mT4_P12ihipStream_tbEUlT_E0_NS1_11comp_targetILNS1_3genE0ELNS1_11target_archE4294967295ELNS1_3gpuE0ELNS1_3repE0EEENS1_30default_config_static_selectorELNS0_4arch9wavefront6targetE1EEEvSK_.has_indirect_call, 0
	.section	.AMDGPU.csdata,"",@progbits
; Kernel info:
; codeLenInByte = 2008
; TotalNumSgprs: 24
; NumVgprs: 60
; NumAgprs: 0
; TotalNumVgprs: 60
; ScratchSize: 0
; MemoryBound: 0
; FloatMode: 240
; IeeeMode: 1
; LDSByteSize: 64 bytes/workgroup (compile time only)
; SGPRBlocks: 2
; VGPRBlocks: 7
; NumSGPRsForWavesPerEU: 24
; NumVGPRsForWavesPerEU: 60
; AccumOffset: 60
; Occupancy: 8
; WaveLimiterHint : 0
; COMPUTE_PGM_RSRC2:SCRATCH_EN: 0
; COMPUTE_PGM_RSRC2:USER_SGPR: 2
; COMPUTE_PGM_RSRC2:TRAP_HANDLER: 0
; COMPUTE_PGM_RSRC2:TGID_X_EN: 1
; COMPUTE_PGM_RSRC2:TGID_Y_EN: 0
; COMPUTE_PGM_RSRC2:TGID_Z_EN: 0
; COMPUTE_PGM_RSRC2:TIDIG_COMP_CNT: 0
; COMPUTE_PGM_RSRC3_GFX90A:ACCUM_OFFSET: 14
; COMPUTE_PGM_RSRC3_GFX90A:TG_SPLIT: 0
	.section	.text._ZN7rocprim17ROCPRIM_400000_NS6detail17trampoline_kernelINS0_14default_configENS1_22reduce_config_selectorIyEEZNS1_11reduce_implILb1ES3_N6thrust23THRUST_200600_302600_NS17counting_iteratorIyNS8_11hip_rocprim3tagENS8_11use_defaultESC_EEPyyNS8_4plusIyEEEE10hipError_tPvRmT1_T2_T3_mT4_P12ihipStream_tbEUlT_E0_NS1_11comp_targetILNS1_3genE5ELNS1_11target_archE942ELNS1_3gpuE9ELNS1_3repE0EEENS1_30default_config_static_selectorELNS0_4arch9wavefront6targetE1EEEvSK_,"axG",@progbits,_ZN7rocprim17ROCPRIM_400000_NS6detail17trampoline_kernelINS0_14default_configENS1_22reduce_config_selectorIyEEZNS1_11reduce_implILb1ES3_N6thrust23THRUST_200600_302600_NS17counting_iteratorIyNS8_11hip_rocprim3tagENS8_11use_defaultESC_EEPyyNS8_4plusIyEEEE10hipError_tPvRmT1_T2_T3_mT4_P12ihipStream_tbEUlT_E0_NS1_11comp_targetILNS1_3genE5ELNS1_11target_archE942ELNS1_3gpuE9ELNS1_3repE0EEENS1_30default_config_static_selectorELNS0_4arch9wavefront6targetE1EEEvSK_,comdat
	.protected	_ZN7rocprim17ROCPRIM_400000_NS6detail17trampoline_kernelINS0_14default_configENS1_22reduce_config_selectorIyEEZNS1_11reduce_implILb1ES3_N6thrust23THRUST_200600_302600_NS17counting_iteratorIyNS8_11hip_rocprim3tagENS8_11use_defaultESC_EEPyyNS8_4plusIyEEEE10hipError_tPvRmT1_T2_T3_mT4_P12ihipStream_tbEUlT_E0_NS1_11comp_targetILNS1_3genE5ELNS1_11target_archE942ELNS1_3gpuE9ELNS1_3repE0EEENS1_30default_config_static_selectorELNS0_4arch9wavefront6targetE1EEEvSK_ ; -- Begin function _ZN7rocprim17ROCPRIM_400000_NS6detail17trampoline_kernelINS0_14default_configENS1_22reduce_config_selectorIyEEZNS1_11reduce_implILb1ES3_N6thrust23THRUST_200600_302600_NS17counting_iteratorIyNS8_11hip_rocprim3tagENS8_11use_defaultESC_EEPyyNS8_4plusIyEEEE10hipError_tPvRmT1_T2_T3_mT4_P12ihipStream_tbEUlT_E0_NS1_11comp_targetILNS1_3genE5ELNS1_11target_archE942ELNS1_3gpuE9ELNS1_3repE0EEENS1_30default_config_static_selectorELNS0_4arch9wavefront6targetE1EEEvSK_
	.globl	_ZN7rocprim17ROCPRIM_400000_NS6detail17trampoline_kernelINS0_14default_configENS1_22reduce_config_selectorIyEEZNS1_11reduce_implILb1ES3_N6thrust23THRUST_200600_302600_NS17counting_iteratorIyNS8_11hip_rocprim3tagENS8_11use_defaultESC_EEPyyNS8_4plusIyEEEE10hipError_tPvRmT1_T2_T3_mT4_P12ihipStream_tbEUlT_E0_NS1_11comp_targetILNS1_3genE5ELNS1_11target_archE942ELNS1_3gpuE9ELNS1_3repE0EEENS1_30default_config_static_selectorELNS0_4arch9wavefront6targetE1EEEvSK_
	.p2align	8
	.type	_ZN7rocprim17ROCPRIM_400000_NS6detail17trampoline_kernelINS0_14default_configENS1_22reduce_config_selectorIyEEZNS1_11reduce_implILb1ES3_N6thrust23THRUST_200600_302600_NS17counting_iteratorIyNS8_11hip_rocprim3tagENS8_11use_defaultESC_EEPyyNS8_4plusIyEEEE10hipError_tPvRmT1_T2_T3_mT4_P12ihipStream_tbEUlT_E0_NS1_11comp_targetILNS1_3genE5ELNS1_11target_archE942ELNS1_3gpuE9ELNS1_3repE0EEENS1_30default_config_static_selectorELNS0_4arch9wavefront6targetE1EEEvSK_,@function
_ZN7rocprim17ROCPRIM_400000_NS6detail17trampoline_kernelINS0_14default_configENS1_22reduce_config_selectorIyEEZNS1_11reduce_implILb1ES3_N6thrust23THRUST_200600_302600_NS17counting_iteratorIyNS8_11hip_rocprim3tagENS8_11use_defaultESC_EEPyyNS8_4plusIyEEEE10hipError_tPvRmT1_T2_T3_mT4_P12ihipStream_tbEUlT_E0_NS1_11comp_targetILNS1_3genE5ELNS1_11target_archE942ELNS1_3gpuE9ELNS1_3repE0EEENS1_30default_config_static_selectorELNS0_4arch9wavefront6targetE1EEEvSK_: ; @_ZN7rocprim17ROCPRIM_400000_NS6detail17trampoline_kernelINS0_14default_configENS1_22reduce_config_selectorIyEEZNS1_11reduce_implILb1ES3_N6thrust23THRUST_200600_302600_NS17counting_iteratorIyNS8_11hip_rocprim3tagENS8_11use_defaultESC_EEPyyNS8_4plusIyEEEE10hipError_tPvRmT1_T2_T3_mT4_P12ihipStream_tbEUlT_E0_NS1_11comp_targetILNS1_3genE5ELNS1_11target_archE942ELNS1_3gpuE9ELNS1_3repE0EEENS1_30default_config_static_selectorELNS0_4arch9wavefront6targetE1EEEvSK_
; %bb.0:
	.section	.rodata,"a",@progbits
	.p2align	6, 0x0
	.amdhsa_kernel _ZN7rocprim17ROCPRIM_400000_NS6detail17trampoline_kernelINS0_14default_configENS1_22reduce_config_selectorIyEEZNS1_11reduce_implILb1ES3_N6thrust23THRUST_200600_302600_NS17counting_iteratorIyNS8_11hip_rocprim3tagENS8_11use_defaultESC_EEPyyNS8_4plusIyEEEE10hipError_tPvRmT1_T2_T3_mT4_P12ihipStream_tbEUlT_E0_NS1_11comp_targetILNS1_3genE5ELNS1_11target_archE942ELNS1_3gpuE9ELNS1_3repE0EEENS1_30default_config_static_selectorELNS0_4arch9wavefront6targetE1EEEvSK_
		.amdhsa_group_segment_fixed_size 0
		.amdhsa_private_segment_fixed_size 0
		.amdhsa_kernarg_size 64
		.amdhsa_user_sgpr_count 2
		.amdhsa_user_sgpr_dispatch_ptr 0
		.amdhsa_user_sgpr_queue_ptr 0
		.amdhsa_user_sgpr_kernarg_segment_ptr 1
		.amdhsa_user_sgpr_dispatch_id 0
		.amdhsa_user_sgpr_kernarg_preload_length 0
		.amdhsa_user_sgpr_kernarg_preload_offset 0
		.amdhsa_user_sgpr_private_segment_size 0
		.amdhsa_uses_dynamic_stack 0
		.amdhsa_enable_private_segment 0
		.amdhsa_system_sgpr_workgroup_id_x 1
		.amdhsa_system_sgpr_workgroup_id_y 0
		.amdhsa_system_sgpr_workgroup_id_z 0
		.amdhsa_system_sgpr_workgroup_info 0
		.amdhsa_system_vgpr_workitem_id 0
		.amdhsa_next_free_vgpr 1
		.amdhsa_next_free_sgpr 0
		.amdhsa_accum_offset 4
		.amdhsa_reserve_vcc 0
		.amdhsa_float_round_mode_32 0
		.amdhsa_float_round_mode_16_64 0
		.amdhsa_float_denorm_mode_32 3
		.amdhsa_float_denorm_mode_16_64 3
		.amdhsa_dx10_clamp 1
		.amdhsa_ieee_mode 1
		.amdhsa_fp16_overflow 0
		.amdhsa_tg_split 0
		.amdhsa_exception_fp_ieee_invalid_op 0
		.amdhsa_exception_fp_denorm_src 0
		.amdhsa_exception_fp_ieee_div_zero 0
		.amdhsa_exception_fp_ieee_overflow 0
		.amdhsa_exception_fp_ieee_underflow 0
		.amdhsa_exception_fp_ieee_inexact 0
		.amdhsa_exception_int_div_zero 0
	.end_amdhsa_kernel
	.section	.text._ZN7rocprim17ROCPRIM_400000_NS6detail17trampoline_kernelINS0_14default_configENS1_22reduce_config_selectorIyEEZNS1_11reduce_implILb1ES3_N6thrust23THRUST_200600_302600_NS17counting_iteratorIyNS8_11hip_rocprim3tagENS8_11use_defaultESC_EEPyyNS8_4plusIyEEEE10hipError_tPvRmT1_T2_T3_mT4_P12ihipStream_tbEUlT_E0_NS1_11comp_targetILNS1_3genE5ELNS1_11target_archE942ELNS1_3gpuE9ELNS1_3repE0EEENS1_30default_config_static_selectorELNS0_4arch9wavefront6targetE1EEEvSK_,"axG",@progbits,_ZN7rocprim17ROCPRIM_400000_NS6detail17trampoline_kernelINS0_14default_configENS1_22reduce_config_selectorIyEEZNS1_11reduce_implILb1ES3_N6thrust23THRUST_200600_302600_NS17counting_iteratorIyNS8_11hip_rocprim3tagENS8_11use_defaultESC_EEPyyNS8_4plusIyEEEE10hipError_tPvRmT1_T2_T3_mT4_P12ihipStream_tbEUlT_E0_NS1_11comp_targetILNS1_3genE5ELNS1_11target_archE942ELNS1_3gpuE9ELNS1_3repE0EEENS1_30default_config_static_selectorELNS0_4arch9wavefront6targetE1EEEvSK_,comdat
.Lfunc_end1020:
	.size	_ZN7rocprim17ROCPRIM_400000_NS6detail17trampoline_kernelINS0_14default_configENS1_22reduce_config_selectorIyEEZNS1_11reduce_implILb1ES3_N6thrust23THRUST_200600_302600_NS17counting_iteratorIyNS8_11hip_rocprim3tagENS8_11use_defaultESC_EEPyyNS8_4plusIyEEEE10hipError_tPvRmT1_T2_T3_mT4_P12ihipStream_tbEUlT_E0_NS1_11comp_targetILNS1_3genE5ELNS1_11target_archE942ELNS1_3gpuE9ELNS1_3repE0EEENS1_30default_config_static_selectorELNS0_4arch9wavefront6targetE1EEEvSK_, .Lfunc_end1020-_ZN7rocprim17ROCPRIM_400000_NS6detail17trampoline_kernelINS0_14default_configENS1_22reduce_config_selectorIyEEZNS1_11reduce_implILb1ES3_N6thrust23THRUST_200600_302600_NS17counting_iteratorIyNS8_11hip_rocprim3tagENS8_11use_defaultESC_EEPyyNS8_4plusIyEEEE10hipError_tPvRmT1_T2_T3_mT4_P12ihipStream_tbEUlT_E0_NS1_11comp_targetILNS1_3genE5ELNS1_11target_archE942ELNS1_3gpuE9ELNS1_3repE0EEENS1_30default_config_static_selectorELNS0_4arch9wavefront6targetE1EEEvSK_
                                        ; -- End function
	.set _ZN7rocprim17ROCPRIM_400000_NS6detail17trampoline_kernelINS0_14default_configENS1_22reduce_config_selectorIyEEZNS1_11reduce_implILb1ES3_N6thrust23THRUST_200600_302600_NS17counting_iteratorIyNS8_11hip_rocprim3tagENS8_11use_defaultESC_EEPyyNS8_4plusIyEEEE10hipError_tPvRmT1_T2_T3_mT4_P12ihipStream_tbEUlT_E0_NS1_11comp_targetILNS1_3genE5ELNS1_11target_archE942ELNS1_3gpuE9ELNS1_3repE0EEENS1_30default_config_static_selectorELNS0_4arch9wavefront6targetE1EEEvSK_.num_vgpr, 0
	.set _ZN7rocprim17ROCPRIM_400000_NS6detail17trampoline_kernelINS0_14default_configENS1_22reduce_config_selectorIyEEZNS1_11reduce_implILb1ES3_N6thrust23THRUST_200600_302600_NS17counting_iteratorIyNS8_11hip_rocprim3tagENS8_11use_defaultESC_EEPyyNS8_4plusIyEEEE10hipError_tPvRmT1_T2_T3_mT4_P12ihipStream_tbEUlT_E0_NS1_11comp_targetILNS1_3genE5ELNS1_11target_archE942ELNS1_3gpuE9ELNS1_3repE0EEENS1_30default_config_static_selectorELNS0_4arch9wavefront6targetE1EEEvSK_.num_agpr, 0
	.set _ZN7rocprim17ROCPRIM_400000_NS6detail17trampoline_kernelINS0_14default_configENS1_22reduce_config_selectorIyEEZNS1_11reduce_implILb1ES3_N6thrust23THRUST_200600_302600_NS17counting_iteratorIyNS8_11hip_rocprim3tagENS8_11use_defaultESC_EEPyyNS8_4plusIyEEEE10hipError_tPvRmT1_T2_T3_mT4_P12ihipStream_tbEUlT_E0_NS1_11comp_targetILNS1_3genE5ELNS1_11target_archE942ELNS1_3gpuE9ELNS1_3repE0EEENS1_30default_config_static_selectorELNS0_4arch9wavefront6targetE1EEEvSK_.numbered_sgpr, 0
	.set _ZN7rocprim17ROCPRIM_400000_NS6detail17trampoline_kernelINS0_14default_configENS1_22reduce_config_selectorIyEEZNS1_11reduce_implILb1ES3_N6thrust23THRUST_200600_302600_NS17counting_iteratorIyNS8_11hip_rocprim3tagENS8_11use_defaultESC_EEPyyNS8_4plusIyEEEE10hipError_tPvRmT1_T2_T3_mT4_P12ihipStream_tbEUlT_E0_NS1_11comp_targetILNS1_3genE5ELNS1_11target_archE942ELNS1_3gpuE9ELNS1_3repE0EEENS1_30default_config_static_selectorELNS0_4arch9wavefront6targetE1EEEvSK_.num_named_barrier, 0
	.set _ZN7rocprim17ROCPRIM_400000_NS6detail17trampoline_kernelINS0_14default_configENS1_22reduce_config_selectorIyEEZNS1_11reduce_implILb1ES3_N6thrust23THRUST_200600_302600_NS17counting_iteratorIyNS8_11hip_rocprim3tagENS8_11use_defaultESC_EEPyyNS8_4plusIyEEEE10hipError_tPvRmT1_T2_T3_mT4_P12ihipStream_tbEUlT_E0_NS1_11comp_targetILNS1_3genE5ELNS1_11target_archE942ELNS1_3gpuE9ELNS1_3repE0EEENS1_30default_config_static_selectorELNS0_4arch9wavefront6targetE1EEEvSK_.private_seg_size, 0
	.set _ZN7rocprim17ROCPRIM_400000_NS6detail17trampoline_kernelINS0_14default_configENS1_22reduce_config_selectorIyEEZNS1_11reduce_implILb1ES3_N6thrust23THRUST_200600_302600_NS17counting_iteratorIyNS8_11hip_rocprim3tagENS8_11use_defaultESC_EEPyyNS8_4plusIyEEEE10hipError_tPvRmT1_T2_T3_mT4_P12ihipStream_tbEUlT_E0_NS1_11comp_targetILNS1_3genE5ELNS1_11target_archE942ELNS1_3gpuE9ELNS1_3repE0EEENS1_30default_config_static_selectorELNS0_4arch9wavefront6targetE1EEEvSK_.uses_vcc, 0
	.set _ZN7rocprim17ROCPRIM_400000_NS6detail17trampoline_kernelINS0_14default_configENS1_22reduce_config_selectorIyEEZNS1_11reduce_implILb1ES3_N6thrust23THRUST_200600_302600_NS17counting_iteratorIyNS8_11hip_rocprim3tagENS8_11use_defaultESC_EEPyyNS8_4plusIyEEEE10hipError_tPvRmT1_T2_T3_mT4_P12ihipStream_tbEUlT_E0_NS1_11comp_targetILNS1_3genE5ELNS1_11target_archE942ELNS1_3gpuE9ELNS1_3repE0EEENS1_30default_config_static_selectorELNS0_4arch9wavefront6targetE1EEEvSK_.uses_flat_scratch, 0
	.set _ZN7rocprim17ROCPRIM_400000_NS6detail17trampoline_kernelINS0_14default_configENS1_22reduce_config_selectorIyEEZNS1_11reduce_implILb1ES3_N6thrust23THRUST_200600_302600_NS17counting_iteratorIyNS8_11hip_rocprim3tagENS8_11use_defaultESC_EEPyyNS8_4plusIyEEEE10hipError_tPvRmT1_T2_T3_mT4_P12ihipStream_tbEUlT_E0_NS1_11comp_targetILNS1_3genE5ELNS1_11target_archE942ELNS1_3gpuE9ELNS1_3repE0EEENS1_30default_config_static_selectorELNS0_4arch9wavefront6targetE1EEEvSK_.has_dyn_sized_stack, 0
	.set _ZN7rocprim17ROCPRIM_400000_NS6detail17trampoline_kernelINS0_14default_configENS1_22reduce_config_selectorIyEEZNS1_11reduce_implILb1ES3_N6thrust23THRUST_200600_302600_NS17counting_iteratorIyNS8_11hip_rocprim3tagENS8_11use_defaultESC_EEPyyNS8_4plusIyEEEE10hipError_tPvRmT1_T2_T3_mT4_P12ihipStream_tbEUlT_E0_NS1_11comp_targetILNS1_3genE5ELNS1_11target_archE942ELNS1_3gpuE9ELNS1_3repE0EEENS1_30default_config_static_selectorELNS0_4arch9wavefront6targetE1EEEvSK_.has_recursion, 0
	.set _ZN7rocprim17ROCPRIM_400000_NS6detail17trampoline_kernelINS0_14default_configENS1_22reduce_config_selectorIyEEZNS1_11reduce_implILb1ES3_N6thrust23THRUST_200600_302600_NS17counting_iteratorIyNS8_11hip_rocprim3tagENS8_11use_defaultESC_EEPyyNS8_4plusIyEEEE10hipError_tPvRmT1_T2_T3_mT4_P12ihipStream_tbEUlT_E0_NS1_11comp_targetILNS1_3genE5ELNS1_11target_archE942ELNS1_3gpuE9ELNS1_3repE0EEENS1_30default_config_static_selectorELNS0_4arch9wavefront6targetE1EEEvSK_.has_indirect_call, 0
	.section	.AMDGPU.csdata,"",@progbits
; Kernel info:
; codeLenInByte = 0
; TotalNumSgprs: 6
; NumVgprs: 0
; NumAgprs: 0
; TotalNumVgprs: 0
; ScratchSize: 0
; MemoryBound: 0
; FloatMode: 240
; IeeeMode: 1
; LDSByteSize: 0 bytes/workgroup (compile time only)
; SGPRBlocks: 0
; VGPRBlocks: 0
; NumSGPRsForWavesPerEU: 6
; NumVGPRsForWavesPerEU: 1
; AccumOffset: 4
; Occupancy: 8
; WaveLimiterHint : 0
; COMPUTE_PGM_RSRC2:SCRATCH_EN: 0
; COMPUTE_PGM_RSRC2:USER_SGPR: 2
; COMPUTE_PGM_RSRC2:TRAP_HANDLER: 0
; COMPUTE_PGM_RSRC2:TGID_X_EN: 1
; COMPUTE_PGM_RSRC2:TGID_Y_EN: 0
; COMPUTE_PGM_RSRC2:TGID_Z_EN: 0
; COMPUTE_PGM_RSRC2:TIDIG_COMP_CNT: 0
; COMPUTE_PGM_RSRC3_GFX90A:ACCUM_OFFSET: 0
; COMPUTE_PGM_RSRC3_GFX90A:TG_SPLIT: 0
	.section	.text._ZN7rocprim17ROCPRIM_400000_NS6detail17trampoline_kernelINS0_14default_configENS1_22reduce_config_selectorIyEEZNS1_11reduce_implILb1ES3_N6thrust23THRUST_200600_302600_NS17counting_iteratorIyNS8_11hip_rocprim3tagENS8_11use_defaultESC_EEPyyNS8_4plusIyEEEE10hipError_tPvRmT1_T2_T3_mT4_P12ihipStream_tbEUlT_E0_NS1_11comp_targetILNS1_3genE4ELNS1_11target_archE910ELNS1_3gpuE8ELNS1_3repE0EEENS1_30default_config_static_selectorELNS0_4arch9wavefront6targetE1EEEvSK_,"axG",@progbits,_ZN7rocprim17ROCPRIM_400000_NS6detail17trampoline_kernelINS0_14default_configENS1_22reduce_config_selectorIyEEZNS1_11reduce_implILb1ES3_N6thrust23THRUST_200600_302600_NS17counting_iteratorIyNS8_11hip_rocprim3tagENS8_11use_defaultESC_EEPyyNS8_4plusIyEEEE10hipError_tPvRmT1_T2_T3_mT4_P12ihipStream_tbEUlT_E0_NS1_11comp_targetILNS1_3genE4ELNS1_11target_archE910ELNS1_3gpuE8ELNS1_3repE0EEENS1_30default_config_static_selectorELNS0_4arch9wavefront6targetE1EEEvSK_,comdat
	.protected	_ZN7rocprim17ROCPRIM_400000_NS6detail17trampoline_kernelINS0_14default_configENS1_22reduce_config_selectorIyEEZNS1_11reduce_implILb1ES3_N6thrust23THRUST_200600_302600_NS17counting_iteratorIyNS8_11hip_rocprim3tagENS8_11use_defaultESC_EEPyyNS8_4plusIyEEEE10hipError_tPvRmT1_T2_T3_mT4_P12ihipStream_tbEUlT_E0_NS1_11comp_targetILNS1_3genE4ELNS1_11target_archE910ELNS1_3gpuE8ELNS1_3repE0EEENS1_30default_config_static_selectorELNS0_4arch9wavefront6targetE1EEEvSK_ ; -- Begin function _ZN7rocprim17ROCPRIM_400000_NS6detail17trampoline_kernelINS0_14default_configENS1_22reduce_config_selectorIyEEZNS1_11reduce_implILb1ES3_N6thrust23THRUST_200600_302600_NS17counting_iteratorIyNS8_11hip_rocprim3tagENS8_11use_defaultESC_EEPyyNS8_4plusIyEEEE10hipError_tPvRmT1_T2_T3_mT4_P12ihipStream_tbEUlT_E0_NS1_11comp_targetILNS1_3genE4ELNS1_11target_archE910ELNS1_3gpuE8ELNS1_3repE0EEENS1_30default_config_static_selectorELNS0_4arch9wavefront6targetE1EEEvSK_
	.globl	_ZN7rocprim17ROCPRIM_400000_NS6detail17trampoline_kernelINS0_14default_configENS1_22reduce_config_selectorIyEEZNS1_11reduce_implILb1ES3_N6thrust23THRUST_200600_302600_NS17counting_iteratorIyNS8_11hip_rocprim3tagENS8_11use_defaultESC_EEPyyNS8_4plusIyEEEE10hipError_tPvRmT1_T2_T3_mT4_P12ihipStream_tbEUlT_E0_NS1_11comp_targetILNS1_3genE4ELNS1_11target_archE910ELNS1_3gpuE8ELNS1_3repE0EEENS1_30default_config_static_selectorELNS0_4arch9wavefront6targetE1EEEvSK_
	.p2align	8
	.type	_ZN7rocprim17ROCPRIM_400000_NS6detail17trampoline_kernelINS0_14default_configENS1_22reduce_config_selectorIyEEZNS1_11reduce_implILb1ES3_N6thrust23THRUST_200600_302600_NS17counting_iteratorIyNS8_11hip_rocprim3tagENS8_11use_defaultESC_EEPyyNS8_4plusIyEEEE10hipError_tPvRmT1_T2_T3_mT4_P12ihipStream_tbEUlT_E0_NS1_11comp_targetILNS1_3genE4ELNS1_11target_archE910ELNS1_3gpuE8ELNS1_3repE0EEENS1_30default_config_static_selectorELNS0_4arch9wavefront6targetE1EEEvSK_,@function
_ZN7rocprim17ROCPRIM_400000_NS6detail17trampoline_kernelINS0_14default_configENS1_22reduce_config_selectorIyEEZNS1_11reduce_implILb1ES3_N6thrust23THRUST_200600_302600_NS17counting_iteratorIyNS8_11hip_rocprim3tagENS8_11use_defaultESC_EEPyyNS8_4plusIyEEEE10hipError_tPvRmT1_T2_T3_mT4_P12ihipStream_tbEUlT_E0_NS1_11comp_targetILNS1_3genE4ELNS1_11target_archE910ELNS1_3gpuE8ELNS1_3repE0EEENS1_30default_config_static_selectorELNS0_4arch9wavefront6targetE1EEEvSK_: ; @_ZN7rocprim17ROCPRIM_400000_NS6detail17trampoline_kernelINS0_14default_configENS1_22reduce_config_selectorIyEEZNS1_11reduce_implILb1ES3_N6thrust23THRUST_200600_302600_NS17counting_iteratorIyNS8_11hip_rocprim3tagENS8_11use_defaultESC_EEPyyNS8_4plusIyEEEE10hipError_tPvRmT1_T2_T3_mT4_P12ihipStream_tbEUlT_E0_NS1_11comp_targetILNS1_3genE4ELNS1_11target_archE910ELNS1_3gpuE8ELNS1_3repE0EEENS1_30default_config_static_selectorELNS0_4arch9wavefront6targetE1EEEvSK_
; %bb.0:
	.section	.rodata,"a",@progbits
	.p2align	6, 0x0
	.amdhsa_kernel _ZN7rocprim17ROCPRIM_400000_NS6detail17trampoline_kernelINS0_14default_configENS1_22reduce_config_selectorIyEEZNS1_11reduce_implILb1ES3_N6thrust23THRUST_200600_302600_NS17counting_iteratorIyNS8_11hip_rocprim3tagENS8_11use_defaultESC_EEPyyNS8_4plusIyEEEE10hipError_tPvRmT1_T2_T3_mT4_P12ihipStream_tbEUlT_E0_NS1_11comp_targetILNS1_3genE4ELNS1_11target_archE910ELNS1_3gpuE8ELNS1_3repE0EEENS1_30default_config_static_selectorELNS0_4arch9wavefront6targetE1EEEvSK_
		.amdhsa_group_segment_fixed_size 0
		.amdhsa_private_segment_fixed_size 0
		.amdhsa_kernarg_size 64
		.amdhsa_user_sgpr_count 2
		.amdhsa_user_sgpr_dispatch_ptr 0
		.amdhsa_user_sgpr_queue_ptr 0
		.amdhsa_user_sgpr_kernarg_segment_ptr 1
		.amdhsa_user_sgpr_dispatch_id 0
		.amdhsa_user_sgpr_kernarg_preload_length 0
		.amdhsa_user_sgpr_kernarg_preload_offset 0
		.amdhsa_user_sgpr_private_segment_size 0
		.amdhsa_uses_dynamic_stack 0
		.amdhsa_enable_private_segment 0
		.amdhsa_system_sgpr_workgroup_id_x 1
		.amdhsa_system_sgpr_workgroup_id_y 0
		.amdhsa_system_sgpr_workgroup_id_z 0
		.amdhsa_system_sgpr_workgroup_info 0
		.amdhsa_system_vgpr_workitem_id 0
		.amdhsa_next_free_vgpr 1
		.amdhsa_next_free_sgpr 0
		.amdhsa_accum_offset 4
		.amdhsa_reserve_vcc 0
		.amdhsa_float_round_mode_32 0
		.amdhsa_float_round_mode_16_64 0
		.amdhsa_float_denorm_mode_32 3
		.amdhsa_float_denorm_mode_16_64 3
		.amdhsa_dx10_clamp 1
		.amdhsa_ieee_mode 1
		.amdhsa_fp16_overflow 0
		.amdhsa_tg_split 0
		.amdhsa_exception_fp_ieee_invalid_op 0
		.amdhsa_exception_fp_denorm_src 0
		.amdhsa_exception_fp_ieee_div_zero 0
		.amdhsa_exception_fp_ieee_overflow 0
		.amdhsa_exception_fp_ieee_underflow 0
		.amdhsa_exception_fp_ieee_inexact 0
		.amdhsa_exception_int_div_zero 0
	.end_amdhsa_kernel
	.section	.text._ZN7rocprim17ROCPRIM_400000_NS6detail17trampoline_kernelINS0_14default_configENS1_22reduce_config_selectorIyEEZNS1_11reduce_implILb1ES3_N6thrust23THRUST_200600_302600_NS17counting_iteratorIyNS8_11hip_rocprim3tagENS8_11use_defaultESC_EEPyyNS8_4plusIyEEEE10hipError_tPvRmT1_T2_T3_mT4_P12ihipStream_tbEUlT_E0_NS1_11comp_targetILNS1_3genE4ELNS1_11target_archE910ELNS1_3gpuE8ELNS1_3repE0EEENS1_30default_config_static_selectorELNS0_4arch9wavefront6targetE1EEEvSK_,"axG",@progbits,_ZN7rocprim17ROCPRIM_400000_NS6detail17trampoline_kernelINS0_14default_configENS1_22reduce_config_selectorIyEEZNS1_11reduce_implILb1ES3_N6thrust23THRUST_200600_302600_NS17counting_iteratorIyNS8_11hip_rocprim3tagENS8_11use_defaultESC_EEPyyNS8_4plusIyEEEE10hipError_tPvRmT1_T2_T3_mT4_P12ihipStream_tbEUlT_E0_NS1_11comp_targetILNS1_3genE4ELNS1_11target_archE910ELNS1_3gpuE8ELNS1_3repE0EEENS1_30default_config_static_selectorELNS0_4arch9wavefront6targetE1EEEvSK_,comdat
.Lfunc_end1021:
	.size	_ZN7rocprim17ROCPRIM_400000_NS6detail17trampoline_kernelINS0_14default_configENS1_22reduce_config_selectorIyEEZNS1_11reduce_implILb1ES3_N6thrust23THRUST_200600_302600_NS17counting_iteratorIyNS8_11hip_rocprim3tagENS8_11use_defaultESC_EEPyyNS8_4plusIyEEEE10hipError_tPvRmT1_T2_T3_mT4_P12ihipStream_tbEUlT_E0_NS1_11comp_targetILNS1_3genE4ELNS1_11target_archE910ELNS1_3gpuE8ELNS1_3repE0EEENS1_30default_config_static_selectorELNS0_4arch9wavefront6targetE1EEEvSK_, .Lfunc_end1021-_ZN7rocprim17ROCPRIM_400000_NS6detail17trampoline_kernelINS0_14default_configENS1_22reduce_config_selectorIyEEZNS1_11reduce_implILb1ES3_N6thrust23THRUST_200600_302600_NS17counting_iteratorIyNS8_11hip_rocprim3tagENS8_11use_defaultESC_EEPyyNS8_4plusIyEEEE10hipError_tPvRmT1_T2_T3_mT4_P12ihipStream_tbEUlT_E0_NS1_11comp_targetILNS1_3genE4ELNS1_11target_archE910ELNS1_3gpuE8ELNS1_3repE0EEENS1_30default_config_static_selectorELNS0_4arch9wavefront6targetE1EEEvSK_
                                        ; -- End function
	.set _ZN7rocprim17ROCPRIM_400000_NS6detail17trampoline_kernelINS0_14default_configENS1_22reduce_config_selectorIyEEZNS1_11reduce_implILb1ES3_N6thrust23THRUST_200600_302600_NS17counting_iteratorIyNS8_11hip_rocprim3tagENS8_11use_defaultESC_EEPyyNS8_4plusIyEEEE10hipError_tPvRmT1_T2_T3_mT4_P12ihipStream_tbEUlT_E0_NS1_11comp_targetILNS1_3genE4ELNS1_11target_archE910ELNS1_3gpuE8ELNS1_3repE0EEENS1_30default_config_static_selectorELNS0_4arch9wavefront6targetE1EEEvSK_.num_vgpr, 0
	.set _ZN7rocprim17ROCPRIM_400000_NS6detail17trampoline_kernelINS0_14default_configENS1_22reduce_config_selectorIyEEZNS1_11reduce_implILb1ES3_N6thrust23THRUST_200600_302600_NS17counting_iteratorIyNS8_11hip_rocprim3tagENS8_11use_defaultESC_EEPyyNS8_4plusIyEEEE10hipError_tPvRmT1_T2_T3_mT4_P12ihipStream_tbEUlT_E0_NS1_11comp_targetILNS1_3genE4ELNS1_11target_archE910ELNS1_3gpuE8ELNS1_3repE0EEENS1_30default_config_static_selectorELNS0_4arch9wavefront6targetE1EEEvSK_.num_agpr, 0
	.set _ZN7rocprim17ROCPRIM_400000_NS6detail17trampoline_kernelINS0_14default_configENS1_22reduce_config_selectorIyEEZNS1_11reduce_implILb1ES3_N6thrust23THRUST_200600_302600_NS17counting_iteratorIyNS8_11hip_rocprim3tagENS8_11use_defaultESC_EEPyyNS8_4plusIyEEEE10hipError_tPvRmT1_T2_T3_mT4_P12ihipStream_tbEUlT_E0_NS1_11comp_targetILNS1_3genE4ELNS1_11target_archE910ELNS1_3gpuE8ELNS1_3repE0EEENS1_30default_config_static_selectorELNS0_4arch9wavefront6targetE1EEEvSK_.numbered_sgpr, 0
	.set _ZN7rocprim17ROCPRIM_400000_NS6detail17trampoline_kernelINS0_14default_configENS1_22reduce_config_selectorIyEEZNS1_11reduce_implILb1ES3_N6thrust23THRUST_200600_302600_NS17counting_iteratorIyNS8_11hip_rocprim3tagENS8_11use_defaultESC_EEPyyNS8_4plusIyEEEE10hipError_tPvRmT1_T2_T3_mT4_P12ihipStream_tbEUlT_E0_NS1_11comp_targetILNS1_3genE4ELNS1_11target_archE910ELNS1_3gpuE8ELNS1_3repE0EEENS1_30default_config_static_selectorELNS0_4arch9wavefront6targetE1EEEvSK_.num_named_barrier, 0
	.set _ZN7rocprim17ROCPRIM_400000_NS6detail17trampoline_kernelINS0_14default_configENS1_22reduce_config_selectorIyEEZNS1_11reduce_implILb1ES3_N6thrust23THRUST_200600_302600_NS17counting_iteratorIyNS8_11hip_rocprim3tagENS8_11use_defaultESC_EEPyyNS8_4plusIyEEEE10hipError_tPvRmT1_T2_T3_mT4_P12ihipStream_tbEUlT_E0_NS1_11comp_targetILNS1_3genE4ELNS1_11target_archE910ELNS1_3gpuE8ELNS1_3repE0EEENS1_30default_config_static_selectorELNS0_4arch9wavefront6targetE1EEEvSK_.private_seg_size, 0
	.set _ZN7rocprim17ROCPRIM_400000_NS6detail17trampoline_kernelINS0_14default_configENS1_22reduce_config_selectorIyEEZNS1_11reduce_implILb1ES3_N6thrust23THRUST_200600_302600_NS17counting_iteratorIyNS8_11hip_rocprim3tagENS8_11use_defaultESC_EEPyyNS8_4plusIyEEEE10hipError_tPvRmT1_T2_T3_mT4_P12ihipStream_tbEUlT_E0_NS1_11comp_targetILNS1_3genE4ELNS1_11target_archE910ELNS1_3gpuE8ELNS1_3repE0EEENS1_30default_config_static_selectorELNS0_4arch9wavefront6targetE1EEEvSK_.uses_vcc, 0
	.set _ZN7rocprim17ROCPRIM_400000_NS6detail17trampoline_kernelINS0_14default_configENS1_22reduce_config_selectorIyEEZNS1_11reduce_implILb1ES3_N6thrust23THRUST_200600_302600_NS17counting_iteratorIyNS8_11hip_rocprim3tagENS8_11use_defaultESC_EEPyyNS8_4plusIyEEEE10hipError_tPvRmT1_T2_T3_mT4_P12ihipStream_tbEUlT_E0_NS1_11comp_targetILNS1_3genE4ELNS1_11target_archE910ELNS1_3gpuE8ELNS1_3repE0EEENS1_30default_config_static_selectorELNS0_4arch9wavefront6targetE1EEEvSK_.uses_flat_scratch, 0
	.set _ZN7rocprim17ROCPRIM_400000_NS6detail17trampoline_kernelINS0_14default_configENS1_22reduce_config_selectorIyEEZNS1_11reduce_implILb1ES3_N6thrust23THRUST_200600_302600_NS17counting_iteratorIyNS8_11hip_rocprim3tagENS8_11use_defaultESC_EEPyyNS8_4plusIyEEEE10hipError_tPvRmT1_T2_T3_mT4_P12ihipStream_tbEUlT_E0_NS1_11comp_targetILNS1_3genE4ELNS1_11target_archE910ELNS1_3gpuE8ELNS1_3repE0EEENS1_30default_config_static_selectorELNS0_4arch9wavefront6targetE1EEEvSK_.has_dyn_sized_stack, 0
	.set _ZN7rocprim17ROCPRIM_400000_NS6detail17trampoline_kernelINS0_14default_configENS1_22reduce_config_selectorIyEEZNS1_11reduce_implILb1ES3_N6thrust23THRUST_200600_302600_NS17counting_iteratorIyNS8_11hip_rocprim3tagENS8_11use_defaultESC_EEPyyNS8_4plusIyEEEE10hipError_tPvRmT1_T2_T3_mT4_P12ihipStream_tbEUlT_E0_NS1_11comp_targetILNS1_3genE4ELNS1_11target_archE910ELNS1_3gpuE8ELNS1_3repE0EEENS1_30default_config_static_selectorELNS0_4arch9wavefront6targetE1EEEvSK_.has_recursion, 0
	.set _ZN7rocprim17ROCPRIM_400000_NS6detail17trampoline_kernelINS0_14default_configENS1_22reduce_config_selectorIyEEZNS1_11reduce_implILb1ES3_N6thrust23THRUST_200600_302600_NS17counting_iteratorIyNS8_11hip_rocprim3tagENS8_11use_defaultESC_EEPyyNS8_4plusIyEEEE10hipError_tPvRmT1_T2_T3_mT4_P12ihipStream_tbEUlT_E0_NS1_11comp_targetILNS1_3genE4ELNS1_11target_archE910ELNS1_3gpuE8ELNS1_3repE0EEENS1_30default_config_static_selectorELNS0_4arch9wavefront6targetE1EEEvSK_.has_indirect_call, 0
	.section	.AMDGPU.csdata,"",@progbits
; Kernel info:
; codeLenInByte = 0
; TotalNumSgprs: 6
; NumVgprs: 0
; NumAgprs: 0
; TotalNumVgprs: 0
; ScratchSize: 0
; MemoryBound: 0
; FloatMode: 240
; IeeeMode: 1
; LDSByteSize: 0 bytes/workgroup (compile time only)
; SGPRBlocks: 0
; VGPRBlocks: 0
; NumSGPRsForWavesPerEU: 6
; NumVGPRsForWavesPerEU: 1
; AccumOffset: 4
; Occupancy: 8
; WaveLimiterHint : 0
; COMPUTE_PGM_RSRC2:SCRATCH_EN: 0
; COMPUTE_PGM_RSRC2:USER_SGPR: 2
; COMPUTE_PGM_RSRC2:TRAP_HANDLER: 0
; COMPUTE_PGM_RSRC2:TGID_X_EN: 1
; COMPUTE_PGM_RSRC2:TGID_Y_EN: 0
; COMPUTE_PGM_RSRC2:TGID_Z_EN: 0
; COMPUTE_PGM_RSRC2:TIDIG_COMP_CNT: 0
; COMPUTE_PGM_RSRC3_GFX90A:ACCUM_OFFSET: 0
; COMPUTE_PGM_RSRC3_GFX90A:TG_SPLIT: 0
	.section	.text._ZN7rocprim17ROCPRIM_400000_NS6detail17trampoline_kernelINS0_14default_configENS1_22reduce_config_selectorIyEEZNS1_11reduce_implILb1ES3_N6thrust23THRUST_200600_302600_NS17counting_iteratorIyNS8_11hip_rocprim3tagENS8_11use_defaultESC_EEPyyNS8_4plusIyEEEE10hipError_tPvRmT1_T2_T3_mT4_P12ihipStream_tbEUlT_E0_NS1_11comp_targetILNS1_3genE3ELNS1_11target_archE908ELNS1_3gpuE7ELNS1_3repE0EEENS1_30default_config_static_selectorELNS0_4arch9wavefront6targetE1EEEvSK_,"axG",@progbits,_ZN7rocprim17ROCPRIM_400000_NS6detail17trampoline_kernelINS0_14default_configENS1_22reduce_config_selectorIyEEZNS1_11reduce_implILb1ES3_N6thrust23THRUST_200600_302600_NS17counting_iteratorIyNS8_11hip_rocprim3tagENS8_11use_defaultESC_EEPyyNS8_4plusIyEEEE10hipError_tPvRmT1_T2_T3_mT4_P12ihipStream_tbEUlT_E0_NS1_11comp_targetILNS1_3genE3ELNS1_11target_archE908ELNS1_3gpuE7ELNS1_3repE0EEENS1_30default_config_static_selectorELNS0_4arch9wavefront6targetE1EEEvSK_,comdat
	.protected	_ZN7rocprim17ROCPRIM_400000_NS6detail17trampoline_kernelINS0_14default_configENS1_22reduce_config_selectorIyEEZNS1_11reduce_implILb1ES3_N6thrust23THRUST_200600_302600_NS17counting_iteratorIyNS8_11hip_rocprim3tagENS8_11use_defaultESC_EEPyyNS8_4plusIyEEEE10hipError_tPvRmT1_T2_T3_mT4_P12ihipStream_tbEUlT_E0_NS1_11comp_targetILNS1_3genE3ELNS1_11target_archE908ELNS1_3gpuE7ELNS1_3repE0EEENS1_30default_config_static_selectorELNS0_4arch9wavefront6targetE1EEEvSK_ ; -- Begin function _ZN7rocprim17ROCPRIM_400000_NS6detail17trampoline_kernelINS0_14default_configENS1_22reduce_config_selectorIyEEZNS1_11reduce_implILb1ES3_N6thrust23THRUST_200600_302600_NS17counting_iteratorIyNS8_11hip_rocprim3tagENS8_11use_defaultESC_EEPyyNS8_4plusIyEEEE10hipError_tPvRmT1_T2_T3_mT4_P12ihipStream_tbEUlT_E0_NS1_11comp_targetILNS1_3genE3ELNS1_11target_archE908ELNS1_3gpuE7ELNS1_3repE0EEENS1_30default_config_static_selectorELNS0_4arch9wavefront6targetE1EEEvSK_
	.globl	_ZN7rocprim17ROCPRIM_400000_NS6detail17trampoline_kernelINS0_14default_configENS1_22reduce_config_selectorIyEEZNS1_11reduce_implILb1ES3_N6thrust23THRUST_200600_302600_NS17counting_iteratorIyNS8_11hip_rocprim3tagENS8_11use_defaultESC_EEPyyNS8_4plusIyEEEE10hipError_tPvRmT1_T2_T3_mT4_P12ihipStream_tbEUlT_E0_NS1_11comp_targetILNS1_3genE3ELNS1_11target_archE908ELNS1_3gpuE7ELNS1_3repE0EEENS1_30default_config_static_selectorELNS0_4arch9wavefront6targetE1EEEvSK_
	.p2align	8
	.type	_ZN7rocprim17ROCPRIM_400000_NS6detail17trampoline_kernelINS0_14default_configENS1_22reduce_config_selectorIyEEZNS1_11reduce_implILb1ES3_N6thrust23THRUST_200600_302600_NS17counting_iteratorIyNS8_11hip_rocprim3tagENS8_11use_defaultESC_EEPyyNS8_4plusIyEEEE10hipError_tPvRmT1_T2_T3_mT4_P12ihipStream_tbEUlT_E0_NS1_11comp_targetILNS1_3genE3ELNS1_11target_archE908ELNS1_3gpuE7ELNS1_3repE0EEENS1_30default_config_static_selectorELNS0_4arch9wavefront6targetE1EEEvSK_,@function
_ZN7rocprim17ROCPRIM_400000_NS6detail17trampoline_kernelINS0_14default_configENS1_22reduce_config_selectorIyEEZNS1_11reduce_implILb1ES3_N6thrust23THRUST_200600_302600_NS17counting_iteratorIyNS8_11hip_rocprim3tagENS8_11use_defaultESC_EEPyyNS8_4plusIyEEEE10hipError_tPvRmT1_T2_T3_mT4_P12ihipStream_tbEUlT_E0_NS1_11comp_targetILNS1_3genE3ELNS1_11target_archE908ELNS1_3gpuE7ELNS1_3repE0EEENS1_30default_config_static_selectorELNS0_4arch9wavefront6targetE1EEEvSK_: ; @_ZN7rocprim17ROCPRIM_400000_NS6detail17trampoline_kernelINS0_14default_configENS1_22reduce_config_selectorIyEEZNS1_11reduce_implILb1ES3_N6thrust23THRUST_200600_302600_NS17counting_iteratorIyNS8_11hip_rocprim3tagENS8_11use_defaultESC_EEPyyNS8_4plusIyEEEE10hipError_tPvRmT1_T2_T3_mT4_P12ihipStream_tbEUlT_E0_NS1_11comp_targetILNS1_3genE3ELNS1_11target_archE908ELNS1_3gpuE7ELNS1_3repE0EEENS1_30default_config_static_selectorELNS0_4arch9wavefront6targetE1EEEvSK_
; %bb.0:
	.section	.rodata,"a",@progbits
	.p2align	6, 0x0
	.amdhsa_kernel _ZN7rocprim17ROCPRIM_400000_NS6detail17trampoline_kernelINS0_14default_configENS1_22reduce_config_selectorIyEEZNS1_11reduce_implILb1ES3_N6thrust23THRUST_200600_302600_NS17counting_iteratorIyNS8_11hip_rocprim3tagENS8_11use_defaultESC_EEPyyNS8_4plusIyEEEE10hipError_tPvRmT1_T2_T3_mT4_P12ihipStream_tbEUlT_E0_NS1_11comp_targetILNS1_3genE3ELNS1_11target_archE908ELNS1_3gpuE7ELNS1_3repE0EEENS1_30default_config_static_selectorELNS0_4arch9wavefront6targetE1EEEvSK_
		.amdhsa_group_segment_fixed_size 0
		.amdhsa_private_segment_fixed_size 0
		.amdhsa_kernarg_size 64
		.amdhsa_user_sgpr_count 2
		.amdhsa_user_sgpr_dispatch_ptr 0
		.amdhsa_user_sgpr_queue_ptr 0
		.amdhsa_user_sgpr_kernarg_segment_ptr 1
		.amdhsa_user_sgpr_dispatch_id 0
		.amdhsa_user_sgpr_kernarg_preload_length 0
		.amdhsa_user_sgpr_kernarg_preload_offset 0
		.amdhsa_user_sgpr_private_segment_size 0
		.amdhsa_uses_dynamic_stack 0
		.amdhsa_enable_private_segment 0
		.amdhsa_system_sgpr_workgroup_id_x 1
		.amdhsa_system_sgpr_workgroup_id_y 0
		.amdhsa_system_sgpr_workgroup_id_z 0
		.amdhsa_system_sgpr_workgroup_info 0
		.amdhsa_system_vgpr_workitem_id 0
		.amdhsa_next_free_vgpr 1
		.amdhsa_next_free_sgpr 0
		.amdhsa_accum_offset 4
		.amdhsa_reserve_vcc 0
		.amdhsa_float_round_mode_32 0
		.amdhsa_float_round_mode_16_64 0
		.amdhsa_float_denorm_mode_32 3
		.amdhsa_float_denorm_mode_16_64 3
		.amdhsa_dx10_clamp 1
		.amdhsa_ieee_mode 1
		.amdhsa_fp16_overflow 0
		.amdhsa_tg_split 0
		.amdhsa_exception_fp_ieee_invalid_op 0
		.amdhsa_exception_fp_denorm_src 0
		.amdhsa_exception_fp_ieee_div_zero 0
		.amdhsa_exception_fp_ieee_overflow 0
		.amdhsa_exception_fp_ieee_underflow 0
		.amdhsa_exception_fp_ieee_inexact 0
		.amdhsa_exception_int_div_zero 0
	.end_amdhsa_kernel
	.section	.text._ZN7rocprim17ROCPRIM_400000_NS6detail17trampoline_kernelINS0_14default_configENS1_22reduce_config_selectorIyEEZNS1_11reduce_implILb1ES3_N6thrust23THRUST_200600_302600_NS17counting_iteratorIyNS8_11hip_rocprim3tagENS8_11use_defaultESC_EEPyyNS8_4plusIyEEEE10hipError_tPvRmT1_T2_T3_mT4_P12ihipStream_tbEUlT_E0_NS1_11comp_targetILNS1_3genE3ELNS1_11target_archE908ELNS1_3gpuE7ELNS1_3repE0EEENS1_30default_config_static_selectorELNS0_4arch9wavefront6targetE1EEEvSK_,"axG",@progbits,_ZN7rocprim17ROCPRIM_400000_NS6detail17trampoline_kernelINS0_14default_configENS1_22reduce_config_selectorIyEEZNS1_11reduce_implILb1ES3_N6thrust23THRUST_200600_302600_NS17counting_iteratorIyNS8_11hip_rocprim3tagENS8_11use_defaultESC_EEPyyNS8_4plusIyEEEE10hipError_tPvRmT1_T2_T3_mT4_P12ihipStream_tbEUlT_E0_NS1_11comp_targetILNS1_3genE3ELNS1_11target_archE908ELNS1_3gpuE7ELNS1_3repE0EEENS1_30default_config_static_selectorELNS0_4arch9wavefront6targetE1EEEvSK_,comdat
.Lfunc_end1022:
	.size	_ZN7rocprim17ROCPRIM_400000_NS6detail17trampoline_kernelINS0_14default_configENS1_22reduce_config_selectorIyEEZNS1_11reduce_implILb1ES3_N6thrust23THRUST_200600_302600_NS17counting_iteratorIyNS8_11hip_rocprim3tagENS8_11use_defaultESC_EEPyyNS8_4plusIyEEEE10hipError_tPvRmT1_T2_T3_mT4_P12ihipStream_tbEUlT_E0_NS1_11comp_targetILNS1_3genE3ELNS1_11target_archE908ELNS1_3gpuE7ELNS1_3repE0EEENS1_30default_config_static_selectorELNS0_4arch9wavefront6targetE1EEEvSK_, .Lfunc_end1022-_ZN7rocprim17ROCPRIM_400000_NS6detail17trampoline_kernelINS0_14default_configENS1_22reduce_config_selectorIyEEZNS1_11reduce_implILb1ES3_N6thrust23THRUST_200600_302600_NS17counting_iteratorIyNS8_11hip_rocprim3tagENS8_11use_defaultESC_EEPyyNS8_4plusIyEEEE10hipError_tPvRmT1_T2_T3_mT4_P12ihipStream_tbEUlT_E0_NS1_11comp_targetILNS1_3genE3ELNS1_11target_archE908ELNS1_3gpuE7ELNS1_3repE0EEENS1_30default_config_static_selectorELNS0_4arch9wavefront6targetE1EEEvSK_
                                        ; -- End function
	.set _ZN7rocprim17ROCPRIM_400000_NS6detail17trampoline_kernelINS0_14default_configENS1_22reduce_config_selectorIyEEZNS1_11reduce_implILb1ES3_N6thrust23THRUST_200600_302600_NS17counting_iteratorIyNS8_11hip_rocprim3tagENS8_11use_defaultESC_EEPyyNS8_4plusIyEEEE10hipError_tPvRmT1_T2_T3_mT4_P12ihipStream_tbEUlT_E0_NS1_11comp_targetILNS1_3genE3ELNS1_11target_archE908ELNS1_3gpuE7ELNS1_3repE0EEENS1_30default_config_static_selectorELNS0_4arch9wavefront6targetE1EEEvSK_.num_vgpr, 0
	.set _ZN7rocprim17ROCPRIM_400000_NS6detail17trampoline_kernelINS0_14default_configENS1_22reduce_config_selectorIyEEZNS1_11reduce_implILb1ES3_N6thrust23THRUST_200600_302600_NS17counting_iteratorIyNS8_11hip_rocprim3tagENS8_11use_defaultESC_EEPyyNS8_4plusIyEEEE10hipError_tPvRmT1_T2_T3_mT4_P12ihipStream_tbEUlT_E0_NS1_11comp_targetILNS1_3genE3ELNS1_11target_archE908ELNS1_3gpuE7ELNS1_3repE0EEENS1_30default_config_static_selectorELNS0_4arch9wavefront6targetE1EEEvSK_.num_agpr, 0
	.set _ZN7rocprim17ROCPRIM_400000_NS6detail17trampoline_kernelINS0_14default_configENS1_22reduce_config_selectorIyEEZNS1_11reduce_implILb1ES3_N6thrust23THRUST_200600_302600_NS17counting_iteratorIyNS8_11hip_rocprim3tagENS8_11use_defaultESC_EEPyyNS8_4plusIyEEEE10hipError_tPvRmT1_T2_T3_mT4_P12ihipStream_tbEUlT_E0_NS1_11comp_targetILNS1_3genE3ELNS1_11target_archE908ELNS1_3gpuE7ELNS1_3repE0EEENS1_30default_config_static_selectorELNS0_4arch9wavefront6targetE1EEEvSK_.numbered_sgpr, 0
	.set _ZN7rocprim17ROCPRIM_400000_NS6detail17trampoline_kernelINS0_14default_configENS1_22reduce_config_selectorIyEEZNS1_11reduce_implILb1ES3_N6thrust23THRUST_200600_302600_NS17counting_iteratorIyNS8_11hip_rocprim3tagENS8_11use_defaultESC_EEPyyNS8_4plusIyEEEE10hipError_tPvRmT1_T2_T3_mT4_P12ihipStream_tbEUlT_E0_NS1_11comp_targetILNS1_3genE3ELNS1_11target_archE908ELNS1_3gpuE7ELNS1_3repE0EEENS1_30default_config_static_selectorELNS0_4arch9wavefront6targetE1EEEvSK_.num_named_barrier, 0
	.set _ZN7rocprim17ROCPRIM_400000_NS6detail17trampoline_kernelINS0_14default_configENS1_22reduce_config_selectorIyEEZNS1_11reduce_implILb1ES3_N6thrust23THRUST_200600_302600_NS17counting_iteratorIyNS8_11hip_rocprim3tagENS8_11use_defaultESC_EEPyyNS8_4plusIyEEEE10hipError_tPvRmT1_T2_T3_mT4_P12ihipStream_tbEUlT_E0_NS1_11comp_targetILNS1_3genE3ELNS1_11target_archE908ELNS1_3gpuE7ELNS1_3repE0EEENS1_30default_config_static_selectorELNS0_4arch9wavefront6targetE1EEEvSK_.private_seg_size, 0
	.set _ZN7rocprim17ROCPRIM_400000_NS6detail17trampoline_kernelINS0_14default_configENS1_22reduce_config_selectorIyEEZNS1_11reduce_implILb1ES3_N6thrust23THRUST_200600_302600_NS17counting_iteratorIyNS8_11hip_rocprim3tagENS8_11use_defaultESC_EEPyyNS8_4plusIyEEEE10hipError_tPvRmT1_T2_T3_mT4_P12ihipStream_tbEUlT_E0_NS1_11comp_targetILNS1_3genE3ELNS1_11target_archE908ELNS1_3gpuE7ELNS1_3repE0EEENS1_30default_config_static_selectorELNS0_4arch9wavefront6targetE1EEEvSK_.uses_vcc, 0
	.set _ZN7rocprim17ROCPRIM_400000_NS6detail17trampoline_kernelINS0_14default_configENS1_22reduce_config_selectorIyEEZNS1_11reduce_implILb1ES3_N6thrust23THRUST_200600_302600_NS17counting_iteratorIyNS8_11hip_rocprim3tagENS8_11use_defaultESC_EEPyyNS8_4plusIyEEEE10hipError_tPvRmT1_T2_T3_mT4_P12ihipStream_tbEUlT_E0_NS1_11comp_targetILNS1_3genE3ELNS1_11target_archE908ELNS1_3gpuE7ELNS1_3repE0EEENS1_30default_config_static_selectorELNS0_4arch9wavefront6targetE1EEEvSK_.uses_flat_scratch, 0
	.set _ZN7rocprim17ROCPRIM_400000_NS6detail17trampoline_kernelINS0_14default_configENS1_22reduce_config_selectorIyEEZNS1_11reduce_implILb1ES3_N6thrust23THRUST_200600_302600_NS17counting_iteratorIyNS8_11hip_rocprim3tagENS8_11use_defaultESC_EEPyyNS8_4plusIyEEEE10hipError_tPvRmT1_T2_T3_mT4_P12ihipStream_tbEUlT_E0_NS1_11comp_targetILNS1_3genE3ELNS1_11target_archE908ELNS1_3gpuE7ELNS1_3repE0EEENS1_30default_config_static_selectorELNS0_4arch9wavefront6targetE1EEEvSK_.has_dyn_sized_stack, 0
	.set _ZN7rocprim17ROCPRIM_400000_NS6detail17trampoline_kernelINS0_14default_configENS1_22reduce_config_selectorIyEEZNS1_11reduce_implILb1ES3_N6thrust23THRUST_200600_302600_NS17counting_iteratorIyNS8_11hip_rocprim3tagENS8_11use_defaultESC_EEPyyNS8_4plusIyEEEE10hipError_tPvRmT1_T2_T3_mT4_P12ihipStream_tbEUlT_E0_NS1_11comp_targetILNS1_3genE3ELNS1_11target_archE908ELNS1_3gpuE7ELNS1_3repE0EEENS1_30default_config_static_selectorELNS0_4arch9wavefront6targetE1EEEvSK_.has_recursion, 0
	.set _ZN7rocprim17ROCPRIM_400000_NS6detail17trampoline_kernelINS0_14default_configENS1_22reduce_config_selectorIyEEZNS1_11reduce_implILb1ES3_N6thrust23THRUST_200600_302600_NS17counting_iteratorIyNS8_11hip_rocprim3tagENS8_11use_defaultESC_EEPyyNS8_4plusIyEEEE10hipError_tPvRmT1_T2_T3_mT4_P12ihipStream_tbEUlT_E0_NS1_11comp_targetILNS1_3genE3ELNS1_11target_archE908ELNS1_3gpuE7ELNS1_3repE0EEENS1_30default_config_static_selectorELNS0_4arch9wavefront6targetE1EEEvSK_.has_indirect_call, 0
	.section	.AMDGPU.csdata,"",@progbits
; Kernel info:
; codeLenInByte = 0
; TotalNumSgprs: 6
; NumVgprs: 0
; NumAgprs: 0
; TotalNumVgprs: 0
; ScratchSize: 0
; MemoryBound: 0
; FloatMode: 240
; IeeeMode: 1
; LDSByteSize: 0 bytes/workgroup (compile time only)
; SGPRBlocks: 0
; VGPRBlocks: 0
; NumSGPRsForWavesPerEU: 6
; NumVGPRsForWavesPerEU: 1
; AccumOffset: 4
; Occupancy: 8
; WaveLimiterHint : 0
; COMPUTE_PGM_RSRC2:SCRATCH_EN: 0
; COMPUTE_PGM_RSRC2:USER_SGPR: 2
; COMPUTE_PGM_RSRC2:TRAP_HANDLER: 0
; COMPUTE_PGM_RSRC2:TGID_X_EN: 1
; COMPUTE_PGM_RSRC2:TGID_Y_EN: 0
; COMPUTE_PGM_RSRC2:TGID_Z_EN: 0
; COMPUTE_PGM_RSRC2:TIDIG_COMP_CNT: 0
; COMPUTE_PGM_RSRC3_GFX90A:ACCUM_OFFSET: 0
; COMPUTE_PGM_RSRC3_GFX90A:TG_SPLIT: 0
	.section	.text._ZN7rocprim17ROCPRIM_400000_NS6detail17trampoline_kernelINS0_14default_configENS1_22reduce_config_selectorIyEEZNS1_11reduce_implILb1ES3_N6thrust23THRUST_200600_302600_NS17counting_iteratorIyNS8_11hip_rocprim3tagENS8_11use_defaultESC_EEPyyNS8_4plusIyEEEE10hipError_tPvRmT1_T2_T3_mT4_P12ihipStream_tbEUlT_E0_NS1_11comp_targetILNS1_3genE2ELNS1_11target_archE906ELNS1_3gpuE6ELNS1_3repE0EEENS1_30default_config_static_selectorELNS0_4arch9wavefront6targetE1EEEvSK_,"axG",@progbits,_ZN7rocprim17ROCPRIM_400000_NS6detail17trampoline_kernelINS0_14default_configENS1_22reduce_config_selectorIyEEZNS1_11reduce_implILb1ES3_N6thrust23THRUST_200600_302600_NS17counting_iteratorIyNS8_11hip_rocprim3tagENS8_11use_defaultESC_EEPyyNS8_4plusIyEEEE10hipError_tPvRmT1_T2_T3_mT4_P12ihipStream_tbEUlT_E0_NS1_11comp_targetILNS1_3genE2ELNS1_11target_archE906ELNS1_3gpuE6ELNS1_3repE0EEENS1_30default_config_static_selectorELNS0_4arch9wavefront6targetE1EEEvSK_,comdat
	.protected	_ZN7rocprim17ROCPRIM_400000_NS6detail17trampoline_kernelINS0_14default_configENS1_22reduce_config_selectorIyEEZNS1_11reduce_implILb1ES3_N6thrust23THRUST_200600_302600_NS17counting_iteratorIyNS8_11hip_rocprim3tagENS8_11use_defaultESC_EEPyyNS8_4plusIyEEEE10hipError_tPvRmT1_T2_T3_mT4_P12ihipStream_tbEUlT_E0_NS1_11comp_targetILNS1_3genE2ELNS1_11target_archE906ELNS1_3gpuE6ELNS1_3repE0EEENS1_30default_config_static_selectorELNS0_4arch9wavefront6targetE1EEEvSK_ ; -- Begin function _ZN7rocprim17ROCPRIM_400000_NS6detail17trampoline_kernelINS0_14default_configENS1_22reduce_config_selectorIyEEZNS1_11reduce_implILb1ES3_N6thrust23THRUST_200600_302600_NS17counting_iteratorIyNS8_11hip_rocprim3tagENS8_11use_defaultESC_EEPyyNS8_4plusIyEEEE10hipError_tPvRmT1_T2_T3_mT4_P12ihipStream_tbEUlT_E0_NS1_11comp_targetILNS1_3genE2ELNS1_11target_archE906ELNS1_3gpuE6ELNS1_3repE0EEENS1_30default_config_static_selectorELNS0_4arch9wavefront6targetE1EEEvSK_
	.globl	_ZN7rocprim17ROCPRIM_400000_NS6detail17trampoline_kernelINS0_14default_configENS1_22reduce_config_selectorIyEEZNS1_11reduce_implILb1ES3_N6thrust23THRUST_200600_302600_NS17counting_iteratorIyNS8_11hip_rocprim3tagENS8_11use_defaultESC_EEPyyNS8_4plusIyEEEE10hipError_tPvRmT1_T2_T3_mT4_P12ihipStream_tbEUlT_E0_NS1_11comp_targetILNS1_3genE2ELNS1_11target_archE906ELNS1_3gpuE6ELNS1_3repE0EEENS1_30default_config_static_selectorELNS0_4arch9wavefront6targetE1EEEvSK_
	.p2align	8
	.type	_ZN7rocprim17ROCPRIM_400000_NS6detail17trampoline_kernelINS0_14default_configENS1_22reduce_config_selectorIyEEZNS1_11reduce_implILb1ES3_N6thrust23THRUST_200600_302600_NS17counting_iteratorIyNS8_11hip_rocprim3tagENS8_11use_defaultESC_EEPyyNS8_4plusIyEEEE10hipError_tPvRmT1_T2_T3_mT4_P12ihipStream_tbEUlT_E0_NS1_11comp_targetILNS1_3genE2ELNS1_11target_archE906ELNS1_3gpuE6ELNS1_3repE0EEENS1_30default_config_static_selectorELNS0_4arch9wavefront6targetE1EEEvSK_,@function
_ZN7rocprim17ROCPRIM_400000_NS6detail17trampoline_kernelINS0_14default_configENS1_22reduce_config_selectorIyEEZNS1_11reduce_implILb1ES3_N6thrust23THRUST_200600_302600_NS17counting_iteratorIyNS8_11hip_rocprim3tagENS8_11use_defaultESC_EEPyyNS8_4plusIyEEEE10hipError_tPvRmT1_T2_T3_mT4_P12ihipStream_tbEUlT_E0_NS1_11comp_targetILNS1_3genE2ELNS1_11target_archE906ELNS1_3gpuE6ELNS1_3repE0EEENS1_30default_config_static_selectorELNS0_4arch9wavefront6targetE1EEEvSK_: ; @_ZN7rocprim17ROCPRIM_400000_NS6detail17trampoline_kernelINS0_14default_configENS1_22reduce_config_selectorIyEEZNS1_11reduce_implILb1ES3_N6thrust23THRUST_200600_302600_NS17counting_iteratorIyNS8_11hip_rocprim3tagENS8_11use_defaultESC_EEPyyNS8_4plusIyEEEE10hipError_tPvRmT1_T2_T3_mT4_P12ihipStream_tbEUlT_E0_NS1_11comp_targetILNS1_3genE2ELNS1_11target_archE906ELNS1_3gpuE6ELNS1_3repE0EEENS1_30default_config_static_selectorELNS0_4arch9wavefront6targetE1EEEvSK_
; %bb.0:
	.section	.rodata,"a",@progbits
	.p2align	6, 0x0
	.amdhsa_kernel _ZN7rocprim17ROCPRIM_400000_NS6detail17trampoline_kernelINS0_14default_configENS1_22reduce_config_selectorIyEEZNS1_11reduce_implILb1ES3_N6thrust23THRUST_200600_302600_NS17counting_iteratorIyNS8_11hip_rocprim3tagENS8_11use_defaultESC_EEPyyNS8_4plusIyEEEE10hipError_tPvRmT1_T2_T3_mT4_P12ihipStream_tbEUlT_E0_NS1_11comp_targetILNS1_3genE2ELNS1_11target_archE906ELNS1_3gpuE6ELNS1_3repE0EEENS1_30default_config_static_selectorELNS0_4arch9wavefront6targetE1EEEvSK_
		.amdhsa_group_segment_fixed_size 0
		.amdhsa_private_segment_fixed_size 0
		.amdhsa_kernarg_size 64
		.amdhsa_user_sgpr_count 2
		.amdhsa_user_sgpr_dispatch_ptr 0
		.amdhsa_user_sgpr_queue_ptr 0
		.amdhsa_user_sgpr_kernarg_segment_ptr 1
		.amdhsa_user_sgpr_dispatch_id 0
		.amdhsa_user_sgpr_kernarg_preload_length 0
		.amdhsa_user_sgpr_kernarg_preload_offset 0
		.amdhsa_user_sgpr_private_segment_size 0
		.amdhsa_uses_dynamic_stack 0
		.amdhsa_enable_private_segment 0
		.amdhsa_system_sgpr_workgroup_id_x 1
		.amdhsa_system_sgpr_workgroup_id_y 0
		.amdhsa_system_sgpr_workgroup_id_z 0
		.amdhsa_system_sgpr_workgroup_info 0
		.amdhsa_system_vgpr_workitem_id 0
		.amdhsa_next_free_vgpr 1
		.amdhsa_next_free_sgpr 0
		.amdhsa_accum_offset 4
		.amdhsa_reserve_vcc 0
		.amdhsa_float_round_mode_32 0
		.amdhsa_float_round_mode_16_64 0
		.amdhsa_float_denorm_mode_32 3
		.amdhsa_float_denorm_mode_16_64 3
		.amdhsa_dx10_clamp 1
		.amdhsa_ieee_mode 1
		.amdhsa_fp16_overflow 0
		.amdhsa_tg_split 0
		.amdhsa_exception_fp_ieee_invalid_op 0
		.amdhsa_exception_fp_denorm_src 0
		.amdhsa_exception_fp_ieee_div_zero 0
		.amdhsa_exception_fp_ieee_overflow 0
		.amdhsa_exception_fp_ieee_underflow 0
		.amdhsa_exception_fp_ieee_inexact 0
		.amdhsa_exception_int_div_zero 0
	.end_amdhsa_kernel
	.section	.text._ZN7rocprim17ROCPRIM_400000_NS6detail17trampoline_kernelINS0_14default_configENS1_22reduce_config_selectorIyEEZNS1_11reduce_implILb1ES3_N6thrust23THRUST_200600_302600_NS17counting_iteratorIyNS8_11hip_rocprim3tagENS8_11use_defaultESC_EEPyyNS8_4plusIyEEEE10hipError_tPvRmT1_T2_T3_mT4_P12ihipStream_tbEUlT_E0_NS1_11comp_targetILNS1_3genE2ELNS1_11target_archE906ELNS1_3gpuE6ELNS1_3repE0EEENS1_30default_config_static_selectorELNS0_4arch9wavefront6targetE1EEEvSK_,"axG",@progbits,_ZN7rocprim17ROCPRIM_400000_NS6detail17trampoline_kernelINS0_14default_configENS1_22reduce_config_selectorIyEEZNS1_11reduce_implILb1ES3_N6thrust23THRUST_200600_302600_NS17counting_iteratorIyNS8_11hip_rocprim3tagENS8_11use_defaultESC_EEPyyNS8_4plusIyEEEE10hipError_tPvRmT1_T2_T3_mT4_P12ihipStream_tbEUlT_E0_NS1_11comp_targetILNS1_3genE2ELNS1_11target_archE906ELNS1_3gpuE6ELNS1_3repE0EEENS1_30default_config_static_selectorELNS0_4arch9wavefront6targetE1EEEvSK_,comdat
.Lfunc_end1023:
	.size	_ZN7rocprim17ROCPRIM_400000_NS6detail17trampoline_kernelINS0_14default_configENS1_22reduce_config_selectorIyEEZNS1_11reduce_implILb1ES3_N6thrust23THRUST_200600_302600_NS17counting_iteratorIyNS8_11hip_rocprim3tagENS8_11use_defaultESC_EEPyyNS8_4plusIyEEEE10hipError_tPvRmT1_T2_T3_mT4_P12ihipStream_tbEUlT_E0_NS1_11comp_targetILNS1_3genE2ELNS1_11target_archE906ELNS1_3gpuE6ELNS1_3repE0EEENS1_30default_config_static_selectorELNS0_4arch9wavefront6targetE1EEEvSK_, .Lfunc_end1023-_ZN7rocprim17ROCPRIM_400000_NS6detail17trampoline_kernelINS0_14default_configENS1_22reduce_config_selectorIyEEZNS1_11reduce_implILb1ES3_N6thrust23THRUST_200600_302600_NS17counting_iteratorIyNS8_11hip_rocprim3tagENS8_11use_defaultESC_EEPyyNS8_4plusIyEEEE10hipError_tPvRmT1_T2_T3_mT4_P12ihipStream_tbEUlT_E0_NS1_11comp_targetILNS1_3genE2ELNS1_11target_archE906ELNS1_3gpuE6ELNS1_3repE0EEENS1_30default_config_static_selectorELNS0_4arch9wavefront6targetE1EEEvSK_
                                        ; -- End function
	.set _ZN7rocprim17ROCPRIM_400000_NS6detail17trampoline_kernelINS0_14default_configENS1_22reduce_config_selectorIyEEZNS1_11reduce_implILb1ES3_N6thrust23THRUST_200600_302600_NS17counting_iteratorIyNS8_11hip_rocprim3tagENS8_11use_defaultESC_EEPyyNS8_4plusIyEEEE10hipError_tPvRmT1_T2_T3_mT4_P12ihipStream_tbEUlT_E0_NS1_11comp_targetILNS1_3genE2ELNS1_11target_archE906ELNS1_3gpuE6ELNS1_3repE0EEENS1_30default_config_static_selectorELNS0_4arch9wavefront6targetE1EEEvSK_.num_vgpr, 0
	.set _ZN7rocprim17ROCPRIM_400000_NS6detail17trampoline_kernelINS0_14default_configENS1_22reduce_config_selectorIyEEZNS1_11reduce_implILb1ES3_N6thrust23THRUST_200600_302600_NS17counting_iteratorIyNS8_11hip_rocprim3tagENS8_11use_defaultESC_EEPyyNS8_4plusIyEEEE10hipError_tPvRmT1_T2_T3_mT4_P12ihipStream_tbEUlT_E0_NS1_11comp_targetILNS1_3genE2ELNS1_11target_archE906ELNS1_3gpuE6ELNS1_3repE0EEENS1_30default_config_static_selectorELNS0_4arch9wavefront6targetE1EEEvSK_.num_agpr, 0
	.set _ZN7rocprim17ROCPRIM_400000_NS6detail17trampoline_kernelINS0_14default_configENS1_22reduce_config_selectorIyEEZNS1_11reduce_implILb1ES3_N6thrust23THRUST_200600_302600_NS17counting_iteratorIyNS8_11hip_rocprim3tagENS8_11use_defaultESC_EEPyyNS8_4plusIyEEEE10hipError_tPvRmT1_T2_T3_mT4_P12ihipStream_tbEUlT_E0_NS1_11comp_targetILNS1_3genE2ELNS1_11target_archE906ELNS1_3gpuE6ELNS1_3repE0EEENS1_30default_config_static_selectorELNS0_4arch9wavefront6targetE1EEEvSK_.numbered_sgpr, 0
	.set _ZN7rocprim17ROCPRIM_400000_NS6detail17trampoline_kernelINS0_14default_configENS1_22reduce_config_selectorIyEEZNS1_11reduce_implILb1ES3_N6thrust23THRUST_200600_302600_NS17counting_iteratorIyNS8_11hip_rocprim3tagENS8_11use_defaultESC_EEPyyNS8_4plusIyEEEE10hipError_tPvRmT1_T2_T3_mT4_P12ihipStream_tbEUlT_E0_NS1_11comp_targetILNS1_3genE2ELNS1_11target_archE906ELNS1_3gpuE6ELNS1_3repE0EEENS1_30default_config_static_selectorELNS0_4arch9wavefront6targetE1EEEvSK_.num_named_barrier, 0
	.set _ZN7rocprim17ROCPRIM_400000_NS6detail17trampoline_kernelINS0_14default_configENS1_22reduce_config_selectorIyEEZNS1_11reduce_implILb1ES3_N6thrust23THRUST_200600_302600_NS17counting_iteratorIyNS8_11hip_rocprim3tagENS8_11use_defaultESC_EEPyyNS8_4plusIyEEEE10hipError_tPvRmT1_T2_T3_mT4_P12ihipStream_tbEUlT_E0_NS1_11comp_targetILNS1_3genE2ELNS1_11target_archE906ELNS1_3gpuE6ELNS1_3repE0EEENS1_30default_config_static_selectorELNS0_4arch9wavefront6targetE1EEEvSK_.private_seg_size, 0
	.set _ZN7rocprim17ROCPRIM_400000_NS6detail17trampoline_kernelINS0_14default_configENS1_22reduce_config_selectorIyEEZNS1_11reduce_implILb1ES3_N6thrust23THRUST_200600_302600_NS17counting_iteratorIyNS8_11hip_rocprim3tagENS8_11use_defaultESC_EEPyyNS8_4plusIyEEEE10hipError_tPvRmT1_T2_T3_mT4_P12ihipStream_tbEUlT_E0_NS1_11comp_targetILNS1_3genE2ELNS1_11target_archE906ELNS1_3gpuE6ELNS1_3repE0EEENS1_30default_config_static_selectorELNS0_4arch9wavefront6targetE1EEEvSK_.uses_vcc, 0
	.set _ZN7rocprim17ROCPRIM_400000_NS6detail17trampoline_kernelINS0_14default_configENS1_22reduce_config_selectorIyEEZNS1_11reduce_implILb1ES3_N6thrust23THRUST_200600_302600_NS17counting_iteratorIyNS8_11hip_rocprim3tagENS8_11use_defaultESC_EEPyyNS8_4plusIyEEEE10hipError_tPvRmT1_T2_T3_mT4_P12ihipStream_tbEUlT_E0_NS1_11comp_targetILNS1_3genE2ELNS1_11target_archE906ELNS1_3gpuE6ELNS1_3repE0EEENS1_30default_config_static_selectorELNS0_4arch9wavefront6targetE1EEEvSK_.uses_flat_scratch, 0
	.set _ZN7rocprim17ROCPRIM_400000_NS6detail17trampoline_kernelINS0_14default_configENS1_22reduce_config_selectorIyEEZNS1_11reduce_implILb1ES3_N6thrust23THRUST_200600_302600_NS17counting_iteratorIyNS8_11hip_rocprim3tagENS8_11use_defaultESC_EEPyyNS8_4plusIyEEEE10hipError_tPvRmT1_T2_T3_mT4_P12ihipStream_tbEUlT_E0_NS1_11comp_targetILNS1_3genE2ELNS1_11target_archE906ELNS1_3gpuE6ELNS1_3repE0EEENS1_30default_config_static_selectorELNS0_4arch9wavefront6targetE1EEEvSK_.has_dyn_sized_stack, 0
	.set _ZN7rocprim17ROCPRIM_400000_NS6detail17trampoline_kernelINS0_14default_configENS1_22reduce_config_selectorIyEEZNS1_11reduce_implILb1ES3_N6thrust23THRUST_200600_302600_NS17counting_iteratorIyNS8_11hip_rocprim3tagENS8_11use_defaultESC_EEPyyNS8_4plusIyEEEE10hipError_tPvRmT1_T2_T3_mT4_P12ihipStream_tbEUlT_E0_NS1_11comp_targetILNS1_3genE2ELNS1_11target_archE906ELNS1_3gpuE6ELNS1_3repE0EEENS1_30default_config_static_selectorELNS0_4arch9wavefront6targetE1EEEvSK_.has_recursion, 0
	.set _ZN7rocprim17ROCPRIM_400000_NS6detail17trampoline_kernelINS0_14default_configENS1_22reduce_config_selectorIyEEZNS1_11reduce_implILb1ES3_N6thrust23THRUST_200600_302600_NS17counting_iteratorIyNS8_11hip_rocprim3tagENS8_11use_defaultESC_EEPyyNS8_4plusIyEEEE10hipError_tPvRmT1_T2_T3_mT4_P12ihipStream_tbEUlT_E0_NS1_11comp_targetILNS1_3genE2ELNS1_11target_archE906ELNS1_3gpuE6ELNS1_3repE0EEENS1_30default_config_static_selectorELNS0_4arch9wavefront6targetE1EEEvSK_.has_indirect_call, 0
	.section	.AMDGPU.csdata,"",@progbits
; Kernel info:
; codeLenInByte = 0
; TotalNumSgprs: 6
; NumVgprs: 0
; NumAgprs: 0
; TotalNumVgprs: 0
; ScratchSize: 0
; MemoryBound: 0
; FloatMode: 240
; IeeeMode: 1
; LDSByteSize: 0 bytes/workgroup (compile time only)
; SGPRBlocks: 0
; VGPRBlocks: 0
; NumSGPRsForWavesPerEU: 6
; NumVGPRsForWavesPerEU: 1
; AccumOffset: 4
; Occupancy: 8
; WaveLimiterHint : 0
; COMPUTE_PGM_RSRC2:SCRATCH_EN: 0
; COMPUTE_PGM_RSRC2:USER_SGPR: 2
; COMPUTE_PGM_RSRC2:TRAP_HANDLER: 0
; COMPUTE_PGM_RSRC2:TGID_X_EN: 1
; COMPUTE_PGM_RSRC2:TGID_Y_EN: 0
; COMPUTE_PGM_RSRC2:TGID_Z_EN: 0
; COMPUTE_PGM_RSRC2:TIDIG_COMP_CNT: 0
; COMPUTE_PGM_RSRC3_GFX90A:ACCUM_OFFSET: 0
; COMPUTE_PGM_RSRC3_GFX90A:TG_SPLIT: 0
	.section	.text._ZN7rocprim17ROCPRIM_400000_NS6detail17trampoline_kernelINS0_14default_configENS1_22reduce_config_selectorIyEEZNS1_11reduce_implILb1ES3_N6thrust23THRUST_200600_302600_NS17counting_iteratorIyNS8_11hip_rocprim3tagENS8_11use_defaultESC_EEPyyNS8_4plusIyEEEE10hipError_tPvRmT1_T2_T3_mT4_P12ihipStream_tbEUlT_E0_NS1_11comp_targetILNS1_3genE10ELNS1_11target_archE1201ELNS1_3gpuE5ELNS1_3repE0EEENS1_30default_config_static_selectorELNS0_4arch9wavefront6targetE1EEEvSK_,"axG",@progbits,_ZN7rocprim17ROCPRIM_400000_NS6detail17trampoline_kernelINS0_14default_configENS1_22reduce_config_selectorIyEEZNS1_11reduce_implILb1ES3_N6thrust23THRUST_200600_302600_NS17counting_iteratorIyNS8_11hip_rocprim3tagENS8_11use_defaultESC_EEPyyNS8_4plusIyEEEE10hipError_tPvRmT1_T2_T3_mT4_P12ihipStream_tbEUlT_E0_NS1_11comp_targetILNS1_3genE10ELNS1_11target_archE1201ELNS1_3gpuE5ELNS1_3repE0EEENS1_30default_config_static_selectorELNS0_4arch9wavefront6targetE1EEEvSK_,comdat
	.protected	_ZN7rocprim17ROCPRIM_400000_NS6detail17trampoline_kernelINS0_14default_configENS1_22reduce_config_selectorIyEEZNS1_11reduce_implILb1ES3_N6thrust23THRUST_200600_302600_NS17counting_iteratorIyNS8_11hip_rocprim3tagENS8_11use_defaultESC_EEPyyNS8_4plusIyEEEE10hipError_tPvRmT1_T2_T3_mT4_P12ihipStream_tbEUlT_E0_NS1_11comp_targetILNS1_3genE10ELNS1_11target_archE1201ELNS1_3gpuE5ELNS1_3repE0EEENS1_30default_config_static_selectorELNS0_4arch9wavefront6targetE1EEEvSK_ ; -- Begin function _ZN7rocprim17ROCPRIM_400000_NS6detail17trampoline_kernelINS0_14default_configENS1_22reduce_config_selectorIyEEZNS1_11reduce_implILb1ES3_N6thrust23THRUST_200600_302600_NS17counting_iteratorIyNS8_11hip_rocprim3tagENS8_11use_defaultESC_EEPyyNS8_4plusIyEEEE10hipError_tPvRmT1_T2_T3_mT4_P12ihipStream_tbEUlT_E0_NS1_11comp_targetILNS1_3genE10ELNS1_11target_archE1201ELNS1_3gpuE5ELNS1_3repE0EEENS1_30default_config_static_selectorELNS0_4arch9wavefront6targetE1EEEvSK_
	.globl	_ZN7rocprim17ROCPRIM_400000_NS6detail17trampoline_kernelINS0_14default_configENS1_22reduce_config_selectorIyEEZNS1_11reduce_implILb1ES3_N6thrust23THRUST_200600_302600_NS17counting_iteratorIyNS8_11hip_rocprim3tagENS8_11use_defaultESC_EEPyyNS8_4plusIyEEEE10hipError_tPvRmT1_T2_T3_mT4_P12ihipStream_tbEUlT_E0_NS1_11comp_targetILNS1_3genE10ELNS1_11target_archE1201ELNS1_3gpuE5ELNS1_3repE0EEENS1_30default_config_static_selectorELNS0_4arch9wavefront6targetE1EEEvSK_
	.p2align	8
	.type	_ZN7rocprim17ROCPRIM_400000_NS6detail17trampoline_kernelINS0_14default_configENS1_22reduce_config_selectorIyEEZNS1_11reduce_implILb1ES3_N6thrust23THRUST_200600_302600_NS17counting_iteratorIyNS8_11hip_rocprim3tagENS8_11use_defaultESC_EEPyyNS8_4plusIyEEEE10hipError_tPvRmT1_T2_T3_mT4_P12ihipStream_tbEUlT_E0_NS1_11comp_targetILNS1_3genE10ELNS1_11target_archE1201ELNS1_3gpuE5ELNS1_3repE0EEENS1_30default_config_static_selectorELNS0_4arch9wavefront6targetE1EEEvSK_,@function
_ZN7rocprim17ROCPRIM_400000_NS6detail17trampoline_kernelINS0_14default_configENS1_22reduce_config_selectorIyEEZNS1_11reduce_implILb1ES3_N6thrust23THRUST_200600_302600_NS17counting_iteratorIyNS8_11hip_rocprim3tagENS8_11use_defaultESC_EEPyyNS8_4plusIyEEEE10hipError_tPvRmT1_T2_T3_mT4_P12ihipStream_tbEUlT_E0_NS1_11comp_targetILNS1_3genE10ELNS1_11target_archE1201ELNS1_3gpuE5ELNS1_3repE0EEENS1_30default_config_static_selectorELNS0_4arch9wavefront6targetE1EEEvSK_: ; @_ZN7rocprim17ROCPRIM_400000_NS6detail17trampoline_kernelINS0_14default_configENS1_22reduce_config_selectorIyEEZNS1_11reduce_implILb1ES3_N6thrust23THRUST_200600_302600_NS17counting_iteratorIyNS8_11hip_rocprim3tagENS8_11use_defaultESC_EEPyyNS8_4plusIyEEEE10hipError_tPvRmT1_T2_T3_mT4_P12ihipStream_tbEUlT_E0_NS1_11comp_targetILNS1_3genE10ELNS1_11target_archE1201ELNS1_3gpuE5ELNS1_3repE0EEENS1_30default_config_static_selectorELNS0_4arch9wavefront6targetE1EEEvSK_
; %bb.0:
	.section	.rodata,"a",@progbits
	.p2align	6, 0x0
	.amdhsa_kernel _ZN7rocprim17ROCPRIM_400000_NS6detail17trampoline_kernelINS0_14default_configENS1_22reduce_config_selectorIyEEZNS1_11reduce_implILb1ES3_N6thrust23THRUST_200600_302600_NS17counting_iteratorIyNS8_11hip_rocprim3tagENS8_11use_defaultESC_EEPyyNS8_4plusIyEEEE10hipError_tPvRmT1_T2_T3_mT4_P12ihipStream_tbEUlT_E0_NS1_11comp_targetILNS1_3genE10ELNS1_11target_archE1201ELNS1_3gpuE5ELNS1_3repE0EEENS1_30default_config_static_selectorELNS0_4arch9wavefront6targetE1EEEvSK_
		.amdhsa_group_segment_fixed_size 0
		.amdhsa_private_segment_fixed_size 0
		.amdhsa_kernarg_size 64
		.amdhsa_user_sgpr_count 2
		.amdhsa_user_sgpr_dispatch_ptr 0
		.amdhsa_user_sgpr_queue_ptr 0
		.amdhsa_user_sgpr_kernarg_segment_ptr 1
		.amdhsa_user_sgpr_dispatch_id 0
		.amdhsa_user_sgpr_kernarg_preload_length 0
		.amdhsa_user_sgpr_kernarg_preload_offset 0
		.amdhsa_user_sgpr_private_segment_size 0
		.amdhsa_uses_dynamic_stack 0
		.amdhsa_enable_private_segment 0
		.amdhsa_system_sgpr_workgroup_id_x 1
		.amdhsa_system_sgpr_workgroup_id_y 0
		.amdhsa_system_sgpr_workgroup_id_z 0
		.amdhsa_system_sgpr_workgroup_info 0
		.amdhsa_system_vgpr_workitem_id 0
		.amdhsa_next_free_vgpr 1
		.amdhsa_next_free_sgpr 0
		.amdhsa_accum_offset 4
		.amdhsa_reserve_vcc 0
		.amdhsa_float_round_mode_32 0
		.amdhsa_float_round_mode_16_64 0
		.amdhsa_float_denorm_mode_32 3
		.amdhsa_float_denorm_mode_16_64 3
		.amdhsa_dx10_clamp 1
		.amdhsa_ieee_mode 1
		.amdhsa_fp16_overflow 0
		.amdhsa_tg_split 0
		.amdhsa_exception_fp_ieee_invalid_op 0
		.amdhsa_exception_fp_denorm_src 0
		.amdhsa_exception_fp_ieee_div_zero 0
		.amdhsa_exception_fp_ieee_overflow 0
		.amdhsa_exception_fp_ieee_underflow 0
		.amdhsa_exception_fp_ieee_inexact 0
		.amdhsa_exception_int_div_zero 0
	.end_amdhsa_kernel
	.section	.text._ZN7rocprim17ROCPRIM_400000_NS6detail17trampoline_kernelINS0_14default_configENS1_22reduce_config_selectorIyEEZNS1_11reduce_implILb1ES3_N6thrust23THRUST_200600_302600_NS17counting_iteratorIyNS8_11hip_rocprim3tagENS8_11use_defaultESC_EEPyyNS8_4plusIyEEEE10hipError_tPvRmT1_T2_T3_mT4_P12ihipStream_tbEUlT_E0_NS1_11comp_targetILNS1_3genE10ELNS1_11target_archE1201ELNS1_3gpuE5ELNS1_3repE0EEENS1_30default_config_static_selectorELNS0_4arch9wavefront6targetE1EEEvSK_,"axG",@progbits,_ZN7rocprim17ROCPRIM_400000_NS6detail17trampoline_kernelINS0_14default_configENS1_22reduce_config_selectorIyEEZNS1_11reduce_implILb1ES3_N6thrust23THRUST_200600_302600_NS17counting_iteratorIyNS8_11hip_rocprim3tagENS8_11use_defaultESC_EEPyyNS8_4plusIyEEEE10hipError_tPvRmT1_T2_T3_mT4_P12ihipStream_tbEUlT_E0_NS1_11comp_targetILNS1_3genE10ELNS1_11target_archE1201ELNS1_3gpuE5ELNS1_3repE0EEENS1_30default_config_static_selectorELNS0_4arch9wavefront6targetE1EEEvSK_,comdat
.Lfunc_end1024:
	.size	_ZN7rocprim17ROCPRIM_400000_NS6detail17trampoline_kernelINS0_14default_configENS1_22reduce_config_selectorIyEEZNS1_11reduce_implILb1ES3_N6thrust23THRUST_200600_302600_NS17counting_iteratorIyNS8_11hip_rocprim3tagENS8_11use_defaultESC_EEPyyNS8_4plusIyEEEE10hipError_tPvRmT1_T2_T3_mT4_P12ihipStream_tbEUlT_E0_NS1_11comp_targetILNS1_3genE10ELNS1_11target_archE1201ELNS1_3gpuE5ELNS1_3repE0EEENS1_30default_config_static_selectorELNS0_4arch9wavefront6targetE1EEEvSK_, .Lfunc_end1024-_ZN7rocprim17ROCPRIM_400000_NS6detail17trampoline_kernelINS0_14default_configENS1_22reduce_config_selectorIyEEZNS1_11reduce_implILb1ES3_N6thrust23THRUST_200600_302600_NS17counting_iteratorIyNS8_11hip_rocprim3tagENS8_11use_defaultESC_EEPyyNS8_4plusIyEEEE10hipError_tPvRmT1_T2_T3_mT4_P12ihipStream_tbEUlT_E0_NS1_11comp_targetILNS1_3genE10ELNS1_11target_archE1201ELNS1_3gpuE5ELNS1_3repE0EEENS1_30default_config_static_selectorELNS0_4arch9wavefront6targetE1EEEvSK_
                                        ; -- End function
	.set _ZN7rocprim17ROCPRIM_400000_NS6detail17trampoline_kernelINS0_14default_configENS1_22reduce_config_selectorIyEEZNS1_11reduce_implILb1ES3_N6thrust23THRUST_200600_302600_NS17counting_iteratorIyNS8_11hip_rocprim3tagENS8_11use_defaultESC_EEPyyNS8_4plusIyEEEE10hipError_tPvRmT1_T2_T3_mT4_P12ihipStream_tbEUlT_E0_NS1_11comp_targetILNS1_3genE10ELNS1_11target_archE1201ELNS1_3gpuE5ELNS1_3repE0EEENS1_30default_config_static_selectorELNS0_4arch9wavefront6targetE1EEEvSK_.num_vgpr, 0
	.set _ZN7rocprim17ROCPRIM_400000_NS6detail17trampoline_kernelINS0_14default_configENS1_22reduce_config_selectorIyEEZNS1_11reduce_implILb1ES3_N6thrust23THRUST_200600_302600_NS17counting_iteratorIyNS8_11hip_rocprim3tagENS8_11use_defaultESC_EEPyyNS8_4plusIyEEEE10hipError_tPvRmT1_T2_T3_mT4_P12ihipStream_tbEUlT_E0_NS1_11comp_targetILNS1_3genE10ELNS1_11target_archE1201ELNS1_3gpuE5ELNS1_3repE0EEENS1_30default_config_static_selectorELNS0_4arch9wavefront6targetE1EEEvSK_.num_agpr, 0
	.set _ZN7rocprim17ROCPRIM_400000_NS6detail17trampoline_kernelINS0_14default_configENS1_22reduce_config_selectorIyEEZNS1_11reduce_implILb1ES3_N6thrust23THRUST_200600_302600_NS17counting_iteratorIyNS8_11hip_rocprim3tagENS8_11use_defaultESC_EEPyyNS8_4plusIyEEEE10hipError_tPvRmT1_T2_T3_mT4_P12ihipStream_tbEUlT_E0_NS1_11comp_targetILNS1_3genE10ELNS1_11target_archE1201ELNS1_3gpuE5ELNS1_3repE0EEENS1_30default_config_static_selectorELNS0_4arch9wavefront6targetE1EEEvSK_.numbered_sgpr, 0
	.set _ZN7rocprim17ROCPRIM_400000_NS6detail17trampoline_kernelINS0_14default_configENS1_22reduce_config_selectorIyEEZNS1_11reduce_implILb1ES3_N6thrust23THRUST_200600_302600_NS17counting_iteratorIyNS8_11hip_rocprim3tagENS8_11use_defaultESC_EEPyyNS8_4plusIyEEEE10hipError_tPvRmT1_T2_T3_mT4_P12ihipStream_tbEUlT_E0_NS1_11comp_targetILNS1_3genE10ELNS1_11target_archE1201ELNS1_3gpuE5ELNS1_3repE0EEENS1_30default_config_static_selectorELNS0_4arch9wavefront6targetE1EEEvSK_.num_named_barrier, 0
	.set _ZN7rocprim17ROCPRIM_400000_NS6detail17trampoline_kernelINS0_14default_configENS1_22reduce_config_selectorIyEEZNS1_11reduce_implILb1ES3_N6thrust23THRUST_200600_302600_NS17counting_iteratorIyNS8_11hip_rocprim3tagENS8_11use_defaultESC_EEPyyNS8_4plusIyEEEE10hipError_tPvRmT1_T2_T3_mT4_P12ihipStream_tbEUlT_E0_NS1_11comp_targetILNS1_3genE10ELNS1_11target_archE1201ELNS1_3gpuE5ELNS1_3repE0EEENS1_30default_config_static_selectorELNS0_4arch9wavefront6targetE1EEEvSK_.private_seg_size, 0
	.set _ZN7rocprim17ROCPRIM_400000_NS6detail17trampoline_kernelINS0_14default_configENS1_22reduce_config_selectorIyEEZNS1_11reduce_implILb1ES3_N6thrust23THRUST_200600_302600_NS17counting_iteratorIyNS8_11hip_rocprim3tagENS8_11use_defaultESC_EEPyyNS8_4plusIyEEEE10hipError_tPvRmT1_T2_T3_mT4_P12ihipStream_tbEUlT_E0_NS1_11comp_targetILNS1_3genE10ELNS1_11target_archE1201ELNS1_3gpuE5ELNS1_3repE0EEENS1_30default_config_static_selectorELNS0_4arch9wavefront6targetE1EEEvSK_.uses_vcc, 0
	.set _ZN7rocprim17ROCPRIM_400000_NS6detail17trampoline_kernelINS0_14default_configENS1_22reduce_config_selectorIyEEZNS1_11reduce_implILb1ES3_N6thrust23THRUST_200600_302600_NS17counting_iteratorIyNS8_11hip_rocprim3tagENS8_11use_defaultESC_EEPyyNS8_4plusIyEEEE10hipError_tPvRmT1_T2_T3_mT4_P12ihipStream_tbEUlT_E0_NS1_11comp_targetILNS1_3genE10ELNS1_11target_archE1201ELNS1_3gpuE5ELNS1_3repE0EEENS1_30default_config_static_selectorELNS0_4arch9wavefront6targetE1EEEvSK_.uses_flat_scratch, 0
	.set _ZN7rocprim17ROCPRIM_400000_NS6detail17trampoline_kernelINS0_14default_configENS1_22reduce_config_selectorIyEEZNS1_11reduce_implILb1ES3_N6thrust23THRUST_200600_302600_NS17counting_iteratorIyNS8_11hip_rocprim3tagENS8_11use_defaultESC_EEPyyNS8_4plusIyEEEE10hipError_tPvRmT1_T2_T3_mT4_P12ihipStream_tbEUlT_E0_NS1_11comp_targetILNS1_3genE10ELNS1_11target_archE1201ELNS1_3gpuE5ELNS1_3repE0EEENS1_30default_config_static_selectorELNS0_4arch9wavefront6targetE1EEEvSK_.has_dyn_sized_stack, 0
	.set _ZN7rocprim17ROCPRIM_400000_NS6detail17trampoline_kernelINS0_14default_configENS1_22reduce_config_selectorIyEEZNS1_11reduce_implILb1ES3_N6thrust23THRUST_200600_302600_NS17counting_iteratorIyNS8_11hip_rocprim3tagENS8_11use_defaultESC_EEPyyNS8_4plusIyEEEE10hipError_tPvRmT1_T2_T3_mT4_P12ihipStream_tbEUlT_E0_NS1_11comp_targetILNS1_3genE10ELNS1_11target_archE1201ELNS1_3gpuE5ELNS1_3repE0EEENS1_30default_config_static_selectorELNS0_4arch9wavefront6targetE1EEEvSK_.has_recursion, 0
	.set _ZN7rocprim17ROCPRIM_400000_NS6detail17trampoline_kernelINS0_14default_configENS1_22reduce_config_selectorIyEEZNS1_11reduce_implILb1ES3_N6thrust23THRUST_200600_302600_NS17counting_iteratorIyNS8_11hip_rocprim3tagENS8_11use_defaultESC_EEPyyNS8_4plusIyEEEE10hipError_tPvRmT1_T2_T3_mT4_P12ihipStream_tbEUlT_E0_NS1_11comp_targetILNS1_3genE10ELNS1_11target_archE1201ELNS1_3gpuE5ELNS1_3repE0EEENS1_30default_config_static_selectorELNS0_4arch9wavefront6targetE1EEEvSK_.has_indirect_call, 0
	.section	.AMDGPU.csdata,"",@progbits
; Kernel info:
; codeLenInByte = 0
; TotalNumSgprs: 6
; NumVgprs: 0
; NumAgprs: 0
; TotalNumVgprs: 0
; ScratchSize: 0
; MemoryBound: 0
; FloatMode: 240
; IeeeMode: 1
; LDSByteSize: 0 bytes/workgroup (compile time only)
; SGPRBlocks: 0
; VGPRBlocks: 0
; NumSGPRsForWavesPerEU: 6
; NumVGPRsForWavesPerEU: 1
; AccumOffset: 4
; Occupancy: 8
; WaveLimiterHint : 0
; COMPUTE_PGM_RSRC2:SCRATCH_EN: 0
; COMPUTE_PGM_RSRC2:USER_SGPR: 2
; COMPUTE_PGM_RSRC2:TRAP_HANDLER: 0
; COMPUTE_PGM_RSRC2:TGID_X_EN: 1
; COMPUTE_PGM_RSRC2:TGID_Y_EN: 0
; COMPUTE_PGM_RSRC2:TGID_Z_EN: 0
; COMPUTE_PGM_RSRC2:TIDIG_COMP_CNT: 0
; COMPUTE_PGM_RSRC3_GFX90A:ACCUM_OFFSET: 0
; COMPUTE_PGM_RSRC3_GFX90A:TG_SPLIT: 0
	.section	.text._ZN7rocprim17ROCPRIM_400000_NS6detail17trampoline_kernelINS0_14default_configENS1_22reduce_config_selectorIyEEZNS1_11reduce_implILb1ES3_N6thrust23THRUST_200600_302600_NS17counting_iteratorIyNS8_11hip_rocprim3tagENS8_11use_defaultESC_EEPyyNS8_4plusIyEEEE10hipError_tPvRmT1_T2_T3_mT4_P12ihipStream_tbEUlT_E0_NS1_11comp_targetILNS1_3genE10ELNS1_11target_archE1200ELNS1_3gpuE4ELNS1_3repE0EEENS1_30default_config_static_selectorELNS0_4arch9wavefront6targetE1EEEvSK_,"axG",@progbits,_ZN7rocprim17ROCPRIM_400000_NS6detail17trampoline_kernelINS0_14default_configENS1_22reduce_config_selectorIyEEZNS1_11reduce_implILb1ES3_N6thrust23THRUST_200600_302600_NS17counting_iteratorIyNS8_11hip_rocprim3tagENS8_11use_defaultESC_EEPyyNS8_4plusIyEEEE10hipError_tPvRmT1_T2_T3_mT4_P12ihipStream_tbEUlT_E0_NS1_11comp_targetILNS1_3genE10ELNS1_11target_archE1200ELNS1_3gpuE4ELNS1_3repE0EEENS1_30default_config_static_selectorELNS0_4arch9wavefront6targetE1EEEvSK_,comdat
	.protected	_ZN7rocprim17ROCPRIM_400000_NS6detail17trampoline_kernelINS0_14default_configENS1_22reduce_config_selectorIyEEZNS1_11reduce_implILb1ES3_N6thrust23THRUST_200600_302600_NS17counting_iteratorIyNS8_11hip_rocprim3tagENS8_11use_defaultESC_EEPyyNS8_4plusIyEEEE10hipError_tPvRmT1_T2_T3_mT4_P12ihipStream_tbEUlT_E0_NS1_11comp_targetILNS1_3genE10ELNS1_11target_archE1200ELNS1_3gpuE4ELNS1_3repE0EEENS1_30default_config_static_selectorELNS0_4arch9wavefront6targetE1EEEvSK_ ; -- Begin function _ZN7rocprim17ROCPRIM_400000_NS6detail17trampoline_kernelINS0_14default_configENS1_22reduce_config_selectorIyEEZNS1_11reduce_implILb1ES3_N6thrust23THRUST_200600_302600_NS17counting_iteratorIyNS8_11hip_rocprim3tagENS8_11use_defaultESC_EEPyyNS8_4plusIyEEEE10hipError_tPvRmT1_T2_T3_mT4_P12ihipStream_tbEUlT_E0_NS1_11comp_targetILNS1_3genE10ELNS1_11target_archE1200ELNS1_3gpuE4ELNS1_3repE0EEENS1_30default_config_static_selectorELNS0_4arch9wavefront6targetE1EEEvSK_
	.globl	_ZN7rocprim17ROCPRIM_400000_NS6detail17trampoline_kernelINS0_14default_configENS1_22reduce_config_selectorIyEEZNS1_11reduce_implILb1ES3_N6thrust23THRUST_200600_302600_NS17counting_iteratorIyNS8_11hip_rocprim3tagENS8_11use_defaultESC_EEPyyNS8_4plusIyEEEE10hipError_tPvRmT1_T2_T3_mT4_P12ihipStream_tbEUlT_E0_NS1_11comp_targetILNS1_3genE10ELNS1_11target_archE1200ELNS1_3gpuE4ELNS1_3repE0EEENS1_30default_config_static_selectorELNS0_4arch9wavefront6targetE1EEEvSK_
	.p2align	8
	.type	_ZN7rocprim17ROCPRIM_400000_NS6detail17trampoline_kernelINS0_14default_configENS1_22reduce_config_selectorIyEEZNS1_11reduce_implILb1ES3_N6thrust23THRUST_200600_302600_NS17counting_iteratorIyNS8_11hip_rocprim3tagENS8_11use_defaultESC_EEPyyNS8_4plusIyEEEE10hipError_tPvRmT1_T2_T3_mT4_P12ihipStream_tbEUlT_E0_NS1_11comp_targetILNS1_3genE10ELNS1_11target_archE1200ELNS1_3gpuE4ELNS1_3repE0EEENS1_30default_config_static_selectorELNS0_4arch9wavefront6targetE1EEEvSK_,@function
_ZN7rocprim17ROCPRIM_400000_NS6detail17trampoline_kernelINS0_14default_configENS1_22reduce_config_selectorIyEEZNS1_11reduce_implILb1ES3_N6thrust23THRUST_200600_302600_NS17counting_iteratorIyNS8_11hip_rocprim3tagENS8_11use_defaultESC_EEPyyNS8_4plusIyEEEE10hipError_tPvRmT1_T2_T3_mT4_P12ihipStream_tbEUlT_E0_NS1_11comp_targetILNS1_3genE10ELNS1_11target_archE1200ELNS1_3gpuE4ELNS1_3repE0EEENS1_30default_config_static_selectorELNS0_4arch9wavefront6targetE1EEEvSK_: ; @_ZN7rocprim17ROCPRIM_400000_NS6detail17trampoline_kernelINS0_14default_configENS1_22reduce_config_selectorIyEEZNS1_11reduce_implILb1ES3_N6thrust23THRUST_200600_302600_NS17counting_iteratorIyNS8_11hip_rocprim3tagENS8_11use_defaultESC_EEPyyNS8_4plusIyEEEE10hipError_tPvRmT1_T2_T3_mT4_P12ihipStream_tbEUlT_E0_NS1_11comp_targetILNS1_3genE10ELNS1_11target_archE1200ELNS1_3gpuE4ELNS1_3repE0EEENS1_30default_config_static_selectorELNS0_4arch9wavefront6targetE1EEEvSK_
; %bb.0:
	.section	.rodata,"a",@progbits
	.p2align	6, 0x0
	.amdhsa_kernel _ZN7rocprim17ROCPRIM_400000_NS6detail17trampoline_kernelINS0_14default_configENS1_22reduce_config_selectorIyEEZNS1_11reduce_implILb1ES3_N6thrust23THRUST_200600_302600_NS17counting_iteratorIyNS8_11hip_rocprim3tagENS8_11use_defaultESC_EEPyyNS8_4plusIyEEEE10hipError_tPvRmT1_T2_T3_mT4_P12ihipStream_tbEUlT_E0_NS1_11comp_targetILNS1_3genE10ELNS1_11target_archE1200ELNS1_3gpuE4ELNS1_3repE0EEENS1_30default_config_static_selectorELNS0_4arch9wavefront6targetE1EEEvSK_
		.amdhsa_group_segment_fixed_size 0
		.amdhsa_private_segment_fixed_size 0
		.amdhsa_kernarg_size 64
		.amdhsa_user_sgpr_count 2
		.amdhsa_user_sgpr_dispatch_ptr 0
		.amdhsa_user_sgpr_queue_ptr 0
		.amdhsa_user_sgpr_kernarg_segment_ptr 1
		.amdhsa_user_sgpr_dispatch_id 0
		.amdhsa_user_sgpr_kernarg_preload_length 0
		.amdhsa_user_sgpr_kernarg_preload_offset 0
		.amdhsa_user_sgpr_private_segment_size 0
		.amdhsa_uses_dynamic_stack 0
		.amdhsa_enable_private_segment 0
		.amdhsa_system_sgpr_workgroup_id_x 1
		.amdhsa_system_sgpr_workgroup_id_y 0
		.amdhsa_system_sgpr_workgroup_id_z 0
		.amdhsa_system_sgpr_workgroup_info 0
		.amdhsa_system_vgpr_workitem_id 0
		.amdhsa_next_free_vgpr 1
		.amdhsa_next_free_sgpr 0
		.amdhsa_accum_offset 4
		.amdhsa_reserve_vcc 0
		.amdhsa_float_round_mode_32 0
		.amdhsa_float_round_mode_16_64 0
		.amdhsa_float_denorm_mode_32 3
		.amdhsa_float_denorm_mode_16_64 3
		.amdhsa_dx10_clamp 1
		.amdhsa_ieee_mode 1
		.amdhsa_fp16_overflow 0
		.amdhsa_tg_split 0
		.amdhsa_exception_fp_ieee_invalid_op 0
		.amdhsa_exception_fp_denorm_src 0
		.amdhsa_exception_fp_ieee_div_zero 0
		.amdhsa_exception_fp_ieee_overflow 0
		.amdhsa_exception_fp_ieee_underflow 0
		.amdhsa_exception_fp_ieee_inexact 0
		.amdhsa_exception_int_div_zero 0
	.end_amdhsa_kernel
	.section	.text._ZN7rocprim17ROCPRIM_400000_NS6detail17trampoline_kernelINS0_14default_configENS1_22reduce_config_selectorIyEEZNS1_11reduce_implILb1ES3_N6thrust23THRUST_200600_302600_NS17counting_iteratorIyNS8_11hip_rocprim3tagENS8_11use_defaultESC_EEPyyNS8_4plusIyEEEE10hipError_tPvRmT1_T2_T3_mT4_P12ihipStream_tbEUlT_E0_NS1_11comp_targetILNS1_3genE10ELNS1_11target_archE1200ELNS1_3gpuE4ELNS1_3repE0EEENS1_30default_config_static_selectorELNS0_4arch9wavefront6targetE1EEEvSK_,"axG",@progbits,_ZN7rocprim17ROCPRIM_400000_NS6detail17trampoline_kernelINS0_14default_configENS1_22reduce_config_selectorIyEEZNS1_11reduce_implILb1ES3_N6thrust23THRUST_200600_302600_NS17counting_iteratorIyNS8_11hip_rocprim3tagENS8_11use_defaultESC_EEPyyNS8_4plusIyEEEE10hipError_tPvRmT1_T2_T3_mT4_P12ihipStream_tbEUlT_E0_NS1_11comp_targetILNS1_3genE10ELNS1_11target_archE1200ELNS1_3gpuE4ELNS1_3repE0EEENS1_30default_config_static_selectorELNS0_4arch9wavefront6targetE1EEEvSK_,comdat
.Lfunc_end1025:
	.size	_ZN7rocprim17ROCPRIM_400000_NS6detail17trampoline_kernelINS0_14default_configENS1_22reduce_config_selectorIyEEZNS1_11reduce_implILb1ES3_N6thrust23THRUST_200600_302600_NS17counting_iteratorIyNS8_11hip_rocprim3tagENS8_11use_defaultESC_EEPyyNS8_4plusIyEEEE10hipError_tPvRmT1_T2_T3_mT4_P12ihipStream_tbEUlT_E0_NS1_11comp_targetILNS1_3genE10ELNS1_11target_archE1200ELNS1_3gpuE4ELNS1_3repE0EEENS1_30default_config_static_selectorELNS0_4arch9wavefront6targetE1EEEvSK_, .Lfunc_end1025-_ZN7rocprim17ROCPRIM_400000_NS6detail17trampoline_kernelINS0_14default_configENS1_22reduce_config_selectorIyEEZNS1_11reduce_implILb1ES3_N6thrust23THRUST_200600_302600_NS17counting_iteratorIyNS8_11hip_rocprim3tagENS8_11use_defaultESC_EEPyyNS8_4plusIyEEEE10hipError_tPvRmT1_T2_T3_mT4_P12ihipStream_tbEUlT_E0_NS1_11comp_targetILNS1_3genE10ELNS1_11target_archE1200ELNS1_3gpuE4ELNS1_3repE0EEENS1_30default_config_static_selectorELNS0_4arch9wavefront6targetE1EEEvSK_
                                        ; -- End function
	.set _ZN7rocprim17ROCPRIM_400000_NS6detail17trampoline_kernelINS0_14default_configENS1_22reduce_config_selectorIyEEZNS1_11reduce_implILb1ES3_N6thrust23THRUST_200600_302600_NS17counting_iteratorIyNS8_11hip_rocprim3tagENS8_11use_defaultESC_EEPyyNS8_4plusIyEEEE10hipError_tPvRmT1_T2_T3_mT4_P12ihipStream_tbEUlT_E0_NS1_11comp_targetILNS1_3genE10ELNS1_11target_archE1200ELNS1_3gpuE4ELNS1_3repE0EEENS1_30default_config_static_selectorELNS0_4arch9wavefront6targetE1EEEvSK_.num_vgpr, 0
	.set _ZN7rocprim17ROCPRIM_400000_NS6detail17trampoline_kernelINS0_14default_configENS1_22reduce_config_selectorIyEEZNS1_11reduce_implILb1ES3_N6thrust23THRUST_200600_302600_NS17counting_iteratorIyNS8_11hip_rocprim3tagENS8_11use_defaultESC_EEPyyNS8_4plusIyEEEE10hipError_tPvRmT1_T2_T3_mT4_P12ihipStream_tbEUlT_E0_NS1_11comp_targetILNS1_3genE10ELNS1_11target_archE1200ELNS1_3gpuE4ELNS1_3repE0EEENS1_30default_config_static_selectorELNS0_4arch9wavefront6targetE1EEEvSK_.num_agpr, 0
	.set _ZN7rocprim17ROCPRIM_400000_NS6detail17trampoline_kernelINS0_14default_configENS1_22reduce_config_selectorIyEEZNS1_11reduce_implILb1ES3_N6thrust23THRUST_200600_302600_NS17counting_iteratorIyNS8_11hip_rocprim3tagENS8_11use_defaultESC_EEPyyNS8_4plusIyEEEE10hipError_tPvRmT1_T2_T3_mT4_P12ihipStream_tbEUlT_E0_NS1_11comp_targetILNS1_3genE10ELNS1_11target_archE1200ELNS1_3gpuE4ELNS1_3repE0EEENS1_30default_config_static_selectorELNS0_4arch9wavefront6targetE1EEEvSK_.numbered_sgpr, 0
	.set _ZN7rocprim17ROCPRIM_400000_NS6detail17trampoline_kernelINS0_14default_configENS1_22reduce_config_selectorIyEEZNS1_11reduce_implILb1ES3_N6thrust23THRUST_200600_302600_NS17counting_iteratorIyNS8_11hip_rocprim3tagENS8_11use_defaultESC_EEPyyNS8_4plusIyEEEE10hipError_tPvRmT1_T2_T3_mT4_P12ihipStream_tbEUlT_E0_NS1_11comp_targetILNS1_3genE10ELNS1_11target_archE1200ELNS1_3gpuE4ELNS1_3repE0EEENS1_30default_config_static_selectorELNS0_4arch9wavefront6targetE1EEEvSK_.num_named_barrier, 0
	.set _ZN7rocprim17ROCPRIM_400000_NS6detail17trampoline_kernelINS0_14default_configENS1_22reduce_config_selectorIyEEZNS1_11reduce_implILb1ES3_N6thrust23THRUST_200600_302600_NS17counting_iteratorIyNS8_11hip_rocprim3tagENS8_11use_defaultESC_EEPyyNS8_4plusIyEEEE10hipError_tPvRmT1_T2_T3_mT4_P12ihipStream_tbEUlT_E0_NS1_11comp_targetILNS1_3genE10ELNS1_11target_archE1200ELNS1_3gpuE4ELNS1_3repE0EEENS1_30default_config_static_selectorELNS0_4arch9wavefront6targetE1EEEvSK_.private_seg_size, 0
	.set _ZN7rocprim17ROCPRIM_400000_NS6detail17trampoline_kernelINS0_14default_configENS1_22reduce_config_selectorIyEEZNS1_11reduce_implILb1ES3_N6thrust23THRUST_200600_302600_NS17counting_iteratorIyNS8_11hip_rocprim3tagENS8_11use_defaultESC_EEPyyNS8_4plusIyEEEE10hipError_tPvRmT1_T2_T3_mT4_P12ihipStream_tbEUlT_E0_NS1_11comp_targetILNS1_3genE10ELNS1_11target_archE1200ELNS1_3gpuE4ELNS1_3repE0EEENS1_30default_config_static_selectorELNS0_4arch9wavefront6targetE1EEEvSK_.uses_vcc, 0
	.set _ZN7rocprim17ROCPRIM_400000_NS6detail17trampoline_kernelINS0_14default_configENS1_22reduce_config_selectorIyEEZNS1_11reduce_implILb1ES3_N6thrust23THRUST_200600_302600_NS17counting_iteratorIyNS8_11hip_rocprim3tagENS8_11use_defaultESC_EEPyyNS8_4plusIyEEEE10hipError_tPvRmT1_T2_T3_mT4_P12ihipStream_tbEUlT_E0_NS1_11comp_targetILNS1_3genE10ELNS1_11target_archE1200ELNS1_3gpuE4ELNS1_3repE0EEENS1_30default_config_static_selectorELNS0_4arch9wavefront6targetE1EEEvSK_.uses_flat_scratch, 0
	.set _ZN7rocprim17ROCPRIM_400000_NS6detail17trampoline_kernelINS0_14default_configENS1_22reduce_config_selectorIyEEZNS1_11reduce_implILb1ES3_N6thrust23THRUST_200600_302600_NS17counting_iteratorIyNS8_11hip_rocprim3tagENS8_11use_defaultESC_EEPyyNS8_4plusIyEEEE10hipError_tPvRmT1_T2_T3_mT4_P12ihipStream_tbEUlT_E0_NS1_11comp_targetILNS1_3genE10ELNS1_11target_archE1200ELNS1_3gpuE4ELNS1_3repE0EEENS1_30default_config_static_selectorELNS0_4arch9wavefront6targetE1EEEvSK_.has_dyn_sized_stack, 0
	.set _ZN7rocprim17ROCPRIM_400000_NS6detail17trampoline_kernelINS0_14default_configENS1_22reduce_config_selectorIyEEZNS1_11reduce_implILb1ES3_N6thrust23THRUST_200600_302600_NS17counting_iteratorIyNS8_11hip_rocprim3tagENS8_11use_defaultESC_EEPyyNS8_4plusIyEEEE10hipError_tPvRmT1_T2_T3_mT4_P12ihipStream_tbEUlT_E0_NS1_11comp_targetILNS1_3genE10ELNS1_11target_archE1200ELNS1_3gpuE4ELNS1_3repE0EEENS1_30default_config_static_selectorELNS0_4arch9wavefront6targetE1EEEvSK_.has_recursion, 0
	.set _ZN7rocprim17ROCPRIM_400000_NS6detail17trampoline_kernelINS0_14default_configENS1_22reduce_config_selectorIyEEZNS1_11reduce_implILb1ES3_N6thrust23THRUST_200600_302600_NS17counting_iteratorIyNS8_11hip_rocprim3tagENS8_11use_defaultESC_EEPyyNS8_4plusIyEEEE10hipError_tPvRmT1_T2_T3_mT4_P12ihipStream_tbEUlT_E0_NS1_11comp_targetILNS1_3genE10ELNS1_11target_archE1200ELNS1_3gpuE4ELNS1_3repE0EEENS1_30default_config_static_selectorELNS0_4arch9wavefront6targetE1EEEvSK_.has_indirect_call, 0
	.section	.AMDGPU.csdata,"",@progbits
; Kernel info:
; codeLenInByte = 0
; TotalNumSgprs: 6
; NumVgprs: 0
; NumAgprs: 0
; TotalNumVgprs: 0
; ScratchSize: 0
; MemoryBound: 0
; FloatMode: 240
; IeeeMode: 1
; LDSByteSize: 0 bytes/workgroup (compile time only)
; SGPRBlocks: 0
; VGPRBlocks: 0
; NumSGPRsForWavesPerEU: 6
; NumVGPRsForWavesPerEU: 1
; AccumOffset: 4
; Occupancy: 8
; WaveLimiterHint : 0
; COMPUTE_PGM_RSRC2:SCRATCH_EN: 0
; COMPUTE_PGM_RSRC2:USER_SGPR: 2
; COMPUTE_PGM_RSRC2:TRAP_HANDLER: 0
; COMPUTE_PGM_RSRC2:TGID_X_EN: 1
; COMPUTE_PGM_RSRC2:TGID_Y_EN: 0
; COMPUTE_PGM_RSRC2:TGID_Z_EN: 0
; COMPUTE_PGM_RSRC2:TIDIG_COMP_CNT: 0
; COMPUTE_PGM_RSRC3_GFX90A:ACCUM_OFFSET: 0
; COMPUTE_PGM_RSRC3_GFX90A:TG_SPLIT: 0
	.section	.text._ZN7rocprim17ROCPRIM_400000_NS6detail17trampoline_kernelINS0_14default_configENS1_22reduce_config_selectorIyEEZNS1_11reduce_implILb1ES3_N6thrust23THRUST_200600_302600_NS17counting_iteratorIyNS8_11hip_rocprim3tagENS8_11use_defaultESC_EEPyyNS8_4plusIyEEEE10hipError_tPvRmT1_T2_T3_mT4_P12ihipStream_tbEUlT_E0_NS1_11comp_targetILNS1_3genE9ELNS1_11target_archE1100ELNS1_3gpuE3ELNS1_3repE0EEENS1_30default_config_static_selectorELNS0_4arch9wavefront6targetE1EEEvSK_,"axG",@progbits,_ZN7rocprim17ROCPRIM_400000_NS6detail17trampoline_kernelINS0_14default_configENS1_22reduce_config_selectorIyEEZNS1_11reduce_implILb1ES3_N6thrust23THRUST_200600_302600_NS17counting_iteratorIyNS8_11hip_rocprim3tagENS8_11use_defaultESC_EEPyyNS8_4plusIyEEEE10hipError_tPvRmT1_T2_T3_mT4_P12ihipStream_tbEUlT_E0_NS1_11comp_targetILNS1_3genE9ELNS1_11target_archE1100ELNS1_3gpuE3ELNS1_3repE0EEENS1_30default_config_static_selectorELNS0_4arch9wavefront6targetE1EEEvSK_,comdat
	.protected	_ZN7rocprim17ROCPRIM_400000_NS6detail17trampoline_kernelINS0_14default_configENS1_22reduce_config_selectorIyEEZNS1_11reduce_implILb1ES3_N6thrust23THRUST_200600_302600_NS17counting_iteratorIyNS8_11hip_rocprim3tagENS8_11use_defaultESC_EEPyyNS8_4plusIyEEEE10hipError_tPvRmT1_T2_T3_mT4_P12ihipStream_tbEUlT_E0_NS1_11comp_targetILNS1_3genE9ELNS1_11target_archE1100ELNS1_3gpuE3ELNS1_3repE0EEENS1_30default_config_static_selectorELNS0_4arch9wavefront6targetE1EEEvSK_ ; -- Begin function _ZN7rocprim17ROCPRIM_400000_NS6detail17trampoline_kernelINS0_14default_configENS1_22reduce_config_selectorIyEEZNS1_11reduce_implILb1ES3_N6thrust23THRUST_200600_302600_NS17counting_iteratorIyNS8_11hip_rocprim3tagENS8_11use_defaultESC_EEPyyNS8_4plusIyEEEE10hipError_tPvRmT1_T2_T3_mT4_P12ihipStream_tbEUlT_E0_NS1_11comp_targetILNS1_3genE9ELNS1_11target_archE1100ELNS1_3gpuE3ELNS1_3repE0EEENS1_30default_config_static_selectorELNS0_4arch9wavefront6targetE1EEEvSK_
	.globl	_ZN7rocprim17ROCPRIM_400000_NS6detail17trampoline_kernelINS0_14default_configENS1_22reduce_config_selectorIyEEZNS1_11reduce_implILb1ES3_N6thrust23THRUST_200600_302600_NS17counting_iteratorIyNS8_11hip_rocprim3tagENS8_11use_defaultESC_EEPyyNS8_4plusIyEEEE10hipError_tPvRmT1_T2_T3_mT4_P12ihipStream_tbEUlT_E0_NS1_11comp_targetILNS1_3genE9ELNS1_11target_archE1100ELNS1_3gpuE3ELNS1_3repE0EEENS1_30default_config_static_selectorELNS0_4arch9wavefront6targetE1EEEvSK_
	.p2align	8
	.type	_ZN7rocprim17ROCPRIM_400000_NS6detail17trampoline_kernelINS0_14default_configENS1_22reduce_config_selectorIyEEZNS1_11reduce_implILb1ES3_N6thrust23THRUST_200600_302600_NS17counting_iteratorIyNS8_11hip_rocprim3tagENS8_11use_defaultESC_EEPyyNS8_4plusIyEEEE10hipError_tPvRmT1_T2_T3_mT4_P12ihipStream_tbEUlT_E0_NS1_11comp_targetILNS1_3genE9ELNS1_11target_archE1100ELNS1_3gpuE3ELNS1_3repE0EEENS1_30default_config_static_selectorELNS0_4arch9wavefront6targetE1EEEvSK_,@function
_ZN7rocprim17ROCPRIM_400000_NS6detail17trampoline_kernelINS0_14default_configENS1_22reduce_config_selectorIyEEZNS1_11reduce_implILb1ES3_N6thrust23THRUST_200600_302600_NS17counting_iteratorIyNS8_11hip_rocprim3tagENS8_11use_defaultESC_EEPyyNS8_4plusIyEEEE10hipError_tPvRmT1_T2_T3_mT4_P12ihipStream_tbEUlT_E0_NS1_11comp_targetILNS1_3genE9ELNS1_11target_archE1100ELNS1_3gpuE3ELNS1_3repE0EEENS1_30default_config_static_selectorELNS0_4arch9wavefront6targetE1EEEvSK_: ; @_ZN7rocprim17ROCPRIM_400000_NS6detail17trampoline_kernelINS0_14default_configENS1_22reduce_config_selectorIyEEZNS1_11reduce_implILb1ES3_N6thrust23THRUST_200600_302600_NS17counting_iteratorIyNS8_11hip_rocprim3tagENS8_11use_defaultESC_EEPyyNS8_4plusIyEEEE10hipError_tPvRmT1_T2_T3_mT4_P12ihipStream_tbEUlT_E0_NS1_11comp_targetILNS1_3genE9ELNS1_11target_archE1100ELNS1_3gpuE3ELNS1_3repE0EEENS1_30default_config_static_selectorELNS0_4arch9wavefront6targetE1EEEvSK_
; %bb.0:
	.section	.rodata,"a",@progbits
	.p2align	6, 0x0
	.amdhsa_kernel _ZN7rocprim17ROCPRIM_400000_NS6detail17trampoline_kernelINS0_14default_configENS1_22reduce_config_selectorIyEEZNS1_11reduce_implILb1ES3_N6thrust23THRUST_200600_302600_NS17counting_iteratorIyNS8_11hip_rocprim3tagENS8_11use_defaultESC_EEPyyNS8_4plusIyEEEE10hipError_tPvRmT1_T2_T3_mT4_P12ihipStream_tbEUlT_E0_NS1_11comp_targetILNS1_3genE9ELNS1_11target_archE1100ELNS1_3gpuE3ELNS1_3repE0EEENS1_30default_config_static_selectorELNS0_4arch9wavefront6targetE1EEEvSK_
		.amdhsa_group_segment_fixed_size 0
		.amdhsa_private_segment_fixed_size 0
		.amdhsa_kernarg_size 64
		.amdhsa_user_sgpr_count 2
		.amdhsa_user_sgpr_dispatch_ptr 0
		.amdhsa_user_sgpr_queue_ptr 0
		.amdhsa_user_sgpr_kernarg_segment_ptr 1
		.amdhsa_user_sgpr_dispatch_id 0
		.amdhsa_user_sgpr_kernarg_preload_length 0
		.amdhsa_user_sgpr_kernarg_preload_offset 0
		.amdhsa_user_sgpr_private_segment_size 0
		.amdhsa_uses_dynamic_stack 0
		.amdhsa_enable_private_segment 0
		.amdhsa_system_sgpr_workgroup_id_x 1
		.amdhsa_system_sgpr_workgroup_id_y 0
		.amdhsa_system_sgpr_workgroup_id_z 0
		.amdhsa_system_sgpr_workgroup_info 0
		.amdhsa_system_vgpr_workitem_id 0
		.amdhsa_next_free_vgpr 1
		.amdhsa_next_free_sgpr 0
		.amdhsa_accum_offset 4
		.amdhsa_reserve_vcc 0
		.amdhsa_float_round_mode_32 0
		.amdhsa_float_round_mode_16_64 0
		.amdhsa_float_denorm_mode_32 3
		.amdhsa_float_denorm_mode_16_64 3
		.amdhsa_dx10_clamp 1
		.amdhsa_ieee_mode 1
		.amdhsa_fp16_overflow 0
		.amdhsa_tg_split 0
		.amdhsa_exception_fp_ieee_invalid_op 0
		.amdhsa_exception_fp_denorm_src 0
		.amdhsa_exception_fp_ieee_div_zero 0
		.amdhsa_exception_fp_ieee_overflow 0
		.amdhsa_exception_fp_ieee_underflow 0
		.amdhsa_exception_fp_ieee_inexact 0
		.amdhsa_exception_int_div_zero 0
	.end_amdhsa_kernel
	.section	.text._ZN7rocprim17ROCPRIM_400000_NS6detail17trampoline_kernelINS0_14default_configENS1_22reduce_config_selectorIyEEZNS1_11reduce_implILb1ES3_N6thrust23THRUST_200600_302600_NS17counting_iteratorIyNS8_11hip_rocprim3tagENS8_11use_defaultESC_EEPyyNS8_4plusIyEEEE10hipError_tPvRmT1_T2_T3_mT4_P12ihipStream_tbEUlT_E0_NS1_11comp_targetILNS1_3genE9ELNS1_11target_archE1100ELNS1_3gpuE3ELNS1_3repE0EEENS1_30default_config_static_selectorELNS0_4arch9wavefront6targetE1EEEvSK_,"axG",@progbits,_ZN7rocprim17ROCPRIM_400000_NS6detail17trampoline_kernelINS0_14default_configENS1_22reduce_config_selectorIyEEZNS1_11reduce_implILb1ES3_N6thrust23THRUST_200600_302600_NS17counting_iteratorIyNS8_11hip_rocprim3tagENS8_11use_defaultESC_EEPyyNS8_4plusIyEEEE10hipError_tPvRmT1_T2_T3_mT4_P12ihipStream_tbEUlT_E0_NS1_11comp_targetILNS1_3genE9ELNS1_11target_archE1100ELNS1_3gpuE3ELNS1_3repE0EEENS1_30default_config_static_selectorELNS0_4arch9wavefront6targetE1EEEvSK_,comdat
.Lfunc_end1026:
	.size	_ZN7rocprim17ROCPRIM_400000_NS6detail17trampoline_kernelINS0_14default_configENS1_22reduce_config_selectorIyEEZNS1_11reduce_implILb1ES3_N6thrust23THRUST_200600_302600_NS17counting_iteratorIyNS8_11hip_rocprim3tagENS8_11use_defaultESC_EEPyyNS8_4plusIyEEEE10hipError_tPvRmT1_T2_T3_mT4_P12ihipStream_tbEUlT_E0_NS1_11comp_targetILNS1_3genE9ELNS1_11target_archE1100ELNS1_3gpuE3ELNS1_3repE0EEENS1_30default_config_static_selectorELNS0_4arch9wavefront6targetE1EEEvSK_, .Lfunc_end1026-_ZN7rocprim17ROCPRIM_400000_NS6detail17trampoline_kernelINS0_14default_configENS1_22reduce_config_selectorIyEEZNS1_11reduce_implILb1ES3_N6thrust23THRUST_200600_302600_NS17counting_iteratorIyNS8_11hip_rocprim3tagENS8_11use_defaultESC_EEPyyNS8_4plusIyEEEE10hipError_tPvRmT1_T2_T3_mT4_P12ihipStream_tbEUlT_E0_NS1_11comp_targetILNS1_3genE9ELNS1_11target_archE1100ELNS1_3gpuE3ELNS1_3repE0EEENS1_30default_config_static_selectorELNS0_4arch9wavefront6targetE1EEEvSK_
                                        ; -- End function
	.set _ZN7rocprim17ROCPRIM_400000_NS6detail17trampoline_kernelINS0_14default_configENS1_22reduce_config_selectorIyEEZNS1_11reduce_implILb1ES3_N6thrust23THRUST_200600_302600_NS17counting_iteratorIyNS8_11hip_rocprim3tagENS8_11use_defaultESC_EEPyyNS8_4plusIyEEEE10hipError_tPvRmT1_T2_T3_mT4_P12ihipStream_tbEUlT_E0_NS1_11comp_targetILNS1_3genE9ELNS1_11target_archE1100ELNS1_3gpuE3ELNS1_3repE0EEENS1_30default_config_static_selectorELNS0_4arch9wavefront6targetE1EEEvSK_.num_vgpr, 0
	.set _ZN7rocprim17ROCPRIM_400000_NS6detail17trampoline_kernelINS0_14default_configENS1_22reduce_config_selectorIyEEZNS1_11reduce_implILb1ES3_N6thrust23THRUST_200600_302600_NS17counting_iteratorIyNS8_11hip_rocprim3tagENS8_11use_defaultESC_EEPyyNS8_4plusIyEEEE10hipError_tPvRmT1_T2_T3_mT4_P12ihipStream_tbEUlT_E0_NS1_11comp_targetILNS1_3genE9ELNS1_11target_archE1100ELNS1_3gpuE3ELNS1_3repE0EEENS1_30default_config_static_selectorELNS0_4arch9wavefront6targetE1EEEvSK_.num_agpr, 0
	.set _ZN7rocprim17ROCPRIM_400000_NS6detail17trampoline_kernelINS0_14default_configENS1_22reduce_config_selectorIyEEZNS1_11reduce_implILb1ES3_N6thrust23THRUST_200600_302600_NS17counting_iteratorIyNS8_11hip_rocprim3tagENS8_11use_defaultESC_EEPyyNS8_4plusIyEEEE10hipError_tPvRmT1_T2_T3_mT4_P12ihipStream_tbEUlT_E0_NS1_11comp_targetILNS1_3genE9ELNS1_11target_archE1100ELNS1_3gpuE3ELNS1_3repE0EEENS1_30default_config_static_selectorELNS0_4arch9wavefront6targetE1EEEvSK_.numbered_sgpr, 0
	.set _ZN7rocprim17ROCPRIM_400000_NS6detail17trampoline_kernelINS0_14default_configENS1_22reduce_config_selectorIyEEZNS1_11reduce_implILb1ES3_N6thrust23THRUST_200600_302600_NS17counting_iteratorIyNS8_11hip_rocprim3tagENS8_11use_defaultESC_EEPyyNS8_4plusIyEEEE10hipError_tPvRmT1_T2_T3_mT4_P12ihipStream_tbEUlT_E0_NS1_11comp_targetILNS1_3genE9ELNS1_11target_archE1100ELNS1_3gpuE3ELNS1_3repE0EEENS1_30default_config_static_selectorELNS0_4arch9wavefront6targetE1EEEvSK_.num_named_barrier, 0
	.set _ZN7rocprim17ROCPRIM_400000_NS6detail17trampoline_kernelINS0_14default_configENS1_22reduce_config_selectorIyEEZNS1_11reduce_implILb1ES3_N6thrust23THRUST_200600_302600_NS17counting_iteratorIyNS8_11hip_rocprim3tagENS8_11use_defaultESC_EEPyyNS8_4plusIyEEEE10hipError_tPvRmT1_T2_T3_mT4_P12ihipStream_tbEUlT_E0_NS1_11comp_targetILNS1_3genE9ELNS1_11target_archE1100ELNS1_3gpuE3ELNS1_3repE0EEENS1_30default_config_static_selectorELNS0_4arch9wavefront6targetE1EEEvSK_.private_seg_size, 0
	.set _ZN7rocprim17ROCPRIM_400000_NS6detail17trampoline_kernelINS0_14default_configENS1_22reduce_config_selectorIyEEZNS1_11reduce_implILb1ES3_N6thrust23THRUST_200600_302600_NS17counting_iteratorIyNS8_11hip_rocprim3tagENS8_11use_defaultESC_EEPyyNS8_4plusIyEEEE10hipError_tPvRmT1_T2_T3_mT4_P12ihipStream_tbEUlT_E0_NS1_11comp_targetILNS1_3genE9ELNS1_11target_archE1100ELNS1_3gpuE3ELNS1_3repE0EEENS1_30default_config_static_selectorELNS0_4arch9wavefront6targetE1EEEvSK_.uses_vcc, 0
	.set _ZN7rocprim17ROCPRIM_400000_NS6detail17trampoline_kernelINS0_14default_configENS1_22reduce_config_selectorIyEEZNS1_11reduce_implILb1ES3_N6thrust23THRUST_200600_302600_NS17counting_iteratorIyNS8_11hip_rocprim3tagENS8_11use_defaultESC_EEPyyNS8_4plusIyEEEE10hipError_tPvRmT1_T2_T3_mT4_P12ihipStream_tbEUlT_E0_NS1_11comp_targetILNS1_3genE9ELNS1_11target_archE1100ELNS1_3gpuE3ELNS1_3repE0EEENS1_30default_config_static_selectorELNS0_4arch9wavefront6targetE1EEEvSK_.uses_flat_scratch, 0
	.set _ZN7rocprim17ROCPRIM_400000_NS6detail17trampoline_kernelINS0_14default_configENS1_22reduce_config_selectorIyEEZNS1_11reduce_implILb1ES3_N6thrust23THRUST_200600_302600_NS17counting_iteratorIyNS8_11hip_rocprim3tagENS8_11use_defaultESC_EEPyyNS8_4plusIyEEEE10hipError_tPvRmT1_T2_T3_mT4_P12ihipStream_tbEUlT_E0_NS1_11comp_targetILNS1_3genE9ELNS1_11target_archE1100ELNS1_3gpuE3ELNS1_3repE0EEENS1_30default_config_static_selectorELNS0_4arch9wavefront6targetE1EEEvSK_.has_dyn_sized_stack, 0
	.set _ZN7rocprim17ROCPRIM_400000_NS6detail17trampoline_kernelINS0_14default_configENS1_22reduce_config_selectorIyEEZNS1_11reduce_implILb1ES3_N6thrust23THRUST_200600_302600_NS17counting_iteratorIyNS8_11hip_rocprim3tagENS8_11use_defaultESC_EEPyyNS8_4plusIyEEEE10hipError_tPvRmT1_T2_T3_mT4_P12ihipStream_tbEUlT_E0_NS1_11comp_targetILNS1_3genE9ELNS1_11target_archE1100ELNS1_3gpuE3ELNS1_3repE0EEENS1_30default_config_static_selectorELNS0_4arch9wavefront6targetE1EEEvSK_.has_recursion, 0
	.set _ZN7rocprim17ROCPRIM_400000_NS6detail17trampoline_kernelINS0_14default_configENS1_22reduce_config_selectorIyEEZNS1_11reduce_implILb1ES3_N6thrust23THRUST_200600_302600_NS17counting_iteratorIyNS8_11hip_rocprim3tagENS8_11use_defaultESC_EEPyyNS8_4plusIyEEEE10hipError_tPvRmT1_T2_T3_mT4_P12ihipStream_tbEUlT_E0_NS1_11comp_targetILNS1_3genE9ELNS1_11target_archE1100ELNS1_3gpuE3ELNS1_3repE0EEENS1_30default_config_static_selectorELNS0_4arch9wavefront6targetE1EEEvSK_.has_indirect_call, 0
	.section	.AMDGPU.csdata,"",@progbits
; Kernel info:
; codeLenInByte = 0
; TotalNumSgprs: 6
; NumVgprs: 0
; NumAgprs: 0
; TotalNumVgprs: 0
; ScratchSize: 0
; MemoryBound: 0
; FloatMode: 240
; IeeeMode: 1
; LDSByteSize: 0 bytes/workgroup (compile time only)
; SGPRBlocks: 0
; VGPRBlocks: 0
; NumSGPRsForWavesPerEU: 6
; NumVGPRsForWavesPerEU: 1
; AccumOffset: 4
; Occupancy: 8
; WaveLimiterHint : 0
; COMPUTE_PGM_RSRC2:SCRATCH_EN: 0
; COMPUTE_PGM_RSRC2:USER_SGPR: 2
; COMPUTE_PGM_RSRC2:TRAP_HANDLER: 0
; COMPUTE_PGM_RSRC2:TGID_X_EN: 1
; COMPUTE_PGM_RSRC2:TGID_Y_EN: 0
; COMPUTE_PGM_RSRC2:TGID_Z_EN: 0
; COMPUTE_PGM_RSRC2:TIDIG_COMP_CNT: 0
; COMPUTE_PGM_RSRC3_GFX90A:ACCUM_OFFSET: 0
; COMPUTE_PGM_RSRC3_GFX90A:TG_SPLIT: 0
	.section	.text._ZN7rocprim17ROCPRIM_400000_NS6detail17trampoline_kernelINS0_14default_configENS1_22reduce_config_selectorIyEEZNS1_11reduce_implILb1ES3_N6thrust23THRUST_200600_302600_NS17counting_iteratorIyNS8_11hip_rocprim3tagENS8_11use_defaultESC_EEPyyNS8_4plusIyEEEE10hipError_tPvRmT1_T2_T3_mT4_P12ihipStream_tbEUlT_E0_NS1_11comp_targetILNS1_3genE8ELNS1_11target_archE1030ELNS1_3gpuE2ELNS1_3repE0EEENS1_30default_config_static_selectorELNS0_4arch9wavefront6targetE1EEEvSK_,"axG",@progbits,_ZN7rocprim17ROCPRIM_400000_NS6detail17trampoline_kernelINS0_14default_configENS1_22reduce_config_selectorIyEEZNS1_11reduce_implILb1ES3_N6thrust23THRUST_200600_302600_NS17counting_iteratorIyNS8_11hip_rocprim3tagENS8_11use_defaultESC_EEPyyNS8_4plusIyEEEE10hipError_tPvRmT1_T2_T3_mT4_P12ihipStream_tbEUlT_E0_NS1_11comp_targetILNS1_3genE8ELNS1_11target_archE1030ELNS1_3gpuE2ELNS1_3repE0EEENS1_30default_config_static_selectorELNS0_4arch9wavefront6targetE1EEEvSK_,comdat
	.protected	_ZN7rocprim17ROCPRIM_400000_NS6detail17trampoline_kernelINS0_14default_configENS1_22reduce_config_selectorIyEEZNS1_11reduce_implILb1ES3_N6thrust23THRUST_200600_302600_NS17counting_iteratorIyNS8_11hip_rocprim3tagENS8_11use_defaultESC_EEPyyNS8_4plusIyEEEE10hipError_tPvRmT1_T2_T3_mT4_P12ihipStream_tbEUlT_E0_NS1_11comp_targetILNS1_3genE8ELNS1_11target_archE1030ELNS1_3gpuE2ELNS1_3repE0EEENS1_30default_config_static_selectorELNS0_4arch9wavefront6targetE1EEEvSK_ ; -- Begin function _ZN7rocprim17ROCPRIM_400000_NS6detail17trampoline_kernelINS0_14default_configENS1_22reduce_config_selectorIyEEZNS1_11reduce_implILb1ES3_N6thrust23THRUST_200600_302600_NS17counting_iteratorIyNS8_11hip_rocprim3tagENS8_11use_defaultESC_EEPyyNS8_4plusIyEEEE10hipError_tPvRmT1_T2_T3_mT4_P12ihipStream_tbEUlT_E0_NS1_11comp_targetILNS1_3genE8ELNS1_11target_archE1030ELNS1_3gpuE2ELNS1_3repE0EEENS1_30default_config_static_selectorELNS0_4arch9wavefront6targetE1EEEvSK_
	.globl	_ZN7rocprim17ROCPRIM_400000_NS6detail17trampoline_kernelINS0_14default_configENS1_22reduce_config_selectorIyEEZNS1_11reduce_implILb1ES3_N6thrust23THRUST_200600_302600_NS17counting_iteratorIyNS8_11hip_rocprim3tagENS8_11use_defaultESC_EEPyyNS8_4plusIyEEEE10hipError_tPvRmT1_T2_T3_mT4_P12ihipStream_tbEUlT_E0_NS1_11comp_targetILNS1_3genE8ELNS1_11target_archE1030ELNS1_3gpuE2ELNS1_3repE0EEENS1_30default_config_static_selectorELNS0_4arch9wavefront6targetE1EEEvSK_
	.p2align	8
	.type	_ZN7rocprim17ROCPRIM_400000_NS6detail17trampoline_kernelINS0_14default_configENS1_22reduce_config_selectorIyEEZNS1_11reduce_implILb1ES3_N6thrust23THRUST_200600_302600_NS17counting_iteratorIyNS8_11hip_rocprim3tagENS8_11use_defaultESC_EEPyyNS8_4plusIyEEEE10hipError_tPvRmT1_T2_T3_mT4_P12ihipStream_tbEUlT_E0_NS1_11comp_targetILNS1_3genE8ELNS1_11target_archE1030ELNS1_3gpuE2ELNS1_3repE0EEENS1_30default_config_static_selectorELNS0_4arch9wavefront6targetE1EEEvSK_,@function
_ZN7rocprim17ROCPRIM_400000_NS6detail17trampoline_kernelINS0_14default_configENS1_22reduce_config_selectorIyEEZNS1_11reduce_implILb1ES3_N6thrust23THRUST_200600_302600_NS17counting_iteratorIyNS8_11hip_rocprim3tagENS8_11use_defaultESC_EEPyyNS8_4plusIyEEEE10hipError_tPvRmT1_T2_T3_mT4_P12ihipStream_tbEUlT_E0_NS1_11comp_targetILNS1_3genE8ELNS1_11target_archE1030ELNS1_3gpuE2ELNS1_3repE0EEENS1_30default_config_static_selectorELNS0_4arch9wavefront6targetE1EEEvSK_: ; @_ZN7rocprim17ROCPRIM_400000_NS6detail17trampoline_kernelINS0_14default_configENS1_22reduce_config_selectorIyEEZNS1_11reduce_implILb1ES3_N6thrust23THRUST_200600_302600_NS17counting_iteratorIyNS8_11hip_rocprim3tagENS8_11use_defaultESC_EEPyyNS8_4plusIyEEEE10hipError_tPvRmT1_T2_T3_mT4_P12ihipStream_tbEUlT_E0_NS1_11comp_targetILNS1_3genE8ELNS1_11target_archE1030ELNS1_3gpuE2ELNS1_3repE0EEENS1_30default_config_static_selectorELNS0_4arch9wavefront6targetE1EEEvSK_
; %bb.0:
	.section	.rodata,"a",@progbits
	.p2align	6, 0x0
	.amdhsa_kernel _ZN7rocprim17ROCPRIM_400000_NS6detail17trampoline_kernelINS0_14default_configENS1_22reduce_config_selectorIyEEZNS1_11reduce_implILb1ES3_N6thrust23THRUST_200600_302600_NS17counting_iteratorIyNS8_11hip_rocprim3tagENS8_11use_defaultESC_EEPyyNS8_4plusIyEEEE10hipError_tPvRmT1_T2_T3_mT4_P12ihipStream_tbEUlT_E0_NS1_11comp_targetILNS1_3genE8ELNS1_11target_archE1030ELNS1_3gpuE2ELNS1_3repE0EEENS1_30default_config_static_selectorELNS0_4arch9wavefront6targetE1EEEvSK_
		.amdhsa_group_segment_fixed_size 0
		.amdhsa_private_segment_fixed_size 0
		.amdhsa_kernarg_size 64
		.amdhsa_user_sgpr_count 2
		.amdhsa_user_sgpr_dispatch_ptr 0
		.amdhsa_user_sgpr_queue_ptr 0
		.amdhsa_user_sgpr_kernarg_segment_ptr 1
		.amdhsa_user_sgpr_dispatch_id 0
		.amdhsa_user_sgpr_kernarg_preload_length 0
		.amdhsa_user_sgpr_kernarg_preload_offset 0
		.amdhsa_user_sgpr_private_segment_size 0
		.amdhsa_uses_dynamic_stack 0
		.amdhsa_enable_private_segment 0
		.amdhsa_system_sgpr_workgroup_id_x 1
		.amdhsa_system_sgpr_workgroup_id_y 0
		.amdhsa_system_sgpr_workgroup_id_z 0
		.amdhsa_system_sgpr_workgroup_info 0
		.amdhsa_system_vgpr_workitem_id 0
		.amdhsa_next_free_vgpr 1
		.amdhsa_next_free_sgpr 0
		.amdhsa_accum_offset 4
		.amdhsa_reserve_vcc 0
		.amdhsa_float_round_mode_32 0
		.amdhsa_float_round_mode_16_64 0
		.amdhsa_float_denorm_mode_32 3
		.amdhsa_float_denorm_mode_16_64 3
		.amdhsa_dx10_clamp 1
		.amdhsa_ieee_mode 1
		.amdhsa_fp16_overflow 0
		.amdhsa_tg_split 0
		.amdhsa_exception_fp_ieee_invalid_op 0
		.amdhsa_exception_fp_denorm_src 0
		.amdhsa_exception_fp_ieee_div_zero 0
		.amdhsa_exception_fp_ieee_overflow 0
		.amdhsa_exception_fp_ieee_underflow 0
		.amdhsa_exception_fp_ieee_inexact 0
		.amdhsa_exception_int_div_zero 0
	.end_amdhsa_kernel
	.section	.text._ZN7rocprim17ROCPRIM_400000_NS6detail17trampoline_kernelINS0_14default_configENS1_22reduce_config_selectorIyEEZNS1_11reduce_implILb1ES3_N6thrust23THRUST_200600_302600_NS17counting_iteratorIyNS8_11hip_rocprim3tagENS8_11use_defaultESC_EEPyyNS8_4plusIyEEEE10hipError_tPvRmT1_T2_T3_mT4_P12ihipStream_tbEUlT_E0_NS1_11comp_targetILNS1_3genE8ELNS1_11target_archE1030ELNS1_3gpuE2ELNS1_3repE0EEENS1_30default_config_static_selectorELNS0_4arch9wavefront6targetE1EEEvSK_,"axG",@progbits,_ZN7rocprim17ROCPRIM_400000_NS6detail17trampoline_kernelINS0_14default_configENS1_22reduce_config_selectorIyEEZNS1_11reduce_implILb1ES3_N6thrust23THRUST_200600_302600_NS17counting_iteratorIyNS8_11hip_rocprim3tagENS8_11use_defaultESC_EEPyyNS8_4plusIyEEEE10hipError_tPvRmT1_T2_T3_mT4_P12ihipStream_tbEUlT_E0_NS1_11comp_targetILNS1_3genE8ELNS1_11target_archE1030ELNS1_3gpuE2ELNS1_3repE0EEENS1_30default_config_static_selectorELNS0_4arch9wavefront6targetE1EEEvSK_,comdat
.Lfunc_end1027:
	.size	_ZN7rocprim17ROCPRIM_400000_NS6detail17trampoline_kernelINS0_14default_configENS1_22reduce_config_selectorIyEEZNS1_11reduce_implILb1ES3_N6thrust23THRUST_200600_302600_NS17counting_iteratorIyNS8_11hip_rocprim3tagENS8_11use_defaultESC_EEPyyNS8_4plusIyEEEE10hipError_tPvRmT1_T2_T3_mT4_P12ihipStream_tbEUlT_E0_NS1_11comp_targetILNS1_3genE8ELNS1_11target_archE1030ELNS1_3gpuE2ELNS1_3repE0EEENS1_30default_config_static_selectorELNS0_4arch9wavefront6targetE1EEEvSK_, .Lfunc_end1027-_ZN7rocprim17ROCPRIM_400000_NS6detail17trampoline_kernelINS0_14default_configENS1_22reduce_config_selectorIyEEZNS1_11reduce_implILb1ES3_N6thrust23THRUST_200600_302600_NS17counting_iteratorIyNS8_11hip_rocprim3tagENS8_11use_defaultESC_EEPyyNS8_4plusIyEEEE10hipError_tPvRmT1_T2_T3_mT4_P12ihipStream_tbEUlT_E0_NS1_11comp_targetILNS1_3genE8ELNS1_11target_archE1030ELNS1_3gpuE2ELNS1_3repE0EEENS1_30default_config_static_selectorELNS0_4arch9wavefront6targetE1EEEvSK_
                                        ; -- End function
	.set _ZN7rocprim17ROCPRIM_400000_NS6detail17trampoline_kernelINS0_14default_configENS1_22reduce_config_selectorIyEEZNS1_11reduce_implILb1ES3_N6thrust23THRUST_200600_302600_NS17counting_iteratorIyNS8_11hip_rocprim3tagENS8_11use_defaultESC_EEPyyNS8_4plusIyEEEE10hipError_tPvRmT1_T2_T3_mT4_P12ihipStream_tbEUlT_E0_NS1_11comp_targetILNS1_3genE8ELNS1_11target_archE1030ELNS1_3gpuE2ELNS1_3repE0EEENS1_30default_config_static_selectorELNS0_4arch9wavefront6targetE1EEEvSK_.num_vgpr, 0
	.set _ZN7rocprim17ROCPRIM_400000_NS6detail17trampoline_kernelINS0_14default_configENS1_22reduce_config_selectorIyEEZNS1_11reduce_implILb1ES3_N6thrust23THRUST_200600_302600_NS17counting_iteratorIyNS8_11hip_rocprim3tagENS8_11use_defaultESC_EEPyyNS8_4plusIyEEEE10hipError_tPvRmT1_T2_T3_mT4_P12ihipStream_tbEUlT_E0_NS1_11comp_targetILNS1_3genE8ELNS1_11target_archE1030ELNS1_3gpuE2ELNS1_3repE0EEENS1_30default_config_static_selectorELNS0_4arch9wavefront6targetE1EEEvSK_.num_agpr, 0
	.set _ZN7rocprim17ROCPRIM_400000_NS6detail17trampoline_kernelINS0_14default_configENS1_22reduce_config_selectorIyEEZNS1_11reduce_implILb1ES3_N6thrust23THRUST_200600_302600_NS17counting_iteratorIyNS8_11hip_rocprim3tagENS8_11use_defaultESC_EEPyyNS8_4plusIyEEEE10hipError_tPvRmT1_T2_T3_mT4_P12ihipStream_tbEUlT_E0_NS1_11comp_targetILNS1_3genE8ELNS1_11target_archE1030ELNS1_3gpuE2ELNS1_3repE0EEENS1_30default_config_static_selectorELNS0_4arch9wavefront6targetE1EEEvSK_.numbered_sgpr, 0
	.set _ZN7rocprim17ROCPRIM_400000_NS6detail17trampoline_kernelINS0_14default_configENS1_22reduce_config_selectorIyEEZNS1_11reduce_implILb1ES3_N6thrust23THRUST_200600_302600_NS17counting_iteratorIyNS8_11hip_rocprim3tagENS8_11use_defaultESC_EEPyyNS8_4plusIyEEEE10hipError_tPvRmT1_T2_T3_mT4_P12ihipStream_tbEUlT_E0_NS1_11comp_targetILNS1_3genE8ELNS1_11target_archE1030ELNS1_3gpuE2ELNS1_3repE0EEENS1_30default_config_static_selectorELNS0_4arch9wavefront6targetE1EEEvSK_.num_named_barrier, 0
	.set _ZN7rocprim17ROCPRIM_400000_NS6detail17trampoline_kernelINS0_14default_configENS1_22reduce_config_selectorIyEEZNS1_11reduce_implILb1ES3_N6thrust23THRUST_200600_302600_NS17counting_iteratorIyNS8_11hip_rocprim3tagENS8_11use_defaultESC_EEPyyNS8_4plusIyEEEE10hipError_tPvRmT1_T2_T3_mT4_P12ihipStream_tbEUlT_E0_NS1_11comp_targetILNS1_3genE8ELNS1_11target_archE1030ELNS1_3gpuE2ELNS1_3repE0EEENS1_30default_config_static_selectorELNS0_4arch9wavefront6targetE1EEEvSK_.private_seg_size, 0
	.set _ZN7rocprim17ROCPRIM_400000_NS6detail17trampoline_kernelINS0_14default_configENS1_22reduce_config_selectorIyEEZNS1_11reduce_implILb1ES3_N6thrust23THRUST_200600_302600_NS17counting_iteratorIyNS8_11hip_rocprim3tagENS8_11use_defaultESC_EEPyyNS8_4plusIyEEEE10hipError_tPvRmT1_T2_T3_mT4_P12ihipStream_tbEUlT_E0_NS1_11comp_targetILNS1_3genE8ELNS1_11target_archE1030ELNS1_3gpuE2ELNS1_3repE0EEENS1_30default_config_static_selectorELNS0_4arch9wavefront6targetE1EEEvSK_.uses_vcc, 0
	.set _ZN7rocprim17ROCPRIM_400000_NS6detail17trampoline_kernelINS0_14default_configENS1_22reduce_config_selectorIyEEZNS1_11reduce_implILb1ES3_N6thrust23THRUST_200600_302600_NS17counting_iteratorIyNS8_11hip_rocprim3tagENS8_11use_defaultESC_EEPyyNS8_4plusIyEEEE10hipError_tPvRmT1_T2_T3_mT4_P12ihipStream_tbEUlT_E0_NS1_11comp_targetILNS1_3genE8ELNS1_11target_archE1030ELNS1_3gpuE2ELNS1_3repE0EEENS1_30default_config_static_selectorELNS0_4arch9wavefront6targetE1EEEvSK_.uses_flat_scratch, 0
	.set _ZN7rocprim17ROCPRIM_400000_NS6detail17trampoline_kernelINS0_14default_configENS1_22reduce_config_selectorIyEEZNS1_11reduce_implILb1ES3_N6thrust23THRUST_200600_302600_NS17counting_iteratorIyNS8_11hip_rocprim3tagENS8_11use_defaultESC_EEPyyNS8_4plusIyEEEE10hipError_tPvRmT1_T2_T3_mT4_P12ihipStream_tbEUlT_E0_NS1_11comp_targetILNS1_3genE8ELNS1_11target_archE1030ELNS1_3gpuE2ELNS1_3repE0EEENS1_30default_config_static_selectorELNS0_4arch9wavefront6targetE1EEEvSK_.has_dyn_sized_stack, 0
	.set _ZN7rocprim17ROCPRIM_400000_NS6detail17trampoline_kernelINS0_14default_configENS1_22reduce_config_selectorIyEEZNS1_11reduce_implILb1ES3_N6thrust23THRUST_200600_302600_NS17counting_iteratorIyNS8_11hip_rocprim3tagENS8_11use_defaultESC_EEPyyNS8_4plusIyEEEE10hipError_tPvRmT1_T2_T3_mT4_P12ihipStream_tbEUlT_E0_NS1_11comp_targetILNS1_3genE8ELNS1_11target_archE1030ELNS1_3gpuE2ELNS1_3repE0EEENS1_30default_config_static_selectorELNS0_4arch9wavefront6targetE1EEEvSK_.has_recursion, 0
	.set _ZN7rocprim17ROCPRIM_400000_NS6detail17trampoline_kernelINS0_14default_configENS1_22reduce_config_selectorIyEEZNS1_11reduce_implILb1ES3_N6thrust23THRUST_200600_302600_NS17counting_iteratorIyNS8_11hip_rocprim3tagENS8_11use_defaultESC_EEPyyNS8_4plusIyEEEE10hipError_tPvRmT1_T2_T3_mT4_P12ihipStream_tbEUlT_E0_NS1_11comp_targetILNS1_3genE8ELNS1_11target_archE1030ELNS1_3gpuE2ELNS1_3repE0EEENS1_30default_config_static_selectorELNS0_4arch9wavefront6targetE1EEEvSK_.has_indirect_call, 0
	.section	.AMDGPU.csdata,"",@progbits
; Kernel info:
; codeLenInByte = 0
; TotalNumSgprs: 6
; NumVgprs: 0
; NumAgprs: 0
; TotalNumVgprs: 0
; ScratchSize: 0
; MemoryBound: 0
; FloatMode: 240
; IeeeMode: 1
; LDSByteSize: 0 bytes/workgroup (compile time only)
; SGPRBlocks: 0
; VGPRBlocks: 0
; NumSGPRsForWavesPerEU: 6
; NumVGPRsForWavesPerEU: 1
; AccumOffset: 4
; Occupancy: 8
; WaveLimiterHint : 0
; COMPUTE_PGM_RSRC2:SCRATCH_EN: 0
; COMPUTE_PGM_RSRC2:USER_SGPR: 2
; COMPUTE_PGM_RSRC2:TRAP_HANDLER: 0
; COMPUTE_PGM_RSRC2:TGID_X_EN: 1
; COMPUTE_PGM_RSRC2:TGID_Y_EN: 0
; COMPUTE_PGM_RSRC2:TGID_Z_EN: 0
; COMPUTE_PGM_RSRC2:TIDIG_COMP_CNT: 0
; COMPUTE_PGM_RSRC3_GFX90A:ACCUM_OFFSET: 0
; COMPUTE_PGM_RSRC3_GFX90A:TG_SPLIT: 0
	.section	.text._ZN7rocprim17ROCPRIM_400000_NS6detail17trampoline_kernelINS0_14default_configENS1_22reduce_config_selectorIyEEZNS1_11reduce_implILb1ES3_N6thrust23THRUST_200600_302600_NS17counting_iteratorIyNS8_11hip_rocprim3tagENS8_11use_defaultESC_EEPyyNS8_4plusIyEEEE10hipError_tPvRmT1_T2_T3_mT4_P12ihipStream_tbEUlT_E1_NS1_11comp_targetILNS1_3genE0ELNS1_11target_archE4294967295ELNS1_3gpuE0ELNS1_3repE0EEENS1_30default_config_static_selectorELNS0_4arch9wavefront6targetE1EEEvSK_,"axG",@progbits,_ZN7rocprim17ROCPRIM_400000_NS6detail17trampoline_kernelINS0_14default_configENS1_22reduce_config_selectorIyEEZNS1_11reduce_implILb1ES3_N6thrust23THRUST_200600_302600_NS17counting_iteratorIyNS8_11hip_rocprim3tagENS8_11use_defaultESC_EEPyyNS8_4plusIyEEEE10hipError_tPvRmT1_T2_T3_mT4_P12ihipStream_tbEUlT_E1_NS1_11comp_targetILNS1_3genE0ELNS1_11target_archE4294967295ELNS1_3gpuE0ELNS1_3repE0EEENS1_30default_config_static_selectorELNS0_4arch9wavefront6targetE1EEEvSK_,comdat
	.protected	_ZN7rocprim17ROCPRIM_400000_NS6detail17trampoline_kernelINS0_14default_configENS1_22reduce_config_selectorIyEEZNS1_11reduce_implILb1ES3_N6thrust23THRUST_200600_302600_NS17counting_iteratorIyNS8_11hip_rocprim3tagENS8_11use_defaultESC_EEPyyNS8_4plusIyEEEE10hipError_tPvRmT1_T2_T3_mT4_P12ihipStream_tbEUlT_E1_NS1_11comp_targetILNS1_3genE0ELNS1_11target_archE4294967295ELNS1_3gpuE0ELNS1_3repE0EEENS1_30default_config_static_selectorELNS0_4arch9wavefront6targetE1EEEvSK_ ; -- Begin function _ZN7rocprim17ROCPRIM_400000_NS6detail17trampoline_kernelINS0_14default_configENS1_22reduce_config_selectorIyEEZNS1_11reduce_implILb1ES3_N6thrust23THRUST_200600_302600_NS17counting_iteratorIyNS8_11hip_rocprim3tagENS8_11use_defaultESC_EEPyyNS8_4plusIyEEEE10hipError_tPvRmT1_T2_T3_mT4_P12ihipStream_tbEUlT_E1_NS1_11comp_targetILNS1_3genE0ELNS1_11target_archE4294967295ELNS1_3gpuE0ELNS1_3repE0EEENS1_30default_config_static_selectorELNS0_4arch9wavefront6targetE1EEEvSK_
	.globl	_ZN7rocprim17ROCPRIM_400000_NS6detail17trampoline_kernelINS0_14default_configENS1_22reduce_config_selectorIyEEZNS1_11reduce_implILb1ES3_N6thrust23THRUST_200600_302600_NS17counting_iteratorIyNS8_11hip_rocprim3tagENS8_11use_defaultESC_EEPyyNS8_4plusIyEEEE10hipError_tPvRmT1_T2_T3_mT4_P12ihipStream_tbEUlT_E1_NS1_11comp_targetILNS1_3genE0ELNS1_11target_archE4294967295ELNS1_3gpuE0ELNS1_3repE0EEENS1_30default_config_static_selectorELNS0_4arch9wavefront6targetE1EEEvSK_
	.p2align	8
	.type	_ZN7rocprim17ROCPRIM_400000_NS6detail17trampoline_kernelINS0_14default_configENS1_22reduce_config_selectorIyEEZNS1_11reduce_implILb1ES3_N6thrust23THRUST_200600_302600_NS17counting_iteratorIyNS8_11hip_rocprim3tagENS8_11use_defaultESC_EEPyyNS8_4plusIyEEEE10hipError_tPvRmT1_T2_T3_mT4_P12ihipStream_tbEUlT_E1_NS1_11comp_targetILNS1_3genE0ELNS1_11target_archE4294967295ELNS1_3gpuE0ELNS1_3repE0EEENS1_30default_config_static_selectorELNS0_4arch9wavefront6targetE1EEEvSK_,@function
_ZN7rocprim17ROCPRIM_400000_NS6detail17trampoline_kernelINS0_14default_configENS1_22reduce_config_selectorIyEEZNS1_11reduce_implILb1ES3_N6thrust23THRUST_200600_302600_NS17counting_iteratorIyNS8_11hip_rocprim3tagENS8_11use_defaultESC_EEPyyNS8_4plusIyEEEE10hipError_tPvRmT1_T2_T3_mT4_P12ihipStream_tbEUlT_E1_NS1_11comp_targetILNS1_3genE0ELNS1_11target_archE4294967295ELNS1_3gpuE0ELNS1_3repE0EEENS1_30default_config_static_selectorELNS0_4arch9wavefront6targetE1EEEvSK_: ; @_ZN7rocprim17ROCPRIM_400000_NS6detail17trampoline_kernelINS0_14default_configENS1_22reduce_config_selectorIyEEZNS1_11reduce_implILb1ES3_N6thrust23THRUST_200600_302600_NS17counting_iteratorIyNS8_11hip_rocprim3tagENS8_11use_defaultESC_EEPyyNS8_4plusIyEEEE10hipError_tPvRmT1_T2_T3_mT4_P12ihipStream_tbEUlT_E1_NS1_11comp_targetILNS1_3genE0ELNS1_11target_archE4294967295ELNS1_3gpuE0ELNS1_3repE0EEENS1_30default_config_static_selectorELNS0_4arch9wavefront6targetE1EEEvSK_
; %bb.0:
	s_load_dword s16, s[0:1], 0x4
	s_load_dwordx8 s[8:15], s[0:1], 0x8
	s_waitcnt lgkmcnt(0)
	s_cmp_lt_i32 s16, 4
	s_cbranch_scc1 .LBB1028_10
; %bb.1:
	s_cmp_gt_i32 s16, 7
	s_cbranch_scc0 .LBB1028_11
; %bb.2:
	s_cmp_gt_i32 s16, 15
	s_cbranch_scc0 .LBB1028_12
; %bb.3:
	s_mov_b64 s[6:7], 0
	s_cmp_eq_u32 s16, 16
	s_mov_b64 s[0:1], 0
                                        ; implicit-def: $vgpr2_vgpr3
                                        ; implicit-def: $vgpr4_vgpr5
	s_cbranch_scc0 .LBB1028_13
; %bb.4:
	s_mov_b32 s3, 0
	s_lshl_b32 s4, s2, 12
	s_lshr_b64 s[0:1], s[10:11], 12
	s_cmp_lg_u64 s[0:1], s[2:3]
	s_cbranch_scc0 .LBB1028_21
; %bb.5:
	v_or_b32_e32 v2, s4, v0
	v_mov_b32_e32 v3, 0
	v_lshl_add_u64 v[4:5], s[8:9], 0, v[2:3]
	v_mov_b64_e32 v[6:7], 0x7800
	v_lshl_add_u64 v[4:5], v[4:5], 4, v[6:7]
	v_mov_b32_e32 v6, v3
	v_mbcnt_lo_u32_b32 v1, -1, 0
	v_mov_b32_dpp v2, v4 quad_perm:[1,0,3,2] row_mask:0xf bank_mask:0xf bound_ctrl:1
	v_mov_b32_dpp v7, v5 quad_perm:[1,0,3,2] row_mask:0xf bank_mask:0xf bound_ctrl:1
	v_lshl_add_u64 v[4:5], v[4:5], 0, v[2:3]
	v_lshl_add_u64 v[6:7], v[6:7], 0, v[4:5]
	v_mbcnt_hi_u32_b32 v1, -1, v1
	v_mov_b32_dpp v2, v4 quad_perm:[2,3,0,1] row_mask:0xf bank_mask:0xf bound_ctrl:1
	v_mov_b32_dpp v5, v7 quad_perm:[2,3,0,1] row_mask:0xf bank_mask:0xf bound_ctrl:1
	v_mov_b32_e32 v4, v3
	v_lshl_add_u64 v[6:7], v[6:7], 0, v[2:3]
	v_lshl_add_u64 v[4:5], v[6:7], 0, v[4:5]
	v_cmp_eq_u32_e32 vcc, 0, v1
	v_mov_b32_dpp v2, v6 row_ror:4 row_mask:0xf bank_mask:0xf bound_ctrl:1
	v_mov_b32_dpp v7, v5 row_ror:4 row_mask:0xf bank_mask:0xf bound_ctrl:1
	v_mov_b32_e32 v6, v3
	v_lshl_add_u64 v[4:5], v[4:5], 0, v[2:3]
	v_lshl_add_u64 v[6:7], v[4:5], 0, v[6:7]
	s_nop 0
	v_mov_b32_dpp v2, v4 row_ror:8 row_mask:0xf bank_mask:0xf bound_ctrl:1
	v_mov_b32_dpp v5, v7 row_ror:8 row_mask:0xf bank_mask:0xf bound_ctrl:1
	v_mov_b32_e32 v4, v3
	v_lshl_add_u64 v[6:7], v[6:7], 0, v[2:3]
	v_lshl_add_u64 v[4:5], v[6:7], 0, v[4:5]
	s_nop 0
	v_mov_b32_dpp v2, v6 row_bcast:15 row_mask:0xf bank_mask:0xf bound_ctrl:1
	v_mov_b32_dpp v7, v5 row_bcast:15 row_mask:0xf bank_mask:0xf bound_ctrl:1
	v_mov_b32_e32 v6, v3
	v_lshl_add_u64 v[4:5], v[4:5], 0, v[2:3]
	v_lshl_add_u64 v[6:7], v[4:5], 0, v[6:7]
	s_nop 0
	v_mov_b32_dpp v2, v4 row_bcast:31 row_mask:0xf bank_mask:0xf bound_ctrl:1
	v_lshl_add_u64 v[2:3], v[6:7], 0, v[2:3]
	v_lshlrev_b32_e32 v4, 2, v1
	v_or_b32_e32 v5, 0xfc, v4
	v_add_u32_dpp v3, v7, v3 row_bcast:31 row_mask:0xf bank_mask:0xf bound_ctrl:1
	ds_bpermute_b32 v2, v5, v2
	ds_bpermute_b32 v3, v5, v3
	s_and_saveexec_b64 s[0:1], vcc
	s_cbranch_execz .LBB1028_7
; %bb.6:
	v_lshrrev_b32_e32 v5, 3, v0
	v_and_b32_e32 v5, 24, v5
	s_waitcnt lgkmcnt(0)
	ds_write_b64 v5, v[2:3]
.LBB1028_7:
	s_or_b64 exec, exec, s[0:1]
	v_cmp_gt_u32_e32 vcc, 64, v0
	s_waitcnt lgkmcnt(0)
	s_barrier
	s_and_saveexec_b64 s[0:1], vcc
	s_cbranch_execz .LBB1028_9
; %bb.8:
	v_and_b32_e32 v5, 3, v1
	v_lshlrev_b32_e32 v2, 3, v5
	ds_read_b64 v[2:3], v2
	v_cmp_ne_u32_e32 vcc, 3, v5
	v_mov_b32_e32 v8, 0
	v_mov_b32_e32 v7, v8
	v_addc_co_u32_e32 v1, vcc, 0, v1, vcc
	v_lshlrev_b32_e32 v1, 2, v1
	s_waitcnt lgkmcnt(0)
	ds_bpermute_b32 v6, v1, v2
	ds_bpermute_b32 v9, v1, v3
	v_or_b32_e32 v1, 8, v4
	s_waitcnt lgkmcnt(1)
	v_lshl_add_u64 v[2:3], v[2:3], 0, v[6:7]
	s_waitcnt lgkmcnt(0)
	v_lshl_add_u64 v[4:5], v[8:9], 0, v[2:3]
	ds_bpermute_b32 v2, v1, v2
	ds_bpermute_b32 v9, v1, v5
	v_mov_b32_e32 v3, v8
	s_waitcnt lgkmcnt(1)
	v_lshl_add_u64 v[2:3], v[4:5], 0, v[2:3]
	s_waitcnt lgkmcnt(0)
	v_lshl_add_u64 v[2:3], v[2:3], 0, v[8:9]
.LBB1028_9:
	s_or_b64 exec, exec, s[0:1]
	s_mov_b64 s[0:1], 0
	s_branch .LBB1028_22
.LBB1028_10:
	s_mov_b64 s[0:1], 0
                                        ; implicit-def: $vgpr2_vgpr3
                                        ; implicit-def: $vgpr4_vgpr5
	s_cbranch_execnz .LBB1028_65
	s_branch .LBB1028_104
.LBB1028_11:
	s_mov_b64 s[0:1], 0
                                        ; implicit-def: $vgpr2_vgpr3
                                        ; implicit-def: $vgpr4_vgpr5
	s_cbranch_execnz .LBB1028_46
	s_branch .LBB1028_64
.LBB1028_12:
	s_mov_b64 s[6:7], -1
	s_mov_b64 s[0:1], 0
                                        ; implicit-def: $vgpr2_vgpr3
                                        ; implicit-def: $vgpr4_vgpr5
.LBB1028_13:
	s_and_b64 vcc, exec, s[6:7]
	s_cbranch_vccz .LBB1028_45
.LBB1028_14:
	s_cmp_eq_u32 s16, 8
                                        ; implicit-def: $vgpr2_vgpr3
                                        ; implicit-def: $vgpr4_vgpr5
	s_cbranch_scc0 .LBB1028_45
; %bb.15:
	s_mov_b32 s3, 0
	s_lshl_b32 s4, s2, 11
	s_lshr_b64 s[0:1], s[10:11], 11
	s_cmp_lg_u64 s[0:1], s[2:3]
	s_cbranch_scc0 .LBB1028_33
; %bb.16:
	v_or_b32_e32 v2, s4, v0
	v_mov_b32_e32 v3, 0
	v_lshl_add_u64 v[4:5], s[8:9], 0, v[2:3]
	s_waitcnt lgkmcnt(0)
	v_mov_b64_e32 v[6:7], 0x1c00
	v_lshl_add_u64 v[4:5], v[4:5], 3, v[6:7]
	v_mov_b32_e32 v6, v3
	v_mbcnt_lo_u32_b32 v1, -1, 0
	v_mov_b32_dpp v2, v4 quad_perm:[1,0,3,2] row_mask:0xf bank_mask:0xf bound_ctrl:1
	v_mov_b32_dpp v7, v5 quad_perm:[1,0,3,2] row_mask:0xf bank_mask:0xf bound_ctrl:1
	v_lshl_add_u64 v[4:5], v[4:5], 0, v[2:3]
	v_lshl_add_u64 v[6:7], v[6:7], 0, v[4:5]
	v_mbcnt_hi_u32_b32 v1, -1, v1
	v_mov_b32_dpp v2, v4 quad_perm:[2,3,0,1] row_mask:0xf bank_mask:0xf bound_ctrl:1
	v_mov_b32_dpp v5, v7 quad_perm:[2,3,0,1] row_mask:0xf bank_mask:0xf bound_ctrl:1
	v_mov_b32_e32 v4, v3
	v_lshl_add_u64 v[6:7], v[6:7], 0, v[2:3]
	v_lshl_add_u64 v[4:5], v[6:7], 0, v[4:5]
	v_cmp_eq_u32_e32 vcc, 0, v1
	v_mov_b32_dpp v2, v6 row_ror:4 row_mask:0xf bank_mask:0xf bound_ctrl:1
	v_mov_b32_dpp v7, v5 row_ror:4 row_mask:0xf bank_mask:0xf bound_ctrl:1
	v_mov_b32_e32 v6, v3
	v_lshl_add_u64 v[4:5], v[4:5], 0, v[2:3]
	v_lshl_add_u64 v[6:7], v[4:5], 0, v[6:7]
	s_nop 0
	v_mov_b32_dpp v2, v4 row_ror:8 row_mask:0xf bank_mask:0xf bound_ctrl:1
	v_mov_b32_dpp v5, v7 row_ror:8 row_mask:0xf bank_mask:0xf bound_ctrl:1
	v_mov_b32_e32 v4, v3
	v_lshl_add_u64 v[6:7], v[6:7], 0, v[2:3]
	v_lshl_add_u64 v[4:5], v[6:7], 0, v[4:5]
	s_nop 0
	v_mov_b32_dpp v2, v6 row_bcast:15 row_mask:0xf bank_mask:0xf bound_ctrl:1
	v_mov_b32_dpp v7, v5 row_bcast:15 row_mask:0xf bank_mask:0xf bound_ctrl:1
	v_mov_b32_e32 v6, v3
	v_lshl_add_u64 v[4:5], v[4:5], 0, v[2:3]
	v_lshl_add_u64 v[6:7], v[4:5], 0, v[6:7]
	s_nop 0
	v_mov_b32_dpp v2, v4 row_bcast:31 row_mask:0xf bank_mask:0xf bound_ctrl:1
	v_lshl_add_u64 v[2:3], v[6:7], 0, v[2:3]
	v_lshlrev_b32_e32 v4, 2, v1
	v_or_b32_e32 v5, 0xfc, v4
	v_add_u32_dpp v3, v7, v3 row_bcast:31 row_mask:0xf bank_mask:0xf bound_ctrl:1
	ds_bpermute_b32 v2, v5, v2
	ds_bpermute_b32 v3, v5, v3
	s_and_saveexec_b64 s[0:1], vcc
	s_cbranch_execz .LBB1028_18
; %bb.17:
	v_lshrrev_b32_e32 v5, 3, v0
	v_and_b32_e32 v5, 24, v5
	s_waitcnt lgkmcnt(0)
	ds_write_b64 v5, v[2:3] offset:128
.LBB1028_18:
	s_or_b64 exec, exec, s[0:1]
	v_cmp_gt_u32_e32 vcc, 64, v0
	s_waitcnt lgkmcnt(0)
	s_barrier
	s_and_saveexec_b64 s[0:1], vcc
	s_cbranch_execz .LBB1028_20
; %bb.19:
	v_and_b32_e32 v5, 3, v1
	v_lshlrev_b32_e32 v2, 3, v5
	ds_read_b64 v[2:3], v2 offset:128
	v_cmp_ne_u32_e32 vcc, 3, v5
	v_mov_b32_e32 v8, 0
	v_mov_b32_e32 v7, v8
	v_addc_co_u32_e32 v1, vcc, 0, v1, vcc
	v_lshlrev_b32_e32 v1, 2, v1
	s_waitcnt lgkmcnt(0)
	ds_bpermute_b32 v6, v1, v2
	ds_bpermute_b32 v9, v1, v3
	v_or_b32_e32 v1, 8, v4
	s_waitcnt lgkmcnt(1)
	v_lshl_add_u64 v[2:3], v[2:3], 0, v[6:7]
	s_waitcnt lgkmcnt(0)
	v_lshl_add_u64 v[4:5], v[8:9], 0, v[2:3]
	ds_bpermute_b32 v2, v1, v2
	ds_bpermute_b32 v9, v1, v5
	v_mov_b32_e32 v3, v8
	s_waitcnt lgkmcnt(1)
	v_lshl_add_u64 v[2:3], v[4:5], 0, v[2:3]
	s_waitcnt lgkmcnt(0)
	v_lshl_add_u64 v[2:3], v[2:3], 0, v[8:9]
.LBB1028_20:
	s_or_b64 exec, exec, s[0:1]
	s_mov_b64 s[0:1], 0
	s_branch .LBB1028_34
.LBB1028_21:
	s_mov_b64 s[0:1], -1
                                        ; implicit-def: $vgpr2_vgpr3
.LBB1028_22:
	s_and_b64 vcc, exec, s[0:1]
	s_cbranch_vccz .LBB1028_32
; %bb.23:
	s_sub_i32 s5, s10, s4
	s_add_u32 s0, s8, s4
	s_addc_u32 s1, s9, 0
	v_mov_b32_e32 v1, 0
	v_lshl_add_u64 v[2:3], s[0:1], 0, v[0:1]
	v_cmp_gt_u32_e32 vcc, s5, v0
	v_or_b32_e32 v4, 0x100, v0
	v_mov_b32_e32 v5, v1
	v_cndmask_b32_e32 v3, 0, v3, vcc
	v_cndmask_b32_e32 v2, 0, v2, vcc
	v_lshl_add_u64 v[6:7], s[0:1], 0, v[4:5]
	v_or_b32_e32 v8, 0x200, v0
	v_mov_b32_e32 v9, v1
	v_cmp_gt_u32_e32 vcc, s5, v4
	v_lshl_add_u64 v[10:11], s[0:1], 0, v[8:9]
	v_or_b32_e32 v12, 0x300, v0
	v_mov_b32_e32 v13, v1
	v_cndmask_b32_e32 v5, 0, v7, vcc
	v_cndmask_b32_e32 v4, 0, v6, vcc
	v_cmp_gt_u32_e32 vcc, s5, v8
	v_lshl_add_u64 v[14:15], s[0:1], 0, v[12:13]
	v_or_b32_e32 v16, 0x400, v0
	v_mov_b32_e32 v17, v1
	v_cndmask_b32_e32 v9, 0, v11, vcc
	v_cndmask_b32_e32 v8, 0, v10, vcc
	v_cmp_gt_u32_e32 vcc, s5, v12
	v_lshl_add_u64 v[18:19], s[0:1], 0, v[16:17]
	v_or_b32_e32 v20, 0x500, v0
	v_mov_b32_e32 v21, v1
	v_cndmask_b32_e32 v13, 0, v15, vcc
	v_cndmask_b32_e32 v12, 0, v14, vcc
	v_cmp_gt_u32_e32 vcc, s5, v16
	v_lshl_add_u64 v[22:23], s[0:1], 0, v[20:21]
	v_or_b32_e32 v24, 0x600, v0
	v_mov_b32_e32 v25, v1
	v_cndmask_b32_e32 v15, 0, v19, vcc
	v_cndmask_b32_e32 v14, 0, v18, vcc
	v_cmp_gt_u32_e32 vcc, s5, v20
	v_lshl_add_u64 v[26:27], s[0:1], 0, v[24:25]
	v_or_b32_e32 v28, 0x700, v0
	v_mov_b32_e32 v29, v1
	v_cndmask_b32_e32 v17, 0, v23, vcc
	v_cndmask_b32_e32 v16, 0, v22, vcc
	v_cmp_gt_u32_e32 vcc, s5, v24
	v_lshl_add_u64 v[30:31], s[0:1], 0, v[28:29]
	v_or_b32_e32 v32, 0x800, v0
	v_mov_b32_e32 v33, v1
	v_cndmask_b32_e32 v19, 0, v27, vcc
	v_cndmask_b32_e32 v18, 0, v26, vcc
	v_cmp_gt_u32_e32 vcc, s5, v28
	v_lshl_add_u64 v[34:35], s[0:1], 0, v[32:33]
	v_or_b32_e32 v36, 0x900, v0
	v_mov_b32_e32 v37, v1
	v_cndmask_b32_e32 v21, 0, v31, vcc
	v_cndmask_b32_e32 v20, 0, v30, vcc
	v_cmp_gt_u32_e32 vcc, s5, v32
	v_lshl_add_u64 v[38:39], s[0:1], 0, v[36:37]
	v_or_b32_e32 v40, 0xa00, v0
	v_mov_b32_e32 v41, v1
	v_cndmask_b32_e32 v23, 0, v35, vcc
	v_cndmask_b32_e32 v22, 0, v34, vcc
	v_cmp_gt_u32_e32 vcc, s5, v36
	v_lshl_add_u64 v[42:43], s[0:1], 0, v[40:41]
	v_or_b32_e32 v44, 0xb00, v0
	v_mov_b32_e32 v45, v1
	v_cndmask_b32_e32 v25, 0, v39, vcc
	v_cndmask_b32_e32 v24, 0, v38, vcc
	v_cmp_gt_u32_e32 vcc, s5, v40
	v_lshl_add_u64 v[46:47], s[0:1], 0, v[44:45]
	v_or_b32_e32 v48, 0xc00, v0
	v_mov_b32_e32 v49, v1
	v_cndmask_b32_e32 v27, 0, v43, vcc
	v_cndmask_b32_e32 v26, 0, v42, vcc
	v_cmp_gt_u32_e32 vcc, s5, v44
	v_lshl_add_u64 v[50:51], s[0:1], 0, v[48:49]
	v_or_b32_e32 v52, 0xd00, v0
	v_mov_b32_e32 v53, v1
	v_cndmask_b32_e32 v29, 0, v47, vcc
	v_cndmask_b32_e32 v28, 0, v46, vcc
	v_cmp_gt_u32_e32 vcc, s5, v48
	v_lshl_add_u64 v[54:55], s[0:1], 0, v[52:53]
	v_or_b32_e32 v56, 0xe00, v0
	v_mov_b32_e32 v57, v1
	v_cndmask_b32_e32 v31, 0, v51, vcc
	v_cndmask_b32_e32 v30, 0, v50, vcc
	v_cmp_gt_u32_e32 vcc, s5, v52
	v_lshl_add_u64 v[58:59], s[0:1], 0, v[56:57]
	v_or_b32_e32 v6, 0xf00, v0
	v_mov_b32_e32 v7, v1
	v_cndmask_b32_e32 v33, 0, v55, vcc
	v_cndmask_b32_e32 v32, 0, v54, vcc
	v_cmp_gt_u32_e32 vcc, s5, v56
	v_lshl_add_u64 v[10:11], s[0:1], 0, v[6:7]
	s_min_u32 s17, s5, 0x100
	v_cndmask_b32_e32 v35, 0, v59, vcc
	v_cndmask_b32_e32 v34, 0, v58, vcc
	v_cmp_gt_u32_e32 vcc, s5, v6
	s_nop 1
	v_cndmask_b32_e32 v7, 0, v11, vcc
	v_cndmask_b32_e32 v6, 0, v10, vcc
	v_lshl_add_u64 v[6:7], v[6:7], 0, v[34:35]
	v_lshl_add_u64 v[6:7], v[6:7], 0, v[30:31]
	;; [unrolled: 1-line block ×11, first 2 shown]
	v_mbcnt_lo_u32_b32 v4, -1, 0
	v_lshl_add_u64 v[2:3], v[2:3], 0, v[8:9]
	v_mbcnt_hi_u32_b32 v8, -1, v4
	v_and_b32_e32 v10, 63, v8
	v_lshl_add_u64 v[2:3], v[2:3], 0, v[12:13]
	v_and_b32_e32 v4, 0xc0, v0
	v_cmp_ne_u32_e32 vcc, 63, v10
	v_lshl_add_u64 v[2:3], v[2:3], 0, v[14:15]
	v_sub_u32_e64 v9, s17, v4 clamp
	v_addc_co_u32_e32 v4, vcc, 0, v8, vcc
	v_lshl_add_u64 v[2:3], v[2:3], 0, v[16:17]
	v_lshlrev_b32_e32 v5, 2, v4
	ds_bpermute_b32 v4, v5, v2
	ds_bpermute_b32 v7, v5, v3
	v_add_u32_e32 v11, 1, v10
	v_mov_b32_e32 v5, v1
	v_mov_b32_e32 v6, v1
	s_waitcnt lgkmcnt(1)
	v_lshl_add_u64 v[4:5], v[2:3], 0, v[4:5]
	v_cmp_lt_u32_e64 s[0:1], v11, v9
	v_cmp_gt_u32_e32 vcc, 62, v10
	s_waitcnt lgkmcnt(0)
	v_lshl_add_u64 v[6:7], v[6:7], 0, v[4:5]
	v_cndmask_b32_e64 v1, v2, v4, s[0:1]
	v_cndmask_b32_e64 v4, 0, 2, vcc
	v_cndmask_b32_e64 v5, v3, v7, s[0:1]
	v_add_lshl_u32 v4, v4, v8, 2
	ds_bpermute_b32 v12, v4, v1
	ds_bpermute_b32 v13, v4, v5
	v_cndmask_b32_e64 v4, v2, v6, s[0:1]
	v_add_u32_e32 v11, 2, v10
	v_cmp_lt_u32_e32 vcc, v11, v9
	v_cmp_gt_u32_e64 s[4:5], 60, v10
	s_waitcnt lgkmcnt(0)
	v_lshl_add_u64 v[6:7], v[12:13], 0, v[4:5]
	v_cndmask_b32_e32 v5, v5, v7, vcc
	v_cndmask_b32_e64 v7, 0, 4, s[4:5]
	v_cndmask_b32_e32 v1, v1, v6, vcc
	v_add_lshl_u32 v7, v7, v8, 2
	ds_bpermute_b32 v12, v7, v1
	ds_bpermute_b32 v13, v7, v5
	v_cndmask_b32_e32 v4, v4, v6, vcc
	v_add_u32_e32 v11, 4, v10
	v_cmp_lt_u32_e32 vcc, v11, v9
	v_cmp_gt_u32_e64 s[4:5], 56, v10
	s_waitcnt lgkmcnt(0)
	v_lshl_add_u64 v[6:7], v[12:13], 0, v[4:5]
	v_cndmask_b32_e32 v5, v5, v7, vcc
	v_cndmask_b32_e64 v7, 0, 8, s[4:5]
	v_cndmask_b32_e32 v1, v1, v6, vcc
	v_add_lshl_u32 v7, v7, v8, 2
	ds_bpermute_b32 v12, v7, v1
	ds_bpermute_b32 v13, v7, v5
	v_cndmask_b32_e32 v4, v4, v6, vcc
	;; [unrolled: 12-line block ×3, first 2 shown]
	v_add_u32_e32 v11, 16, v10
	v_cmp_lt_u32_e32 vcc, v11, v9
	s_waitcnt lgkmcnt(0)
	v_lshl_add_u64 v[6:7], v[12:13], 0, v[4:5]
	v_cndmask_b32_e32 v11, v1, v6, vcc
	v_lshlrev_b32_e32 v1, 2, v8
	v_cndmask_b32_e32 v12, v5, v7, vcc
	v_or_b32_e32 v13, 0x80, v1
	ds_bpermute_b32 v11, v13, v11
	ds_bpermute_b32 v12, v13, v12
	s_and_saveexec_b64 s[4:5], s[0:1]
	s_cbranch_execz .LBB1028_25
; %bb.24:
	v_add_u32_e32 v10, 32, v10
	v_cndmask_b32_e32 v3, v5, v7, vcc
	v_cndmask_b32_e32 v2, v4, v6, vcc
	v_cmp_lt_u32_e32 vcc, v10, v9
	s_waitcnt lgkmcnt(0)
	s_nop 0
	v_cndmask_b32_e32 v5, 0, v12, vcc
	v_cndmask_b32_e32 v4, 0, v11, vcc
	v_lshl_add_u64 v[2:3], v[4:5], 0, v[2:3]
.LBB1028_25:
	s_or_b64 exec, exec, s[4:5]
	v_cmp_eq_u32_e32 vcc, 0, v8
	s_and_saveexec_b64 s[0:1], vcc
; %bb.26:
	v_lshrrev_b32_e32 v4, 3, v0
	v_and_b32_e32 v4, 24, v4
	ds_write_b64 v4, v[2:3] offset:160
; %bb.27:
	s_or_b64 exec, exec, s[0:1]
	v_cmp_gt_u32_e32 vcc, 4, v0
	s_waitcnt lgkmcnt(0)
	s_barrier
	s_and_saveexec_b64 s[0:1], vcc
	s_cbranch_execz .LBB1028_31
; %bb.28:
	v_lshlrev_b32_e32 v2, 3, v8
	ds_read_b64 v[2:3], v2 offset:160
	v_and_b32_e32 v6, 3, v8
	v_cmp_ne_u32_e32 vcc, 3, v6
	s_add_i32 s17, s17, 63
	s_lshr_b32 s17, s17, 6
	v_addc_co_u32_e32 v4, vcc, 0, v8, vcc
	v_lshlrev_b32_e32 v5, 2, v4
	s_waitcnt lgkmcnt(0)
	ds_bpermute_b32 v4, v5, v2
	ds_bpermute_b32 v9, v5, v3
	v_mov_b32_e32 v8, 0
	v_mov_b32_e32 v5, v8
	v_add_u32_e32 v7, 1, v6
	s_waitcnt lgkmcnt(1)
	v_lshl_add_u64 v[10:11], v[2:3], 0, v[4:5]
	s_waitcnt lgkmcnt(0)
	v_lshl_add_u64 v[4:5], v[8:9], 0, v[10:11]
	v_cmp_gt_u32_e32 vcc, s17, v7
	v_or_b32_e32 v9, 8, v1
	s_nop 0
	v_cndmask_b32_e32 v7, v3, v5, vcc
	v_cndmask_b32_e32 v8, v2, v10, vcc
	ds_bpermute_b32 v1, v9, v8
	ds_bpermute_b32 v7, v9, v7
	s_and_saveexec_b64 s[4:5], vcc
	s_cbranch_execz .LBB1028_30
; %bb.29:
	v_add_u32_e32 v2, 2, v6
	v_cmp_gt_u32_e32 vcc, s17, v2
	s_waitcnt lgkmcnt(0)
	s_nop 0
	v_cndmask_b32_e32 v3, 0, v7, vcc
	v_cndmask_b32_e32 v2, 0, v1, vcc
	v_lshl_add_u64 v[2:3], v[2:3], 0, v[4:5]
.LBB1028_30:
	s_or_b64 exec, exec, s[4:5]
.LBB1028_31:
	s_or_b64 exec, exec, s[0:1]
.LBB1028_32:
	v_cmp_eq_u32_e64 s[0:1], 0, v0
	v_mov_b64_e32 v[4:5], s[2:3]
	s_and_b64 vcc, exec, s[6:7]
	s_cbranch_vccnz .LBB1028_14
	s_branch .LBB1028_45
.LBB1028_33:
	s_mov_b64 s[0:1], -1
                                        ; implicit-def: $vgpr2_vgpr3
.LBB1028_34:
	s_and_b64 vcc, exec, s[0:1]
	s_cbranch_vccz .LBB1028_44
; %bb.35:
	s_sub_i32 s5, s10, s4
	s_add_u32 s0, s8, s4
	s_addc_u32 s1, s9, 0
	s_waitcnt lgkmcnt(1)
	v_mov_b32_e32 v1, 0
	v_lshl_add_u64 v[2:3], s[0:1], 0, v[0:1]
	v_or_b32_e32 v4, 0x100, v0
	v_mov_b32_e32 v5, v1
	v_cmp_gt_u32_e32 vcc, s5, v0
	s_waitcnt lgkmcnt(0)
	v_lshl_add_u64 v[6:7], s[0:1], 0, v[4:5]
	v_or_b32_e32 v8, 0x200, v0
	v_mov_b32_e32 v9, v1
	v_cndmask_b32_e32 v3, 0, v3, vcc
	v_cndmask_b32_e32 v2, 0, v2, vcc
	v_cmp_gt_u32_e32 vcc, s5, v4
	v_lshl_add_u64 v[10:11], s[0:1], 0, v[8:9]
	v_or_b32_e32 v12, 0x300, v0
	v_mov_b32_e32 v13, v1
	v_cndmask_b32_e32 v5, 0, v7, vcc
	v_cndmask_b32_e32 v4, 0, v6, vcc
	v_cmp_gt_u32_e32 vcc, s5, v8
	v_lshl_add_u64 v[14:15], s[0:1], 0, v[12:13]
	v_or_b32_e32 v16, 0x400, v0
	v_mov_b32_e32 v17, v1
	v_cndmask_b32_e32 v7, 0, v11, vcc
	v_cndmask_b32_e32 v6, 0, v10, vcc
	v_cmp_gt_u32_e32 vcc, s5, v12
	v_lshl_add_u64 v[18:19], s[0:1], 0, v[16:17]
	v_or_b32_e32 v20, 0x500, v0
	v_mov_b32_e32 v21, v1
	v_cndmask_b32_e32 v9, 0, v15, vcc
	v_cndmask_b32_e32 v8, 0, v14, vcc
	v_cmp_gt_u32_e32 vcc, s5, v16
	v_lshl_add_u64 v[22:23], s[0:1], 0, v[20:21]
	v_or_b32_e32 v24, 0x600, v0
	v_mov_b32_e32 v25, v1
	v_cndmask_b32_e32 v11, 0, v19, vcc
	v_cndmask_b32_e32 v10, 0, v18, vcc
	v_cmp_gt_u32_e32 vcc, s5, v20
	v_lshl_add_u64 v[26:27], s[0:1], 0, v[24:25]
	v_or_b32_e32 v28, 0x700, v0
	v_mov_b32_e32 v29, v1
	v_cndmask_b32_e32 v13, 0, v23, vcc
	v_cndmask_b32_e32 v12, 0, v22, vcc
	v_cmp_gt_u32_e32 vcc, s5, v24
	v_lshl_add_u64 v[30:31], s[0:1], 0, v[28:29]
	s_min_u32 s6, s5, 0x100
	v_cndmask_b32_e32 v15, 0, v27, vcc
	v_cndmask_b32_e32 v14, 0, v26, vcc
	v_cmp_gt_u32_e32 vcc, s5, v28
	s_nop 1
	v_cndmask_b32_e32 v17, 0, v31, vcc
	v_cndmask_b32_e32 v16, 0, v30, vcc
	v_lshl_add_u64 v[14:15], v[16:17], 0, v[14:15]
	v_lshl_add_u64 v[10:11], v[14:15], 0, v[10:11]
	;; [unrolled: 1-line block ×7, first 2 shown]
	v_mbcnt_lo_u32_b32 v4, -1, 0
	v_mbcnt_hi_u32_b32 v8, -1, v4
	v_and_b32_e32 v10, 63, v8
	v_and_b32_e32 v4, 0xc0, v0
	v_cmp_ne_u32_e32 vcc, 63, v10
	v_sub_u32_e64 v9, s6, v4 clamp
	v_add_u32_e32 v11, 1, v10
	v_addc_co_u32_e32 v4, vcc, 0, v8, vcc
	v_lshlrev_b32_e32 v5, 2, v4
	ds_bpermute_b32 v4, v5, v2
	ds_bpermute_b32 v7, v5, v3
	v_mov_b32_e32 v5, v1
	v_mov_b32_e32 v6, v1
	v_cmp_lt_u32_e64 s[0:1], v11, v9
	s_waitcnt lgkmcnt(1)
	v_lshl_add_u64 v[4:5], v[2:3], 0, v[4:5]
	v_cmp_gt_u32_e32 vcc, 62, v10
	s_waitcnt lgkmcnt(0)
	v_lshl_add_u64 v[6:7], v[6:7], 0, v[4:5]
	v_cndmask_b32_e64 v1, v2, v4, s[0:1]
	v_cndmask_b32_e64 v4, 0, 2, vcc
	v_cndmask_b32_e64 v5, v3, v7, s[0:1]
	v_add_lshl_u32 v4, v4, v8, 2
	ds_bpermute_b32 v12, v4, v1
	ds_bpermute_b32 v13, v4, v5
	v_cndmask_b32_e64 v4, v2, v6, s[0:1]
	v_add_u32_e32 v11, 2, v10
	v_cmp_lt_u32_e32 vcc, v11, v9
	v_cmp_gt_u32_e64 s[4:5], 60, v10
	s_waitcnt lgkmcnt(0)
	v_lshl_add_u64 v[6:7], v[12:13], 0, v[4:5]
	v_cndmask_b32_e32 v5, v5, v7, vcc
	v_cndmask_b32_e64 v7, 0, 4, s[4:5]
	v_cndmask_b32_e32 v1, v1, v6, vcc
	v_add_lshl_u32 v7, v7, v8, 2
	ds_bpermute_b32 v12, v7, v1
	ds_bpermute_b32 v13, v7, v5
	v_cndmask_b32_e32 v4, v4, v6, vcc
	v_add_u32_e32 v11, 4, v10
	v_cmp_lt_u32_e32 vcc, v11, v9
	v_cmp_gt_u32_e64 s[4:5], 56, v10
	s_waitcnt lgkmcnt(0)
	v_lshl_add_u64 v[6:7], v[12:13], 0, v[4:5]
	v_cndmask_b32_e32 v5, v5, v7, vcc
	v_cndmask_b32_e64 v7, 0, 8, s[4:5]
	v_cndmask_b32_e32 v1, v1, v6, vcc
	v_add_lshl_u32 v7, v7, v8, 2
	ds_bpermute_b32 v12, v7, v1
	ds_bpermute_b32 v13, v7, v5
	v_cndmask_b32_e32 v4, v4, v6, vcc
	;; [unrolled: 12-line block ×3, first 2 shown]
	v_add_u32_e32 v11, 16, v10
	v_cmp_lt_u32_e32 vcc, v11, v9
	s_waitcnt lgkmcnt(0)
	v_lshl_add_u64 v[6:7], v[12:13], 0, v[4:5]
	v_cndmask_b32_e32 v11, v1, v6, vcc
	v_lshlrev_b32_e32 v1, 2, v8
	v_cndmask_b32_e32 v12, v5, v7, vcc
	v_or_b32_e32 v13, 0x80, v1
	ds_bpermute_b32 v11, v13, v11
	ds_bpermute_b32 v12, v13, v12
	s_and_saveexec_b64 s[4:5], s[0:1]
	s_cbranch_execz .LBB1028_37
; %bb.36:
	v_add_u32_e32 v10, 32, v10
	v_cndmask_b32_e32 v3, v5, v7, vcc
	v_cndmask_b32_e32 v2, v4, v6, vcc
	v_cmp_lt_u32_e32 vcc, v10, v9
	s_waitcnt lgkmcnt(0)
	s_nop 0
	v_cndmask_b32_e32 v5, 0, v12, vcc
	v_cndmask_b32_e32 v4, 0, v11, vcc
	v_lshl_add_u64 v[2:3], v[4:5], 0, v[2:3]
.LBB1028_37:
	s_or_b64 exec, exec, s[4:5]
	v_cmp_eq_u32_e32 vcc, 0, v8
	s_and_saveexec_b64 s[0:1], vcc
; %bb.38:
	v_lshrrev_b32_e32 v4, 3, v0
	v_and_b32_e32 v4, 24, v4
	ds_write_b64 v4, v[2:3] offset:160
; %bb.39:
	s_or_b64 exec, exec, s[0:1]
	v_cmp_gt_u32_e32 vcc, 4, v0
	s_waitcnt lgkmcnt(0)
	s_barrier
	s_and_saveexec_b64 s[0:1], vcc
	s_cbranch_execz .LBB1028_43
; %bb.40:
	v_lshlrev_b32_e32 v2, 3, v8
	ds_read_b64 v[2:3], v2 offset:160
	v_and_b32_e32 v6, 3, v8
	v_cmp_ne_u32_e32 vcc, 3, v6
	s_add_i32 s6, s6, 63
	s_lshr_b32 s6, s6, 6
	v_addc_co_u32_e32 v4, vcc, 0, v8, vcc
	v_lshlrev_b32_e32 v5, 2, v4
	s_waitcnt lgkmcnt(0)
	ds_bpermute_b32 v4, v5, v2
	ds_bpermute_b32 v9, v5, v3
	v_mov_b32_e32 v8, 0
	v_mov_b32_e32 v5, v8
	v_add_u32_e32 v7, 1, v6
	s_waitcnt lgkmcnt(1)
	v_lshl_add_u64 v[10:11], v[2:3], 0, v[4:5]
	s_waitcnt lgkmcnt(0)
	v_lshl_add_u64 v[4:5], v[8:9], 0, v[10:11]
	v_cmp_gt_u32_e32 vcc, s6, v7
	v_or_b32_e32 v9, 8, v1
	s_nop 0
	v_cndmask_b32_e32 v7, v3, v5, vcc
	v_cndmask_b32_e32 v8, v2, v10, vcc
	ds_bpermute_b32 v1, v9, v8
	ds_bpermute_b32 v7, v9, v7
	s_and_saveexec_b64 s[4:5], vcc
	s_cbranch_execz .LBB1028_42
; %bb.41:
	v_add_u32_e32 v2, 2, v6
	v_cmp_gt_u32_e32 vcc, s6, v2
	s_waitcnt lgkmcnt(0)
	s_nop 0
	v_cndmask_b32_e32 v3, 0, v7, vcc
	v_cndmask_b32_e32 v2, 0, v1, vcc
	v_lshl_add_u64 v[2:3], v[2:3], 0, v[4:5]
.LBB1028_42:
	s_or_b64 exec, exec, s[4:5]
.LBB1028_43:
	s_or_b64 exec, exec, s[0:1]
.LBB1028_44:
	v_cmp_eq_u32_e64 s[0:1], 0, v0
	v_mov_b64_e32 v[4:5], s[2:3]
.LBB1028_45:
	s_branch .LBB1028_64
.LBB1028_46:
	s_cmp_eq_u32 s16, 4
                                        ; implicit-def: $vgpr2_vgpr3
                                        ; implicit-def: $vgpr4_vgpr5
	s_cbranch_scc0 .LBB1028_64
; %bb.47:
	s_mov_b32 s3, 0
	s_lshl_b32 s4, s2, 10
	s_lshr_b64 s[0:1], s[10:11], 10
	s_cmp_lg_u64 s[0:1], s[2:3]
	s_cbranch_scc0 .LBB1028_53
; %bb.48:
	v_or_b32_e32 v2, s4, v0
	v_mov_b32_e32 v3, 0
	v_lshl_add_u64 v[4:5], s[8:9], 0, v[2:3]
	s_waitcnt lgkmcnt(0)
	v_mov_b64_e32 v[6:7], 0x600
	v_lshl_add_u64 v[4:5], v[4:5], 2, v[6:7]
	v_mov_b32_e32 v6, v3
	v_mbcnt_lo_u32_b32 v1, -1, 0
	v_mov_b32_dpp v2, v4 quad_perm:[1,0,3,2] row_mask:0xf bank_mask:0xf bound_ctrl:1
	v_mov_b32_dpp v7, v5 quad_perm:[1,0,3,2] row_mask:0xf bank_mask:0xf bound_ctrl:1
	v_lshl_add_u64 v[4:5], v[4:5], 0, v[2:3]
	v_lshl_add_u64 v[6:7], v[6:7], 0, v[4:5]
	v_mbcnt_hi_u32_b32 v1, -1, v1
	v_mov_b32_dpp v2, v4 quad_perm:[2,3,0,1] row_mask:0xf bank_mask:0xf bound_ctrl:1
	v_mov_b32_dpp v5, v7 quad_perm:[2,3,0,1] row_mask:0xf bank_mask:0xf bound_ctrl:1
	v_mov_b32_e32 v4, v3
	v_lshl_add_u64 v[6:7], v[6:7], 0, v[2:3]
	v_lshl_add_u64 v[4:5], v[6:7], 0, v[4:5]
	v_cmp_eq_u32_e32 vcc, 0, v1
	v_mov_b32_dpp v2, v6 row_ror:4 row_mask:0xf bank_mask:0xf bound_ctrl:1
	v_mov_b32_dpp v7, v5 row_ror:4 row_mask:0xf bank_mask:0xf bound_ctrl:1
	v_mov_b32_e32 v6, v3
	v_lshl_add_u64 v[4:5], v[4:5], 0, v[2:3]
	v_lshl_add_u64 v[6:7], v[4:5], 0, v[6:7]
	s_nop 0
	v_mov_b32_dpp v2, v4 row_ror:8 row_mask:0xf bank_mask:0xf bound_ctrl:1
	v_mov_b32_dpp v5, v7 row_ror:8 row_mask:0xf bank_mask:0xf bound_ctrl:1
	v_mov_b32_e32 v4, v3
	v_lshl_add_u64 v[6:7], v[6:7], 0, v[2:3]
	v_lshl_add_u64 v[4:5], v[6:7], 0, v[4:5]
	s_nop 0
	v_mov_b32_dpp v2, v6 row_bcast:15 row_mask:0xf bank_mask:0xf bound_ctrl:1
	v_mov_b32_dpp v7, v5 row_bcast:15 row_mask:0xf bank_mask:0xf bound_ctrl:1
	v_mov_b32_e32 v6, v3
	v_lshl_add_u64 v[4:5], v[4:5], 0, v[2:3]
	v_lshl_add_u64 v[6:7], v[4:5], 0, v[6:7]
	s_nop 0
	v_mov_b32_dpp v2, v4 row_bcast:31 row_mask:0xf bank_mask:0xf bound_ctrl:1
	v_lshl_add_u64 v[2:3], v[6:7], 0, v[2:3]
	v_lshlrev_b32_e32 v4, 2, v1
	v_or_b32_e32 v5, 0xfc, v4
	v_add_u32_dpp v3, v7, v3 row_bcast:31 row_mask:0xf bank_mask:0xf bound_ctrl:1
	ds_bpermute_b32 v2, v5, v2
	ds_bpermute_b32 v3, v5, v3
	s_and_saveexec_b64 s[0:1], vcc
	s_cbranch_execz .LBB1028_50
; %bb.49:
	v_lshrrev_b32_e32 v5, 3, v0
	v_and_b32_e32 v5, 24, v5
	s_waitcnt lgkmcnt(0)
	ds_write_b64 v5, v[2:3] offset:96
.LBB1028_50:
	s_or_b64 exec, exec, s[0:1]
	v_cmp_gt_u32_e32 vcc, 64, v0
	s_waitcnt lgkmcnt(0)
	s_barrier
	s_and_saveexec_b64 s[0:1], vcc
	s_cbranch_execz .LBB1028_52
; %bb.51:
	v_and_b32_e32 v5, 3, v1
	v_lshlrev_b32_e32 v2, 3, v5
	ds_read_b64 v[2:3], v2 offset:96
	v_cmp_ne_u32_e32 vcc, 3, v5
	v_mov_b32_e32 v8, 0
	v_mov_b32_e32 v7, v8
	v_addc_co_u32_e32 v1, vcc, 0, v1, vcc
	v_lshlrev_b32_e32 v1, 2, v1
	s_waitcnt lgkmcnt(0)
	ds_bpermute_b32 v6, v1, v2
	ds_bpermute_b32 v9, v1, v3
	v_or_b32_e32 v1, 8, v4
	s_waitcnt lgkmcnt(1)
	v_lshl_add_u64 v[2:3], v[2:3], 0, v[6:7]
	s_waitcnt lgkmcnt(0)
	v_lshl_add_u64 v[4:5], v[8:9], 0, v[2:3]
	ds_bpermute_b32 v2, v1, v2
	ds_bpermute_b32 v9, v1, v5
	v_mov_b32_e32 v3, v8
	s_waitcnt lgkmcnt(1)
	v_lshl_add_u64 v[2:3], v[4:5], 0, v[2:3]
	s_waitcnt lgkmcnt(0)
	v_lshl_add_u64 v[2:3], v[2:3], 0, v[8:9]
.LBB1028_52:
	s_or_b64 exec, exec, s[0:1]
	s_branch .LBB1028_63
.LBB1028_53:
                                        ; implicit-def: $vgpr2_vgpr3
	s_cbranch_execz .LBB1028_63
; %bb.54:
	s_sub_i32 s5, s10, s4
	s_add_u32 s0, s8, s4
	s_addc_u32 s1, s9, 0
	s_waitcnt lgkmcnt(1)
	v_mov_b32_e32 v1, 0
	v_lshl_add_u64 v[2:3], s[0:1], 0, v[0:1]
	v_or_b32_e32 v4, 0x100, v0
	v_mov_b32_e32 v5, v1
	v_cmp_gt_u32_e32 vcc, s5, v0
	s_waitcnt lgkmcnt(0)
	v_lshl_add_u64 v[6:7], s[0:1], 0, v[4:5]
	v_or_b32_e32 v8, 0x200, v0
	v_mov_b32_e32 v9, v1
	v_cndmask_b32_e32 v3, 0, v3, vcc
	v_cndmask_b32_e32 v2, 0, v2, vcc
	v_cmp_gt_u32_e32 vcc, s5, v4
	v_lshl_add_u64 v[10:11], s[0:1], 0, v[8:9]
	v_or_b32_e32 v12, 0x300, v0
	v_mov_b32_e32 v13, v1
	v_cndmask_b32_e32 v5, 0, v7, vcc
	v_cndmask_b32_e32 v4, 0, v6, vcc
	v_cmp_gt_u32_e32 vcc, s5, v8
	v_lshl_add_u64 v[14:15], s[0:1], 0, v[12:13]
	s_min_u32 s6, s5, 0x100
	v_cndmask_b32_e32 v7, 0, v11, vcc
	v_cndmask_b32_e32 v6, 0, v10, vcc
	v_cmp_gt_u32_e32 vcc, s5, v12
	s_nop 1
	v_cndmask_b32_e32 v9, 0, v15, vcc
	v_cndmask_b32_e32 v8, 0, v14, vcc
	v_lshl_add_u64 v[6:7], v[8:9], 0, v[6:7]
	v_lshl_add_u64 v[2:3], v[6:7], 0, v[2:3]
	;; [unrolled: 1-line block ×3, first 2 shown]
	v_mbcnt_lo_u32_b32 v4, -1, 0
	v_mbcnt_hi_u32_b32 v8, -1, v4
	v_and_b32_e32 v10, 63, v8
	v_and_b32_e32 v4, 0xc0, v0
	v_cmp_ne_u32_e32 vcc, 63, v10
	v_sub_u32_e64 v9, s6, v4 clamp
	v_add_u32_e32 v11, 1, v10
	v_addc_co_u32_e32 v4, vcc, 0, v8, vcc
	v_lshlrev_b32_e32 v5, 2, v4
	ds_bpermute_b32 v4, v5, v2
	ds_bpermute_b32 v7, v5, v3
	v_mov_b32_e32 v5, v1
	v_mov_b32_e32 v6, v1
	v_cmp_lt_u32_e64 s[0:1], v11, v9
	s_waitcnt lgkmcnt(1)
	v_lshl_add_u64 v[4:5], v[2:3], 0, v[4:5]
	v_cmp_gt_u32_e32 vcc, 62, v10
	s_waitcnt lgkmcnt(0)
	v_lshl_add_u64 v[6:7], v[6:7], 0, v[4:5]
	v_cndmask_b32_e64 v1, v2, v4, s[0:1]
	v_cndmask_b32_e64 v4, 0, 2, vcc
	v_cndmask_b32_e64 v5, v3, v7, s[0:1]
	v_add_lshl_u32 v4, v4, v8, 2
	ds_bpermute_b32 v12, v4, v1
	ds_bpermute_b32 v13, v4, v5
	v_cndmask_b32_e64 v4, v2, v6, s[0:1]
	v_add_u32_e32 v11, 2, v10
	v_cmp_lt_u32_e32 vcc, v11, v9
	v_cmp_gt_u32_e64 s[4:5], 60, v10
	s_waitcnt lgkmcnt(0)
	v_lshl_add_u64 v[6:7], v[12:13], 0, v[4:5]
	v_cndmask_b32_e32 v5, v5, v7, vcc
	v_cndmask_b32_e64 v7, 0, 4, s[4:5]
	v_cndmask_b32_e32 v1, v1, v6, vcc
	v_add_lshl_u32 v7, v7, v8, 2
	ds_bpermute_b32 v12, v7, v1
	ds_bpermute_b32 v13, v7, v5
	v_cndmask_b32_e32 v4, v4, v6, vcc
	v_add_u32_e32 v11, 4, v10
	v_cmp_lt_u32_e32 vcc, v11, v9
	v_cmp_gt_u32_e64 s[4:5], 56, v10
	s_waitcnt lgkmcnt(0)
	v_lshl_add_u64 v[6:7], v[12:13], 0, v[4:5]
	v_cndmask_b32_e32 v5, v5, v7, vcc
	v_cndmask_b32_e64 v7, 0, 8, s[4:5]
	v_cndmask_b32_e32 v1, v1, v6, vcc
	v_add_lshl_u32 v7, v7, v8, 2
	ds_bpermute_b32 v12, v7, v1
	ds_bpermute_b32 v13, v7, v5
	v_cndmask_b32_e32 v4, v4, v6, vcc
	;; [unrolled: 12-line block ×3, first 2 shown]
	v_add_u32_e32 v11, 16, v10
	v_cmp_lt_u32_e32 vcc, v11, v9
	s_waitcnt lgkmcnt(0)
	v_lshl_add_u64 v[6:7], v[12:13], 0, v[4:5]
	v_cndmask_b32_e32 v11, v1, v6, vcc
	v_lshlrev_b32_e32 v1, 2, v8
	v_cndmask_b32_e32 v12, v5, v7, vcc
	v_or_b32_e32 v13, 0x80, v1
	ds_bpermute_b32 v11, v13, v11
	ds_bpermute_b32 v12, v13, v12
	s_and_saveexec_b64 s[4:5], s[0:1]
	s_cbranch_execz .LBB1028_56
; %bb.55:
	v_add_u32_e32 v10, 32, v10
	v_cndmask_b32_e32 v3, v5, v7, vcc
	v_cndmask_b32_e32 v2, v4, v6, vcc
	v_cmp_lt_u32_e32 vcc, v10, v9
	s_waitcnt lgkmcnt(0)
	s_nop 0
	v_cndmask_b32_e32 v5, 0, v12, vcc
	v_cndmask_b32_e32 v4, 0, v11, vcc
	v_lshl_add_u64 v[2:3], v[4:5], 0, v[2:3]
.LBB1028_56:
	s_or_b64 exec, exec, s[4:5]
	v_cmp_eq_u32_e32 vcc, 0, v8
	s_and_saveexec_b64 s[0:1], vcc
; %bb.57:
	v_lshrrev_b32_e32 v4, 3, v0
	v_and_b32_e32 v4, 24, v4
	ds_write_b64 v4, v[2:3] offset:160
; %bb.58:
	s_or_b64 exec, exec, s[0:1]
	v_cmp_gt_u32_e32 vcc, 4, v0
	s_waitcnt lgkmcnt(0)
	s_barrier
	s_and_saveexec_b64 s[0:1], vcc
	s_cbranch_execz .LBB1028_62
; %bb.59:
	v_lshlrev_b32_e32 v2, 3, v8
	ds_read_b64 v[2:3], v2 offset:160
	v_and_b32_e32 v6, 3, v8
	v_cmp_ne_u32_e32 vcc, 3, v6
	s_add_i32 s6, s6, 63
	s_lshr_b32 s6, s6, 6
	v_addc_co_u32_e32 v4, vcc, 0, v8, vcc
	v_lshlrev_b32_e32 v5, 2, v4
	s_waitcnt lgkmcnt(0)
	ds_bpermute_b32 v4, v5, v2
	ds_bpermute_b32 v9, v5, v3
	v_mov_b32_e32 v8, 0
	v_mov_b32_e32 v5, v8
	v_add_u32_e32 v7, 1, v6
	s_waitcnt lgkmcnt(1)
	v_lshl_add_u64 v[10:11], v[2:3], 0, v[4:5]
	s_waitcnt lgkmcnt(0)
	v_lshl_add_u64 v[4:5], v[8:9], 0, v[10:11]
	v_cmp_gt_u32_e32 vcc, s6, v7
	v_or_b32_e32 v9, 8, v1
	s_nop 0
	v_cndmask_b32_e32 v7, v3, v5, vcc
	v_cndmask_b32_e32 v8, v2, v10, vcc
	ds_bpermute_b32 v1, v9, v8
	ds_bpermute_b32 v7, v9, v7
	s_and_saveexec_b64 s[4:5], vcc
	s_cbranch_execz .LBB1028_61
; %bb.60:
	v_add_u32_e32 v2, 2, v6
	v_cmp_gt_u32_e32 vcc, s6, v2
	s_waitcnt lgkmcnt(0)
	s_nop 0
	v_cndmask_b32_e32 v3, 0, v7, vcc
	v_cndmask_b32_e32 v2, 0, v1, vcc
	v_lshl_add_u64 v[2:3], v[2:3], 0, v[4:5]
.LBB1028_61:
	s_or_b64 exec, exec, s[4:5]
.LBB1028_62:
	s_or_b64 exec, exec, s[0:1]
.LBB1028_63:
	v_cmp_eq_u32_e64 s[0:1], 0, v0
	v_mov_b64_e32 v[4:5], s[2:3]
.LBB1028_64:
	s_branch .LBB1028_104
.LBB1028_65:
	s_cmp_gt_i32 s16, 1
	s_cbranch_scc0 .LBB1028_73
; %bb.66:
	s_cmp_eq_u32 s16, 2
                                        ; implicit-def: $vgpr2_vgpr3
                                        ; implicit-def: $vgpr4_vgpr5
	s_cbranch_scc0 .LBB1028_74
; %bb.67:
	s_mov_b32 s3, 0
	s_lshl_b32 s4, s2, 9
	s_lshr_b64 s[0:1], s[10:11], 9
	s_cmp_lg_u64 s[0:1], s[2:3]
	s_cbranch_scc0 .LBB1028_75
; %bb.68:
	s_add_u32 s0, s8, s4
	s_waitcnt lgkmcnt(1)
	v_mov_b32_e32 v1, 0
	s_addc_u32 s1, s9, 0
	v_lshl_add_u64 v[2:3], s[0:1], 0, v[0:1]
	v_mov_b64_e32 v[4:5], 0x100
	v_lshl_add_u64 v[2:3], v[2:3], 1, v[4:5]
	s_waitcnt lgkmcnt(0)
	v_mov_b32_e32 v7, v1
	v_mov_b32_e32 v8, v1
	v_mov_b32_dpp v6, v2 quad_perm:[1,0,3,2] row_mask:0xf bank_mask:0xf bound_ctrl:1
	v_mov_b32_dpp v9, v3 quad_perm:[1,0,3,2] row_mask:0xf bank_mask:0xf bound_ctrl:1
	v_lshl_add_u64 v[2:3], v[2:3], 0, v[6:7]
	v_lshl_add_u64 v[6:7], v[8:9], 0, v[2:3]
	v_mov_b32_e32 v3, v1
	v_mov_b32_dpp v2, v2 quad_perm:[2,3,0,1] row_mask:0xf bank_mask:0xf bound_ctrl:1
	v_mov_b32_dpp v9, v7 quad_perm:[2,3,0,1] row_mask:0xf bank_mask:0xf bound_ctrl:1
	v_lshl_add_u64 v[2:3], v[6:7], 0, v[2:3]
	v_lshl_add_u64 v[6:7], v[2:3], 0, v[8:9]
	v_mov_b32_e32 v3, v1
	v_mov_b32_dpp v2, v2 row_ror:4 row_mask:0xf bank_mask:0xf bound_ctrl:1
	v_mov_b32_dpp v9, v7 row_ror:4 row_mask:0xf bank_mask:0xf bound_ctrl:1
	v_lshl_add_u64 v[2:3], v[6:7], 0, v[2:3]
	v_lshl_add_u64 v[6:7], v[2:3], 0, v[8:9]
	v_mov_b32_e32 v3, v1
	v_mov_b32_dpp v2, v2 row_ror:8 row_mask:0xf bank_mask:0xf bound_ctrl:1
	v_mov_b32_dpp v9, v7 row_ror:8 row_mask:0xf bank_mask:0xf bound_ctrl:1
	v_lshl_add_u64 v[2:3], v[6:7], 0, v[2:3]
	v_lshl_add_u64 v[6:7], v[2:3], 0, v[8:9]
	v_mov_b32_e32 v3, v1
	v_mov_b32_dpp v2, v2 row_bcast:15 row_mask:0xf bank_mask:0xf bound_ctrl:1
	v_mbcnt_lo_u32_b32 v4, -1, 0
	v_mov_b32_dpp v9, v7 row_bcast:15 row_mask:0xf bank_mask:0xf bound_ctrl:1
	v_lshl_add_u64 v[2:3], v[6:7], 0, v[2:3]
	v_mbcnt_hi_u32_b32 v4, -1, v4
	v_lshl_add_u64 v[6:7], v[2:3], 0, v[8:9]
	v_mov_b32_dpp v2, v2 row_bcast:31 row_mask:0xf bank_mask:0xf bound_ctrl:1
	v_mov_b32_e32 v3, v1
	v_lshl_add_u64 v[2:3], v[6:7], 0, v[2:3]
	v_lshlrev_b32_e32 v1, 2, v4
	v_or_b32_e32 v5, 0xfc, v1
	v_add_u32_dpp v3, v7, v3 row_bcast:31 row_mask:0xf bank_mask:0xf bound_ctrl:1
	ds_bpermute_b32 v2, v5, v2
	ds_bpermute_b32 v3, v5, v3
	v_cmp_eq_u32_e32 vcc, 0, v4
	s_and_saveexec_b64 s[0:1], vcc
	s_cbranch_execz .LBB1028_70
; %bb.69:
	v_lshrrev_b32_e32 v5, 3, v0
	v_and_b32_e32 v5, 24, v5
	s_waitcnt lgkmcnt(0)
	ds_write_b64 v5, v[2:3] offset:64
.LBB1028_70:
	s_or_b64 exec, exec, s[0:1]
	v_cmp_gt_u32_e32 vcc, 64, v0
	s_waitcnt lgkmcnt(0)
	s_barrier
	s_and_saveexec_b64 s[0:1], vcc
	s_cbranch_execz .LBB1028_72
; %bb.71:
	v_and_b32_e32 v5, 3, v4
	v_lshlrev_b32_e32 v2, 3, v5
	ds_read_b64 v[2:3], v2 offset:64
	v_cmp_ne_u32_e32 vcc, 3, v5
	v_mov_b32_e32 v6, 0
	v_or_b32_e32 v1, 8, v1
	v_addc_co_u32_e32 v4, vcc, 0, v4, vcc
	v_lshlrev_b32_e32 v5, 2, v4
	s_waitcnt lgkmcnt(0)
	ds_bpermute_b32 v4, v5, v2
	ds_bpermute_b32 v7, v5, v3
	v_mov_b32_e32 v5, v6
	s_waitcnt lgkmcnt(1)
	v_lshl_add_u64 v[2:3], v[2:3], 0, v[4:5]
	s_waitcnt lgkmcnt(0)
	v_lshl_add_u64 v[4:5], v[6:7], 0, v[2:3]
	ds_bpermute_b32 v2, v1, v2
	ds_bpermute_b32 v7, v1, v5
	v_mov_b32_e32 v3, v6
	s_waitcnt lgkmcnt(1)
	v_lshl_add_u64 v[2:3], v[4:5], 0, v[2:3]
	s_waitcnt lgkmcnt(0)
	v_lshl_add_u64 v[2:3], v[2:3], 0, v[6:7]
.LBB1028_72:
	s_or_b64 exec, exec, s[0:1]
	s_branch .LBB1028_85
.LBB1028_73:
                                        ; implicit-def: $vgpr2_vgpr3
                                        ; implicit-def: $vgpr4_vgpr5
	s_cbranch_execnz .LBB1028_86
	s_branch .LBB1028_104
.LBB1028_74:
	s_branch .LBB1028_104
.LBB1028_75:
                                        ; implicit-def: $vgpr2_vgpr3
	s_cbranch_execz .LBB1028_85
; %bb.76:
	s_sub_i32 s5, s10, s4
	s_add_u32 s0, s8, s4
	s_addc_u32 s1, s9, 0
	s_waitcnt lgkmcnt(1)
	v_mov_b32_e32 v1, 0
	v_lshl_add_u64 v[2:3], s[0:1], 0, v[0:1]
	v_or_b32_e32 v4, 0x100, v0
	v_mov_b32_e32 v5, v1
	v_cmp_gt_u32_e32 vcc, s5, v0
	s_waitcnt lgkmcnt(0)
	v_lshl_add_u64 v[6:7], s[0:1], 0, v[4:5]
	s_min_u32 s6, s5, 0x100
	v_cndmask_b32_e32 v3, 0, v3, vcc
	v_cndmask_b32_e32 v2, 0, v2, vcc
	v_cmp_gt_u32_e32 vcc, s5, v4
	s_nop 1
	v_cndmask_b32_e32 v5, 0, v7, vcc
	v_cndmask_b32_e32 v4, 0, v6, vcc
	v_lshl_add_u64 v[2:3], v[2:3], 0, v[4:5]
	v_mbcnt_lo_u32_b32 v4, -1, 0
	v_mbcnt_hi_u32_b32 v8, -1, v4
	v_and_b32_e32 v10, 63, v8
	v_and_b32_e32 v4, 0xc0, v0
	v_cmp_ne_u32_e32 vcc, 63, v10
	v_sub_u32_e64 v9, s6, v4 clamp
	v_add_u32_e32 v11, 1, v10
	v_addc_co_u32_e32 v4, vcc, 0, v8, vcc
	v_lshlrev_b32_e32 v5, 2, v4
	ds_bpermute_b32 v4, v5, v2
	ds_bpermute_b32 v7, v5, v3
	v_mov_b32_e32 v5, v1
	v_mov_b32_e32 v6, v1
	v_cmp_lt_u32_e64 s[0:1], v11, v9
	s_waitcnt lgkmcnt(1)
	v_lshl_add_u64 v[4:5], v[2:3], 0, v[4:5]
	v_cmp_gt_u32_e32 vcc, 62, v10
	s_waitcnt lgkmcnt(0)
	v_lshl_add_u64 v[6:7], v[6:7], 0, v[4:5]
	v_cndmask_b32_e64 v1, v2, v4, s[0:1]
	v_cndmask_b32_e64 v4, 0, 2, vcc
	v_cndmask_b32_e64 v5, v3, v7, s[0:1]
	v_add_lshl_u32 v4, v4, v8, 2
	ds_bpermute_b32 v12, v4, v1
	ds_bpermute_b32 v13, v4, v5
	v_cndmask_b32_e64 v4, v2, v6, s[0:1]
	v_add_u32_e32 v11, 2, v10
	v_cmp_lt_u32_e32 vcc, v11, v9
	v_cmp_gt_u32_e64 s[4:5], 60, v10
	s_waitcnt lgkmcnt(0)
	v_lshl_add_u64 v[6:7], v[12:13], 0, v[4:5]
	v_cndmask_b32_e32 v5, v5, v7, vcc
	v_cndmask_b32_e64 v7, 0, 4, s[4:5]
	v_cndmask_b32_e32 v1, v1, v6, vcc
	v_add_lshl_u32 v7, v7, v8, 2
	ds_bpermute_b32 v12, v7, v1
	ds_bpermute_b32 v13, v7, v5
	v_cndmask_b32_e32 v4, v4, v6, vcc
	v_add_u32_e32 v11, 4, v10
	v_cmp_lt_u32_e32 vcc, v11, v9
	v_cmp_gt_u32_e64 s[4:5], 56, v10
	s_waitcnt lgkmcnt(0)
	v_lshl_add_u64 v[6:7], v[12:13], 0, v[4:5]
	v_cndmask_b32_e32 v5, v5, v7, vcc
	v_cndmask_b32_e64 v7, 0, 8, s[4:5]
	v_cndmask_b32_e32 v1, v1, v6, vcc
	v_add_lshl_u32 v7, v7, v8, 2
	ds_bpermute_b32 v12, v7, v1
	ds_bpermute_b32 v13, v7, v5
	v_cndmask_b32_e32 v4, v4, v6, vcc
	;; [unrolled: 12-line block ×3, first 2 shown]
	v_add_u32_e32 v11, 16, v10
	v_cmp_lt_u32_e32 vcc, v11, v9
	s_waitcnt lgkmcnt(0)
	v_lshl_add_u64 v[6:7], v[12:13], 0, v[4:5]
	v_cndmask_b32_e32 v11, v1, v6, vcc
	v_lshlrev_b32_e32 v1, 2, v8
	v_cndmask_b32_e32 v12, v5, v7, vcc
	v_or_b32_e32 v13, 0x80, v1
	ds_bpermute_b32 v11, v13, v11
	ds_bpermute_b32 v12, v13, v12
	s_and_saveexec_b64 s[4:5], s[0:1]
	s_cbranch_execz .LBB1028_78
; %bb.77:
	v_add_u32_e32 v10, 32, v10
	v_cndmask_b32_e32 v3, v5, v7, vcc
	v_cndmask_b32_e32 v2, v4, v6, vcc
	v_cmp_lt_u32_e32 vcc, v10, v9
	s_waitcnt lgkmcnt(0)
	s_nop 0
	v_cndmask_b32_e32 v5, 0, v12, vcc
	v_cndmask_b32_e32 v4, 0, v11, vcc
	v_lshl_add_u64 v[2:3], v[4:5], 0, v[2:3]
.LBB1028_78:
	s_or_b64 exec, exec, s[4:5]
	v_cmp_eq_u32_e32 vcc, 0, v8
	s_and_saveexec_b64 s[0:1], vcc
; %bb.79:
	v_lshrrev_b32_e32 v4, 3, v0
	v_and_b32_e32 v4, 24, v4
	ds_write_b64 v4, v[2:3] offset:160
; %bb.80:
	s_or_b64 exec, exec, s[0:1]
	v_cmp_gt_u32_e32 vcc, 4, v0
	s_waitcnt lgkmcnt(0)
	s_barrier
	s_and_saveexec_b64 s[0:1], vcc
	s_cbranch_execz .LBB1028_84
; %bb.81:
	v_lshlrev_b32_e32 v2, 3, v8
	ds_read_b64 v[2:3], v2 offset:160
	v_and_b32_e32 v6, 3, v8
	v_cmp_ne_u32_e32 vcc, 3, v6
	s_add_i32 s6, s6, 63
	s_lshr_b32 s6, s6, 6
	v_addc_co_u32_e32 v4, vcc, 0, v8, vcc
	v_lshlrev_b32_e32 v5, 2, v4
	s_waitcnt lgkmcnt(0)
	ds_bpermute_b32 v4, v5, v2
	ds_bpermute_b32 v9, v5, v3
	v_mov_b32_e32 v8, 0
	v_mov_b32_e32 v5, v8
	v_add_u32_e32 v7, 1, v6
	s_waitcnt lgkmcnt(1)
	v_lshl_add_u64 v[10:11], v[2:3], 0, v[4:5]
	s_waitcnt lgkmcnt(0)
	v_lshl_add_u64 v[4:5], v[8:9], 0, v[10:11]
	v_cmp_gt_u32_e32 vcc, s6, v7
	v_or_b32_e32 v9, 8, v1
	s_nop 0
	v_cndmask_b32_e32 v7, v3, v5, vcc
	v_cndmask_b32_e32 v8, v2, v10, vcc
	ds_bpermute_b32 v1, v9, v8
	ds_bpermute_b32 v7, v9, v7
	s_and_saveexec_b64 s[4:5], vcc
	s_cbranch_execz .LBB1028_83
; %bb.82:
	v_add_u32_e32 v2, 2, v6
	v_cmp_gt_u32_e32 vcc, s6, v2
	s_waitcnt lgkmcnt(0)
	s_nop 0
	v_cndmask_b32_e32 v3, 0, v7, vcc
	v_cndmask_b32_e32 v2, 0, v1, vcc
	v_lshl_add_u64 v[2:3], v[2:3], 0, v[4:5]
.LBB1028_83:
	s_or_b64 exec, exec, s[4:5]
.LBB1028_84:
	s_or_b64 exec, exec, s[0:1]
.LBB1028_85:
	v_cmp_eq_u32_e64 s[0:1], 0, v0
	v_mov_b64_e32 v[4:5], s[2:3]
	s_branch .LBB1028_104
.LBB1028_86:
	s_cmp_eq_u32 s16, 1
                                        ; implicit-def: $vgpr2_vgpr3
                                        ; implicit-def: $vgpr4_vgpr5
	s_cbranch_scc0 .LBB1028_104
; %bb.87:
	s_lshl_b32 s4, s2, 8
	s_mov_b32 s3, 0
	s_lshr_b64 s[0:1], s[10:11], 8
	s_cmp_lg_u64 s[0:1], s[2:3]
	v_mbcnt_lo_u32_b32 v4, -1, 0
	s_cbranch_scc0 .LBB1028_93
; %bb.88:
	s_add_u32 s0, s8, s4
	s_waitcnt lgkmcnt(1)
	v_mov_b32_e32 v1, 0
	s_addc_u32 s1, s9, 0
	v_lshl_add_u64 v[2:3], s[0:1], 0, v[0:1]
	s_waitcnt lgkmcnt(0)
	v_mov_b32_e32 v7, v1
	v_mov_b32_e32 v8, v1
	v_mov_b32_dpp v6, v2 quad_perm:[1,0,3,2] row_mask:0xf bank_mask:0xf bound_ctrl:1
	v_mov_b32_dpp v9, v3 quad_perm:[1,0,3,2] row_mask:0xf bank_mask:0xf bound_ctrl:1
	v_lshl_add_u64 v[2:3], v[2:3], 0, v[6:7]
	v_lshl_add_u64 v[6:7], v[8:9], 0, v[2:3]
	v_mov_b32_e32 v3, v1
	v_mov_b32_dpp v2, v2 quad_perm:[2,3,0,1] row_mask:0xf bank_mask:0xf bound_ctrl:1
	v_mov_b32_dpp v9, v7 quad_perm:[2,3,0,1] row_mask:0xf bank_mask:0xf bound_ctrl:1
	v_lshl_add_u64 v[2:3], v[6:7], 0, v[2:3]
	v_lshl_add_u64 v[6:7], v[2:3], 0, v[8:9]
	v_mov_b32_e32 v3, v1
	v_mov_b32_dpp v2, v2 row_ror:4 row_mask:0xf bank_mask:0xf bound_ctrl:1
	v_mov_b32_dpp v9, v7 row_ror:4 row_mask:0xf bank_mask:0xf bound_ctrl:1
	v_lshl_add_u64 v[2:3], v[6:7], 0, v[2:3]
	v_lshl_add_u64 v[6:7], v[2:3], 0, v[8:9]
	v_mov_b32_e32 v3, v1
	v_mov_b32_dpp v2, v2 row_ror:8 row_mask:0xf bank_mask:0xf bound_ctrl:1
	v_mov_b32_dpp v9, v7 row_ror:8 row_mask:0xf bank_mask:0xf bound_ctrl:1
	v_lshl_add_u64 v[2:3], v[6:7], 0, v[2:3]
	v_lshl_add_u64 v[6:7], v[2:3], 0, v[8:9]
	v_mov_b32_e32 v3, v1
	v_mov_b32_dpp v2, v2 row_bcast:15 row_mask:0xf bank_mask:0xf bound_ctrl:1
	v_mov_b32_dpp v9, v7 row_bcast:15 row_mask:0xf bank_mask:0xf bound_ctrl:1
	v_lshl_add_u64 v[2:3], v[6:7], 0, v[2:3]
	v_mbcnt_hi_u32_b32 v5, -1, v4
	v_lshl_add_u64 v[6:7], v[2:3], 0, v[8:9]
	v_mov_b32_dpp v2, v2 row_bcast:31 row_mask:0xf bank_mask:0xf bound_ctrl:1
	v_mov_b32_e32 v3, v1
	v_lshl_add_u64 v[2:3], v[6:7], 0, v[2:3]
	v_lshlrev_b32_e32 v1, 2, v5
	v_or_b32_e32 v6, 0xfc, v1
	v_add_u32_dpp v3, v7, v3 row_bcast:31 row_mask:0xf bank_mask:0xf bound_ctrl:1
	ds_bpermute_b32 v2, v6, v2
	ds_bpermute_b32 v3, v6, v3
	v_cmp_eq_u32_e32 vcc, 0, v5
	s_and_saveexec_b64 s[0:1], vcc
	s_cbranch_execz .LBB1028_90
; %bb.89:
	v_lshrrev_b32_e32 v6, 3, v0
	v_and_b32_e32 v6, 24, v6
	s_waitcnt lgkmcnt(0)
	ds_write_b64 v6, v[2:3] offset:32
.LBB1028_90:
	s_or_b64 exec, exec, s[0:1]
	v_cmp_gt_u32_e32 vcc, 64, v0
	s_waitcnt lgkmcnt(0)
	s_barrier
	s_and_saveexec_b64 s[0:1], vcc
	s_cbranch_execz .LBB1028_92
; %bb.91:
	v_and_b32_e32 v6, 3, v5
	v_lshlrev_b32_e32 v2, 3, v6
	ds_read_b64 v[2:3], v2 offset:32
	v_cmp_ne_u32_e32 vcc, 3, v6
	v_mov_b32_e32 v8, 0
	v_mov_b32_e32 v7, v8
	v_addc_co_u32_e32 v5, vcc, 0, v5, vcc
	v_lshlrev_b32_e32 v5, 2, v5
	s_waitcnt lgkmcnt(0)
	ds_bpermute_b32 v6, v5, v2
	ds_bpermute_b32 v9, v5, v3
	v_or_b32_e32 v1, 8, v1
	s_waitcnt lgkmcnt(1)
	v_lshl_add_u64 v[2:3], v[2:3], 0, v[6:7]
	s_waitcnt lgkmcnt(0)
	v_lshl_add_u64 v[6:7], v[8:9], 0, v[2:3]
	ds_bpermute_b32 v2, v1, v2
	ds_bpermute_b32 v9, v1, v7
	v_mov_b32_e32 v3, v8
	s_waitcnt lgkmcnt(1)
	v_lshl_add_u64 v[2:3], v[6:7], 0, v[2:3]
	s_waitcnt lgkmcnt(0)
	v_lshl_add_u64 v[2:3], v[2:3], 0, v[8:9]
.LBB1028_92:
	s_or_b64 exec, exec, s[0:1]
	s_branch .LBB1028_103
.LBB1028_93:
                                        ; implicit-def: $vgpr2_vgpr3
	s_cbranch_execz .LBB1028_103
; %bb.94:
	s_sub_i32 s5, s10, s4
	v_mbcnt_hi_u32_b32 v8, -1, v4
	s_add_u32 s0, s8, s4
	v_and_b32_e32 v10, 63, v8
	s_addc_u32 s1, s9, 0
	s_min_u32 s6, s5, 0x100
	v_and_b32_e32 v4, 0xc0, v0
	v_cmp_ne_u32_e32 vcc, 63, v10
	s_waitcnt lgkmcnt(1)
	v_mov_b32_e32 v1, 0
	v_sub_u32_e64 v9, s6, v4 clamp
	v_addc_co_u32_e32 v4, vcc, 0, v8, vcc
	v_lshl_add_u64 v[2:3], s[0:1], 0, v[0:1]
	v_lshlrev_b32_e32 v5, 2, v4
	ds_bpermute_b32 v4, v5, v2
	s_waitcnt lgkmcnt(1)
	ds_bpermute_b32 v7, v5, v3
	v_add_u32_e32 v11, 1, v10
	v_mov_b32_e32 v5, v1
	v_mov_b32_e32 v6, v1
	s_waitcnt lgkmcnt(1)
	v_lshl_add_u64 v[4:5], v[2:3], 0, v[4:5]
	v_cmp_lt_u32_e64 s[0:1], v11, v9
	v_cmp_gt_u32_e32 vcc, 62, v10
	s_waitcnt lgkmcnt(0)
	v_lshl_add_u64 v[6:7], v[6:7], 0, v[4:5]
	v_cndmask_b32_e64 v1, v2, v4, s[0:1]
	v_cndmask_b32_e64 v4, 0, 2, vcc
	v_cndmask_b32_e64 v5, v3, v7, s[0:1]
	v_add_lshl_u32 v4, v4, v8, 2
	ds_bpermute_b32 v12, v4, v1
	ds_bpermute_b32 v13, v4, v5
	v_cndmask_b32_e64 v4, v2, v6, s[0:1]
	v_add_u32_e32 v11, 2, v10
	v_cmp_lt_u32_e32 vcc, v11, v9
	v_cmp_gt_u32_e64 s[4:5], 60, v10
	s_waitcnt lgkmcnt(0)
	v_lshl_add_u64 v[6:7], v[12:13], 0, v[4:5]
	v_cndmask_b32_e32 v5, v5, v7, vcc
	v_cndmask_b32_e64 v7, 0, 4, s[4:5]
	v_cndmask_b32_e32 v1, v1, v6, vcc
	v_add_lshl_u32 v7, v7, v8, 2
	ds_bpermute_b32 v12, v7, v1
	ds_bpermute_b32 v13, v7, v5
	v_cndmask_b32_e32 v4, v4, v6, vcc
	v_add_u32_e32 v11, 4, v10
	v_cmp_lt_u32_e32 vcc, v11, v9
	v_cmp_gt_u32_e64 s[4:5], 56, v10
	s_waitcnt lgkmcnt(0)
	v_lshl_add_u64 v[6:7], v[12:13], 0, v[4:5]
	v_cndmask_b32_e32 v5, v5, v7, vcc
	v_cndmask_b32_e64 v7, 0, 8, s[4:5]
	v_cndmask_b32_e32 v1, v1, v6, vcc
	v_add_lshl_u32 v7, v7, v8, 2
	ds_bpermute_b32 v12, v7, v1
	ds_bpermute_b32 v13, v7, v5
	v_cndmask_b32_e32 v4, v4, v6, vcc
	;; [unrolled: 12-line block ×3, first 2 shown]
	v_add_u32_e32 v11, 16, v10
	v_cmp_lt_u32_e32 vcc, v11, v9
	s_waitcnt lgkmcnt(0)
	v_lshl_add_u64 v[6:7], v[12:13], 0, v[4:5]
	v_cndmask_b32_e32 v11, v1, v6, vcc
	v_lshlrev_b32_e32 v1, 2, v8
	v_cndmask_b32_e32 v12, v5, v7, vcc
	v_or_b32_e32 v13, 0x80, v1
	ds_bpermute_b32 v11, v13, v11
	ds_bpermute_b32 v12, v13, v12
	s_and_saveexec_b64 s[4:5], s[0:1]
	s_cbranch_execz .LBB1028_96
; %bb.95:
	v_add_u32_e32 v10, 32, v10
	v_cndmask_b32_e32 v3, v5, v7, vcc
	v_cndmask_b32_e32 v2, v4, v6, vcc
	v_cmp_lt_u32_e32 vcc, v10, v9
	s_waitcnt lgkmcnt(0)
	s_nop 0
	v_cndmask_b32_e32 v5, 0, v12, vcc
	v_cndmask_b32_e32 v4, 0, v11, vcc
	v_lshl_add_u64 v[2:3], v[4:5], 0, v[2:3]
.LBB1028_96:
	s_or_b64 exec, exec, s[4:5]
	v_cmp_eq_u32_e32 vcc, 0, v8
	s_and_saveexec_b64 s[0:1], vcc
; %bb.97:
	v_lshrrev_b32_e32 v4, 3, v0
	v_and_b32_e32 v4, 24, v4
	ds_write_b64 v4, v[2:3] offset:160
; %bb.98:
	s_or_b64 exec, exec, s[0:1]
	v_cmp_gt_u32_e32 vcc, 4, v0
	s_waitcnt lgkmcnt(0)
	s_barrier
	s_and_saveexec_b64 s[0:1], vcc
	s_cbranch_execz .LBB1028_102
; %bb.99:
	v_lshlrev_b32_e32 v2, 3, v8
	ds_read_b64 v[2:3], v2 offset:160
	v_and_b32_e32 v6, 3, v8
	v_cmp_ne_u32_e32 vcc, 3, v6
	s_add_i32 s6, s6, 63
	s_lshr_b32 s6, s6, 6
	v_addc_co_u32_e32 v4, vcc, 0, v8, vcc
	v_lshlrev_b32_e32 v5, 2, v4
	s_waitcnt lgkmcnt(0)
	ds_bpermute_b32 v4, v5, v2
	ds_bpermute_b32 v9, v5, v3
	v_mov_b32_e32 v8, 0
	v_mov_b32_e32 v5, v8
	v_add_u32_e32 v7, 1, v6
	s_waitcnt lgkmcnt(1)
	v_lshl_add_u64 v[10:11], v[2:3], 0, v[4:5]
	s_waitcnt lgkmcnt(0)
	v_lshl_add_u64 v[4:5], v[8:9], 0, v[10:11]
	v_cmp_gt_u32_e32 vcc, s6, v7
	v_or_b32_e32 v9, 8, v1
	s_nop 0
	v_cndmask_b32_e32 v7, v3, v5, vcc
	v_cndmask_b32_e32 v8, v2, v10, vcc
	ds_bpermute_b32 v1, v9, v8
	ds_bpermute_b32 v7, v9, v7
	s_and_saveexec_b64 s[4:5], vcc
	s_cbranch_execz .LBB1028_101
; %bb.100:
	v_add_u32_e32 v2, 2, v6
	v_cmp_gt_u32_e32 vcc, s6, v2
	s_waitcnt lgkmcnt(0)
	s_nop 0
	v_cndmask_b32_e32 v3, 0, v7, vcc
	v_cndmask_b32_e32 v2, 0, v1, vcc
	v_lshl_add_u64 v[2:3], v[2:3], 0, v[4:5]
.LBB1028_101:
	s_or_b64 exec, exec, s[4:5]
.LBB1028_102:
	s_or_b64 exec, exec, s[0:1]
.LBB1028_103:
	v_cmp_eq_u32_e64 s[0:1], 0, v0
	v_mov_b64_e32 v[4:5], s[2:3]
.LBB1028_104:
	s_and_saveexec_b64 s[2:3], s[0:1]
	s_cbranch_execz .LBB1028_106
; %bb.105:
	s_cmp_lg_u64 s[10:11], 0
	s_cselect_b64 vcc, -1, 0
	s_waitcnt lgkmcnt(1)
	v_lshlrev_b64 v[0:1], 3, v[4:5]
	v_cndmask_b32_e32 v3, 0, v3, vcc
	v_cndmask_b32_e32 v2, 0, v2, vcc
	v_lshl_add_u64 v[0:1], s[12:13], 0, v[0:1]
	v_lshl_add_u64 v[2:3], v[2:3], 0, s[14:15]
	global_store_dwordx2 v[0:1], v[2:3], off
.LBB1028_106:
	s_endpgm
	.section	.rodata,"a",@progbits
	.p2align	6, 0x0
	.amdhsa_kernel _ZN7rocprim17ROCPRIM_400000_NS6detail17trampoline_kernelINS0_14default_configENS1_22reduce_config_selectorIyEEZNS1_11reduce_implILb1ES3_N6thrust23THRUST_200600_302600_NS17counting_iteratorIyNS8_11hip_rocprim3tagENS8_11use_defaultESC_EEPyyNS8_4plusIyEEEE10hipError_tPvRmT1_T2_T3_mT4_P12ihipStream_tbEUlT_E1_NS1_11comp_targetILNS1_3genE0ELNS1_11target_archE4294967295ELNS1_3gpuE0ELNS1_3repE0EEENS1_30default_config_static_selectorELNS0_4arch9wavefront6targetE1EEEvSK_
		.amdhsa_group_segment_fixed_size 192
		.amdhsa_private_segment_fixed_size 0
		.amdhsa_kernarg_size 48
		.amdhsa_user_sgpr_count 2
		.amdhsa_user_sgpr_dispatch_ptr 0
		.amdhsa_user_sgpr_queue_ptr 0
		.amdhsa_user_sgpr_kernarg_segment_ptr 1
		.amdhsa_user_sgpr_dispatch_id 0
		.amdhsa_user_sgpr_kernarg_preload_length 0
		.amdhsa_user_sgpr_kernarg_preload_offset 0
		.amdhsa_user_sgpr_private_segment_size 0
		.amdhsa_uses_dynamic_stack 0
		.amdhsa_enable_private_segment 0
		.amdhsa_system_sgpr_workgroup_id_x 1
		.amdhsa_system_sgpr_workgroup_id_y 0
		.amdhsa_system_sgpr_workgroup_id_z 0
		.amdhsa_system_sgpr_workgroup_info 0
		.amdhsa_system_vgpr_workitem_id 0
		.amdhsa_next_free_vgpr 60
		.amdhsa_next_free_sgpr 18
		.amdhsa_accum_offset 60
		.amdhsa_reserve_vcc 1
		.amdhsa_float_round_mode_32 0
		.amdhsa_float_round_mode_16_64 0
		.amdhsa_float_denorm_mode_32 3
		.amdhsa_float_denorm_mode_16_64 3
		.amdhsa_dx10_clamp 1
		.amdhsa_ieee_mode 1
		.amdhsa_fp16_overflow 0
		.amdhsa_tg_split 0
		.amdhsa_exception_fp_ieee_invalid_op 0
		.amdhsa_exception_fp_denorm_src 0
		.amdhsa_exception_fp_ieee_div_zero 0
		.amdhsa_exception_fp_ieee_overflow 0
		.amdhsa_exception_fp_ieee_underflow 0
		.amdhsa_exception_fp_ieee_inexact 0
		.amdhsa_exception_int_div_zero 0
	.end_amdhsa_kernel
	.section	.text._ZN7rocprim17ROCPRIM_400000_NS6detail17trampoline_kernelINS0_14default_configENS1_22reduce_config_selectorIyEEZNS1_11reduce_implILb1ES3_N6thrust23THRUST_200600_302600_NS17counting_iteratorIyNS8_11hip_rocprim3tagENS8_11use_defaultESC_EEPyyNS8_4plusIyEEEE10hipError_tPvRmT1_T2_T3_mT4_P12ihipStream_tbEUlT_E1_NS1_11comp_targetILNS1_3genE0ELNS1_11target_archE4294967295ELNS1_3gpuE0ELNS1_3repE0EEENS1_30default_config_static_selectorELNS0_4arch9wavefront6targetE1EEEvSK_,"axG",@progbits,_ZN7rocprim17ROCPRIM_400000_NS6detail17trampoline_kernelINS0_14default_configENS1_22reduce_config_selectorIyEEZNS1_11reduce_implILb1ES3_N6thrust23THRUST_200600_302600_NS17counting_iteratorIyNS8_11hip_rocprim3tagENS8_11use_defaultESC_EEPyyNS8_4plusIyEEEE10hipError_tPvRmT1_T2_T3_mT4_P12ihipStream_tbEUlT_E1_NS1_11comp_targetILNS1_3genE0ELNS1_11target_archE4294967295ELNS1_3gpuE0ELNS1_3repE0EEENS1_30default_config_static_selectorELNS0_4arch9wavefront6targetE1EEEvSK_,comdat
.Lfunc_end1028:
	.size	_ZN7rocprim17ROCPRIM_400000_NS6detail17trampoline_kernelINS0_14default_configENS1_22reduce_config_selectorIyEEZNS1_11reduce_implILb1ES3_N6thrust23THRUST_200600_302600_NS17counting_iteratorIyNS8_11hip_rocprim3tagENS8_11use_defaultESC_EEPyyNS8_4plusIyEEEE10hipError_tPvRmT1_T2_T3_mT4_P12ihipStream_tbEUlT_E1_NS1_11comp_targetILNS1_3genE0ELNS1_11target_archE4294967295ELNS1_3gpuE0ELNS1_3repE0EEENS1_30default_config_static_selectorELNS0_4arch9wavefront6targetE1EEEvSK_, .Lfunc_end1028-_ZN7rocprim17ROCPRIM_400000_NS6detail17trampoline_kernelINS0_14default_configENS1_22reduce_config_selectorIyEEZNS1_11reduce_implILb1ES3_N6thrust23THRUST_200600_302600_NS17counting_iteratorIyNS8_11hip_rocprim3tagENS8_11use_defaultESC_EEPyyNS8_4plusIyEEEE10hipError_tPvRmT1_T2_T3_mT4_P12ihipStream_tbEUlT_E1_NS1_11comp_targetILNS1_3genE0ELNS1_11target_archE4294967295ELNS1_3gpuE0ELNS1_3repE0EEENS1_30default_config_static_selectorELNS0_4arch9wavefront6targetE1EEEvSK_
                                        ; -- End function
	.set _ZN7rocprim17ROCPRIM_400000_NS6detail17trampoline_kernelINS0_14default_configENS1_22reduce_config_selectorIyEEZNS1_11reduce_implILb1ES3_N6thrust23THRUST_200600_302600_NS17counting_iteratorIyNS8_11hip_rocprim3tagENS8_11use_defaultESC_EEPyyNS8_4plusIyEEEE10hipError_tPvRmT1_T2_T3_mT4_P12ihipStream_tbEUlT_E1_NS1_11comp_targetILNS1_3genE0ELNS1_11target_archE4294967295ELNS1_3gpuE0ELNS1_3repE0EEENS1_30default_config_static_selectorELNS0_4arch9wavefront6targetE1EEEvSK_.num_vgpr, 60
	.set _ZN7rocprim17ROCPRIM_400000_NS6detail17trampoline_kernelINS0_14default_configENS1_22reduce_config_selectorIyEEZNS1_11reduce_implILb1ES3_N6thrust23THRUST_200600_302600_NS17counting_iteratorIyNS8_11hip_rocprim3tagENS8_11use_defaultESC_EEPyyNS8_4plusIyEEEE10hipError_tPvRmT1_T2_T3_mT4_P12ihipStream_tbEUlT_E1_NS1_11comp_targetILNS1_3genE0ELNS1_11target_archE4294967295ELNS1_3gpuE0ELNS1_3repE0EEENS1_30default_config_static_selectorELNS0_4arch9wavefront6targetE1EEEvSK_.num_agpr, 0
	.set _ZN7rocprim17ROCPRIM_400000_NS6detail17trampoline_kernelINS0_14default_configENS1_22reduce_config_selectorIyEEZNS1_11reduce_implILb1ES3_N6thrust23THRUST_200600_302600_NS17counting_iteratorIyNS8_11hip_rocprim3tagENS8_11use_defaultESC_EEPyyNS8_4plusIyEEEE10hipError_tPvRmT1_T2_T3_mT4_P12ihipStream_tbEUlT_E1_NS1_11comp_targetILNS1_3genE0ELNS1_11target_archE4294967295ELNS1_3gpuE0ELNS1_3repE0EEENS1_30default_config_static_selectorELNS0_4arch9wavefront6targetE1EEEvSK_.numbered_sgpr, 18
	.set _ZN7rocprim17ROCPRIM_400000_NS6detail17trampoline_kernelINS0_14default_configENS1_22reduce_config_selectorIyEEZNS1_11reduce_implILb1ES3_N6thrust23THRUST_200600_302600_NS17counting_iteratorIyNS8_11hip_rocprim3tagENS8_11use_defaultESC_EEPyyNS8_4plusIyEEEE10hipError_tPvRmT1_T2_T3_mT4_P12ihipStream_tbEUlT_E1_NS1_11comp_targetILNS1_3genE0ELNS1_11target_archE4294967295ELNS1_3gpuE0ELNS1_3repE0EEENS1_30default_config_static_selectorELNS0_4arch9wavefront6targetE1EEEvSK_.num_named_barrier, 0
	.set _ZN7rocprim17ROCPRIM_400000_NS6detail17trampoline_kernelINS0_14default_configENS1_22reduce_config_selectorIyEEZNS1_11reduce_implILb1ES3_N6thrust23THRUST_200600_302600_NS17counting_iteratorIyNS8_11hip_rocprim3tagENS8_11use_defaultESC_EEPyyNS8_4plusIyEEEE10hipError_tPvRmT1_T2_T3_mT4_P12ihipStream_tbEUlT_E1_NS1_11comp_targetILNS1_3genE0ELNS1_11target_archE4294967295ELNS1_3gpuE0ELNS1_3repE0EEENS1_30default_config_static_selectorELNS0_4arch9wavefront6targetE1EEEvSK_.private_seg_size, 0
	.set _ZN7rocprim17ROCPRIM_400000_NS6detail17trampoline_kernelINS0_14default_configENS1_22reduce_config_selectorIyEEZNS1_11reduce_implILb1ES3_N6thrust23THRUST_200600_302600_NS17counting_iteratorIyNS8_11hip_rocprim3tagENS8_11use_defaultESC_EEPyyNS8_4plusIyEEEE10hipError_tPvRmT1_T2_T3_mT4_P12ihipStream_tbEUlT_E1_NS1_11comp_targetILNS1_3genE0ELNS1_11target_archE4294967295ELNS1_3gpuE0ELNS1_3repE0EEENS1_30default_config_static_selectorELNS0_4arch9wavefront6targetE1EEEvSK_.uses_vcc, 1
	.set _ZN7rocprim17ROCPRIM_400000_NS6detail17trampoline_kernelINS0_14default_configENS1_22reduce_config_selectorIyEEZNS1_11reduce_implILb1ES3_N6thrust23THRUST_200600_302600_NS17counting_iteratorIyNS8_11hip_rocprim3tagENS8_11use_defaultESC_EEPyyNS8_4plusIyEEEE10hipError_tPvRmT1_T2_T3_mT4_P12ihipStream_tbEUlT_E1_NS1_11comp_targetILNS1_3genE0ELNS1_11target_archE4294967295ELNS1_3gpuE0ELNS1_3repE0EEENS1_30default_config_static_selectorELNS0_4arch9wavefront6targetE1EEEvSK_.uses_flat_scratch, 0
	.set _ZN7rocprim17ROCPRIM_400000_NS6detail17trampoline_kernelINS0_14default_configENS1_22reduce_config_selectorIyEEZNS1_11reduce_implILb1ES3_N6thrust23THRUST_200600_302600_NS17counting_iteratorIyNS8_11hip_rocprim3tagENS8_11use_defaultESC_EEPyyNS8_4plusIyEEEE10hipError_tPvRmT1_T2_T3_mT4_P12ihipStream_tbEUlT_E1_NS1_11comp_targetILNS1_3genE0ELNS1_11target_archE4294967295ELNS1_3gpuE0ELNS1_3repE0EEENS1_30default_config_static_selectorELNS0_4arch9wavefront6targetE1EEEvSK_.has_dyn_sized_stack, 0
	.set _ZN7rocprim17ROCPRIM_400000_NS6detail17trampoline_kernelINS0_14default_configENS1_22reduce_config_selectorIyEEZNS1_11reduce_implILb1ES3_N6thrust23THRUST_200600_302600_NS17counting_iteratorIyNS8_11hip_rocprim3tagENS8_11use_defaultESC_EEPyyNS8_4plusIyEEEE10hipError_tPvRmT1_T2_T3_mT4_P12ihipStream_tbEUlT_E1_NS1_11comp_targetILNS1_3genE0ELNS1_11target_archE4294967295ELNS1_3gpuE0ELNS1_3repE0EEENS1_30default_config_static_selectorELNS0_4arch9wavefront6targetE1EEEvSK_.has_recursion, 0
	.set _ZN7rocprim17ROCPRIM_400000_NS6detail17trampoline_kernelINS0_14default_configENS1_22reduce_config_selectorIyEEZNS1_11reduce_implILb1ES3_N6thrust23THRUST_200600_302600_NS17counting_iteratorIyNS8_11hip_rocprim3tagENS8_11use_defaultESC_EEPyyNS8_4plusIyEEEE10hipError_tPvRmT1_T2_T3_mT4_P12ihipStream_tbEUlT_E1_NS1_11comp_targetILNS1_3genE0ELNS1_11target_archE4294967295ELNS1_3gpuE0ELNS1_3repE0EEENS1_30default_config_static_selectorELNS0_4arch9wavefront6targetE1EEEvSK_.has_indirect_call, 0
	.section	.AMDGPU.csdata,"",@progbits
; Kernel info:
; codeLenInByte = 7740
; TotalNumSgprs: 24
; NumVgprs: 60
; NumAgprs: 0
; TotalNumVgprs: 60
; ScratchSize: 0
; MemoryBound: 0
; FloatMode: 240
; IeeeMode: 1
; LDSByteSize: 192 bytes/workgroup (compile time only)
; SGPRBlocks: 2
; VGPRBlocks: 7
; NumSGPRsForWavesPerEU: 24
; NumVGPRsForWavesPerEU: 60
; AccumOffset: 60
; Occupancy: 8
; WaveLimiterHint : 0
; COMPUTE_PGM_RSRC2:SCRATCH_EN: 0
; COMPUTE_PGM_RSRC2:USER_SGPR: 2
; COMPUTE_PGM_RSRC2:TRAP_HANDLER: 0
; COMPUTE_PGM_RSRC2:TGID_X_EN: 1
; COMPUTE_PGM_RSRC2:TGID_Y_EN: 0
; COMPUTE_PGM_RSRC2:TGID_Z_EN: 0
; COMPUTE_PGM_RSRC2:TIDIG_COMP_CNT: 0
; COMPUTE_PGM_RSRC3_GFX90A:ACCUM_OFFSET: 14
; COMPUTE_PGM_RSRC3_GFX90A:TG_SPLIT: 0
	.section	.text._ZN7rocprim17ROCPRIM_400000_NS6detail17trampoline_kernelINS0_14default_configENS1_22reduce_config_selectorIyEEZNS1_11reduce_implILb1ES3_N6thrust23THRUST_200600_302600_NS17counting_iteratorIyNS8_11hip_rocprim3tagENS8_11use_defaultESC_EEPyyNS8_4plusIyEEEE10hipError_tPvRmT1_T2_T3_mT4_P12ihipStream_tbEUlT_E1_NS1_11comp_targetILNS1_3genE5ELNS1_11target_archE942ELNS1_3gpuE9ELNS1_3repE0EEENS1_30default_config_static_selectorELNS0_4arch9wavefront6targetE1EEEvSK_,"axG",@progbits,_ZN7rocprim17ROCPRIM_400000_NS6detail17trampoline_kernelINS0_14default_configENS1_22reduce_config_selectorIyEEZNS1_11reduce_implILb1ES3_N6thrust23THRUST_200600_302600_NS17counting_iteratorIyNS8_11hip_rocprim3tagENS8_11use_defaultESC_EEPyyNS8_4plusIyEEEE10hipError_tPvRmT1_T2_T3_mT4_P12ihipStream_tbEUlT_E1_NS1_11comp_targetILNS1_3genE5ELNS1_11target_archE942ELNS1_3gpuE9ELNS1_3repE0EEENS1_30default_config_static_selectorELNS0_4arch9wavefront6targetE1EEEvSK_,comdat
	.protected	_ZN7rocprim17ROCPRIM_400000_NS6detail17trampoline_kernelINS0_14default_configENS1_22reduce_config_selectorIyEEZNS1_11reduce_implILb1ES3_N6thrust23THRUST_200600_302600_NS17counting_iteratorIyNS8_11hip_rocprim3tagENS8_11use_defaultESC_EEPyyNS8_4plusIyEEEE10hipError_tPvRmT1_T2_T3_mT4_P12ihipStream_tbEUlT_E1_NS1_11comp_targetILNS1_3genE5ELNS1_11target_archE942ELNS1_3gpuE9ELNS1_3repE0EEENS1_30default_config_static_selectorELNS0_4arch9wavefront6targetE1EEEvSK_ ; -- Begin function _ZN7rocprim17ROCPRIM_400000_NS6detail17trampoline_kernelINS0_14default_configENS1_22reduce_config_selectorIyEEZNS1_11reduce_implILb1ES3_N6thrust23THRUST_200600_302600_NS17counting_iteratorIyNS8_11hip_rocprim3tagENS8_11use_defaultESC_EEPyyNS8_4plusIyEEEE10hipError_tPvRmT1_T2_T3_mT4_P12ihipStream_tbEUlT_E1_NS1_11comp_targetILNS1_3genE5ELNS1_11target_archE942ELNS1_3gpuE9ELNS1_3repE0EEENS1_30default_config_static_selectorELNS0_4arch9wavefront6targetE1EEEvSK_
	.globl	_ZN7rocprim17ROCPRIM_400000_NS6detail17trampoline_kernelINS0_14default_configENS1_22reduce_config_selectorIyEEZNS1_11reduce_implILb1ES3_N6thrust23THRUST_200600_302600_NS17counting_iteratorIyNS8_11hip_rocprim3tagENS8_11use_defaultESC_EEPyyNS8_4plusIyEEEE10hipError_tPvRmT1_T2_T3_mT4_P12ihipStream_tbEUlT_E1_NS1_11comp_targetILNS1_3genE5ELNS1_11target_archE942ELNS1_3gpuE9ELNS1_3repE0EEENS1_30default_config_static_selectorELNS0_4arch9wavefront6targetE1EEEvSK_
	.p2align	8
	.type	_ZN7rocprim17ROCPRIM_400000_NS6detail17trampoline_kernelINS0_14default_configENS1_22reduce_config_selectorIyEEZNS1_11reduce_implILb1ES3_N6thrust23THRUST_200600_302600_NS17counting_iteratorIyNS8_11hip_rocprim3tagENS8_11use_defaultESC_EEPyyNS8_4plusIyEEEE10hipError_tPvRmT1_T2_T3_mT4_P12ihipStream_tbEUlT_E1_NS1_11comp_targetILNS1_3genE5ELNS1_11target_archE942ELNS1_3gpuE9ELNS1_3repE0EEENS1_30default_config_static_selectorELNS0_4arch9wavefront6targetE1EEEvSK_,@function
_ZN7rocprim17ROCPRIM_400000_NS6detail17trampoline_kernelINS0_14default_configENS1_22reduce_config_selectorIyEEZNS1_11reduce_implILb1ES3_N6thrust23THRUST_200600_302600_NS17counting_iteratorIyNS8_11hip_rocprim3tagENS8_11use_defaultESC_EEPyyNS8_4plusIyEEEE10hipError_tPvRmT1_T2_T3_mT4_P12ihipStream_tbEUlT_E1_NS1_11comp_targetILNS1_3genE5ELNS1_11target_archE942ELNS1_3gpuE9ELNS1_3repE0EEENS1_30default_config_static_selectorELNS0_4arch9wavefront6targetE1EEEvSK_: ; @_ZN7rocprim17ROCPRIM_400000_NS6detail17trampoline_kernelINS0_14default_configENS1_22reduce_config_selectorIyEEZNS1_11reduce_implILb1ES3_N6thrust23THRUST_200600_302600_NS17counting_iteratorIyNS8_11hip_rocprim3tagENS8_11use_defaultESC_EEPyyNS8_4plusIyEEEE10hipError_tPvRmT1_T2_T3_mT4_P12ihipStream_tbEUlT_E1_NS1_11comp_targetILNS1_3genE5ELNS1_11target_archE942ELNS1_3gpuE9ELNS1_3repE0EEENS1_30default_config_static_selectorELNS0_4arch9wavefront6targetE1EEEvSK_
; %bb.0:
	.section	.rodata,"a",@progbits
	.p2align	6, 0x0
	.amdhsa_kernel _ZN7rocprim17ROCPRIM_400000_NS6detail17trampoline_kernelINS0_14default_configENS1_22reduce_config_selectorIyEEZNS1_11reduce_implILb1ES3_N6thrust23THRUST_200600_302600_NS17counting_iteratorIyNS8_11hip_rocprim3tagENS8_11use_defaultESC_EEPyyNS8_4plusIyEEEE10hipError_tPvRmT1_T2_T3_mT4_P12ihipStream_tbEUlT_E1_NS1_11comp_targetILNS1_3genE5ELNS1_11target_archE942ELNS1_3gpuE9ELNS1_3repE0EEENS1_30default_config_static_selectorELNS0_4arch9wavefront6targetE1EEEvSK_
		.amdhsa_group_segment_fixed_size 0
		.amdhsa_private_segment_fixed_size 0
		.amdhsa_kernarg_size 48
		.amdhsa_user_sgpr_count 2
		.amdhsa_user_sgpr_dispatch_ptr 0
		.amdhsa_user_sgpr_queue_ptr 0
		.amdhsa_user_sgpr_kernarg_segment_ptr 1
		.amdhsa_user_sgpr_dispatch_id 0
		.amdhsa_user_sgpr_kernarg_preload_length 0
		.amdhsa_user_sgpr_kernarg_preload_offset 0
		.amdhsa_user_sgpr_private_segment_size 0
		.amdhsa_uses_dynamic_stack 0
		.amdhsa_enable_private_segment 0
		.amdhsa_system_sgpr_workgroup_id_x 1
		.amdhsa_system_sgpr_workgroup_id_y 0
		.amdhsa_system_sgpr_workgroup_id_z 0
		.amdhsa_system_sgpr_workgroup_info 0
		.amdhsa_system_vgpr_workitem_id 0
		.amdhsa_next_free_vgpr 1
		.amdhsa_next_free_sgpr 0
		.amdhsa_accum_offset 4
		.amdhsa_reserve_vcc 0
		.amdhsa_float_round_mode_32 0
		.amdhsa_float_round_mode_16_64 0
		.amdhsa_float_denorm_mode_32 3
		.amdhsa_float_denorm_mode_16_64 3
		.amdhsa_dx10_clamp 1
		.amdhsa_ieee_mode 1
		.amdhsa_fp16_overflow 0
		.amdhsa_tg_split 0
		.amdhsa_exception_fp_ieee_invalid_op 0
		.amdhsa_exception_fp_denorm_src 0
		.amdhsa_exception_fp_ieee_div_zero 0
		.amdhsa_exception_fp_ieee_overflow 0
		.amdhsa_exception_fp_ieee_underflow 0
		.amdhsa_exception_fp_ieee_inexact 0
		.amdhsa_exception_int_div_zero 0
	.end_amdhsa_kernel
	.section	.text._ZN7rocprim17ROCPRIM_400000_NS6detail17trampoline_kernelINS0_14default_configENS1_22reduce_config_selectorIyEEZNS1_11reduce_implILb1ES3_N6thrust23THRUST_200600_302600_NS17counting_iteratorIyNS8_11hip_rocprim3tagENS8_11use_defaultESC_EEPyyNS8_4plusIyEEEE10hipError_tPvRmT1_T2_T3_mT4_P12ihipStream_tbEUlT_E1_NS1_11comp_targetILNS1_3genE5ELNS1_11target_archE942ELNS1_3gpuE9ELNS1_3repE0EEENS1_30default_config_static_selectorELNS0_4arch9wavefront6targetE1EEEvSK_,"axG",@progbits,_ZN7rocprim17ROCPRIM_400000_NS6detail17trampoline_kernelINS0_14default_configENS1_22reduce_config_selectorIyEEZNS1_11reduce_implILb1ES3_N6thrust23THRUST_200600_302600_NS17counting_iteratorIyNS8_11hip_rocprim3tagENS8_11use_defaultESC_EEPyyNS8_4plusIyEEEE10hipError_tPvRmT1_T2_T3_mT4_P12ihipStream_tbEUlT_E1_NS1_11comp_targetILNS1_3genE5ELNS1_11target_archE942ELNS1_3gpuE9ELNS1_3repE0EEENS1_30default_config_static_selectorELNS0_4arch9wavefront6targetE1EEEvSK_,comdat
.Lfunc_end1029:
	.size	_ZN7rocprim17ROCPRIM_400000_NS6detail17trampoline_kernelINS0_14default_configENS1_22reduce_config_selectorIyEEZNS1_11reduce_implILb1ES3_N6thrust23THRUST_200600_302600_NS17counting_iteratorIyNS8_11hip_rocprim3tagENS8_11use_defaultESC_EEPyyNS8_4plusIyEEEE10hipError_tPvRmT1_T2_T3_mT4_P12ihipStream_tbEUlT_E1_NS1_11comp_targetILNS1_3genE5ELNS1_11target_archE942ELNS1_3gpuE9ELNS1_3repE0EEENS1_30default_config_static_selectorELNS0_4arch9wavefront6targetE1EEEvSK_, .Lfunc_end1029-_ZN7rocprim17ROCPRIM_400000_NS6detail17trampoline_kernelINS0_14default_configENS1_22reduce_config_selectorIyEEZNS1_11reduce_implILb1ES3_N6thrust23THRUST_200600_302600_NS17counting_iteratorIyNS8_11hip_rocprim3tagENS8_11use_defaultESC_EEPyyNS8_4plusIyEEEE10hipError_tPvRmT1_T2_T3_mT4_P12ihipStream_tbEUlT_E1_NS1_11comp_targetILNS1_3genE5ELNS1_11target_archE942ELNS1_3gpuE9ELNS1_3repE0EEENS1_30default_config_static_selectorELNS0_4arch9wavefront6targetE1EEEvSK_
                                        ; -- End function
	.set _ZN7rocprim17ROCPRIM_400000_NS6detail17trampoline_kernelINS0_14default_configENS1_22reduce_config_selectorIyEEZNS1_11reduce_implILb1ES3_N6thrust23THRUST_200600_302600_NS17counting_iteratorIyNS8_11hip_rocprim3tagENS8_11use_defaultESC_EEPyyNS8_4plusIyEEEE10hipError_tPvRmT1_T2_T3_mT4_P12ihipStream_tbEUlT_E1_NS1_11comp_targetILNS1_3genE5ELNS1_11target_archE942ELNS1_3gpuE9ELNS1_3repE0EEENS1_30default_config_static_selectorELNS0_4arch9wavefront6targetE1EEEvSK_.num_vgpr, 0
	.set _ZN7rocprim17ROCPRIM_400000_NS6detail17trampoline_kernelINS0_14default_configENS1_22reduce_config_selectorIyEEZNS1_11reduce_implILb1ES3_N6thrust23THRUST_200600_302600_NS17counting_iteratorIyNS8_11hip_rocprim3tagENS8_11use_defaultESC_EEPyyNS8_4plusIyEEEE10hipError_tPvRmT1_T2_T3_mT4_P12ihipStream_tbEUlT_E1_NS1_11comp_targetILNS1_3genE5ELNS1_11target_archE942ELNS1_3gpuE9ELNS1_3repE0EEENS1_30default_config_static_selectorELNS0_4arch9wavefront6targetE1EEEvSK_.num_agpr, 0
	.set _ZN7rocprim17ROCPRIM_400000_NS6detail17trampoline_kernelINS0_14default_configENS1_22reduce_config_selectorIyEEZNS1_11reduce_implILb1ES3_N6thrust23THRUST_200600_302600_NS17counting_iteratorIyNS8_11hip_rocprim3tagENS8_11use_defaultESC_EEPyyNS8_4plusIyEEEE10hipError_tPvRmT1_T2_T3_mT4_P12ihipStream_tbEUlT_E1_NS1_11comp_targetILNS1_3genE5ELNS1_11target_archE942ELNS1_3gpuE9ELNS1_3repE0EEENS1_30default_config_static_selectorELNS0_4arch9wavefront6targetE1EEEvSK_.numbered_sgpr, 0
	.set _ZN7rocprim17ROCPRIM_400000_NS6detail17trampoline_kernelINS0_14default_configENS1_22reduce_config_selectorIyEEZNS1_11reduce_implILb1ES3_N6thrust23THRUST_200600_302600_NS17counting_iteratorIyNS8_11hip_rocprim3tagENS8_11use_defaultESC_EEPyyNS8_4plusIyEEEE10hipError_tPvRmT1_T2_T3_mT4_P12ihipStream_tbEUlT_E1_NS1_11comp_targetILNS1_3genE5ELNS1_11target_archE942ELNS1_3gpuE9ELNS1_3repE0EEENS1_30default_config_static_selectorELNS0_4arch9wavefront6targetE1EEEvSK_.num_named_barrier, 0
	.set _ZN7rocprim17ROCPRIM_400000_NS6detail17trampoline_kernelINS0_14default_configENS1_22reduce_config_selectorIyEEZNS1_11reduce_implILb1ES3_N6thrust23THRUST_200600_302600_NS17counting_iteratorIyNS8_11hip_rocprim3tagENS8_11use_defaultESC_EEPyyNS8_4plusIyEEEE10hipError_tPvRmT1_T2_T3_mT4_P12ihipStream_tbEUlT_E1_NS1_11comp_targetILNS1_3genE5ELNS1_11target_archE942ELNS1_3gpuE9ELNS1_3repE0EEENS1_30default_config_static_selectorELNS0_4arch9wavefront6targetE1EEEvSK_.private_seg_size, 0
	.set _ZN7rocprim17ROCPRIM_400000_NS6detail17trampoline_kernelINS0_14default_configENS1_22reduce_config_selectorIyEEZNS1_11reduce_implILb1ES3_N6thrust23THRUST_200600_302600_NS17counting_iteratorIyNS8_11hip_rocprim3tagENS8_11use_defaultESC_EEPyyNS8_4plusIyEEEE10hipError_tPvRmT1_T2_T3_mT4_P12ihipStream_tbEUlT_E1_NS1_11comp_targetILNS1_3genE5ELNS1_11target_archE942ELNS1_3gpuE9ELNS1_3repE0EEENS1_30default_config_static_selectorELNS0_4arch9wavefront6targetE1EEEvSK_.uses_vcc, 0
	.set _ZN7rocprim17ROCPRIM_400000_NS6detail17trampoline_kernelINS0_14default_configENS1_22reduce_config_selectorIyEEZNS1_11reduce_implILb1ES3_N6thrust23THRUST_200600_302600_NS17counting_iteratorIyNS8_11hip_rocprim3tagENS8_11use_defaultESC_EEPyyNS8_4plusIyEEEE10hipError_tPvRmT1_T2_T3_mT4_P12ihipStream_tbEUlT_E1_NS1_11comp_targetILNS1_3genE5ELNS1_11target_archE942ELNS1_3gpuE9ELNS1_3repE0EEENS1_30default_config_static_selectorELNS0_4arch9wavefront6targetE1EEEvSK_.uses_flat_scratch, 0
	.set _ZN7rocprim17ROCPRIM_400000_NS6detail17trampoline_kernelINS0_14default_configENS1_22reduce_config_selectorIyEEZNS1_11reduce_implILb1ES3_N6thrust23THRUST_200600_302600_NS17counting_iteratorIyNS8_11hip_rocprim3tagENS8_11use_defaultESC_EEPyyNS8_4plusIyEEEE10hipError_tPvRmT1_T2_T3_mT4_P12ihipStream_tbEUlT_E1_NS1_11comp_targetILNS1_3genE5ELNS1_11target_archE942ELNS1_3gpuE9ELNS1_3repE0EEENS1_30default_config_static_selectorELNS0_4arch9wavefront6targetE1EEEvSK_.has_dyn_sized_stack, 0
	.set _ZN7rocprim17ROCPRIM_400000_NS6detail17trampoline_kernelINS0_14default_configENS1_22reduce_config_selectorIyEEZNS1_11reduce_implILb1ES3_N6thrust23THRUST_200600_302600_NS17counting_iteratorIyNS8_11hip_rocprim3tagENS8_11use_defaultESC_EEPyyNS8_4plusIyEEEE10hipError_tPvRmT1_T2_T3_mT4_P12ihipStream_tbEUlT_E1_NS1_11comp_targetILNS1_3genE5ELNS1_11target_archE942ELNS1_3gpuE9ELNS1_3repE0EEENS1_30default_config_static_selectorELNS0_4arch9wavefront6targetE1EEEvSK_.has_recursion, 0
	.set _ZN7rocprim17ROCPRIM_400000_NS6detail17trampoline_kernelINS0_14default_configENS1_22reduce_config_selectorIyEEZNS1_11reduce_implILb1ES3_N6thrust23THRUST_200600_302600_NS17counting_iteratorIyNS8_11hip_rocprim3tagENS8_11use_defaultESC_EEPyyNS8_4plusIyEEEE10hipError_tPvRmT1_T2_T3_mT4_P12ihipStream_tbEUlT_E1_NS1_11comp_targetILNS1_3genE5ELNS1_11target_archE942ELNS1_3gpuE9ELNS1_3repE0EEENS1_30default_config_static_selectorELNS0_4arch9wavefront6targetE1EEEvSK_.has_indirect_call, 0
	.section	.AMDGPU.csdata,"",@progbits
; Kernel info:
; codeLenInByte = 0
; TotalNumSgprs: 6
; NumVgprs: 0
; NumAgprs: 0
; TotalNumVgprs: 0
; ScratchSize: 0
; MemoryBound: 0
; FloatMode: 240
; IeeeMode: 1
; LDSByteSize: 0 bytes/workgroup (compile time only)
; SGPRBlocks: 0
; VGPRBlocks: 0
; NumSGPRsForWavesPerEU: 6
; NumVGPRsForWavesPerEU: 1
; AccumOffset: 4
; Occupancy: 8
; WaveLimiterHint : 0
; COMPUTE_PGM_RSRC2:SCRATCH_EN: 0
; COMPUTE_PGM_RSRC2:USER_SGPR: 2
; COMPUTE_PGM_RSRC2:TRAP_HANDLER: 0
; COMPUTE_PGM_RSRC2:TGID_X_EN: 1
; COMPUTE_PGM_RSRC2:TGID_Y_EN: 0
; COMPUTE_PGM_RSRC2:TGID_Z_EN: 0
; COMPUTE_PGM_RSRC2:TIDIG_COMP_CNT: 0
; COMPUTE_PGM_RSRC3_GFX90A:ACCUM_OFFSET: 0
; COMPUTE_PGM_RSRC3_GFX90A:TG_SPLIT: 0
	.section	.text._ZN7rocprim17ROCPRIM_400000_NS6detail17trampoline_kernelINS0_14default_configENS1_22reduce_config_selectorIyEEZNS1_11reduce_implILb1ES3_N6thrust23THRUST_200600_302600_NS17counting_iteratorIyNS8_11hip_rocprim3tagENS8_11use_defaultESC_EEPyyNS8_4plusIyEEEE10hipError_tPvRmT1_T2_T3_mT4_P12ihipStream_tbEUlT_E1_NS1_11comp_targetILNS1_3genE4ELNS1_11target_archE910ELNS1_3gpuE8ELNS1_3repE0EEENS1_30default_config_static_selectorELNS0_4arch9wavefront6targetE1EEEvSK_,"axG",@progbits,_ZN7rocprim17ROCPRIM_400000_NS6detail17trampoline_kernelINS0_14default_configENS1_22reduce_config_selectorIyEEZNS1_11reduce_implILb1ES3_N6thrust23THRUST_200600_302600_NS17counting_iteratorIyNS8_11hip_rocprim3tagENS8_11use_defaultESC_EEPyyNS8_4plusIyEEEE10hipError_tPvRmT1_T2_T3_mT4_P12ihipStream_tbEUlT_E1_NS1_11comp_targetILNS1_3genE4ELNS1_11target_archE910ELNS1_3gpuE8ELNS1_3repE0EEENS1_30default_config_static_selectorELNS0_4arch9wavefront6targetE1EEEvSK_,comdat
	.protected	_ZN7rocprim17ROCPRIM_400000_NS6detail17trampoline_kernelINS0_14default_configENS1_22reduce_config_selectorIyEEZNS1_11reduce_implILb1ES3_N6thrust23THRUST_200600_302600_NS17counting_iteratorIyNS8_11hip_rocprim3tagENS8_11use_defaultESC_EEPyyNS8_4plusIyEEEE10hipError_tPvRmT1_T2_T3_mT4_P12ihipStream_tbEUlT_E1_NS1_11comp_targetILNS1_3genE4ELNS1_11target_archE910ELNS1_3gpuE8ELNS1_3repE0EEENS1_30default_config_static_selectorELNS0_4arch9wavefront6targetE1EEEvSK_ ; -- Begin function _ZN7rocprim17ROCPRIM_400000_NS6detail17trampoline_kernelINS0_14default_configENS1_22reduce_config_selectorIyEEZNS1_11reduce_implILb1ES3_N6thrust23THRUST_200600_302600_NS17counting_iteratorIyNS8_11hip_rocprim3tagENS8_11use_defaultESC_EEPyyNS8_4plusIyEEEE10hipError_tPvRmT1_T2_T3_mT4_P12ihipStream_tbEUlT_E1_NS1_11comp_targetILNS1_3genE4ELNS1_11target_archE910ELNS1_3gpuE8ELNS1_3repE0EEENS1_30default_config_static_selectorELNS0_4arch9wavefront6targetE1EEEvSK_
	.globl	_ZN7rocprim17ROCPRIM_400000_NS6detail17trampoline_kernelINS0_14default_configENS1_22reduce_config_selectorIyEEZNS1_11reduce_implILb1ES3_N6thrust23THRUST_200600_302600_NS17counting_iteratorIyNS8_11hip_rocprim3tagENS8_11use_defaultESC_EEPyyNS8_4plusIyEEEE10hipError_tPvRmT1_T2_T3_mT4_P12ihipStream_tbEUlT_E1_NS1_11comp_targetILNS1_3genE4ELNS1_11target_archE910ELNS1_3gpuE8ELNS1_3repE0EEENS1_30default_config_static_selectorELNS0_4arch9wavefront6targetE1EEEvSK_
	.p2align	8
	.type	_ZN7rocprim17ROCPRIM_400000_NS6detail17trampoline_kernelINS0_14default_configENS1_22reduce_config_selectorIyEEZNS1_11reduce_implILb1ES3_N6thrust23THRUST_200600_302600_NS17counting_iteratorIyNS8_11hip_rocprim3tagENS8_11use_defaultESC_EEPyyNS8_4plusIyEEEE10hipError_tPvRmT1_T2_T3_mT4_P12ihipStream_tbEUlT_E1_NS1_11comp_targetILNS1_3genE4ELNS1_11target_archE910ELNS1_3gpuE8ELNS1_3repE0EEENS1_30default_config_static_selectorELNS0_4arch9wavefront6targetE1EEEvSK_,@function
_ZN7rocprim17ROCPRIM_400000_NS6detail17trampoline_kernelINS0_14default_configENS1_22reduce_config_selectorIyEEZNS1_11reduce_implILb1ES3_N6thrust23THRUST_200600_302600_NS17counting_iteratorIyNS8_11hip_rocprim3tagENS8_11use_defaultESC_EEPyyNS8_4plusIyEEEE10hipError_tPvRmT1_T2_T3_mT4_P12ihipStream_tbEUlT_E1_NS1_11comp_targetILNS1_3genE4ELNS1_11target_archE910ELNS1_3gpuE8ELNS1_3repE0EEENS1_30default_config_static_selectorELNS0_4arch9wavefront6targetE1EEEvSK_: ; @_ZN7rocprim17ROCPRIM_400000_NS6detail17trampoline_kernelINS0_14default_configENS1_22reduce_config_selectorIyEEZNS1_11reduce_implILb1ES3_N6thrust23THRUST_200600_302600_NS17counting_iteratorIyNS8_11hip_rocprim3tagENS8_11use_defaultESC_EEPyyNS8_4plusIyEEEE10hipError_tPvRmT1_T2_T3_mT4_P12ihipStream_tbEUlT_E1_NS1_11comp_targetILNS1_3genE4ELNS1_11target_archE910ELNS1_3gpuE8ELNS1_3repE0EEENS1_30default_config_static_selectorELNS0_4arch9wavefront6targetE1EEEvSK_
; %bb.0:
	.section	.rodata,"a",@progbits
	.p2align	6, 0x0
	.amdhsa_kernel _ZN7rocprim17ROCPRIM_400000_NS6detail17trampoline_kernelINS0_14default_configENS1_22reduce_config_selectorIyEEZNS1_11reduce_implILb1ES3_N6thrust23THRUST_200600_302600_NS17counting_iteratorIyNS8_11hip_rocprim3tagENS8_11use_defaultESC_EEPyyNS8_4plusIyEEEE10hipError_tPvRmT1_T2_T3_mT4_P12ihipStream_tbEUlT_E1_NS1_11comp_targetILNS1_3genE4ELNS1_11target_archE910ELNS1_3gpuE8ELNS1_3repE0EEENS1_30default_config_static_selectorELNS0_4arch9wavefront6targetE1EEEvSK_
		.amdhsa_group_segment_fixed_size 0
		.amdhsa_private_segment_fixed_size 0
		.amdhsa_kernarg_size 48
		.amdhsa_user_sgpr_count 2
		.amdhsa_user_sgpr_dispatch_ptr 0
		.amdhsa_user_sgpr_queue_ptr 0
		.amdhsa_user_sgpr_kernarg_segment_ptr 1
		.amdhsa_user_sgpr_dispatch_id 0
		.amdhsa_user_sgpr_kernarg_preload_length 0
		.amdhsa_user_sgpr_kernarg_preload_offset 0
		.amdhsa_user_sgpr_private_segment_size 0
		.amdhsa_uses_dynamic_stack 0
		.amdhsa_enable_private_segment 0
		.amdhsa_system_sgpr_workgroup_id_x 1
		.amdhsa_system_sgpr_workgroup_id_y 0
		.amdhsa_system_sgpr_workgroup_id_z 0
		.amdhsa_system_sgpr_workgroup_info 0
		.amdhsa_system_vgpr_workitem_id 0
		.amdhsa_next_free_vgpr 1
		.amdhsa_next_free_sgpr 0
		.amdhsa_accum_offset 4
		.amdhsa_reserve_vcc 0
		.amdhsa_float_round_mode_32 0
		.amdhsa_float_round_mode_16_64 0
		.amdhsa_float_denorm_mode_32 3
		.amdhsa_float_denorm_mode_16_64 3
		.amdhsa_dx10_clamp 1
		.amdhsa_ieee_mode 1
		.amdhsa_fp16_overflow 0
		.amdhsa_tg_split 0
		.amdhsa_exception_fp_ieee_invalid_op 0
		.amdhsa_exception_fp_denorm_src 0
		.amdhsa_exception_fp_ieee_div_zero 0
		.amdhsa_exception_fp_ieee_overflow 0
		.amdhsa_exception_fp_ieee_underflow 0
		.amdhsa_exception_fp_ieee_inexact 0
		.amdhsa_exception_int_div_zero 0
	.end_amdhsa_kernel
	.section	.text._ZN7rocprim17ROCPRIM_400000_NS6detail17trampoline_kernelINS0_14default_configENS1_22reduce_config_selectorIyEEZNS1_11reduce_implILb1ES3_N6thrust23THRUST_200600_302600_NS17counting_iteratorIyNS8_11hip_rocprim3tagENS8_11use_defaultESC_EEPyyNS8_4plusIyEEEE10hipError_tPvRmT1_T2_T3_mT4_P12ihipStream_tbEUlT_E1_NS1_11comp_targetILNS1_3genE4ELNS1_11target_archE910ELNS1_3gpuE8ELNS1_3repE0EEENS1_30default_config_static_selectorELNS0_4arch9wavefront6targetE1EEEvSK_,"axG",@progbits,_ZN7rocprim17ROCPRIM_400000_NS6detail17trampoline_kernelINS0_14default_configENS1_22reduce_config_selectorIyEEZNS1_11reduce_implILb1ES3_N6thrust23THRUST_200600_302600_NS17counting_iteratorIyNS8_11hip_rocprim3tagENS8_11use_defaultESC_EEPyyNS8_4plusIyEEEE10hipError_tPvRmT1_T2_T3_mT4_P12ihipStream_tbEUlT_E1_NS1_11comp_targetILNS1_3genE4ELNS1_11target_archE910ELNS1_3gpuE8ELNS1_3repE0EEENS1_30default_config_static_selectorELNS0_4arch9wavefront6targetE1EEEvSK_,comdat
.Lfunc_end1030:
	.size	_ZN7rocprim17ROCPRIM_400000_NS6detail17trampoline_kernelINS0_14default_configENS1_22reduce_config_selectorIyEEZNS1_11reduce_implILb1ES3_N6thrust23THRUST_200600_302600_NS17counting_iteratorIyNS8_11hip_rocprim3tagENS8_11use_defaultESC_EEPyyNS8_4plusIyEEEE10hipError_tPvRmT1_T2_T3_mT4_P12ihipStream_tbEUlT_E1_NS1_11comp_targetILNS1_3genE4ELNS1_11target_archE910ELNS1_3gpuE8ELNS1_3repE0EEENS1_30default_config_static_selectorELNS0_4arch9wavefront6targetE1EEEvSK_, .Lfunc_end1030-_ZN7rocprim17ROCPRIM_400000_NS6detail17trampoline_kernelINS0_14default_configENS1_22reduce_config_selectorIyEEZNS1_11reduce_implILb1ES3_N6thrust23THRUST_200600_302600_NS17counting_iteratorIyNS8_11hip_rocprim3tagENS8_11use_defaultESC_EEPyyNS8_4plusIyEEEE10hipError_tPvRmT1_T2_T3_mT4_P12ihipStream_tbEUlT_E1_NS1_11comp_targetILNS1_3genE4ELNS1_11target_archE910ELNS1_3gpuE8ELNS1_3repE0EEENS1_30default_config_static_selectorELNS0_4arch9wavefront6targetE1EEEvSK_
                                        ; -- End function
	.set _ZN7rocprim17ROCPRIM_400000_NS6detail17trampoline_kernelINS0_14default_configENS1_22reduce_config_selectorIyEEZNS1_11reduce_implILb1ES3_N6thrust23THRUST_200600_302600_NS17counting_iteratorIyNS8_11hip_rocprim3tagENS8_11use_defaultESC_EEPyyNS8_4plusIyEEEE10hipError_tPvRmT1_T2_T3_mT4_P12ihipStream_tbEUlT_E1_NS1_11comp_targetILNS1_3genE4ELNS1_11target_archE910ELNS1_3gpuE8ELNS1_3repE0EEENS1_30default_config_static_selectorELNS0_4arch9wavefront6targetE1EEEvSK_.num_vgpr, 0
	.set _ZN7rocprim17ROCPRIM_400000_NS6detail17trampoline_kernelINS0_14default_configENS1_22reduce_config_selectorIyEEZNS1_11reduce_implILb1ES3_N6thrust23THRUST_200600_302600_NS17counting_iteratorIyNS8_11hip_rocprim3tagENS8_11use_defaultESC_EEPyyNS8_4plusIyEEEE10hipError_tPvRmT1_T2_T3_mT4_P12ihipStream_tbEUlT_E1_NS1_11comp_targetILNS1_3genE4ELNS1_11target_archE910ELNS1_3gpuE8ELNS1_3repE0EEENS1_30default_config_static_selectorELNS0_4arch9wavefront6targetE1EEEvSK_.num_agpr, 0
	.set _ZN7rocprim17ROCPRIM_400000_NS6detail17trampoline_kernelINS0_14default_configENS1_22reduce_config_selectorIyEEZNS1_11reduce_implILb1ES3_N6thrust23THRUST_200600_302600_NS17counting_iteratorIyNS8_11hip_rocprim3tagENS8_11use_defaultESC_EEPyyNS8_4plusIyEEEE10hipError_tPvRmT1_T2_T3_mT4_P12ihipStream_tbEUlT_E1_NS1_11comp_targetILNS1_3genE4ELNS1_11target_archE910ELNS1_3gpuE8ELNS1_3repE0EEENS1_30default_config_static_selectorELNS0_4arch9wavefront6targetE1EEEvSK_.numbered_sgpr, 0
	.set _ZN7rocprim17ROCPRIM_400000_NS6detail17trampoline_kernelINS0_14default_configENS1_22reduce_config_selectorIyEEZNS1_11reduce_implILb1ES3_N6thrust23THRUST_200600_302600_NS17counting_iteratorIyNS8_11hip_rocprim3tagENS8_11use_defaultESC_EEPyyNS8_4plusIyEEEE10hipError_tPvRmT1_T2_T3_mT4_P12ihipStream_tbEUlT_E1_NS1_11comp_targetILNS1_3genE4ELNS1_11target_archE910ELNS1_3gpuE8ELNS1_3repE0EEENS1_30default_config_static_selectorELNS0_4arch9wavefront6targetE1EEEvSK_.num_named_barrier, 0
	.set _ZN7rocprim17ROCPRIM_400000_NS6detail17trampoline_kernelINS0_14default_configENS1_22reduce_config_selectorIyEEZNS1_11reduce_implILb1ES3_N6thrust23THRUST_200600_302600_NS17counting_iteratorIyNS8_11hip_rocprim3tagENS8_11use_defaultESC_EEPyyNS8_4plusIyEEEE10hipError_tPvRmT1_T2_T3_mT4_P12ihipStream_tbEUlT_E1_NS1_11comp_targetILNS1_3genE4ELNS1_11target_archE910ELNS1_3gpuE8ELNS1_3repE0EEENS1_30default_config_static_selectorELNS0_4arch9wavefront6targetE1EEEvSK_.private_seg_size, 0
	.set _ZN7rocprim17ROCPRIM_400000_NS6detail17trampoline_kernelINS0_14default_configENS1_22reduce_config_selectorIyEEZNS1_11reduce_implILb1ES3_N6thrust23THRUST_200600_302600_NS17counting_iteratorIyNS8_11hip_rocprim3tagENS8_11use_defaultESC_EEPyyNS8_4plusIyEEEE10hipError_tPvRmT1_T2_T3_mT4_P12ihipStream_tbEUlT_E1_NS1_11comp_targetILNS1_3genE4ELNS1_11target_archE910ELNS1_3gpuE8ELNS1_3repE0EEENS1_30default_config_static_selectorELNS0_4arch9wavefront6targetE1EEEvSK_.uses_vcc, 0
	.set _ZN7rocprim17ROCPRIM_400000_NS6detail17trampoline_kernelINS0_14default_configENS1_22reduce_config_selectorIyEEZNS1_11reduce_implILb1ES3_N6thrust23THRUST_200600_302600_NS17counting_iteratorIyNS8_11hip_rocprim3tagENS8_11use_defaultESC_EEPyyNS8_4plusIyEEEE10hipError_tPvRmT1_T2_T3_mT4_P12ihipStream_tbEUlT_E1_NS1_11comp_targetILNS1_3genE4ELNS1_11target_archE910ELNS1_3gpuE8ELNS1_3repE0EEENS1_30default_config_static_selectorELNS0_4arch9wavefront6targetE1EEEvSK_.uses_flat_scratch, 0
	.set _ZN7rocprim17ROCPRIM_400000_NS6detail17trampoline_kernelINS0_14default_configENS1_22reduce_config_selectorIyEEZNS1_11reduce_implILb1ES3_N6thrust23THRUST_200600_302600_NS17counting_iteratorIyNS8_11hip_rocprim3tagENS8_11use_defaultESC_EEPyyNS8_4plusIyEEEE10hipError_tPvRmT1_T2_T3_mT4_P12ihipStream_tbEUlT_E1_NS1_11comp_targetILNS1_3genE4ELNS1_11target_archE910ELNS1_3gpuE8ELNS1_3repE0EEENS1_30default_config_static_selectorELNS0_4arch9wavefront6targetE1EEEvSK_.has_dyn_sized_stack, 0
	.set _ZN7rocprim17ROCPRIM_400000_NS6detail17trampoline_kernelINS0_14default_configENS1_22reduce_config_selectorIyEEZNS1_11reduce_implILb1ES3_N6thrust23THRUST_200600_302600_NS17counting_iteratorIyNS8_11hip_rocprim3tagENS8_11use_defaultESC_EEPyyNS8_4plusIyEEEE10hipError_tPvRmT1_T2_T3_mT4_P12ihipStream_tbEUlT_E1_NS1_11comp_targetILNS1_3genE4ELNS1_11target_archE910ELNS1_3gpuE8ELNS1_3repE0EEENS1_30default_config_static_selectorELNS0_4arch9wavefront6targetE1EEEvSK_.has_recursion, 0
	.set _ZN7rocprim17ROCPRIM_400000_NS6detail17trampoline_kernelINS0_14default_configENS1_22reduce_config_selectorIyEEZNS1_11reduce_implILb1ES3_N6thrust23THRUST_200600_302600_NS17counting_iteratorIyNS8_11hip_rocprim3tagENS8_11use_defaultESC_EEPyyNS8_4plusIyEEEE10hipError_tPvRmT1_T2_T3_mT4_P12ihipStream_tbEUlT_E1_NS1_11comp_targetILNS1_3genE4ELNS1_11target_archE910ELNS1_3gpuE8ELNS1_3repE0EEENS1_30default_config_static_selectorELNS0_4arch9wavefront6targetE1EEEvSK_.has_indirect_call, 0
	.section	.AMDGPU.csdata,"",@progbits
; Kernel info:
; codeLenInByte = 0
; TotalNumSgprs: 6
; NumVgprs: 0
; NumAgprs: 0
; TotalNumVgprs: 0
; ScratchSize: 0
; MemoryBound: 0
; FloatMode: 240
; IeeeMode: 1
; LDSByteSize: 0 bytes/workgroup (compile time only)
; SGPRBlocks: 0
; VGPRBlocks: 0
; NumSGPRsForWavesPerEU: 6
; NumVGPRsForWavesPerEU: 1
; AccumOffset: 4
; Occupancy: 8
; WaveLimiterHint : 0
; COMPUTE_PGM_RSRC2:SCRATCH_EN: 0
; COMPUTE_PGM_RSRC2:USER_SGPR: 2
; COMPUTE_PGM_RSRC2:TRAP_HANDLER: 0
; COMPUTE_PGM_RSRC2:TGID_X_EN: 1
; COMPUTE_PGM_RSRC2:TGID_Y_EN: 0
; COMPUTE_PGM_RSRC2:TGID_Z_EN: 0
; COMPUTE_PGM_RSRC2:TIDIG_COMP_CNT: 0
; COMPUTE_PGM_RSRC3_GFX90A:ACCUM_OFFSET: 0
; COMPUTE_PGM_RSRC3_GFX90A:TG_SPLIT: 0
	.section	.text._ZN7rocprim17ROCPRIM_400000_NS6detail17trampoline_kernelINS0_14default_configENS1_22reduce_config_selectorIyEEZNS1_11reduce_implILb1ES3_N6thrust23THRUST_200600_302600_NS17counting_iteratorIyNS8_11hip_rocprim3tagENS8_11use_defaultESC_EEPyyNS8_4plusIyEEEE10hipError_tPvRmT1_T2_T3_mT4_P12ihipStream_tbEUlT_E1_NS1_11comp_targetILNS1_3genE3ELNS1_11target_archE908ELNS1_3gpuE7ELNS1_3repE0EEENS1_30default_config_static_selectorELNS0_4arch9wavefront6targetE1EEEvSK_,"axG",@progbits,_ZN7rocprim17ROCPRIM_400000_NS6detail17trampoline_kernelINS0_14default_configENS1_22reduce_config_selectorIyEEZNS1_11reduce_implILb1ES3_N6thrust23THRUST_200600_302600_NS17counting_iteratorIyNS8_11hip_rocprim3tagENS8_11use_defaultESC_EEPyyNS8_4plusIyEEEE10hipError_tPvRmT1_T2_T3_mT4_P12ihipStream_tbEUlT_E1_NS1_11comp_targetILNS1_3genE3ELNS1_11target_archE908ELNS1_3gpuE7ELNS1_3repE0EEENS1_30default_config_static_selectorELNS0_4arch9wavefront6targetE1EEEvSK_,comdat
	.protected	_ZN7rocprim17ROCPRIM_400000_NS6detail17trampoline_kernelINS0_14default_configENS1_22reduce_config_selectorIyEEZNS1_11reduce_implILb1ES3_N6thrust23THRUST_200600_302600_NS17counting_iteratorIyNS8_11hip_rocprim3tagENS8_11use_defaultESC_EEPyyNS8_4plusIyEEEE10hipError_tPvRmT1_T2_T3_mT4_P12ihipStream_tbEUlT_E1_NS1_11comp_targetILNS1_3genE3ELNS1_11target_archE908ELNS1_3gpuE7ELNS1_3repE0EEENS1_30default_config_static_selectorELNS0_4arch9wavefront6targetE1EEEvSK_ ; -- Begin function _ZN7rocprim17ROCPRIM_400000_NS6detail17trampoline_kernelINS0_14default_configENS1_22reduce_config_selectorIyEEZNS1_11reduce_implILb1ES3_N6thrust23THRUST_200600_302600_NS17counting_iteratorIyNS8_11hip_rocprim3tagENS8_11use_defaultESC_EEPyyNS8_4plusIyEEEE10hipError_tPvRmT1_T2_T3_mT4_P12ihipStream_tbEUlT_E1_NS1_11comp_targetILNS1_3genE3ELNS1_11target_archE908ELNS1_3gpuE7ELNS1_3repE0EEENS1_30default_config_static_selectorELNS0_4arch9wavefront6targetE1EEEvSK_
	.globl	_ZN7rocprim17ROCPRIM_400000_NS6detail17trampoline_kernelINS0_14default_configENS1_22reduce_config_selectorIyEEZNS1_11reduce_implILb1ES3_N6thrust23THRUST_200600_302600_NS17counting_iteratorIyNS8_11hip_rocprim3tagENS8_11use_defaultESC_EEPyyNS8_4plusIyEEEE10hipError_tPvRmT1_T2_T3_mT4_P12ihipStream_tbEUlT_E1_NS1_11comp_targetILNS1_3genE3ELNS1_11target_archE908ELNS1_3gpuE7ELNS1_3repE0EEENS1_30default_config_static_selectorELNS0_4arch9wavefront6targetE1EEEvSK_
	.p2align	8
	.type	_ZN7rocprim17ROCPRIM_400000_NS6detail17trampoline_kernelINS0_14default_configENS1_22reduce_config_selectorIyEEZNS1_11reduce_implILb1ES3_N6thrust23THRUST_200600_302600_NS17counting_iteratorIyNS8_11hip_rocprim3tagENS8_11use_defaultESC_EEPyyNS8_4plusIyEEEE10hipError_tPvRmT1_T2_T3_mT4_P12ihipStream_tbEUlT_E1_NS1_11comp_targetILNS1_3genE3ELNS1_11target_archE908ELNS1_3gpuE7ELNS1_3repE0EEENS1_30default_config_static_selectorELNS0_4arch9wavefront6targetE1EEEvSK_,@function
_ZN7rocprim17ROCPRIM_400000_NS6detail17trampoline_kernelINS0_14default_configENS1_22reduce_config_selectorIyEEZNS1_11reduce_implILb1ES3_N6thrust23THRUST_200600_302600_NS17counting_iteratorIyNS8_11hip_rocprim3tagENS8_11use_defaultESC_EEPyyNS8_4plusIyEEEE10hipError_tPvRmT1_T2_T3_mT4_P12ihipStream_tbEUlT_E1_NS1_11comp_targetILNS1_3genE3ELNS1_11target_archE908ELNS1_3gpuE7ELNS1_3repE0EEENS1_30default_config_static_selectorELNS0_4arch9wavefront6targetE1EEEvSK_: ; @_ZN7rocprim17ROCPRIM_400000_NS6detail17trampoline_kernelINS0_14default_configENS1_22reduce_config_selectorIyEEZNS1_11reduce_implILb1ES3_N6thrust23THRUST_200600_302600_NS17counting_iteratorIyNS8_11hip_rocprim3tagENS8_11use_defaultESC_EEPyyNS8_4plusIyEEEE10hipError_tPvRmT1_T2_T3_mT4_P12ihipStream_tbEUlT_E1_NS1_11comp_targetILNS1_3genE3ELNS1_11target_archE908ELNS1_3gpuE7ELNS1_3repE0EEENS1_30default_config_static_selectorELNS0_4arch9wavefront6targetE1EEEvSK_
; %bb.0:
	.section	.rodata,"a",@progbits
	.p2align	6, 0x0
	.amdhsa_kernel _ZN7rocprim17ROCPRIM_400000_NS6detail17trampoline_kernelINS0_14default_configENS1_22reduce_config_selectorIyEEZNS1_11reduce_implILb1ES3_N6thrust23THRUST_200600_302600_NS17counting_iteratorIyNS8_11hip_rocprim3tagENS8_11use_defaultESC_EEPyyNS8_4plusIyEEEE10hipError_tPvRmT1_T2_T3_mT4_P12ihipStream_tbEUlT_E1_NS1_11comp_targetILNS1_3genE3ELNS1_11target_archE908ELNS1_3gpuE7ELNS1_3repE0EEENS1_30default_config_static_selectorELNS0_4arch9wavefront6targetE1EEEvSK_
		.amdhsa_group_segment_fixed_size 0
		.amdhsa_private_segment_fixed_size 0
		.amdhsa_kernarg_size 48
		.amdhsa_user_sgpr_count 2
		.amdhsa_user_sgpr_dispatch_ptr 0
		.amdhsa_user_sgpr_queue_ptr 0
		.amdhsa_user_sgpr_kernarg_segment_ptr 1
		.amdhsa_user_sgpr_dispatch_id 0
		.amdhsa_user_sgpr_kernarg_preload_length 0
		.amdhsa_user_sgpr_kernarg_preload_offset 0
		.amdhsa_user_sgpr_private_segment_size 0
		.amdhsa_uses_dynamic_stack 0
		.amdhsa_enable_private_segment 0
		.amdhsa_system_sgpr_workgroup_id_x 1
		.amdhsa_system_sgpr_workgroup_id_y 0
		.amdhsa_system_sgpr_workgroup_id_z 0
		.amdhsa_system_sgpr_workgroup_info 0
		.amdhsa_system_vgpr_workitem_id 0
		.amdhsa_next_free_vgpr 1
		.amdhsa_next_free_sgpr 0
		.amdhsa_accum_offset 4
		.amdhsa_reserve_vcc 0
		.amdhsa_float_round_mode_32 0
		.amdhsa_float_round_mode_16_64 0
		.amdhsa_float_denorm_mode_32 3
		.amdhsa_float_denorm_mode_16_64 3
		.amdhsa_dx10_clamp 1
		.amdhsa_ieee_mode 1
		.amdhsa_fp16_overflow 0
		.amdhsa_tg_split 0
		.amdhsa_exception_fp_ieee_invalid_op 0
		.amdhsa_exception_fp_denorm_src 0
		.amdhsa_exception_fp_ieee_div_zero 0
		.amdhsa_exception_fp_ieee_overflow 0
		.amdhsa_exception_fp_ieee_underflow 0
		.amdhsa_exception_fp_ieee_inexact 0
		.amdhsa_exception_int_div_zero 0
	.end_amdhsa_kernel
	.section	.text._ZN7rocprim17ROCPRIM_400000_NS6detail17trampoline_kernelINS0_14default_configENS1_22reduce_config_selectorIyEEZNS1_11reduce_implILb1ES3_N6thrust23THRUST_200600_302600_NS17counting_iteratorIyNS8_11hip_rocprim3tagENS8_11use_defaultESC_EEPyyNS8_4plusIyEEEE10hipError_tPvRmT1_T2_T3_mT4_P12ihipStream_tbEUlT_E1_NS1_11comp_targetILNS1_3genE3ELNS1_11target_archE908ELNS1_3gpuE7ELNS1_3repE0EEENS1_30default_config_static_selectorELNS0_4arch9wavefront6targetE1EEEvSK_,"axG",@progbits,_ZN7rocprim17ROCPRIM_400000_NS6detail17trampoline_kernelINS0_14default_configENS1_22reduce_config_selectorIyEEZNS1_11reduce_implILb1ES3_N6thrust23THRUST_200600_302600_NS17counting_iteratorIyNS8_11hip_rocprim3tagENS8_11use_defaultESC_EEPyyNS8_4plusIyEEEE10hipError_tPvRmT1_T2_T3_mT4_P12ihipStream_tbEUlT_E1_NS1_11comp_targetILNS1_3genE3ELNS1_11target_archE908ELNS1_3gpuE7ELNS1_3repE0EEENS1_30default_config_static_selectorELNS0_4arch9wavefront6targetE1EEEvSK_,comdat
.Lfunc_end1031:
	.size	_ZN7rocprim17ROCPRIM_400000_NS6detail17trampoline_kernelINS0_14default_configENS1_22reduce_config_selectorIyEEZNS1_11reduce_implILb1ES3_N6thrust23THRUST_200600_302600_NS17counting_iteratorIyNS8_11hip_rocprim3tagENS8_11use_defaultESC_EEPyyNS8_4plusIyEEEE10hipError_tPvRmT1_T2_T3_mT4_P12ihipStream_tbEUlT_E1_NS1_11comp_targetILNS1_3genE3ELNS1_11target_archE908ELNS1_3gpuE7ELNS1_3repE0EEENS1_30default_config_static_selectorELNS0_4arch9wavefront6targetE1EEEvSK_, .Lfunc_end1031-_ZN7rocprim17ROCPRIM_400000_NS6detail17trampoline_kernelINS0_14default_configENS1_22reduce_config_selectorIyEEZNS1_11reduce_implILb1ES3_N6thrust23THRUST_200600_302600_NS17counting_iteratorIyNS8_11hip_rocprim3tagENS8_11use_defaultESC_EEPyyNS8_4plusIyEEEE10hipError_tPvRmT1_T2_T3_mT4_P12ihipStream_tbEUlT_E1_NS1_11comp_targetILNS1_3genE3ELNS1_11target_archE908ELNS1_3gpuE7ELNS1_3repE0EEENS1_30default_config_static_selectorELNS0_4arch9wavefront6targetE1EEEvSK_
                                        ; -- End function
	.set _ZN7rocprim17ROCPRIM_400000_NS6detail17trampoline_kernelINS0_14default_configENS1_22reduce_config_selectorIyEEZNS1_11reduce_implILb1ES3_N6thrust23THRUST_200600_302600_NS17counting_iteratorIyNS8_11hip_rocprim3tagENS8_11use_defaultESC_EEPyyNS8_4plusIyEEEE10hipError_tPvRmT1_T2_T3_mT4_P12ihipStream_tbEUlT_E1_NS1_11comp_targetILNS1_3genE3ELNS1_11target_archE908ELNS1_3gpuE7ELNS1_3repE0EEENS1_30default_config_static_selectorELNS0_4arch9wavefront6targetE1EEEvSK_.num_vgpr, 0
	.set _ZN7rocprim17ROCPRIM_400000_NS6detail17trampoline_kernelINS0_14default_configENS1_22reduce_config_selectorIyEEZNS1_11reduce_implILb1ES3_N6thrust23THRUST_200600_302600_NS17counting_iteratorIyNS8_11hip_rocprim3tagENS8_11use_defaultESC_EEPyyNS8_4plusIyEEEE10hipError_tPvRmT1_T2_T3_mT4_P12ihipStream_tbEUlT_E1_NS1_11comp_targetILNS1_3genE3ELNS1_11target_archE908ELNS1_3gpuE7ELNS1_3repE0EEENS1_30default_config_static_selectorELNS0_4arch9wavefront6targetE1EEEvSK_.num_agpr, 0
	.set _ZN7rocprim17ROCPRIM_400000_NS6detail17trampoline_kernelINS0_14default_configENS1_22reduce_config_selectorIyEEZNS1_11reduce_implILb1ES3_N6thrust23THRUST_200600_302600_NS17counting_iteratorIyNS8_11hip_rocprim3tagENS8_11use_defaultESC_EEPyyNS8_4plusIyEEEE10hipError_tPvRmT1_T2_T3_mT4_P12ihipStream_tbEUlT_E1_NS1_11comp_targetILNS1_3genE3ELNS1_11target_archE908ELNS1_3gpuE7ELNS1_3repE0EEENS1_30default_config_static_selectorELNS0_4arch9wavefront6targetE1EEEvSK_.numbered_sgpr, 0
	.set _ZN7rocprim17ROCPRIM_400000_NS6detail17trampoline_kernelINS0_14default_configENS1_22reduce_config_selectorIyEEZNS1_11reduce_implILb1ES3_N6thrust23THRUST_200600_302600_NS17counting_iteratorIyNS8_11hip_rocprim3tagENS8_11use_defaultESC_EEPyyNS8_4plusIyEEEE10hipError_tPvRmT1_T2_T3_mT4_P12ihipStream_tbEUlT_E1_NS1_11comp_targetILNS1_3genE3ELNS1_11target_archE908ELNS1_3gpuE7ELNS1_3repE0EEENS1_30default_config_static_selectorELNS0_4arch9wavefront6targetE1EEEvSK_.num_named_barrier, 0
	.set _ZN7rocprim17ROCPRIM_400000_NS6detail17trampoline_kernelINS0_14default_configENS1_22reduce_config_selectorIyEEZNS1_11reduce_implILb1ES3_N6thrust23THRUST_200600_302600_NS17counting_iteratorIyNS8_11hip_rocprim3tagENS8_11use_defaultESC_EEPyyNS8_4plusIyEEEE10hipError_tPvRmT1_T2_T3_mT4_P12ihipStream_tbEUlT_E1_NS1_11comp_targetILNS1_3genE3ELNS1_11target_archE908ELNS1_3gpuE7ELNS1_3repE0EEENS1_30default_config_static_selectorELNS0_4arch9wavefront6targetE1EEEvSK_.private_seg_size, 0
	.set _ZN7rocprim17ROCPRIM_400000_NS6detail17trampoline_kernelINS0_14default_configENS1_22reduce_config_selectorIyEEZNS1_11reduce_implILb1ES3_N6thrust23THRUST_200600_302600_NS17counting_iteratorIyNS8_11hip_rocprim3tagENS8_11use_defaultESC_EEPyyNS8_4plusIyEEEE10hipError_tPvRmT1_T2_T3_mT4_P12ihipStream_tbEUlT_E1_NS1_11comp_targetILNS1_3genE3ELNS1_11target_archE908ELNS1_3gpuE7ELNS1_3repE0EEENS1_30default_config_static_selectorELNS0_4arch9wavefront6targetE1EEEvSK_.uses_vcc, 0
	.set _ZN7rocprim17ROCPRIM_400000_NS6detail17trampoline_kernelINS0_14default_configENS1_22reduce_config_selectorIyEEZNS1_11reduce_implILb1ES3_N6thrust23THRUST_200600_302600_NS17counting_iteratorIyNS8_11hip_rocprim3tagENS8_11use_defaultESC_EEPyyNS8_4plusIyEEEE10hipError_tPvRmT1_T2_T3_mT4_P12ihipStream_tbEUlT_E1_NS1_11comp_targetILNS1_3genE3ELNS1_11target_archE908ELNS1_3gpuE7ELNS1_3repE0EEENS1_30default_config_static_selectorELNS0_4arch9wavefront6targetE1EEEvSK_.uses_flat_scratch, 0
	.set _ZN7rocprim17ROCPRIM_400000_NS6detail17trampoline_kernelINS0_14default_configENS1_22reduce_config_selectorIyEEZNS1_11reduce_implILb1ES3_N6thrust23THRUST_200600_302600_NS17counting_iteratorIyNS8_11hip_rocprim3tagENS8_11use_defaultESC_EEPyyNS8_4plusIyEEEE10hipError_tPvRmT1_T2_T3_mT4_P12ihipStream_tbEUlT_E1_NS1_11comp_targetILNS1_3genE3ELNS1_11target_archE908ELNS1_3gpuE7ELNS1_3repE0EEENS1_30default_config_static_selectorELNS0_4arch9wavefront6targetE1EEEvSK_.has_dyn_sized_stack, 0
	.set _ZN7rocprim17ROCPRIM_400000_NS6detail17trampoline_kernelINS0_14default_configENS1_22reduce_config_selectorIyEEZNS1_11reduce_implILb1ES3_N6thrust23THRUST_200600_302600_NS17counting_iteratorIyNS8_11hip_rocprim3tagENS8_11use_defaultESC_EEPyyNS8_4plusIyEEEE10hipError_tPvRmT1_T2_T3_mT4_P12ihipStream_tbEUlT_E1_NS1_11comp_targetILNS1_3genE3ELNS1_11target_archE908ELNS1_3gpuE7ELNS1_3repE0EEENS1_30default_config_static_selectorELNS0_4arch9wavefront6targetE1EEEvSK_.has_recursion, 0
	.set _ZN7rocprim17ROCPRIM_400000_NS6detail17trampoline_kernelINS0_14default_configENS1_22reduce_config_selectorIyEEZNS1_11reduce_implILb1ES3_N6thrust23THRUST_200600_302600_NS17counting_iteratorIyNS8_11hip_rocprim3tagENS8_11use_defaultESC_EEPyyNS8_4plusIyEEEE10hipError_tPvRmT1_T2_T3_mT4_P12ihipStream_tbEUlT_E1_NS1_11comp_targetILNS1_3genE3ELNS1_11target_archE908ELNS1_3gpuE7ELNS1_3repE0EEENS1_30default_config_static_selectorELNS0_4arch9wavefront6targetE1EEEvSK_.has_indirect_call, 0
	.section	.AMDGPU.csdata,"",@progbits
; Kernel info:
; codeLenInByte = 0
; TotalNumSgprs: 6
; NumVgprs: 0
; NumAgprs: 0
; TotalNumVgprs: 0
; ScratchSize: 0
; MemoryBound: 0
; FloatMode: 240
; IeeeMode: 1
; LDSByteSize: 0 bytes/workgroup (compile time only)
; SGPRBlocks: 0
; VGPRBlocks: 0
; NumSGPRsForWavesPerEU: 6
; NumVGPRsForWavesPerEU: 1
; AccumOffset: 4
; Occupancy: 8
; WaveLimiterHint : 0
; COMPUTE_PGM_RSRC2:SCRATCH_EN: 0
; COMPUTE_PGM_RSRC2:USER_SGPR: 2
; COMPUTE_PGM_RSRC2:TRAP_HANDLER: 0
; COMPUTE_PGM_RSRC2:TGID_X_EN: 1
; COMPUTE_PGM_RSRC2:TGID_Y_EN: 0
; COMPUTE_PGM_RSRC2:TGID_Z_EN: 0
; COMPUTE_PGM_RSRC2:TIDIG_COMP_CNT: 0
; COMPUTE_PGM_RSRC3_GFX90A:ACCUM_OFFSET: 0
; COMPUTE_PGM_RSRC3_GFX90A:TG_SPLIT: 0
	.section	.text._ZN7rocprim17ROCPRIM_400000_NS6detail17trampoline_kernelINS0_14default_configENS1_22reduce_config_selectorIyEEZNS1_11reduce_implILb1ES3_N6thrust23THRUST_200600_302600_NS17counting_iteratorIyNS8_11hip_rocprim3tagENS8_11use_defaultESC_EEPyyNS8_4plusIyEEEE10hipError_tPvRmT1_T2_T3_mT4_P12ihipStream_tbEUlT_E1_NS1_11comp_targetILNS1_3genE2ELNS1_11target_archE906ELNS1_3gpuE6ELNS1_3repE0EEENS1_30default_config_static_selectorELNS0_4arch9wavefront6targetE1EEEvSK_,"axG",@progbits,_ZN7rocprim17ROCPRIM_400000_NS6detail17trampoline_kernelINS0_14default_configENS1_22reduce_config_selectorIyEEZNS1_11reduce_implILb1ES3_N6thrust23THRUST_200600_302600_NS17counting_iteratorIyNS8_11hip_rocprim3tagENS8_11use_defaultESC_EEPyyNS8_4plusIyEEEE10hipError_tPvRmT1_T2_T3_mT4_P12ihipStream_tbEUlT_E1_NS1_11comp_targetILNS1_3genE2ELNS1_11target_archE906ELNS1_3gpuE6ELNS1_3repE0EEENS1_30default_config_static_selectorELNS0_4arch9wavefront6targetE1EEEvSK_,comdat
	.protected	_ZN7rocprim17ROCPRIM_400000_NS6detail17trampoline_kernelINS0_14default_configENS1_22reduce_config_selectorIyEEZNS1_11reduce_implILb1ES3_N6thrust23THRUST_200600_302600_NS17counting_iteratorIyNS8_11hip_rocprim3tagENS8_11use_defaultESC_EEPyyNS8_4plusIyEEEE10hipError_tPvRmT1_T2_T3_mT4_P12ihipStream_tbEUlT_E1_NS1_11comp_targetILNS1_3genE2ELNS1_11target_archE906ELNS1_3gpuE6ELNS1_3repE0EEENS1_30default_config_static_selectorELNS0_4arch9wavefront6targetE1EEEvSK_ ; -- Begin function _ZN7rocprim17ROCPRIM_400000_NS6detail17trampoline_kernelINS0_14default_configENS1_22reduce_config_selectorIyEEZNS1_11reduce_implILb1ES3_N6thrust23THRUST_200600_302600_NS17counting_iteratorIyNS8_11hip_rocprim3tagENS8_11use_defaultESC_EEPyyNS8_4plusIyEEEE10hipError_tPvRmT1_T2_T3_mT4_P12ihipStream_tbEUlT_E1_NS1_11comp_targetILNS1_3genE2ELNS1_11target_archE906ELNS1_3gpuE6ELNS1_3repE0EEENS1_30default_config_static_selectorELNS0_4arch9wavefront6targetE1EEEvSK_
	.globl	_ZN7rocprim17ROCPRIM_400000_NS6detail17trampoline_kernelINS0_14default_configENS1_22reduce_config_selectorIyEEZNS1_11reduce_implILb1ES3_N6thrust23THRUST_200600_302600_NS17counting_iteratorIyNS8_11hip_rocprim3tagENS8_11use_defaultESC_EEPyyNS8_4plusIyEEEE10hipError_tPvRmT1_T2_T3_mT4_P12ihipStream_tbEUlT_E1_NS1_11comp_targetILNS1_3genE2ELNS1_11target_archE906ELNS1_3gpuE6ELNS1_3repE0EEENS1_30default_config_static_selectorELNS0_4arch9wavefront6targetE1EEEvSK_
	.p2align	8
	.type	_ZN7rocprim17ROCPRIM_400000_NS6detail17trampoline_kernelINS0_14default_configENS1_22reduce_config_selectorIyEEZNS1_11reduce_implILb1ES3_N6thrust23THRUST_200600_302600_NS17counting_iteratorIyNS8_11hip_rocprim3tagENS8_11use_defaultESC_EEPyyNS8_4plusIyEEEE10hipError_tPvRmT1_T2_T3_mT4_P12ihipStream_tbEUlT_E1_NS1_11comp_targetILNS1_3genE2ELNS1_11target_archE906ELNS1_3gpuE6ELNS1_3repE0EEENS1_30default_config_static_selectorELNS0_4arch9wavefront6targetE1EEEvSK_,@function
_ZN7rocprim17ROCPRIM_400000_NS6detail17trampoline_kernelINS0_14default_configENS1_22reduce_config_selectorIyEEZNS1_11reduce_implILb1ES3_N6thrust23THRUST_200600_302600_NS17counting_iteratorIyNS8_11hip_rocprim3tagENS8_11use_defaultESC_EEPyyNS8_4plusIyEEEE10hipError_tPvRmT1_T2_T3_mT4_P12ihipStream_tbEUlT_E1_NS1_11comp_targetILNS1_3genE2ELNS1_11target_archE906ELNS1_3gpuE6ELNS1_3repE0EEENS1_30default_config_static_selectorELNS0_4arch9wavefront6targetE1EEEvSK_: ; @_ZN7rocprim17ROCPRIM_400000_NS6detail17trampoline_kernelINS0_14default_configENS1_22reduce_config_selectorIyEEZNS1_11reduce_implILb1ES3_N6thrust23THRUST_200600_302600_NS17counting_iteratorIyNS8_11hip_rocprim3tagENS8_11use_defaultESC_EEPyyNS8_4plusIyEEEE10hipError_tPvRmT1_T2_T3_mT4_P12ihipStream_tbEUlT_E1_NS1_11comp_targetILNS1_3genE2ELNS1_11target_archE906ELNS1_3gpuE6ELNS1_3repE0EEENS1_30default_config_static_selectorELNS0_4arch9wavefront6targetE1EEEvSK_
; %bb.0:
	.section	.rodata,"a",@progbits
	.p2align	6, 0x0
	.amdhsa_kernel _ZN7rocprim17ROCPRIM_400000_NS6detail17trampoline_kernelINS0_14default_configENS1_22reduce_config_selectorIyEEZNS1_11reduce_implILb1ES3_N6thrust23THRUST_200600_302600_NS17counting_iteratorIyNS8_11hip_rocprim3tagENS8_11use_defaultESC_EEPyyNS8_4plusIyEEEE10hipError_tPvRmT1_T2_T3_mT4_P12ihipStream_tbEUlT_E1_NS1_11comp_targetILNS1_3genE2ELNS1_11target_archE906ELNS1_3gpuE6ELNS1_3repE0EEENS1_30default_config_static_selectorELNS0_4arch9wavefront6targetE1EEEvSK_
		.amdhsa_group_segment_fixed_size 0
		.amdhsa_private_segment_fixed_size 0
		.amdhsa_kernarg_size 48
		.amdhsa_user_sgpr_count 2
		.amdhsa_user_sgpr_dispatch_ptr 0
		.amdhsa_user_sgpr_queue_ptr 0
		.amdhsa_user_sgpr_kernarg_segment_ptr 1
		.amdhsa_user_sgpr_dispatch_id 0
		.amdhsa_user_sgpr_kernarg_preload_length 0
		.amdhsa_user_sgpr_kernarg_preload_offset 0
		.amdhsa_user_sgpr_private_segment_size 0
		.amdhsa_uses_dynamic_stack 0
		.amdhsa_enable_private_segment 0
		.amdhsa_system_sgpr_workgroup_id_x 1
		.amdhsa_system_sgpr_workgroup_id_y 0
		.amdhsa_system_sgpr_workgroup_id_z 0
		.amdhsa_system_sgpr_workgroup_info 0
		.amdhsa_system_vgpr_workitem_id 0
		.amdhsa_next_free_vgpr 1
		.amdhsa_next_free_sgpr 0
		.amdhsa_accum_offset 4
		.amdhsa_reserve_vcc 0
		.amdhsa_float_round_mode_32 0
		.amdhsa_float_round_mode_16_64 0
		.amdhsa_float_denorm_mode_32 3
		.amdhsa_float_denorm_mode_16_64 3
		.amdhsa_dx10_clamp 1
		.amdhsa_ieee_mode 1
		.amdhsa_fp16_overflow 0
		.amdhsa_tg_split 0
		.amdhsa_exception_fp_ieee_invalid_op 0
		.amdhsa_exception_fp_denorm_src 0
		.amdhsa_exception_fp_ieee_div_zero 0
		.amdhsa_exception_fp_ieee_overflow 0
		.amdhsa_exception_fp_ieee_underflow 0
		.amdhsa_exception_fp_ieee_inexact 0
		.amdhsa_exception_int_div_zero 0
	.end_amdhsa_kernel
	.section	.text._ZN7rocprim17ROCPRIM_400000_NS6detail17trampoline_kernelINS0_14default_configENS1_22reduce_config_selectorIyEEZNS1_11reduce_implILb1ES3_N6thrust23THRUST_200600_302600_NS17counting_iteratorIyNS8_11hip_rocprim3tagENS8_11use_defaultESC_EEPyyNS8_4plusIyEEEE10hipError_tPvRmT1_T2_T3_mT4_P12ihipStream_tbEUlT_E1_NS1_11comp_targetILNS1_3genE2ELNS1_11target_archE906ELNS1_3gpuE6ELNS1_3repE0EEENS1_30default_config_static_selectorELNS0_4arch9wavefront6targetE1EEEvSK_,"axG",@progbits,_ZN7rocprim17ROCPRIM_400000_NS6detail17trampoline_kernelINS0_14default_configENS1_22reduce_config_selectorIyEEZNS1_11reduce_implILb1ES3_N6thrust23THRUST_200600_302600_NS17counting_iteratorIyNS8_11hip_rocprim3tagENS8_11use_defaultESC_EEPyyNS8_4plusIyEEEE10hipError_tPvRmT1_T2_T3_mT4_P12ihipStream_tbEUlT_E1_NS1_11comp_targetILNS1_3genE2ELNS1_11target_archE906ELNS1_3gpuE6ELNS1_3repE0EEENS1_30default_config_static_selectorELNS0_4arch9wavefront6targetE1EEEvSK_,comdat
.Lfunc_end1032:
	.size	_ZN7rocprim17ROCPRIM_400000_NS6detail17trampoline_kernelINS0_14default_configENS1_22reduce_config_selectorIyEEZNS1_11reduce_implILb1ES3_N6thrust23THRUST_200600_302600_NS17counting_iteratorIyNS8_11hip_rocprim3tagENS8_11use_defaultESC_EEPyyNS8_4plusIyEEEE10hipError_tPvRmT1_T2_T3_mT4_P12ihipStream_tbEUlT_E1_NS1_11comp_targetILNS1_3genE2ELNS1_11target_archE906ELNS1_3gpuE6ELNS1_3repE0EEENS1_30default_config_static_selectorELNS0_4arch9wavefront6targetE1EEEvSK_, .Lfunc_end1032-_ZN7rocprim17ROCPRIM_400000_NS6detail17trampoline_kernelINS0_14default_configENS1_22reduce_config_selectorIyEEZNS1_11reduce_implILb1ES3_N6thrust23THRUST_200600_302600_NS17counting_iteratorIyNS8_11hip_rocprim3tagENS8_11use_defaultESC_EEPyyNS8_4plusIyEEEE10hipError_tPvRmT1_T2_T3_mT4_P12ihipStream_tbEUlT_E1_NS1_11comp_targetILNS1_3genE2ELNS1_11target_archE906ELNS1_3gpuE6ELNS1_3repE0EEENS1_30default_config_static_selectorELNS0_4arch9wavefront6targetE1EEEvSK_
                                        ; -- End function
	.set _ZN7rocprim17ROCPRIM_400000_NS6detail17trampoline_kernelINS0_14default_configENS1_22reduce_config_selectorIyEEZNS1_11reduce_implILb1ES3_N6thrust23THRUST_200600_302600_NS17counting_iteratorIyNS8_11hip_rocprim3tagENS8_11use_defaultESC_EEPyyNS8_4plusIyEEEE10hipError_tPvRmT1_T2_T3_mT4_P12ihipStream_tbEUlT_E1_NS1_11comp_targetILNS1_3genE2ELNS1_11target_archE906ELNS1_3gpuE6ELNS1_3repE0EEENS1_30default_config_static_selectorELNS0_4arch9wavefront6targetE1EEEvSK_.num_vgpr, 0
	.set _ZN7rocprim17ROCPRIM_400000_NS6detail17trampoline_kernelINS0_14default_configENS1_22reduce_config_selectorIyEEZNS1_11reduce_implILb1ES3_N6thrust23THRUST_200600_302600_NS17counting_iteratorIyNS8_11hip_rocprim3tagENS8_11use_defaultESC_EEPyyNS8_4plusIyEEEE10hipError_tPvRmT1_T2_T3_mT4_P12ihipStream_tbEUlT_E1_NS1_11comp_targetILNS1_3genE2ELNS1_11target_archE906ELNS1_3gpuE6ELNS1_3repE0EEENS1_30default_config_static_selectorELNS0_4arch9wavefront6targetE1EEEvSK_.num_agpr, 0
	.set _ZN7rocprim17ROCPRIM_400000_NS6detail17trampoline_kernelINS0_14default_configENS1_22reduce_config_selectorIyEEZNS1_11reduce_implILb1ES3_N6thrust23THRUST_200600_302600_NS17counting_iteratorIyNS8_11hip_rocprim3tagENS8_11use_defaultESC_EEPyyNS8_4plusIyEEEE10hipError_tPvRmT1_T2_T3_mT4_P12ihipStream_tbEUlT_E1_NS1_11comp_targetILNS1_3genE2ELNS1_11target_archE906ELNS1_3gpuE6ELNS1_3repE0EEENS1_30default_config_static_selectorELNS0_4arch9wavefront6targetE1EEEvSK_.numbered_sgpr, 0
	.set _ZN7rocprim17ROCPRIM_400000_NS6detail17trampoline_kernelINS0_14default_configENS1_22reduce_config_selectorIyEEZNS1_11reduce_implILb1ES3_N6thrust23THRUST_200600_302600_NS17counting_iteratorIyNS8_11hip_rocprim3tagENS8_11use_defaultESC_EEPyyNS8_4plusIyEEEE10hipError_tPvRmT1_T2_T3_mT4_P12ihipStream_tbEUlT_E1_NS1_11comp_targetILNS1_3genE2ELNS1_11target_archE906ELNS1_3gpuE6ELNS1_3repE0EEENS1_30default_config_static_selectorELNS0_4arch9wavefront6targetE1EEEvSK_.num_named_barrier, 0
	.set _ZN7rocprim17ROCPRIM_400000_NS6detail17trampoline_kernelINS0_14default_configENS1_22reduce_config_selectorIyEEZNS1_11reduce_implILb1ES3_N6thrust23THRUST_200600_302600_NS17counting_iteratorIyNS8_11hip_rocprim3tagENS8_11use_defaultESC_EEPyyNS8_4plusIyEEEE10hipError_tPvRmT1_T2_T3_mT4_P12ihipStream_tbEUlT_E1_NS1_11comp_targetILNS1_3genE2ELNS1_11target_archE906ELNS1_3gpuE6ELNS1_3repE0EEENS1_30default_config_static_selectorELNS0_4arch9wavefront6targetE1EEEvSK_.private_seg_size, 0
	.set _ZN7rocprim17ROCPRIM_400000_NS6detail17trampoline_kernelINS0_14default_configENS1_22reduce_config_selectorIyEEZNS1_11reduce_implILb1ES3_N6thrust23THRUST_200600_302600_NS17counting_iteratorIyNS8_11hip_rocprim3tagENS8_11use_defaultESC_EEPyyNS8_4plusIyEEEE10hipError_tPvRmT1_T2_T3_mT4_P12ihipStream_tbEUlT_E1_NS1_11comp_targetILNS1_3genE2ELNS1_11target_archE906ELNS1_3gpuE6ELNS1_3repE0EEENS1_30default_config_static_selectorELNS0_4arch9wavefront6targetE1EEEvSK_.uses_vcc, 0
	.set _ZN7rocprim17ROCPRIM_400000_NS6detail17trampoline_kernelINS0_14default_configENS1_22reduce_config_selectorIyEEZNS1_11reduce_implILb1ES3_N6thrust23THRUST_200600_302600_NS17counting_iteratorIyNS8_11hip_rocprim3tagENS8_11use_defaultESC_EEPyyNS8_4plusIyEEEE10hipError_tPvRmT1_T2_T3_mT4_P12ihipStream_tbEUlT_E1_NS1_11comp_targetILNS1_3genE2ELNS1_11target_archE906ELNS1_3gpuE6ELNS1_3repE0EEENS1_30default_config_static_selectorELNS0_4arch9wavefront6targetE1EEEvSK_.uses_flat_scratch, 0
	.set _ZN7rocprim17ROCPRIM_400000_NS6detail17trampoline_kernelINS0_14default_configENS1_22reduce_config_selectorIyEEZNS1_11reduce_implILb1ES3_N6thrust23THRUST_200600_302600_NS17counting_iteratorIyNS8_11hip_rocprim3tagENS8_11use_defaultESC_EEPyyNS8_4plusIyEEEE10hipError_tPvRmT1_T2_T3_mT4_P12ihipStream_tbEUlT_E1_NS1_11comp_targetILNS1_3genE2ELNS1_11target_archE906ELNS1_3gpuE6ELNS1_3repE0EEENS1_30default_config_static_selectorELNS0_4arch9wavefront6targetE1EEEvSK_.has_dyn_sized_stack, 0
	.set _ZN7rocprim17ROCPRIM_400000_NS6detail17trampoline_kernelINS0_14default_configENS1_22reduce_config_selectorIyEEZNS1_11reduce_implILb1ES3_N6thrust23THRUST_200600_302600_NS17counting_iteratorIyNS8_11hip_rocprim3tagENS8_11use_defaultESC_EEPyyNS8_4plusIyEEEE10hipError_tPvRmT1_T2_T3_mT4_P12ihipStream_tbEUlT_E1_NS1_11comp_targetILNS1_3genE2ELNS1_11target_archE906ELNS1_3gpuE6ELNS1_3repE0EEENS1_30default_config_static_selectorELNS0_4arch9wavefront6targetE1EEEvSK_.has_recursion, 0
	.set _ZN7rocprim17ROCPRIM_400000_NS6detail17trampoline_kernelINS0_14default_configENS1_22reduce_config_selectorIyEEZNS1_11reduce_implILb1ES3_N6thrust23THRUST_200600_302600_NS17counting_iteratorIyNS8_11hip_rocprim3tagENS8_11use_defaultESC_EEPyyNS8_4plusIyEEEE10hipError_tPvRmT1_T2_T3_mT4_P12ihipStream_tbEUlT_E1_NS1_11comp_targetILNS1_3genE2ELNS1_11target_archE906ELNS1_3gpuE6ELNS1_3repE0EEENS1_30default_config_static_selectorELNS0_4arch9wavefront6targetE1EEEvSK_.has_indirect_call, 0
	.section	.AMDGPU.csdata,"",@progbits
; Kernel info:
; codeLenInByte = 0
; TotalNumSgprs: 6
; NumVgprs: 0
; NumAgprs: 0
; TotalNumVgprs: 0
; ScratchSize: 0
; MemoryBound: 0
; FloatMode: 240
; IeeeMode: 1
; LDSByteSize: 0 bytes/workgroup (compile time only)
; SGPRBlocks: 0
; VGPRBlocks: 0
; NumSGPRsForWavesPerEU: 6
; NumVGPRsForWavesPerEU: 1
; AccumOffset: 4
; Occupancy: 8
; WaveLimiterHint : 0
; COMPUTE_PGM_RSRC2:SCRATCH_EN: 0
; COMPUTE_PGM_RSRC2:USER_SGPR: 2
; COMPUTE_PGM_RSRC2:TRAP_HANDLER: 0
; COMPUTE_PGM_RSRC2:TGID_X_EN: 1
; COMPUTE_PGM_RSRC2:TGID_Y_EN: 0
; COMPUTE_PGM_RSRC2:TGID_Z_EN: 0
; COMPUTE_PGM_RSRC2:TIDIG_COMP_CNT: 0
; COMPUTE_PGM_RSRC3_GFX90A:ACCUM_OFFSET: 0
; COMPUTE_PGM_RSRC3_GFX90A:TG_SPLIT: 0
	.section	.text._ZN7rocprim17ROCPRIM_400000_NS6detail17trampoline_kernelINS0_14default_configENS1_22reduce_config_selectorIyEEZNS1_11reduce_implILb1ES3_N6thrust23THRUST_200600_302600_NS17counting_iteratorIyNS8_11hip_rocprim3tagENS8_11use_defaultESC_EEPyyNS8_4plusIyEEEE10hipError_tPvRmT1_T2_T3_mT4_P12ihipStream_tbEUlT_E1_NS1_11comp_targetILNS1_3genE10ELNS1_11target_archE1201ELNS1_3gpuE5ELNS1_3repE0EEENS1_30default_config_static_selectorELNS0_4arch9wavefront6targetE1EEEvSK_,"axG",@progbits,_ZN7rocprim17ROCPRIM_400000_NS6detail17trampoline_kernelINS0_14default_configENS1_22reduce_config_selectorIyEEZNS1_11reduce_implILb1ES3_N6thrust23THRUST_200600_302600_NS17counting_iteratorIyNS8_11hip_rocprim3tagENS8_11use_defaultESC_EEPyyNS8_4plusIyEEEE10hipError_tPvRmT1_T2_T3_mT4_P12ihipStream_tbEUlT_E1_NS1_11comp_targetILNS1_3genE10ELNS1_11target_archE1201ELNS1_3gpuE5ELNS1_3repE0EEENS1_30default_config_static_selectorELNS0_4arch9wavefront6targetE1EEEvSK_,comdat
	.protected	_ZN7rocprim17ROCPRIM_400000_NS6detail17trampoline_kernelINS0_14default_configENS1_22reduce_config_selectorIyEEZNS1_11reduce_implILb1ES3_N6thrust23THRUST_200600_302600_NS17counting_iteratorIyNS8_11hip_rocprim3tagENS8_11use_defaultESC_EEPyyNS8_4plusIyEEEE10hipError_tPvRmT1_T2_T3_mT4_P12ihipStream_tbEUlT_E1_NS1_11comp_targetILNS1_3genE10ELNS1_11target_archE1201ELNS1_3gpuE5ELNS1_3repE0EEENS1_30default_config_static_selectorELNS0_4arch9wavefront6targetE1EEEvSK_ ; -- Begin function _ZN7rocprim17ROCPRIM_400000_NS6detail17trampoline_kernelINS0_14default_configENS1_22reduce_config_selectorIyEEZNS1_11reduce_implILb1ES3_N6thrust23THRUST_200600_302600_NS17counting_iteratorIyNS8_11hip_rocprim3tagENS8_11use_defaultESC_EEPyyNS8_4plusIyEEEE10hipError_tPvRmT1_T2_T3_mT4_P12ihipStream_tbEUlT_E1_NS1_11comp_targetILNS1_3genE10ELNS1_11target_archE1201ELNS1_3gpuE5ELNS1_3repE0EEENS1_30default_config_static_selectorELNS0_4arch9wavefront6targetE1EEEvSK_
	.globl	_ZN7rocprim17ROCPRIM_400000_NS6detail17trampoline_kernelINS0_14default_configENS1_22reduce_config_selectorIyEEZNS1_11reduce_implILb1ES3_N6thrust23THRUST_200600_302600_NS17counting_iteratorIyNS8_11hip_rocprim3tagENS8_11use_defaultESC_EEPyyNS8_4plusIyEEEE10hipError_tPvRmT1_T2_T3_mT4_P12ihipStream_tbEUlT_E1_NS1_11comp_targetILNS1_3genE10ELNS1_11target_archE1201ELNS1_3gpuE5ELNS1_3repE0EEENS1_30default_config_static_selectorELNS0_4arch9wavefront6targetE1EEEvSK_
	.p2align	8
	.type	_ZN7rocprim17ROCPRIM_400000_NS6detail17trampoline_kernelINS0_14default_configENS1_22reduce_config_selectorIyEEZNS1_11reduce_implILb1ES3_N6thrust23THRUST_200600_302600_NS17counting_iteratorIyNS8_11hip_rocprim3tagENS8_11use_defaultESC_EEPyyNS8_4plusIyEEEE10hipError_tPvRmT1_T2_T3_mT4_P12ihipStream_tbEUlT_E1_NS1_11comp_targetILNS1_3genE10ELNS1_11target_archE1201ELNS1_3gpuE5ELNS1_3repE0EEENS1_30default_config_static_selectorELNS0_4arch9wavefront6targetE1EEEvSK_,@function
_ZN7rocprim17ROCPRIM_400000_NS6detail17trampoline_kernelINS0_14default_configENS1_22reduce_config_selectorIyEEZNS1_11reduce_implILb1ES3_N6thrust23THRUST_200600_302600_NS17counting_iteratorIyNS8_11hip_rocprim3tagENS8_11use_defaultESC_EEPyyNS8_4plusIyEEEE10hipError_tPvRmT1_T2_T3_mT4_P12ihipStream_tbEUlT_E1_NS1_11comp_targetILNS1_3genE10ELNS1_11target_archE1201ELNS1_3gpuE5ELNS1_3repE0EEENS1_30default_config_static_selectorELNS0_4arch9wavefront6targetE1EEEvSK_: ; @_ZN7rocprim17ROCPRIM_400000_NS6detail17trampoline_kernelINS0_14default_configENS1_22reduce_config_selectorIyEEZNS1_11reduce_implILb1ES3_N6thrust23THRUST_200600_302600_NS17counting_iteratorIyNS8_11hip_rocprim3tagENS8_11use_defaultESC_EEPyyNS8_4plusIyEEEE10hipError_tPvRmT1_T2_T3_mT4_P12ihipStream_tbEUlT_E1_NS1_11comp_targetILNS1_3genE10ELNS1_11target_archE1201ELNS1_3gpuE5ELNS1_3repE0EEENS1_30default_config_static_selectorELNS0_4arch9wavefront6targetE1EEEvSK_
; %bb.0:
	.section	.rodata,"a",@progbits
	.p2align	6, 0x0
	.amdhsa_kernel _ZN7rocprim17ROCPRIM_400000_NS6detail17trampoline_kernelINS0_14default_configENS1_22reduce_config_selectorIyEEZNS1_11reduce_implILb1ES3_N6thrust23THRUST_200600_302600_NS17counting_iteratorIyNS8_11hip_rocprim3tagENS8_11use_defaultESC_EEPyyNS8_4plusIyEEEE10hipError_tPvRmT1_T2_T3_mT4_P12ihipStream_tbEUlT_E1_NS1_11comp_targetILNS1_3genE10ELNS1_11target_archE1201ELNS1_3gpuE5ELNS1_3repE0EEENS1_30default_config_static_selectorELNS0_4arch9wavefront6targetE1EEEvSK_
		.amdhsa_group_segment_fixed_size 0
		.amdhsa_private_segment_fixed_size 0
		.amdhsa_kernarg_size 48
		.amdhsa_user_sgpr_count 2
		.amdhsa_user_sgpr_dispatch_ptr 0
		.amdhsa_user_sgpr_queue_ptr 0
		.amdhsa_user_sgpr_kernarg_segment_ptr 1
		.amdhsa_user_sgpr_dispatch_id 0
		.amdhsa_user_sgpr_kernarg_preload_length 0
		.amdhsa_user_sgpr_kernarg_preload_offset 0
		.amdhsa_user_sgpr_private_segment_size 0
		.amdhsa_uses_dynamic_stack 0
		.amdhsa_enable_private_segment 0
		.amdhsa_system_sgpr_workgroup_id_x 1
		.amdhsa_system_sgpr_workgroup_id_y 0
		.amdhsa_system_sgpr_workgroup_id_z 0
		.amdhsa_system_sgpr_workgroup_info 0
		.amdhsa_system_vgpr_workitem_id 0
		.amdhsa_next_free_vgpr 1
		.amdhsa_next_free_sgpr 0
		.amdhsa_accum_offset 4
		.amdhsa_reserve_vcc 0
		.amdhsa_float_round_mode_32 0
		.amdhsa_float_round_mode_16_64 0
		.amdhsa_float_denorm_mode_32 3
		.amdhsa_float_denorm_mode_16_64 3
		.amdhsa_dx10_clamp 1
		.amdhsa_ieee_mode 1
		.amdhsa_fp16_overflow 0
		.amdhsa_tg_split 0
		.amdhsa_exception_fp_ieee_invalid_op 0
		.amdhsa_exception_fp_denorm_src 0
		.amdhsa_exception_fp_ieee_div_zero 0
		.amdhsa_exception_fp_ieee_overflow 0
		.amdhsa_exception_fp_ieee_underflow 0
		.amdhsa_exception_fp_ieee_inexact 0
		.amdhsa_exception_int_div_zero 0
	.end_amdhsa_kernel
	.section	.text._ZN7rocprim17ROCPRIM_400000_NS6detail17trampoline_kernelINS0_14default_configENS1_22reduce_config_selectorIyEEZNS1_11reduce_implILb1ES3_N6thrust23THRUST_200600_302600_NS17counting_iteratorIyNS8_11hip_rocprim3tagENS8_11use_defaultESC_EEPyyNS8_4plusIyEEEE10hipError_tPvRmT1_T2_T3_mT4_P12ihipStream_tbEUlT_E1_NS1_11comp_targetILNS1_3genE10ELNS1_11target_archE1201ELNS1_3gpuE5ELNS1_3repE0EEENS1_30default_config_static_selectorELNS0_4arch9wavefront6targetE1EEEvSK_,"axG",@progbits,_ZN7rocprim17ROCPRIM_400000_NS6detail17trampoline_kernelINS0_14default_configENS1_22reduce_config_selectorIyEEZNS1_11reduce_implILb1ES3_N6thrust23THRUST_200600_302600_NS17counting_iteratorIyNS8_11hip_rocprim3tagENS8_11use_defaultESC_EEPyyNS8_4plusIyEEEE10hipError_tPvRmT1_T2_T3_mT4_P12ihipStream_tbEUlT_E1_NS1_11comp_targetILNS1_3genE10ELNS1_11target_archE1201ELNS1_3gpuE5ELNS1_3repE0EEENS1_30default_config_static_selectorELNS0_4arch9wavefront6targetE1EEEvSK_,comdat
.Lfunc_end1033:
	.size	_ZN7rocprim17ROCPRIM_400000_NS6detail17trampoline_kernelINS0_14default_configENS1_22reduce_config_selectorIyEEZNS1_11reduce_implILb1ES3_N6thrust23THRUST_200600_302600_NS17counting_iteratorIyNS8_11hip_rocprim3tagENS8_11use_defaultESC_EEPyyNS8_4plusIyEEEE10hipError_tPvRmT1_T2_T3_mT4_P12ihipStream_tbEUlT_E1_NS1_11comp_targetILNS1_3genE10ELNS1_11target_archE1201ELNS1_3gpuE5ELNS1_3repE0EEENS1_30default_config_static_selectorELNS0_4arch9wavefront6targetE1EEEvSK_, .Lfunc_end1033-_ZN7rocprim17ROCPRIM_400000_NS6detail17trampoline_kernelINS0_14default_configENS1_22reduce_config_selectorIyEEZNS1_11reduce_implILb1ES3_N6thrust23THRUST_200600_302600_NS17counting_iteratorIyNS8_11hip_rocprim3tagENS8_11use_defaultESC_EEPyyNS8_4plusIyEEEE10hipError_tPvRmT1_T2_T3_mT4_P12ihipStream_tbEUlT_E1_NS1_11comp_targetILNS1_3genE10ELNS1_11target_archE1201ELNS1_3gpuE5ELNS1_3repE0EEENS1_30default_config_static_selectorELNS0_4arch9wavefront6targetE1EEEvSK_
                                        ; -- End function
	.set _ZN7rocprim17ROCPRIM_400000_NS6detail17trampoline_kernelINS0_14default_configENS1_22reduce_config_selectorIyEEZNS1_11reduce_implILb1ES3_N6thrust23THRUST_200600_302600_NS17counting_iteratorIyNS8_11hip_rocprim3tagENS8_11use_defaultESC_EEPyyNS8_4plusIyEEEE10hipError_tPvRmT1_T2_T3_mT4_P12ihipStream_tbEUlT_E1_NS1_11comp_targetILNS1_3genE10ELNS1_11target_archE1201ELNS1_3gpuE5ELNS1_3repE0EEENS1_30default_config_static_selectorELNS0_4arch9wavefront6targetE1EEEvSK_.num_vgpr, 0
	.set _ZN7rocprim17ROCPRIM_400000_NS6detail17trampoline_kernelINS0_14default_configENS1_22reduce_config_selectorIyEEZNS1_11reduce_implILb1ES3_N6thrust23THRUST_200600_302600_NS17counting_iteratorIyNS8_11hip_rocprim3tagENS8_11use_defaultESC_EEPyyNS8_4plusIyEEEE10hipError_tPvRmT1_T2_T3_mT4_P12ihipStream_tbEUlT_E1_NS1_11comp_targetILNS1_3genE10ELNS1_11target_archE1201ELNS1_3gpuE5ELNS1_3repE0EEENS1_30default_config_static_selectorELNS0_4arch9wavefront6targetE1EEEvSK_.num_agpr, 0
	.set _ZN7rocprim17ROCPRIM_400000_NS6detail17trampoline_kernelINS0_14default_configENS1_22reduce_config_selectorIyEEZNS1_11reduce_implILb1ES3_N6thrust23THRUST_200600_302600_NS17counting_iteratorIyNS8_11hip_rocprim3tagENS8_11use_defaultESC_EEPyyNS8_4plusIyEEEE10hipError_tPvRmT1_T2_T3_mT4_P12ihipStream_tbEUlT_E1_NS1_11comp_targetILNS1_3genE10ELNS1_11target_archE1201ELNS1_3gpuE5ELNS1_3repE0EEENS1_30default_config_static_selectorELNS0_4arch9wavefront6targetE1EEEvSK_.numbered_sgpr, 0
	.set _ZN7rocprim17ROCPRIM_400000_NS6detail17trampoline_kernelINS0_14default_configENS1_22reduce_config_selectorIyEEZNS1_11reduce_implILb1ES3_N6thrust23THRUST_200600_302600_NS17counting_iteratorIyNS8_11hip_rocprim3tagENS8_11use_defaultESC_EEPyyNS8_4plusIyEEEE10hipError_tPvRmT1_T2_T3_mT4_P12ihipStream_tbEUlT_E1_NS1_11comp_targetILNS1_3genE10ELNS1_11target_archE1201ELNS1_3gpuE5ELNS1_3repE0EEENS1_30default_config_static_selectorELNS0_4arch9wavefront6targetE1EEEvSK_.num_named_barrier, 0
	.set _ZN7rocprim17ROCPRIM_400000_NS6detail17trampoline_kernelINS0_14default_configENS1_22reduce_config_selectorIyEEZNS1_11reduce_implILb1ES3_N6thrust23THRUST_200600_302600_NS17counting_iteratorIyNS8_11hip_rocprim3tagENS8_11use_defaultESC_EEPyyNS8_4plusIyEEEE10hipError_tPvRmT1_T2_T3_mT4_P12ihipStream_tbEUlT_E1_NS1_11comp_targetILNS1_3genE10ELNS1_11target_archE1201ELNS1_3gpuE5ELNS1_3repE0EEENS1_30default_config_static_selectorELNS0_4arch9wavefront6targetE1EEEvSK_.private_seg_size, 0
	.set _ZN7rocprim17ROCPRIM_400000_NS6detail17trampoline_kernelINS0_14default_configENS1_22reduce_config_selectorIyEEZNS1_11reduce_implILb1ES3_N6thrust23THRUST_200600_302600_NS17counting_iteratorIyNS8_11hip_rocprim3tagENS8_11use_defaultESC_EEPyyNS8_4plusIyEEEE10hipError_tPvRmT1_T2_T3_mT4_P12ihipStream_tbEUlT_E1_NS1_11comp_targetILNS1_3genE10ELNS1_11target_archE1201ELNS1_3gpuE5ELNS1_3repE0EEENS1_30default_config_static_selectorELNS0_4arch9wavefront6targetE1EEEvSK_.uses_vcc, 0
	.set _ZN7rocprim17ROCPRIM_400000_NS6detail17trampoline_kernelINS0_14default_configENS1_22reduce_config_selectorIyEEZNS1_11reduce_implILb1ES3_N6thrust23THRUST_200600_302600_NS17counting_iteratorIyNS8_11hip_rocprim3tagENS8_11use_defaultESC_EEPyyNS8_4plusIyEEEE10hipError_tPvRmT1_T2_T3_mT4_P12ihipStream_tbEUlT_E1_NS1_11comp_targetILNS1_3genE10ELNS1_11target_archE1201ELNS1_3gpuE5ELNS1_3repE0EEENS1_30default_config_static_selectorELNS0_4arch9wavefront6targetE1EEEvSK_.uses_flat_scratch, 0
	.set _ZN7rocprim17ROCPRIM_400000_NS6detail17trampoline_kernelINS0_14default_configENS1_22reduce_config_selectorIyEEZNS1_11reduce_implILb1ES3_N6thrust23THRUST_200600_302600_NS17counting_iteratorIyNS8_11hip_rocprim3tagENS8_11use_defaultESC_EEPyyNS8_4plusIyEEEE10hipError_tPvRmT1_T2_T3_mT4_P12ihipStream_tbEUlT_E1_NS1_11comp_targetILNS1_3genE10ELNS1_11target_archE1201ELNS1_3gpuE5ELNS1_3repE0EEENS1_30default_config_static_selectorELNS0_4arch9wavefront6targetE1EEEvSK_.has_dyn_sized_stack, 0
	.set _ZN7rocprim17ROCPRIM_400000_NS6detail17trampoline_kernelINS0_14default_configENS1_22reduce_config_selectorIyEEZNS1_11reduce_implILb1ES3_N6thrust23THRUST_200600_302600_NS17counting_iteratorIyNS8_11hip_rocprim3tagENS8_11use_defaultESC_EEPyyNS8_4plusIyEEEE10hipError_tPvRmT1_T2_T3_mT4_P12ihipStream_tbEUlT_E1_NS1_11comp_targetILNS1_3genE10ELNS1_11target_archE1201ELNS1_3gpuE5ELNS1_3repE0EEENS1_30default_config_static_selectorELNS0_4arch9wavefront6targetE1EEEvSK_.has_recursion, 0
	.set _ZN7rocprim17ROCPRIM_400000_NS6detail17trampoline_kernelINS0_14default_configENS1_22reduce_config_selectorIyEEZNS1_11reduce_implILb1ES3_N6thrust23THRUST_200600_302600_NS17counting_iteratorIyNS8_11hip_rocprim3tagENS8_11use_defaultESC_EEPyyNS8_4plusIyEEEE10hipError_tPvRmT1_T2_T3_mT4_P12ihipStream_tbEUlT_E1_NS1_11comp_targetILNS1_3genE10ELNS1_11target_archE1201ELNS1_3gpuE5ELNS1_3repE0EEENS1_30default_config_static_selectorELNS0_4arch9wavefront6targetE1EEEvSK_.has_indirect_call, 0
	.section	.AMDGPU.csdata,"",@progbits
; Kernel info:
; codeLenInByte = 0
; TotalNumSgprs: 6
; NumVgprs: 0
; NumAgprs: 0
; TotalNumVgprs: 0
; ScratchSize: 0
; MemoryBound: 0
; FloatMode: 240
; IeeeMode: 1
; LDSByteSize: 0 bytes/workgroup (compile time only)
; SGPRBlocks: 0
; VGPRBlocks: 0
; NumSGPRsForWavesPerEU: 6
; NumVGPRsForWavesPerEU: 1
; AccumOffset: 4
; Occupancy: 8
; WaveLimiterHint : 0
; COMPUTE_PGM_RSRC2:SCRATCH_EN: 0
; COMPUTE_PGM_RSRC2:USER_SGPR: 2
; COMPUTE_PGM_RSRC2:TRAP_HANDLER: 0
; COMPUTE_PGM_RSRC2:TGID_X_EN: 1
; COMPUTE_PGM_RSRC2:TGID_Y_EN: 0
; COMPUTE_PGM_RSRC2:TGID_Z_EN: 0
; COMPUTE_PGM_RSRC2:TIDIG_COMP_CNT: 0
; COMPUTE_PGM_RSRC3_GFX90A:ACCUM_OFFSET: 0
; COMPUTE_PGM_RSRC3_GFX90A:TG_SPLIT: 0
	.section	.text._ZN7rocprim17ROCPRIM_400000_NS6detail17trampoline_kernelINS0_14default_configENS1_22reduce_config_selectorIyEEZNS1_11reduce_implILb1ES3_N6thrust23THRUST_200600_302600_NS17counting_iteratorIyNS8_11hip_rocprim3tagENS8_11use_defaultESC_EEPyyNS8_4plusIyEEEE10hipError_tPvRmT1_T2_T3_mT4_P12ihipStream_tbEUlT_E1_NS1_11comp_targetILNS1_3genE10ELNS1_11target_archE1200ELNS1_3gpuE4ELNS1_3repE0EEENS1_30default_config_static_selectorELNS0_4arch9wavefront6targetE1EEEvSK_,"axG",@progbits,_ZN7rocprim17ROCPRIM_400000_NS6detail17trampoline_kernelINS0_14default_configENS1_22reduce_config_selectorIyEEZNS1_11reduce_implILb1ES3_N6thrust23THRUST_200600_302600_NS17counting_iteratorIyNS8_11hip_rocprim3tagENS8_11use_defaultESC_EEPyyNS8_4plusIyEEEE10hipError_tPvRmT1_T2_T3_mT4_P12ihipStream_tbEUlT_E1_NS1_11comp_targetILNS1_3genE10ELNS1_11target_archE1200ELNS1_3gpuE4ELNS1_3repE0EEENS1_30default_config_static_selectorELNS0_4arch9wavefront6targetE1EEEvSK_,comdat
	.protected	_ZN7rocprim17ROCPRIM_400000_NS6detail17trampoline_kernelINS0_14default_configENS1_22reduce_config_selectorIyEEZNS1_11reduce_implILb1ES3_N6thrust23THRUST_200600_302600_NS17counting_iteratorIyNS8_11hip_rocprim3tagENS8_11use_defaultESC_EEPyyNS8_4plusIyEEEE10hipError_tPvRmT1_T2_T3_mT4_P12ihipStream_tbEUlT_E1_NS1_11comp_targetILNS1_3genE10ELNS1_11target_archE1200ELNS1_3gpuE4ELNS1_3repE0EEENS1_30default_config_static_selectorELNS0_4arch9wavefront6targetE1EEEvSK_ ; -- Begin function _ZN7rocprim17ROCPRIM_400000_NS6detail17trampoline_kernelINS0_14default_configENS1_22reduce_config_selectorIyEEZNS1_11reduce_implILb1ES3_N6thrust23THRUST_200600_302600_NS17counting_iteratorIyNS8_11hip_rocprim3tagENS8_11use_defaultESC_EEPyyNS8_4plusIyEEEE10hipError_tPvRmT1_T2_T3_mT4_P12ihipStream_tbEUlT_E1_NS1_11comp_targetILNS1_3genE10ELNS1_11target_archE1200ELNS1_3gpuE4ELNS1_3repE0EEENS1_30default_config_static_selectorELNS0_4arch9wavefront6targetE1EEEvSK_
	.globl	_ZN7rocprim17ROCPRIM_400000_NS6detail17trampoline_kernelINS0_14default_configENS1_22reduce_config_selectorIyEEZNS1_11reduce_implILb1ES3_N6thrust23THRUST_200600_302600_NS17counting_iteratorIyNS8_11hip_rocprim3tagENS8_11use_defaultESC_EEPyyNS8_4plusIyEEEE10hipError_tPvRmT1_T2_T3_mT4_P12ihipStream_tbEUlT_E1_NS1_11comp_targetILNS1_3genE10ELNS1_11target_archE1200ELNS1_3gpuE4ELNS1_3repE0EEENS1_30default_config_static_selectorELNS0_4arch9wavefront6targetE1EEEvSK_
	.p2align	8
	.type	_ZN7rocprim17ROCPRIM_400000_NS6detail17trampoline_kernelINS0_14default_configENS1_22reduce_config_selectorIyEEZNS1_11reduce_implILb1ES3_N6thrust23THRUST_200600_302600_NS17counting_iteratorIyNS8_11hip_rocprim3tagENS8_11use_defaultESC_EEPyyNS8_4plusIyEEEE10hipError_tPvRmT1_T2_T3_mT4_P12ihipStream_tbEUlT_E1_NS1_11comp_targetILNS1_3genE10ELNS1_11target_archE1200ELNS1_3gpuE4ELNS1_3repE0EEENS1_30default_config_static_selectorELNS0_4arch9wavefront6targetE1EEEvSK_,@function
_ZN7rocprim17ROCPRIM_400000_NS6detail17trampoline_kernelINS0_14default_configENS1_22reduce_config_selectorIyEEZNS1_11reduce_implILb1ES3_N6thrust23THRUST_200600_302600_NS17counting_iteratorIyNS8_11hip_rocprim3tagENS8_11use_defaultESC_EEPyyNS8_4plusIyEEEE10hipError_tPvRmT1_T2_T3_mT4_P12ihipStream_tbEUlT_E1_NS1_11comp_targetILNS1_3genE10ELNS1_11target_archE1200ELNS1_3gpuE4ELNS1_3repE0EEENS1_30default_config_static_selectorELNS0_4arch9wavefront6targetE1EEEvSK_: ; @_ZN7rocprim17ROCPRIM_400000_NS6detail17trampoline_kernelINS0_14default_configENS1_22reduce_config_selectorIyEEZNS1_11reduce_implILb1ES3_N6thrust23THRUST_200600_302600_NS17counting_iteratorIyNS8_11hip_rocprim3tagENS8_11use_defaultESC_EEPyyNS8_4plusIyEEEE10hipError_tPvRmT1_T2_T3_mT4_P12ihipStream_tbEUlT_E1_NS1_11comp_targetILNS1_3genE10ELNS1_11target_archE1200ELNS1_3gpuE4ELNS1_3repE0EEENS1_30default_config_static_selectorELNS0_4arch9wavefront6targetE1EEEvSK_
; %bb.0:
	.section	.rodata,"a",@progbits
	.p2align	6, 0x0
	.amdhsa_kernel _ZN7rocprim17ROCPRIM_400000_NS6detail17trampoline_kernelINS0_14default_configENS1_22reduce_config_selectorIyEEZNS1_11reduce_implILb1ES3_N6thrust23THRUST_200600_302600_NS17counting_iteratorIyNS8_11hip_rocprim3tagENS8_11use_defaultESC_EEPyyNS8_4plusIyEEEE10hipError_tPvRmT1_T2_T3_mT4_P12ihipStream_tbEUlT_E1_NS1_11comp_targetILNS1_3genE10ELNS1_11target_archE1200ELNS1_3gpuE4ELNS1_3repE0EEENS1_30default_config_static_selectorELNS0_4arch9wavefront6targetE1EEEvSK_
		.amdhsa_group_segment_fixed_size 0
		.amdhsa_private_segment_fixed_size 0
		.amdhsa_kernarg_size 48
		.amdhsa_user_sgpr_count 2
		.amdhsa_user_sgpr_dispatch_ptr 0
		.amdhsa_user_sgpr_queue_ptr 0
		.amdhsa_user_sgpr_kernarg_segment_ptr 1
		.amdhsa_user_sgpr_dispatch_id 0
		.amdhsa_user_sgpr_kernarg_preload_length 0
		.amdhsa_user_sgpr_kernarg_preload_offset 0
		.amdhsa_user_sgpr_private_segment_size 0
		.amdhsa_uses_dynamic_stack 0
		.amdhsa_enable_private_segment 0
		.amdhsa_system_sgpr_workgroup_id_x 1
		.amdhsa_system_sgpr_workgroup_id_y 0
		.amdhsa_system_sgpr_workgroup_id_z 0
		.amdhsa_system_sgpr_workgroup_info 0
		.amdhsa_system_vgpr_workitem_id 0
		.amdhsa_next_free_vgpr 1
		.amdhsa_next_free_sgpr 0
		.amdhsa_accum_offset 4
		.amdhsa_reserve_vcc 0
		.amdhsa_float_round_mode_32 0
		.amdhsa_float_round_mode_16_64 0
		.amdhsa_float_denorm_mode_32 3
		.amdhsa_float_denorm_mode_16_64 3
		.amdhsa_dx10_clamp 1
		.amdhsa_ieee_mode 1
		.amdhsa_fp16_overflow 0
		.amdhsa_tg_split 0
		.amdhsa_exception_fp_ieee_invalid_op 0
		.amdhsa_exception_fp_denorm_src 0
		.amdhsa_exception_fp_ieee_div_zero 0
		.amdhsa_exception_fp_ieee_overflow 0
		.amdhsa_exception_fp_ieee_underflow 0
		.amdhsa_exception_fp_ieee_inexact 0
		.amdhsa_exception_int_div_zero 0
	.end_amdhsa_kernel
	.section	.text._ZN7rocprim17ROCPRIM_400000_NS6detail17trampoline_kernelINS0_14default_configENS1_22reduce_config_selectorIyEEZNS1_11reduce_implILb1ES3_N6thrust23THRUST_200600_302600_NS17counting_iteratorIyNS8_11hip_rocprim3tagENS8_11use_defaultESC_EEPyyNS8_4plusIyEEEE10hipError_tPvRmT1_T2_T3_mT4_P12ihipStream_tbEUlT_E1_NS1_11comp_targetILNS1_3genE10ELNS1_11target_archE1200ELNS1_3gpuE4ELNS1_3repE0EEENS1_30default_config_static_selectorELNS0_4arch9wavefront6targetE1EEEvSK_,"axG",@progbits,_ZN7rocprim17ROCPRIM_400000_NS6detail17trampoline_kernelINS0_14default_configENS1_22reduce_config_selectorIyEEZNS1_11reduce_implILb1ES3_N6thrust23THRUST_200600_302600_NS17counting_iteratorIyNS8_11hip_rocprim3tagENS8_11use_defaultESC_EEPyyNS8_4plusIyEEEE10hipError_tPvRmT1_T2_T3_mT4_P12ihipStream_tbEUlT_E1_NS1_11comp_targetILNS1_3genE10ELNS1_11target_archE1200ELNS1_3gpuE4ELNS1_3repE0EEENS1_30default_config_static_selectorELNS0_4arch9wavefront6targetE1EEEvSK_,comdat
.Lfunc_end1034:
	.size	_ZN7rocprim17ROCPRIM_400000_NS6detail17trampoline_kernelINS0_14default_configENS1_22reduce_config_selectorIyEEZNS1_11reduce_implILb1ES3_N6thrust23THRUST_200600_302600_NS17counting_iteratorIyNS8_11hip_rocprim3tagENS8_11use_defaultESC_EEPyyNS8_4plusIyEEEE10hipError_tPvRmT1_T2_T3_mT4_P12ihipStream_tbEUlT_E1_NS1_11comp_targetILNS1_3genE10ELNS1_11target_archE1200ELNS1_3gpuE4ELNS1_3repE0EEENS1_30default_config_static_selectorELNS0_4arch9wavefront6targetE1EEEvSK_, .Lfunc_end1034-_ZN7rocprim17ROCPRIM_400000_NS6detail17trampoline_kernelINS0_14default_configENS1_22reduce_config_selectorIyEEZNS1_11reduce_implILb1ES3_N6thrust23THRUST_200600_302600_NS17counting_iteratorIyNS8_11hip_rocprim3tagENS8_11use_defaultESC_EEPyyNS8_4plusIyEEEE10hipError_tPvRmT1_T2_T3_mT4_P12ihipStream_tbEUlT_E1_NS1_11comp_targetILNS1_3genE10ELNS1_11target_archE1200ELNS1_3gpuE4ELNS1_3repE0EEENS1_30default_config_static_selectorELNS0_4arch9wavefront6targetE1EEEvSK_
                                        ; -- End function
	.set _ZN7rocprim17ROCPRIM_400000_NS6detail17trampoline_kernelINS0_14default_configENS1_22reduce_config_selectorIyEEZNS1_11reduce_implILb1ES3_N6thrust23THRUST_200600_302600_NS17counting_iteratorIyNS8_11hip_rocprim3tagENS8_11use_defaultESC_EEPyyNS8_4plusIyEEEE10hipError_tPvRmT1_T2_T3_mT4_P12ihipStream_tbEUlT_E1_NS1_11comp_targetILNS1_3genE10ELNS1_11target_archE1200ELNS1_3gpuE4ELNS1_3repE0EEENS1_30default_config_static_selectorELNS0_4arch9wavefront6targetE1EEEvSK_.num_vgpr, 0
	.set _ZN7rocprim17ROCPRIM_400000_NS6detail17trampoline_kernelINS0_14default_configENS1_22reduce_config_selectorIyEEZNS1_11reduce_implILb1ES3_N6thrust23THRUST_200600_302600_NS17counting_iteratorIyNS8_11hip_rocprim3tagENS8_11use_defaultESC_EEPyyNS8_4plusIyEEEE10hipError_tPvRmT1_T2_T3_mT4_P12ihipStream_tbEUlT_E1_NS1_11comp_targetILNS1_3genE10ELNS1_11target_archE1200ELNS1_3gpuE4ELNS1_3repE0EEENS1_30default_config_static_selectorELNS0_4arch9wavefront6targetE1EEEvSK_.num_agpr, 0
	.set _ZN7rocprim17ROCPRIM_400000_NS6detail17trampoline_kernelINS0_14default_configENS1_22reduce_config_selectorIyEEZNS1_11reduce_implILb1ES3_N6thrust23THRUST_200600_302600_NS17counting_iteratorIyNS8_11hip_rocprim3tagENS8_11use_defaultESC_EEPyyNS8_4plusIyEEEE10hipError_tPvRmT1_T2_T3_mT4_P12ihipStream_tbEUlT_E1_NS1_11comp_targetILNS1_3genE10ELNS1_11target_archE1200ELNS1_3gpuE4ELNS1_3repE0EEENS1_30default_config_static_selectorELNS0_4arch9wavefront6targetE1EEEvSK_.numbered_sgpr, 0
	.set _ZN7rocprim17ROCPRIM_400000_NS6detail17trampoline_kernelINS0_14default_configENS1_22reduce_config_selectorIyEEZNS1_11reduce_implILb1ES3_N6thrust23THRUST_200600_302600_NS17counting_iteratorIyNS8_11hip_rocprim3tagENS8_11use_defaultESC_EEPyyNS8_4plusIyEEEE10hipError_tPvRmT1_T2_T3_mT4_P12ihipStream_tbEUlT_E1_NS1_11comp_targetILNS1_3genE10ELNS1_11target_archE1200ELNS1_3gpuE4ELNS1_3repE0EEENS1_30default_config_static_selectorELNS0_4arch9wavefront6targetE1EEEvSK_.num_named_barrier, 0
	.set _ZN7rocprim17ROCPRIM_400000_NS6detail17trampoline_kernelINS0_14default_configENS1_22reduce_config_selectorIyEEZNS1_11reduce_implILb1ES3_N6thrust23THRUST_200600_302600_NS17counting_iteratorIyNS8_11hip_rocprim3tagENS8_11use_defaultESC_EEPyyNS8_4plusIyEEEE10hipError_tPvRmT1_T2_T3_mT4_P12ihipStream_tbEUlT_E1_NS1_11comp_targetILNS1_3genE10ELNS1_11target_archE1200ELNS1_3gpuE4ELNS1_3repE0EEENS1_30default_config_static_selectorELNS0_4arch9wavefront6targetE1EEEvSK_.private_seg_size, 0
	.set _ZN7rocprim17ROCPRIM_400000_NS6detail17trampoline_kernelINS0_14default_configENS1_22reduce_config_selectorIyEEZNS1_11reduce_implILb1ES3_N6thrust23THRUST_200600_302600_NS17counting_iteratorIyNS8_11hip_rocprim3tagENS8_11use_defaultESC_EEPyyNS8_4plusIyEEEE10hipError_tPvRmT1_T2_T3_mT4_P12ihipStream_tbEUlT_E1_NS1_11comp_targetILNS1_3genE10ELNS1_11target_archE1200ELNS1_3gpuE4ELNS1_3repE0EEENS1_30default_config_static_selectorELNS0_4arch9wavefront6targetE1EEEvSK_.uses_vcc, 0
	.set _ZN7rocprim17ROCPRIM_400000_NS6detail17trampoline_kernelINS0_14default_configENS1_22reduce_config_selectorIyEEZNS1_11reduce_implILb1ES3_N6thrust23THRUST_200600_302600_NS17counting_iteratorIyNS8_11hip_rocprim3tagENS8_11use_defaultESC_EEPyyNS8_4plusIyEEEE10hipError_tPvRmT1_T2_T3_mT4_P12ihipStream_tbEUlT_E1_NS1_11comp_targetILNS1_3genE10ELNS1_11target_archE1200ELNS1_3gpuE4ELNS1_3repE0EEENS1_30default_config_static_selectorELNS0_4arch9wavefront6targetE1EEEvSK_.uses_flat_scratch, 0
	.set _ZN7rocprim17ROCPRIM_400000_NS6detail17trampoline_kernelINS0_14default_configENS1_22reduce_config_selectorIyEEZNS1_11reduce_implILb1ES3_N6thrust23THRUST_200600_302600_NS17counting_iteratorIyNS8_11hip_rocprim3tagENS8_11use_defaultESC_EEPyyNS8_4plusIyEEEE10hipError_tPvRmT1_T2_T3_mT4_P12ihipStream_tbEUlT_E1_NS1_11comp_targetILNS1_3genE10ELNS1_11target_archE1200ELNS1_3gpuE4ELNS1_3repE0EEENS1_30default_config_static_selectorELNS0_4arch9wavefront6targetE1EEEvSK_.has_dyn_sized_stack, 0
	.set _ZN7rocprim17ROCPRIM_400000_NS6detail17trampoline_kernelINS0_14default_configENS1_22reduce_config_selectorIyEEZNS1_11reduce_implILb1ES3_N6thrust23THRUST_200600_302600_NS17counting_iteratorIyNS8_11hip_rocprim3tagENS8_11use_defaultESC_EEPyyNS8_4plusIyEEEE10hipError_tPvRmT1_T2_T3_mT4_P12ihipStream_tbEUlT_E1_NS1_11comp_targetILNS1_3genE10ELNS1_11target_archE1200ELNS1_3gpuE4ELNS1_3repE0EEENS1_30default_config_static_selectorELNS0_4arch9wavefront6targetE1EEEvSK_.has_recursion, 0
	.set _ZN7rocprim17ROCPRIM_400000_NS6detail17trampoline_kernelINS0_14default_configENS1_22reduce_config_selectorIyEEZNS1_11reduce_implILb1ES3_N6thrust23THRUST_200600_302600_NS17counting_iteratorIyNS8_11hip_rocprim3tagENS8_11use_defaultESC_EEPyyNS8_4plusIyEEEE10hipError_tPvRmT1_T2_T3_mT4_P12ihipStream_tbEUlT_E1_NS1_11comp_targetILNS1_3genE10ELNS1_11target_archE1200ELNS1_3gpuE4ELNS1_3repE0EEENS1_30default_config_static_selectorELNS0_4arch9wavefront6targetE1EEEvSK_.has_indirect_call, 0
	.section	.AMDGPU.csdata,"",@progbits
; Kernel info:
; codeLenInByte = 0
; TotalNumSgprs: 6
; NumVgprs: 0
; NumAgprs: 0
; TotalNumVgprs: 0
; ScratchSize: 0
; MemoryBound: 0
; FloatMode: 240
; IeeeMode: 1
; LDSByteSize: 0 bytes/workgroup (compile time only)
; SGPRBlocks: 0
; VGPRBlocks: 0
; NumSGPRsForWavesPerEU: 6
; NumVGPRsForWavesPerEU: 1
; AccumOffset: 4
; Occupancy: 8
; WaveLimiterHint : 0
; COMPUTE_PGM_RSRC2:SCRATCH_EN: 0
; COMPUTE_PGM_RSRC2:USER_SGPR: 2
; COMPUTE_PGM_RSRC2:TRAP_HANDLER: 0
; COMPUTE_PGM_RSRC2:TGID_X_EN: 1
; COMPUTE_PGM_RSRC2:TGID_Y_EN: 0
; COMPUTE_PGM_RSRC2:TGID_Z_EN: 0
; COMPUTE_PGM_RSRC2:TIDIG_COMP_CNT: 0
; COMPUTE_PGM_RSRC3_GFX90A:ACCUM_OFFSET: 0
; COMPUTE_PGM_RSRC3_GFX90A:TG_SPLIT: 0
	.section	.text._ZN7rocprim17ROCPRIM_400000_NS6detail17trampoline_kernelINS0_14default_configENS1_22reduce_config_selectorIyEEZNS1_11reduce_implILb1ES3_N6thrust23THRUST_200600_302600_NS17counting_iteratorIyNS8_11hip_rocprim3tagENS8_11use_defaultESC_EEPyyNS8_4plusIyEEEE10hipError_tPvRmT1_T2_T3_mT4_P12ihipStream_tbEUlT_E1_NS1_11comp_targetILNS1_3genE9ELNS1_11target_archE1100ELNS1_3gpuE3ELNS1_3repE0EEENS1_30default_config_static_selectorELNS0_4arch9wavefront6targetE1EEEvSK_,"axG",@progbits,_ZN7rocprim17ROCPRIM_400000_NS6detail17trampoline_kernelINS0_14default_configENS1_22reduce_config_selectorIyEEZNS1_11reduce_implILb1ES3_N6thrust23THRUST_200600_302600_NS17counting_iteratorIyNS8_11hip_rocprim3tagENS8_11use_defaultESC_EEPyyNS8_4plusIyEEEE10hipError_tPvRmT1_T2_T3_mT4_P12ihipStream_tbEUlT_E1_NS1_11comp_targetILNS1_3genE9ELNS1_11target_archE1100ELNS1_3gpuE3ELNS1_3repE0EEENS1_30default_config_static_selectorELNS0_4arch9wavefront6targetE1EEEvSK_,comdat
	.protected	_ZN7rocprim17ROCPRIM_400000_NS6detail17trampoline_kernelINS0_14default_configENS1_22reduce_config_selectorIyEEZNS1_11reduce_implILb1ES3_N6thrust23THRUST_200600_302600_NS17counting_iteratorIyNS8_11hip_rocprim3tagENS8_11use_defaultESC_EEPyyNS8_4plusIyEEEE10hipError_tPvRmT1_T2_T3_mT4_P12ihipStream_tbEUlT_E1_NS1_11comp_targetILNS1_3genE9ELNS1_11target_archE1100ELNS1_3gpuE3ELNS1_3repE0EEENS1_30default_config_static_selectorELNS0_4arch9wavefront6targetE1EEEvSK_ ; -- Begin function _ZN7rocprim17ROCPRIM_400000_NS6detail17trampoline_kernelINS0_14default_configENS1_22reduce_config_selectorIyEEZNS1_11reduce_implILb1ES3_N6thrust23THRUST_200600_302600_NS17counting_iteratorIyNS8_11hip_rocprim3tagENS8_11use_defaultESC_EEPyyNS8_4plusIyEEEE10hipError_tPvRmT1_T2_T3_mT4_P12ihipStream_tbEUlT_E1_NS1_11comp_targetILNS1_3genE9ELNS1_11target_archE1100ELNS1_3gpuE3ELNS1_3repE0EEENS1_30default_config_static_selectorELNS0_4arch9wavefront6targetE1EEEvSK_
	.globl	_ZN7rocprim17ROCPRIM_400000_NS6detail17trampoline_kernelINS0_14default_configENS1_22reduce_config_selectorIyEEZNS1_11reduce_implILb1ES3_N6thrust23THRUST_200600_302600_NS17counting_iteratorIyNS8_11hip_rocprim3tagENS8_11use_defaultESC_EEPyyNS8_4plusIyEEEE10hipError_tPvRmT1_T2_T3_mT4_P12ihipStream_tbEUlT_E1_NS1_11comp_targetILNS1_3genE9ELNS1_11target_archE1100ELNS1_3gpuE3ELNS1_3repE0EEENS1_30default_config_static_selectorELNS0_4arch9wavefront6targetE1EEEvSK_
	.p2align	8
	.type	_ZN7rocprim17ROCPRIM_400000_NS6detail17trampoline_kernelINS0_14default_configENS1_22reduce_config_selectorIyEEZNS1_11reduce_implILb1ES3_N6thrust23THRUST_200600_302600_NS17counting_iteratorIyNS8_11hip_rocprim3tagENS8_11use_defaultESC_EEPyyNS8_4plusIyEEEE10hipError_tPvRmT1_T2_T3_mT4_P12ihipStream_tbEUlT_E1_NS1_11comp_targetILNS1_3genE9ELNS1_11target_archE1100ELNS1_3gpuE3ELNS1_3repE0EEENS1_30default_config_static_selectorELNS0_4arch9wavefront6targetE1EEEvSK_,@function
_ZN7rocprim17ROCPRIM_400000_NS6detail17trampoline_kernelINS0_14default_configENS1_22reduce_config_selectorIyEEZNS1_11reduce_implILb1ES3_N6thrust23THRUST_200600_302600_NS17counting_iteratorIyNS8_11hip_rocprim3tagENS8_11use_defaultESC_EEPyyNS8_4plusIyEEEE10hipError_tPvRmT1_T2_T3_mT4_P12ihipStream_tbEUlT_E1_NS1_11comp_targetILNS1_3genE9ELNS1_11target_archE1100ELNS1_3gpuE3ELNS1_3repE0EEENS1_30default_config_static_selectorELNS0_4arch9wavefront6targetE1EEEvSK_: ; @_ZN7rocprim17ROCPRIM_400000_NS6detail17trampoline_kernelINS0_14default_configENS1_22reduce_config_selectorIyEEZNS1_11reduce_implILb1ES3_N6thrust23THRUST_200600_302600_NS17counting_iteratorIyNS8_11hip_rocprim3tagENS8_11use_defaultESC_EEPyyNS8_4plusIyEEEE10hipError_tPvRmT1_T2_T3_mT4_P12ihipStream_tbEUlT_E1_NS1_11comp_targetILNS1_3genE9ELNS1_11target_archE1100ELNS1_3gpuE3ELNS1_3repE0EEENS1_30default_config_static_selectorELNS0_4arch9wavefront6targetE1EEEvSK_
; %bb.0:
	.section	.rodata,"a",@progbits
	.p2align	6, 0x0
	.amdhsa_kernel _ZN7rocprim17ROCPRIM_400000_NS6detail17trampoline_kernelINS0_14default_configENS1_22reduce_config_selectorIyEEZNS1_11reduce_implILb1ES3_N6thrust23THRUST_200600_302600_NS17counting_iteratorIyNS8_11hip_rocprim3tagENS8_11use_defaultESC_EEPyyNS8_4plusIyEEEE10hipError_tPvRmT1_T2_T3_mT4_P12ihipStream_tbEUlT_E1_NS1_11comp_targetILNS1_3genE9ELNS1_11target_archE1100ELNS1_3gpuE3ELNS1_3repE0EEENS1_30default_config_static_selectorELNS0_4arch9wavefront6targetE1EEEvSK_
		.amdhsa_group_segment_fixed_size 0
		.amdhsa_private_segment_fixed_size 0
		.amdhsa_kernarg_size 48
		.amdhsa_user_sgpr_count 2
		.amdhsa_user_sgpr_dispatch_ptr 0
		.amdhsa_user_sgpr_queue_ptr 0
		.amdhsa_user_sgpr_kernarg_segment_ptr 1
		.amdhsa_user_sgpr_dispatch_id 0
		.amdhsa_user_sgpr_kernarg_preload_length 0
		.amdhsa_user_sgpr_kernarg_preload_offset 0
		.amdhsa_user_sgpr_private_segment_size 0
		.amdhsa_uses_dynamic_stack 0
		.amdhsa_enable_private_segment 0
		.amdhsa_system_sgpr_workgroup_id_x 1
		.amdhsa_system_sgpr_workgroup_id_y 0
		.amdhsa_system_sgpr_workgroup_id_z 0
		.amdhsa_system_sgpr_workgroup_info 0
		.amdhsa_system_vgpr_workitem_id 0
		.amdhsa_next_free_vgpr 1
		.amdhsa_next_free_sgpr 0
		.amdhsa_accum_offset 4
		.amdhsa_reserve_vcc 0
		.amdhsa_float_round_mode_32 0
		.amdhsa_float_round_mode_16_64 0
		.amdhsa_float_denorm_mode_32 3
		.amdhsa_float_denorm_mode_16_64 3
		.amdhsa_dx10_clamp 1
		.amdhsa_ieee_mode 1
		.amdhsa_fp16_overflow 0
		.amdhsa_tg_split 0
		.amdhsa_exception_fp_ieee_invalid_op 0
		.amdhsa_exception_fp_denorm_src 0
		.amdhsa_exception_fp_ieee_div_zero 0
		.amdhsa_exception_fp_ieee_overflow 0
		.amdhsa_exception_fp_ieee_underflow 0
		.amdhsa_exception_fp_ieee_inexact 0
		.amdhsa_exception_int_div_zero 0
	.end_amdhsa_kernel
	.section	.text._ZN7rocprim17ROCPRIM_400000_NS6detail17trampoline_kernelINS0_14default_configENS1_22reduce_config_selectorIyEEZNS1_11reduce_implILb1ES3_N6thrust23THRUST_200600_302600_NS17counting_iteratorIyNS8_11hip_rocprim3tagENS8_11use_defaultESC_EEPyyNS8_4plusIyEEEE10hipError_tPvRmT1_T2_T3_mT4_P12ihipStream_tbEUlT_E1_NS1_11comp_targetILNS1_3genE9ELNS1_11target_archE1100ELNS1_3gpuE3ELNS1_3repE0EEENS1_30default_config_static_selectorELNS0_4arch9wavefront6targetE1EEEvSK_,"axG",@progbits,_ZN7rocprim17ROCPRIM_400000_NS6detail17trampoline_kernelINS0_14default_configENS1_22reduce_config_selectorIyEEZNS1_11reduce_implILb1ES3_N6thrust23THRUST_200600_302600_NS17counting_iteratorIyNS8_11hip_rocprim3tagENS8_11use_defaultESC_EEPyyNS8_4plusIyEEEE10hipError_tPvRmT1_T2_T3_mT4_P12ihipStream_tbEUlT_E1_NS1_11comp_targetILNS1_3genE9ELNS1_11target_archE1100ELNS1_3gpuE3ELNS1_3repE0EEENS1_30default_config_static_selectorELNS0_4arch9wavefront6targetE1EEEvSK_,comdat
.Lfunc_end1035:
	.size	_ZN7rocprim17ROCPRIM_400000_NS6detail17trampoline_kernelINS0_14default_configENS1_22reduce_config_selectorIyEEZNS1_11reduce_implILb1ES3_N6thrust23THRUST_200600_302600_NS17counting_iteratorIyNS8_11hip_rocprim3tagENS8_11use_defaultESC_EEPyyNS8_4plusIyEEEE10hipError_tPvRmT1_T2_T3_mT4_P12ihipStream_tbEUlT_E1_NS1_11comp_targetILNS1_3genE9ELNS1_11target_archE1100ELNS1_3gpuE3ELNS1_3repE0EEENS1_30default_config_static_selectorELNS0_4arch9wavefront6targetE1EEEvSK_, .Lfunc_end1035-_ZN7rocprim17ROCPRIM_400000_NS6detail17trampoline_kernelINS0_14default_configENS1_22reduce_config_selectorIyEEZNS1_11reduce_implILb1ES3_N6thrust23THRUST_200600_302600_NS17counting_iteratorIyNS8_11hip_rocprim3tagENS8_11use_defaultESC_EEPyyNS8_4plusIyEEEE10hipError_tPvRmT1_T2_T3_mT4_P12ihipStream_tbEUlT_E1_NS1_11comp_targetILNS1_3genE9ELNS1_11target_archE1100ELNS1_3gpuE3ELNS1_3repE0EEENS1_30default_config_static_selectorELNS0_4arch9wavefront6targetE1EEEvSK_
                                        ; -- End function
	.set _ZN7rocprim17ROCPRIM_400000_NS6detail17trampoline_kernelINS0_14default_configENS1_22reduce_config_selectorIyEEZNS1_11reduce_implILb1ES3_N6thrust23THRUST_200600_302600_NS17counting_iteratorIyNS8_11hip_rocprim3tagENS8_11use_defaultESC_EEPyyNS8_4plusIyEEEE10hipError_tPvRmT1_T2_T3_mT4_P12ihipStream_tbEUlT_E1_NS1_11comp_targetILNS1_3genE9ELNS1_11target_archE1100ELNS1_3gpuE3ELNS1_3repE0EEENS1_30default_config_static_selectorELNS0_4arch9wavefront6targetE1EEEvSK_.num_vgpr, 0
	.set _ZN7rocprim17ROCPRIM_400000_NS6detail17trampoline_kernelINS0_14default_configENS1_22reduce_config_selectorIyEEZNS1_11reduce_implILb1ES3_N6thrust23THRUST_200600_302600_NS17counting_iteratorIyNS8_11hip_rocprim3tagENS8_11use_defaultESC_EEPyyNS8_4plusIyEEEE10hipError_tPvRmT1_T2_T3_mT4_P12ihipStream_tbEUlT_E1_NS1_11comp_targetILNS1_3genE9ELNS1_11target_archE1100ELNS1_3gpuE3ELNS1_3repE0EEENS1_30default_config_static_selectorELNS0_4arch9wavefront6targetE1EEEvSK_.num_agpr, 0
	.set _ZN7rocprim17ROCPRIM_400000_NS6detail17trampoline_kernelINS0_14default_configENS1_22reduce_config_selectorIyEEZNS1_11reduce_implILb1ES3_N6thrust23THRUST_200600_302600_NS17counting_iteratorIyNS8_11hip_rocprim3tagENS8_11use_defaultESC_EEPyyNS8_4plusIyEEEE10hipError_tPvRmT1_T2_T3_mT4_P12ihipStream_tbEUlT_E1_NS1_11comp_targetILNS1_3genE9ELNS1_11target_archE1100ELNS1_3gpuE3ELNS1_3repE0EEENS1_30default_config_static_selectorELNS0_4arch9wavefront6targetE1EEEvSK_.numbered_sgpr, 0
	.set _ZN7rocprim17ROCPRIM_400000_NS6detail17trampoline_kernelINS0_14default_configENS1_22reduce_config_selectorIyEEZNS1_11reduce_implILb1ES3_N6thrust23THRUST_200600_302600_NS17counting_iteratorIyNS8_11hip_rocprim3tagENS8_11use_defaultESC_EEPyyNS8_4plusIyEEEE10hipError_tPvRmT1_T2_T3_mT4_P12ihipStream_tbEUlT_E1_NS1_11comp_targetILNS1_3genE9ELNS1_11target_archE1100ELNS1_3gpuE3ELNS1_3repE0EEENS1_30default_config_static_selectorELNS0_4arch9wavefront6targetE1EEEvSK_.num_named_barrier, 0
	.set _ZN7rocprim17ROCPRIM_400000_NS6detail17trampoline_kernelINS0_14default_configENS1_22reduce_config_selectorIyEEZNS1_11reduce_implILb1ES3_N6thrust23THRUST_200600_302600_NS17counting_iteratorIyNS8_11hip_rocprim3tagENS8_11use_defaultESC_EEPyyNS8_4plusIyEEEE10hipError_tPvRmT1_T2_T3_mT4_P12ihipStream_tbEUlT_E1_NS1_11comp_targetILNS1_3genE9ELNS1_11target_archE1100ELNS1_3gpuE3ELNS1_3repE0EEENS1_30default_config_static_selectorELNS0_4arch9wavefront6targetE1EEEvSK_.private_seg_size, 0
	.set _ZN7rocprim17ROCPRIM_400000_NS6detail17trampoline_kernelINS0_14default_configENS1_22reduce_config_selectorIyEEZNS1_11reduce_implILb1ES3_N6thrust23THRUST_200600_302600_NS17counting_iteratorIyNS8_11hip_rocprim3tagENS8_11use_defaultESC_EEPyyNS8_4plusIyEEEE10hipError_tPvRmT1_T2_T3_mT4_P12ihipStream_tbEUlT_E1_NS1_11comp_targetILNS1_3genE9ELNS1_11target_archE1100ELNS1_3gpuE3ELNS1_3repE0EEENS1_30default_config_static_selectorELNS0_4arch9wavefront6targetE1EEEvSK_.uses_vcc, 0
	.set _ZN7rocprim17ROCPRIM_400000_NS6detail17trampoline_kernelINS0_14default_configENS1_22reduce_config_selectorIyEEZNS1_11reduce_implILb1ES3_N6thrust23THRUST_200600_302600_NS17counting_iteratorIyNS8_11hip_rocprim3tagENS8_11use_defaultESC_EEPyyNS8_4plusIyEEEE10hipError_tPvRmT1_T2_T3_mT4_P12ihipStream_tbEUlT_E1_NS1_11comp_targetILNS1_3genE9ELNS1_11target_archE1100ELNS1_3gpuE3ELNS1_3repE0EEENS1_30default_config_static_selectorELNS0_4arch9wavefront6targetE1EEEvSK_.uses_flat_scratch, 0
	.set _ZN7rocprim17ROCPRIM_400000_NS6detail17trampoline_kernelINS0_14default_configENS1_22reduce_config_selectorIyEEZNS1_11reduce_implILb1ES3_N6thrust23THRUST_200600_302600_NS17counting_iteratorIyNS8_11hip_rocprim3tagENS8_11use_defaultESC_EEPyyNS8_4plusIyEEEE10hipError_tPvRmT1_T2_T3_mT4_P12ihipStream_tbEUlT_E1_NS1_11comp_targetILNS1_3genE9ELNS1_11target_archE1100ELNS1_3gpuE3ELNS1_3repE0EEENS1_30default_config_static_selectorELNS0_4arch9wavefront6targetE1EEEvSK_.has_dyn_sized_stack, 0
	.set _ZN7rocprim17ROCPRIM_400000_NS6detail17trampoline_kernelINS0_14default_configENS1_22reduce_config_selectorIyEEZNS1_11reduce_implILb1ES3_N6thrust23THRUST_200600_302600_NS17counting_iteratorIyNS8_11hip_rocprim3tagENS8_11use_defaultESC_EEPyyNS8_4plusIyEEEE10hipError_tPvRmT1_T2_T3_mT4_P12ihipStream_tbEUlT_E1_NS1_11comp_targetILNS1_3genE9ELNS1_11target_archE1100ELNS1_3gpuE3ELNS1_3repE0EEENS1_30default_config_static_selectorELNS0_4arch9wavefront6targetE1EEEvSK_.has_recursion, 0
	.set _ZN7rocprim17ROCPRIM_400000_NS6detail17trampoline_kernelINS0_14default_configENS1_22reduce_config_selectorIyEEZNS1_11reduce_implILb1ES3_N6thrust23THRUST_200600_302600_NS17counting_iteratorIyNS8_11hip_rocprim3tagENS8_11use_defaultESC_EEPyyNS8_4plusIyEEEE10hipError_tPvRmT1_T2_T3_mT4_P12ihipStream_tbEUlT_E1_NS1_11comp_targetILNS1_3genE9ELNS1_11target_archE1100ELNS1_3gpuE3ELNS1_3repE0EEENS1_30default_config_static_selectorELNS0_4arch9wavefront6targetE1EEEvSK_.has_indirect_call, 0
	.section	.AMDGPU.csdata,"",@progbits
; Kernel info:
; codeLenInByte = 0
; TotalNumSgprs: 6
; NumVgprs: 0
; NumAgprs: 0
; TotalNumVgprs: 0
; ScratchSize: 0
; MemoryBound: 0
; FloatMode: 240
; IeeeMode: 1
; LDSByteSize: 0 bytes/workgroup (compile time only)
; SGPRBlocks: 0
; VGPRBlocks: 0
; NumSGPRsForWavesPerEU: 6
; NumVGPRsForWavesPerEU: 1
; AccumOffset: 4
; Occupancy: 8
; WaveLimiterHint : 0
; COMPUTE_PGM_RSRC2:SCRATCH_EN: 0
; COMPUTE_PGM_RSRC2:USER_SGPR: 2
; COMPUTE_PGM_RSRC2:TRAP_HANDLER: 0
; COMPUTE_PGM_RSRC2:TGID_X_EN: 1
; COMPUTE_PGM_RSRC2:TGID_Y_EN: 0
; COMPUTE_PGM_RSRC2:TGID_Z_EN: 0
; COMPUTE_PGM_RSRC2:TIDIG_COMP_CNT: 0
; COMPUTE_PGM_RSRC3_GFX90A:ACCUM_OFFSET: 0
; COMPUTE_PGM_RSRC3_GFX90A:TG_SPLIT: 0
	.section	.text._ZN7rocprim17ROCPRIM_400000_NS6detail17trampoline_kernelINS0_14default_configENS1_22reduce_config_selectorIyEEZNS1_11reduce_implILb1ES3_N6thrust23THRUST_200600_302600_NS17counting_iteratorIyNS8_11hip_rocprim3tagENS8_11use_defaultESC_EEPyyNS8_4plusIyEEEE10hipError_tPvRmT1_T2_T3_mT4_P12ihipStream_tbEUlT_E1_NS1_11comp_targetILNS1_3genE8ELNS1_11target_archE1030ELNS1_3gpuE2ELNS1_3repE0EEENS1_30default_config_static_selectorELNS0_4arch9wavefront6targetE1EEEvSK_,"axG",@progbits,_ZN7rocprim17ROCPRIM_400000_NS6detail17trampoline_kernelINS0_14default_configENS1_22reduce_config_selectorIyEEZNS1_11reduce_implILb1ES3_N6thrust23THRUST_200600_302600_NS17counting_iteratorIyNS8_11hip_rocprim3tagENS8_11use_defaultESC_EEPyyNS8_4plusIyEEEE10hipError_tPvRmT1_T2_T3_mT4_P12ihipStream_tbEUlT_E1_NS1_11comp_targetILNS1_3genE8ELNS1_11target_archE1030ELNS1_3gpuE2ELNS1_3repE0EEENS1_30default_config_static_selectorELNS0_4arch9wavefront6targetE1EEEvSK_,comdat
	.protected	_ZN7rocprim17ROCPRIM_400000_NS6detail17trampoline_kernelINS0_14default_configENS1_22reduce_config_selectorIyEEZNS1_11reduce_implILb1ES3_N6thrust23THRUST_200600_302600_NS17counting_iteratorIyNS8_11hip_rocprim3tagENS8_11use_defaultESC_EEPyyNS8_4plusIyEEEE10hipError_tPvRmT1_T2_T3_mT4_P12ihipStream_tbEUlT_E1_NS1_11comp_targetILNS1_3genE8ELNS1_11target_archE1030ELNS1_3gpuE2ELNS1_3repE0EEENS1_30default_config_static_selectorELNS0_4arch9wavefront6targetE1EEEvSK_ ; -- Begin function _ZN7rocprim17ROCPRIM_400000_NS6detail17trampoline_kernelINS0_14default_configENS1_22reduce_config_selectorIyEEZNS1_11reduce_implILb1ES3_N6thrust23THRUST_200600_302600_NS17counting_iteratorIyNS8_11hip_rocprim3tagENS8_11use_defaultESC_EEPyyNS8_4plusIyEEEE10hipError_tPvRmT1_T2_T3_mT4_P12ihipStream_tbEUlT_E1_NS1_11comp_targetILNS1_3genE8ELNS1_11target_archE1030ELNS1_3gpuE2ELNS1_3repE0EEENS1_30default_config_static_selectorELNS0_4arch9wavefront6targetE1EEEvSK_
	.globl	_ZN7rocprim17ROCPRIM_400000_NS6detail17trampoline_kernelINS0_14default_configENS1_22reduce_config_selectorIyEEZNS1_11reduce_implILb1ES3_N6thrust23THRUST_200600_302600_NS17counting_iteratorIyNS8_11hip_rocprim3tagENS8_11use_defaultESC_EEPyyNS8_4plusIyEEEE10hipError_tPvRmT1_T2_T3_mT4_P12ihipStream_tbEUlT_E1_NS1_11comp_targetILNS1_3genE8ELNS1_11target_archE1030ELNS1_3gpuE2ELNS1_3repE0EEENS1_30default_config_static_selectorELNS0_4arch9wavefront6targetE1EEEvSK_
	.p2align	8
	.type	_ZN7rocprim17ROCPRIM_400000_NS6detail17trampoline_kernelINS0_14default_configENS1_22reduce_config_selectorIyEEZNS1_11reduce_implILb1ES3_N6thrust23THRUST_200600_302600_NS17counting_iteratorIyNS8_11hip_rocprim3tagENS8_11use_defaultESC_EEPyyNS8_4plusIyEEEE10hipError_tPvRmT1_T2_T3_mT4_P12ihipStream_tbEUlT_E1_NS1_11comp_targetILNS1_3genE8ELNS1_11target_archE1030ELNS1_3gpuE2ELNS1_3repE0EEENS1_30default_config_static_selectorELNS0_4arch9wavefront6targetE1EEEvSK_,@function
_ZN7rocprim17ROCPRIM_400000_NS6detail17trampoline_kernelINS0_14default_configENS1_22reduce_config_selectorIyEEZNS1_11reduce_implILb1ES3_N6thrust23THRUST_200600_302600_NS17counting_iteratorIyNS8_11hip_rocprim3tagENS8_11use_defaultESC_EEPyyNS8_4plusIyEEEE10hipError_tPvRmT1_T2_T3_mT4_P12ihipStream_tbEUlT_E1_NS1_11comp_targetILNS1_3genE8ELNS1_11target_archE1030ELNS1_3gpuE2ELNS1_3repE0EEENS1_30default_config_static_selectorELNS0_4arch9wavefront6targetE1EEEvSK_: ; @_ZN7rocprim17ROCPRIM_400000_NS6detail17trampoline_kernelINS0_14default_configENS1_22reduce_config_selectorIyEEZNS1_11reduce_implILb1ES3_N6thrust23THRUST_200600_302600_NS17counting_iteratorIyNS8_11hip_rocprim3tagENS8_11use_defaultESC_EEPyyNS8_4plusIyEEEE10hipError_tPvRmT1_T2_T3_mT4_P12ihipStream_tbEUlT_E1_NS1_11comp_targetILNS1_3genE8ELNS1_11target_archE1030ELNS1_3gpuE2ELNS1_3repE0EEENS1_30default_config_static_selectorELNS0_4arch9wavefront6targetE1EEEvSK_
; %bb.0:
	.section	.rodata,"a",@progbits
	.p2align	6, 0x0
	.amdhsa_kernel _ZN7rocprim17ROCPRIM_400000_NS6detail17trampoline_kernelINS0_14default_configENS1_22reduce_config_selectorIyEEZNS1_11reduce_implILb1ES3_N6thrust23THRUST_200600_302600_NS17counting_iteratorIyNS8_11hip_rocprim3tagENS8_11use_defaultESC_EEPyyNS8_4plusIyEEEE10hipError_tPvRmT1_T2_T3_mT4_P12ihipStream_tbEUlT_E1_NS1_11comp_targetILNS1_3genE8ELNS1_11target_archE1030ELNS1_3gpuE2ELNS1_3repE0EEENS1_30default_config_static_selectorELNS0_4arch9wavefront6targetE1EEEvSK_
		.amdhsa_group_segment_fixed_size 0
		.amdhsa_private_segment_fixed_size 0
		.amdhsa_kernarg_size 48
		.amdhsa_user_sgpr_count 2
		.amdhsa_user_sgpr_dispatch_ptr 0
		.amdhsa_user_sgpr_queue_ptr 0
		.amdhsa_user_sgpr_kernarg_segment_ptr 1
		.amdhsa_user_sgpr_dispatch_id 0
		.amdhsa_user_sgpr_kernarg_preload_length 0
		.amdhsa_user_sgpr_kernarg_preload_offset 0
		.amdhsa_user_sgpr_private_segment_size 0
		.amdhsa_uses_dynamic_stack 0
		.amdhsa_enable_private_segment 0
		.amdhsa_system_sgpr_workgroup_id_x 1
		.amdhsa_system_sgpr_workgroup_id_y 0
		.amdhsa_system_sgpr_workgroup_id_z 0
		.amdhsa_system_sgpr_workgroup_info 0
		.amdhsa_system_vgpr_workitem_id 0
		.amdhsa_next_free_vgpr 1
		.amdhsa_next_free_sgpr 0
		.amdhsa_accum_offset 4
		.amdhsa_reserve_vcc 0
		.amdhsa_float_round_mode_32 0
		.amdhsa_float_round_mode_16_64 0
		.amdhsa_float_denorm_mode_32 3
		.amdhsa_float_denorm_mode_16_64 3
		.amdhsa_dx10_clamp 1
		.amdhsa_ieee_mode 1
		.amdhsa_fp16_overflow 0
		.amdhsa_tg_split 0
		.amdhsa_exception_fp_ieee_invalid_op 0
		.amdhsa_exception_fp_denorm_src 0
		.amdhsa_exception_fp_ieee_div_zero 0
		.amdhsa_exception_fp_ieee_overflow 0
		.amdhsa_exception_fp_ieee_underflow 0
		.amdhsa_exception_fp_ieee_inexact 0
		.amdhsa_exception_int_div_zero 0
	.end_amdhsa_kernel
	.section	.text._ZN7rocprim17ROCPRIM_400000_NS6detail17trampoline_kernelINS0_14default_configENS1_22reduce_config_selectorIyEEZNS1_11reduce_implILb1ES3_N6thrust23THRUST_200600_302600_NS17counting_iteratorIyNS8_11hip_rocprim3tagENS8_11use_defaultESC_EEPyyNS8_4plusIyEEEE10hipError_tPvRmT1_T2_T3_mT4_P12ihipStream_tbEUlT_E1_NS1_11comp_targetILNS1_3genE8ELNS1_11target_archE1030ELNS1_3gpuE2ELNS1_3repE0EEENS1_30default_config_static_selectorELNS0_4arch9wavefront6targetE1EEEvSK_,"axG",@progbits,_ZN7rocprim17ROCPRIM_400000_NS6detail17trampoline_kernelINS0_14default_configENS1_22reduce_config_selectorIyEEZNS1_11reduce_implILb1ES3_N6thrust23THRUST_200600_302600_NS17counting_iteratorIyNS8_11hip_rocprim3tagENS8_11use_defaultESC_EEPyyNS8_4plusIyEEEE10hipError_tPvRmT1_T2_T3_mT4_P12ihipStream_tbEUlT_E1_NS1_11comp_targetILNS1_3genE8ELNS1_11target_archE1030ELNS1_3gpuE2ELNS1_3repE0EEENS1_30default_config_static_selectorELNS0_4arch9wavefront6targetE1EEEvSK_,comdat
.Lfunc_end1036:
	.size	_ZN7rocprim17ROCPRIM_400000_NS6detail17trampoline_kernelINS0_14default_configENS1_22reduce_config_selectorIyEEZNS1_11reduce_implILb1ES3_N6thrust23THRUST_200600_302600_NS17counting_iteratorIyNS8_11hip_rocprim3tagENS8_11use_defaultESC_EEPyyNS8_4plusIyEEEE10hipError_tPvRmT1_T2_T3_mT4_P12ihipStream_tbEUlT_E1_NS1_11comp_targetILNS1_3genE8ELNS1_11target_archE1030ELNS1_3gpuE2ELNS1_3repE0EEENS1_30default_config_static_selectorELNS0_4arch9wavefront6targetE1EEEvSK_, .Lfunc_end1036-_ZN7rocprim17ROCPRIM_400000_NS6detail17trampoline_kernelINS0_14default_configENS1_22reduce_config_selectorIyEEZNS1_11reduce_implILb1ES3_N6thrust23THRUST_200600_302600_NS17counting_iteratorIyNS8_11hip_rocprim3tagENS8_11use_defaultESC_EEPyyNS8_4plusIyEEEE10hipError_tPvRmT1_T2_T3_mT4_P12ihipStream_tbEUlT_E1_NS1_11comp_targetILNS1_3genE8ELNS1_11target_archE1030ELNS1_3gpuE2ELNS1_3repE0EEENS1_30default_config_static_selectorELNS0_4arch9wavefront6targetE1EEEvSK_
                                        ; -- End function
	.set _ZN7rocprim17ROCPRIM_400000_NS6detail17trampoline_kernelINS0_14default_configENS1_22reduce_config_selectorIyEEZNS1_11reduce_implILb1ES3_N6thrust23THRUST_200600_302600_NS17counting_iteratorIyNS8_11hip_rocprim3tagENS8_11use_defaultESC_EEPyyNS8_4plusIyEEEE10hipError_tPvRmT1_T2_T3_mT4_P12ihipStream_tbEUlT_E1_NS1_11comp_targetILNS1_3genE8ELNS1_11target_archE1030ELNS1_3gpuE2ELNS1_3repE0EEENS1_30default_config_static_selectorELNS0_4arch9wavefront6targetE1EEEvSK_.num_vgpr, 0
	.set _ZN7rocprim17ROCPRIM_400000_NS6detail17trampoline_kernelINS0_14default_configENS1_22reduce_config_selectorIyEEZNS1_11reduce_implILb1ES3_N6thrust23THRUST_200600_302600_NS17counting_iteratorIyNS8_11hip_rocprim3tagENS8_11use_defaultESC_EEPyyNS8_4plusIyEEEE10hipError_tPvRmT1_T2_T3_mT4_P12ihipStream_tbEUlT_E1_NS1_11comp_targetILNS1_3genE8ELNS1_11target_archE1030ELNS1_3gpuE2ELNS1_3repE0EEENS1_30default_config_static_selectorELNS0_4arch9wavefront6targetE1EEEvSK_.num_agpr, 0
	.set _ZN7rocprim17ROCPRIM_400000_NS6detail17trampoline_kernelINS0_14default_configENS1_22reduce_config_selectorIyEEZNS1_11reduce_implILb1ES3_N6thrust23THRUST_200600_302600_NS17counting_iteratorIyNS8_11hip_rocprim3tagENS8_11use_defaultESC_EEPyyNS8_4plusIyEEEE10hipError_tPvRmT1_T2_T3_mT4_P12ihipStream_tbEUlT_E1_NS1_11comp_targetILNS1_3genE8ELNS1_11target_archE1030ELNS1_3gpuE2ELNS1_3repE0EEENS1_30default_config_static_selectorELNS0_4arch9wavefront6targetE1EEEvSK_.numbered_sgpr, 0
	.set _ZN7rocprim17ROCPRIM_400000_NS6detail17trampoline_kernelINS0_14default_configENS1_22reduce_config_selectorIyEEZNS1_11reduce_implILb1ES3_N6thrust23THRUST_200600_302600_NS17counting_iteratorIyNS8_11hip_rocprim3tagENS8_11use_defaultESC_EEPyyNS8_4plusIyEEEE10hipError_tPvRmT1_T2_T3_mT4_P12ihipStream_tbEUlT_E1_NS1_11comp_targetILNS1_3genE8ELNS1_11target_archE1030ELNS1_3gpuE2ELNS1_3repE0EEENS1_30default_config_static_selectorELNS0_4arch9wavefront6targetE1EEEvSK_.num_named_barrier, 0
	.set _ZN7rocprim17ROCPRIM_400000_NS6detail17trampoline_kernelINS0_14default_configENS1_22reduce_config_selectorIyEEZNS1_11reduce_implILb1ES3_N6thrust23THRUST_200600_302600_NS17counting_iteratorIyNS8_11hip_rocprim3tagENS8_11use_defaultESC_EEPyyNS8_4plusIyEEEE10hipError_tPvRmT1_T2_T3_mT4_P12ihipStream_tbEUlT_E1_NS1_11comp_targetILNS1_3genE8ELNS1_11target_archE1030ELNS1_3gpuE2ELNS1_3repE0EEENS1_30default_config_static_selectorELNS0_4arch9wavefront6targetE1EEEvSK_.private_seg_size, 0
	.set _ZN7rocprim17ROCPRIM_400000_NS6detail17trampoline_kernelINS0_14default_configENS1_22reduce_config_selectorIyEEZNS1_11reduce_implILb1ES3_N6thrust23THRUST_200600_302600_NS17counting_iteratorIyNS8_11hip_rocprim3tagENS8_11use_defaultESC_EEPyyNS8_4plusIyEEEE10hipError_tPvRmT1_T2_T3_mT4_P12ihipStream_tbEUlT_E1_NS1_11comp_targetILNS1_3genE8ELNS1_11target_archE1030ELNS1_3gpuE2ELNS1_3repE0EEENS1_30default_config_static_selectorELNS0_4arch9wavefront6targetE1EEEvSK_.uses_vcc, 0
	.set _ZN7rocprim17ROCPRIM_400000_NS6detail17trampoline_kernelINS0_14default_configENS1_22reduce_config_selectorIyEEZNS1_11reduce_implILb1ES3_N6thrust23THRUST_200600_302600_NS17counting_iteratorIyNS8_11hip_rocprim3tagENS8_11use_defaultESC_EEPyyNS8_4plusIyEEEE10hipError_tPvRmT1_T2_T3_mT4_P12ihipStream_tbEUlT_E1_NS1_11comp_targetILNS1_3genE8ELNS1_11target_archE1030ELNS1_3gpuE2ELNS1_3repE0EEENS1_30default_config_static_selectorELNS0_4arch9wavefront6targetE1EEEvSK_.uses_flat_scratch, 0
	.set _ZN7rocprim17ROCPRIM_400000_NS6detail17trampoline_kernelINS0_14default_configENS1_22reduce_config_selectorIyEEZNS1_11reduce_implILb1ES3_N6thrust23THRUST_200600_302600_NS17counting_iteratorIyNS8_11hip_rocprim3tagENS8_11use_defaultESC_EEPyyNS8_4plusIyEEEE10hipError_tPvRmT1_T2_T3_mT4_P12ihipStream_tbEUlT_E1_NS1_11comp_targetILNS1_3genE8ELNS1_11target_archE1030ELNS1_3gpuE2ELNS1_3repE0EEENS1_30default_config_static_selectorELNS0_4arch9wavefront6targetE1EEEvSK_.has_dyn_sized_stack, 0
	.set _ZN7rocprim17ROCPRIM_400000_NS6detail17trampoline_kernelINS0_14default_configENS1_22reduce_config_selectorIyEEZNS1_11reduce_implILb1ES3_N6thrust23THRUST_200600_302600_NS17counting_iteratorIyNS8_11hip_rocprim3tagENS8_11use_defaultESC_EEPyyNS8_4plusIyEEEE10hipError_tPvRmT1_T2_T3_mT4_P12ihipStream_tbEUlT_E1_NS1_11comp_targetILNS1_3genE8ELNS1_11target_archE1030ELNS1_3gpuE2ELNS1_3repE0EEENS1_30default_config_static_selectorELNS0_4arch9wavefront6targetE1EEEvSK_.has_recursion, 0
	.set _ZN7rocprim17ROCPRIM_400000_NS6detail17trampoline_kernelINS0_14default_configENS1_22reduce_config_selectorIyEEZNS1_11reduce_implILb1ES3_N6thrust23THRUST_200600_302600_NS17counting_iteratorIyNS8_11hip_rocprim3tagENS8_11use_defaultESC_EEPyyNS8_4plusIyEEEE10hipError_tPvRmT1_T2_T3_mT4_P12ihipStream_tbEUlT_E1_NS1_11comp_targetILNS1_3genE8ELNS1_11target_archE1030ELNS1_3gpuE2ELNS1_3repE0EEENS1_30default_config_static_selectorELNS0_4arch9wavefront6targetE1EEEvSK_.has_indirect_call, 0
	.section	.AMDGPU.csdata,"",@progbits
; Kernel info:
; codeLenInByte = 0
; TotalNumSgprs: 6
; NumVgprs: 0
; NumAgprs: 0
; TotalNumVgprs: 0
; ScratchSize: 0
; MemoryBound: 0
; FloatMode: 240
; IeeeMode: 1
; LDSByteSize: 0 bytes/workgroup (compile time only)
; SGPRBlocks: 0
; VGPRBlocks: 0
; NumSGPRsForWavesPerEU: 6
; NumVGPRsForWavesPerEU: 1
; AccumOffset: 4
; Occupancy: 8
; WaveLimiterHint : 0
; COMPUTE_PGM_RSRC2:SCRATCH_EN: 0
; COMPUTE_PGM_RSRC2:USER_SGPR: 2
; COMPUTE_PGM_RSRC2:TRAP_HANDLER: 0
; COMPUTE_PGM_RSRC2:TGID_X_EN: 1
; COMPUTE_PGM_RSRC2:TGID_Y_EN: 0
; COMPUTE_PGM_RSRC2:TGID_Z_EN: 0
; COMPUTE_PGM_RSRC2:TIDIG_COMP_CNT: 0
; COMPUTE_PGM_RSRC3_GFX90A:ACCUM_OFFSET: 0
; COMPUTE_PGM_RSRC3_GFX90A:TG_SPLIT: 0
	.section	.text._ZN7rocprim17ROCPRIM_400000_NS6detail17trampoline_kernelINS0_14default_configENS1_22reduce_config_selectorIjEEZNS1_11reduce_implILb1ES3_N6thrust23THRUST_200600_302600_NS17counting_iteratorIjNS8_11hip_rocprim3tagENS8_11use_defaultESC_EEPjjNS8_4plusIjEEEE10hipError_tPvRmT1_T2_T3_mT4_P12ihipStream_tbEUlT_E0_NS1_11comp_targetILNS1_3genE0ELNS1_11target_archE4294967295ELNS1_3gpuE0ELNS1_3repE0EEENS1_30default_config_static_selectorELNS0_4arch9wavefront6targetE1EEEvSK_,"axG",@progbits,_ZN7rocprim17ROCPRIM_400000_NS6detail17trampoline_kernelINS0_14default_configENS1_22reduce_config_selectorIjEEZNS1_11reduce_implILb1ES3_N6thrust23THRUST_200600_302600_NS17counting_iteratorIjNS8_11hip_rocprim3tagENS8_11use_defaultESC_EEPjjNS8_4plusIjEEEE10hipError_tPvRmT1_T2_T3_mT4_P12ihipStream_tbEUlT_E0_NS1_11comp_targetILNS1_3genE0ELNS1_11target_archE4294967295ELNS1_3gpuE0ELNS1_3repE0EEENS1_30default_config_static_selectorELNS0_4arch9wavefront6targetE1EEEvSK_,comdat
	.protected	_ZN7rocprim17ROCPRIM_400000_NS6detail17trampoline_kernelINS0_14default_configENS1_22reduce_config_selectorIjEEZNS1_11reduce_implILb1ES3_N6thrust23THRUST_200600_302600_NS17counting_iteratorIjNS8_11hip_rocprim3tagENS8_11use_defaultESC_EEPjjNS8_4plusIjEEEE10hipError_tPvRmT1_T2_T3_mT4_P12ihipStream_tbEUlT_E0_NS1_11comp_targetILNS1_3genE0ELNS1_11target_archE4294967295ELNS1_3gpuE0ELNS1_3repE0EEENS1_30default_config_static_selectorELNS0_4arch9wavefront6targetE1EEEvSK_ ; -- Begin function _ZN7rocprim17ROCPRIM_400000_NS6detail17trampoline_kernelINS0_14default_configENS1_22reduce_config_selectorIjEEZNS1_11reduce_implILb1ES3_N6thrust23THRUST_200600_302600_NS17counting_iteratorIjNS8_11hip_rocprim3tagENS8_11use_defaultESC_EEPjjNS8_4plusIjEEEE10hipError_tPvRmT1_T2_T3_mT4_P12ihipStream_tbEUlT_E0_NS1_11comp_targetILNS1_3genE0ELNS1_11target_archE4294967295ELNS1_3gpuE0ELNS1_3repE0EEENS1_30default_config_static_selectorELNS0_4arch9wavefront6targetE1EEEvSK_
	.globl	_ZN7rocprim17ROCPRIM_400000_NS6detail17trampoline_kernelINS0_14default_configENS1_22reduce_config_selectorIjEEZNS1_11reduce_implILb1ES3_N6thrust23THRUST_200600_302600_NS17counting_iteratorIjNS8_11hip_rocprim3tagENS8_11use_defaultESC_EEPjjNS8_4plusIjEEEE10hipError_tPvRmT1_T2_T3_mT4_P12ihipStream_tbEUlT_E0_NS1_11comp_targetILNS1_3genE0ELNS1_11target_archE4294967295ELNS1_3gpuE0ELNS1_3repE0EEENS1_30default_config_static_selectorELNS0_4arch9wavefront6targetE1EEEvSK_
	.p2align	8
	.type	_ZN7rocprim17ROCPRIM_400000_NS6detail17trampoline_kernelINS0_14default_configENS1_22reduce_config_selectorIjEEZNS1_11reduce_implILb1ES3_N6thrust23THRUST_200600_302600_NS17counting_iteratorIjNS8_11hip_rocprim3tagENS8_11use_defaultESC_EEPjjNS8_4plusIjEEEE10hipError_tPvRmT1_T2_T3_mT4_P12ihipStream_tbEUlT_E0_NS1_11comp_targetILNS1_3genE0ELNS1_11target_archE4294967295ELNS1_3gpuE0ELNS1_3repE0EEENS1_30default_config_static_selectorELNS0_4arch9wavefront6targetE1EEEvSK_,@function
_ZN7rocprim17ROCPRIM_400000_NS6detail17trampoline_kernelINS0_14default_configENS1_22reduce_config_selectorIjEEZNS1_11reduce_implILb1ES3_N6thrust23THRUST_200600_302600_NS17counting_iteratorIjNS8_11hip_rocprim3tagENS8_11use_defaultESC_EEPjjNS8_4plusIjEEEE10hipError_tPvRmT1_T2_T3_mT4_P12ihipStream_tbEUlT_E0_NS1_11comp_targetILNS1_3genE0ELNS1_11target_archE4294967295ELNS1_3gpuE0ELNS1_3repE0EEENS1_30default_config_static_selectorELNS0_4arch9wavefront6targetE1EEEvSK_: ; @_ZN7rocprim17ROCPRIM_400000_NS6detail17trampoline_kernelINS0_14default_configENS1_22reduce_config_selectorIjEEZNS1_11reduce_implILb1ES3_N6thrust23THRUST_200600_302600_NS17counting_iteratorIjNS8_11hip_rocprim3tagENS8_11use_defaultESC_EEPjjNS8_4plusIjEEEE10hipError_tPvRmT1_T2_T3_mT4_P12ihipStream_tbEUlT_E0_NS1_11comp_targetILNS1_3genE0ELNS1_11target_archE4294967295ELNS1_3gpuE0ELNS1_3repE0EEENS1_30default_config_static_selectorELNS0_4arch9wavefront6targetE1EEEvSK_
; %bb.0:
	s_load_dword s15, s[0:1], 0x0
	s_load_dwordx8 s[4:11], s[0:1], 0x8
	s_load_dwordx2 s[12:13], s[0:1], 0x28
	s_lshl_b32 s16, s2, 10
	s_mov_b32 s3, 0
	v_mbcnt_lo_u32_b32 v2, -1, 0
	s_waitcnt lgkmcnt(0)
	s_add_i32 s15, s15, s4
	s_lshr_b64 s[4:5], s[6:7], 10
	s_cmp_lg_u64 s[4:5], s[2:3]
	s_cbranch_scc0 .LBB1037_6
; %bb.1:
	s_add_i32 s4, s15, s16
	v_add_u32_e32 v1, s4, v0
	v_mov_b32_e32 v3, 0x600
	v_lshl_add_u32 v1, v1, 2, v3
	v_mbcnt_hi_u32_b32 v3, -1, v2
	v_lshlrev_b32_e32 v4, 2, v3
	v_add_u32_dpp v1, v1, v1 quad_perm:[1,0,3,2] row_mask:0xf bank_mask:0xf bound_ctrl:1
	v_or_b32_e32 v5, 0xfc, v4
	v_cmp_eq_u32_e32 vcc, 0, v3
	v_add_u32_dpp v1, v1, v1 quad_perm:[2,3,0,1] row_mask:0xf bank_mask:0xf bound_ctrl:1
	s_nop 1
	v_add_u32_dpp v1, v1, v1 row_ror:4 row_mask:0xf bank_mask:0xf bound_ctrl:1
	s_nop 1
	v_add_u32_dpp v1, v1, v1 row_ror:8 row_mask:0xf bank_mask:0xf bound_ctrl:1
	s_nop 1
	v_add_u32_dpp v1, v1, v1 row_bcast:15 row_mask:0xf bank_mask:0xf bound_ctrl:1
	s_nop 1
	v_add_u32_dpp v1, v1, v1 row_bcast:31 row_mask:0xf bank_mask:0xf bound_ctrl:1
	ds_bpermute_b32 v1, v5, v1
	s_and_saveexec_b64 s[4:5], vcc
	s_cbranch_execz .LBB1037_3
; %bb.2:
	v_lshrrev_b32_e32 v5, 4, v0
	v_and_b32_e32 v5, 12, v5
	s_waitcnt lgkmcnt(0)
	ds_write_b32 v5, v1
.LBB1037_3:
	s_or_b64 exec, exec, s[4:5]
	v_cmp_gt_u32_e32 vcc, 64, v0
	s_waitcnt lgkmcnt(0)
	s_barrier
	s_and_saveexec_b64 s[4:5], vcc
	s_cbranch_execz .LBB1037_5
; %bb.4:
	v_and_b32_e32 v1, 3, v3
	v_lshlrev_b32_e32 v5, 2, v1
	ds_read_b32 v5, v5
	v_cmp_ne_u32_e32 vcc, 3, v1
	s_nop 1
	v_addc_co_u32_e32 v1, vcc, 0, v3, vcc
	v_lshlrev_b32_e32 v1, 2, v1
	s_waitcnt lgkmcnt(0)
	ds_bpermute_b32 v1, v1, v5
	v_or_b32_e32 v3, 8, v4
	s_waitcnt lgkmcnt(0)
	v_add_u32_e32 v1, v1, v5
	ds_bpermute_b32 v3, v3, v1
	s_waitcnt lgkmcnt(0)
	v_add_u32_e32 v1, v3, v1
.LBB1037_5:
	s_or_b64 exec, exec, s[4:5]
	s_load_dword s14, s[0:1], 0x30
	s_branch .LBB1037_12
.LBB1037_6:
                                        ; implicit-def: $vgpr1
	s_load_dword s14, s[0:1], 0x30
	s_cbranch_execz .LBB1037_12
; %bb.7:
	s_sub_i32 s0, s6, s16
	s_add_i32 s15, s15, s16
	v_add_u32_e32 v1, s15, v0
	v_or_b32_e32 v3, 0x100, v0
	v_cmp_gt_u32_e32 vcc, s0, v0
	v_add_u32_e32 v4, s15, v3
	v_or_b32_e32 v5, 0x200, v0
	v_cndmask_b32_e32 v1, 0, v1, vcc
	v_cmp_gt_u32_e32 vcc, s0, v3
	v_add_u32_e32 v6, s15, v5
	v_or_b32_e32 v7, 0x300, v0
	v_cndmask_b32_e32 v3, 0, v4, vcc
	v_cmp_gt_u32_e32 vcc, s0, v5
	v_add_u32_e32 v8, s15, v7
	v_mbcnt_hi_u32_b32 v2, -1, v2
	v_cndmask_b32_e32 v4, 0, v6, vcc
	v_cmp_gt_u32_e32 vcc, s0, v7
	s_min_u32 s4, s0, 0x100
	s_nop 0
	v_cndmask_b32_e32 v5, 0, v8, vcc
	v_add_u32_e32 v4, v5, v4
	v_add3_u32 v1, v4, v1, v3
	v_and_b32_e32 v4, 63, v2
	v_cmp_ne_u32_e32 vcc, 63, v4
	v_and_b32_e32 v5, 0xc0, v0
	v_sub_u32_e64 v5, s4, v5 clamp
	v_addc_co_u32_e32 v3, vcc, 0, v2, vcc
	v_lshlrev_b32_e32 v3, 2, v3
	ds_bpermute_b32 v3, v3, v1
	v_add_u32_e32 v6, 1, v4
	v_cmp_lt_u32_e32 vcc, v6, v5
	v_add_u32_e32 v6, 2, v4
	s_waitcnt lgkmcnt(0)
	v_cndmask_b32_e32 v3, 0, v3, vcc
	v_cmp_gt_u32_e32 vcc, 62, v4
	v_add_u32_e32 v1, v3, v1
	s_nop 0
	v_cndmask_b32_e64 v3, 0, 2, vcc
	v_add_lshl_u32 v3, v3, v2, 2
	ds_bpermute_b32 v3, v3, v1
	v_cmp_lt_u32_e32 vcc, v6, v5
	v_add_u32_e32 v6, 4, v4
	s_waitcnt lgkmcnt(0)
	v_cndmask_b32_e32 v3, 0, v3, vcc
	v_cmp_gt_u32_e32 vcc, 60, v4
	v_add_u32_e32 v1, v1, v3
	s_nop 0
	v_cndmask_b32_e64 v3, 0, 4, vcc
	v_add_lshl_u32 v3, v3, v2, 2
	ds_bpermute_b32 v3, v3, v1
	;; [unrolled: 10-line block ×3, first 2 shown]
	v_cmp_lt_u32_e32 vcc, v6, v5
	v_add_u32_e32 v6, 16, v4
	s_waitcnt lgkmcnt(0)
	v_cndmask_b32_e32 v3, 0, v3, vcc
	v_cmp_gt_u32_e32 vcc, 48, v4
	v_add_u32_e32 v1, v1, v3
	v_add_u32_e32 v4, 32, v4
	v_cndmask_b32_e64 v3, 0, 16, vcc
	v_add_lshl_u32 v3, v3, v2, 2
	ds_bpermute_b32 v3, v3, v1
	v_cmp_lt_u32_e32 vcc, v6, v5
	s_waitcnt lgkmcnt(0)
	s_nop 0
	v_cndmask_b32_e32 v3, 0, v3, vcc
	v_add_u32_e32 v1, v1, v3
	v_lshlrev_b32_e32 v3, 2, v2
	v_or_b32_e32 v6, 0x80, v3
	ds_bpermute_b32 v6, v6, v1
	v_cmp_lt_u32_e32 vcc, v4, v5
	s_waitcnt lgkmcnt(0)
	s_nop 0
	v_cndmask_b32_e32 v4, 0, v6, vcc
	v_add_u32_e32 v1, v1, v4
	v_cmp_eq_u32_e32 vcc, 0, v2
	s_and_saveexec_b64 s[0:1], vcc
; %bb.8:
	v_lshrrev_b32_e32 v4, 4, v0
	v_and_b32_e32 v4, 12, v4
	ds_write_b32 v4, v1 offset:16
; %bb.9:
	s_or_b64 exec, exec, s[0:1]
	v_cmp_gt_u32_e32 vcc, 4, v0
	s_waitcnt lgkmcnt(0)
	s_barrier
	s_and_saveexec_b64 s[0:1], vcc
	s_cbranch_execz .LBB1037_11
; %bb.10:
	ds_read_b32 v1, v3 offset:16
	v_and_b32_e32 v4, 3, v2
	v_cmp_ne_u32_e32 vcc, 3, v4
	s_add_i32 s4, s4, 63
	s_lshr_b32 s4, s4, 6
	v_addc_co_u32_e32 v2, vcc, 0, v2, vcc
	v_lshlrev_b32_e32 v2, 2, v2
	s_waitcnt lgkmcnt(0)
	ds_bpermute_b32 v2, v2, v1
	v_add_u32_e32 v5, 1, v4
	v_cmp_gt_u32_e32 vcc, s4, v5
	s_waitcnt lgkmcnt(0)
	s_nop 0
	v_cndmask_b32_e32 v2, 0, v2, vcc
	v_add_u32_e32 v1, v2, v1
	v_or_b32_e32 v2, 8, v3
	ds_bpermute_b32 v2, v2, v1
	v_add_u32_e32 v3, 2, v4
	v_cmp_gt_u32_e32 vcc, s4, v3
	s_waitcnt lgkmcnt(0)
	s_nop 0
	v_cndmask_b32_e32 v2, 0, v2, vcc
	v_add_u32_e32 v1, v1, v2
.LBB1037_11:
	s_or_b64 exec, exec, s[0:1]
.LBB1037_12:
	v_cmp_eq_u32_e32 vcc, 0, v0
	s_and_saveexec_b64 s[0:1], vcc
	s_cbranch_execnz .LBB1037_14
; %bb.13:
	s_endpgm
.LBB1037_14:
	s_mul_i32 s0, s12, s11
	s_mul_hi_u32 s1, s12, s10
	s_add_i32 s0, s1, s0
	s_mul_i32 s1, s13, s10
	s_add_i32 s1, s0, s1
	s_mul_i32 s0, s12, s10
	s_lshl_b64 s[0:1], s[0:1], 2
	s_add_u32 s4, s8, s0
	s_addc_u32 s5, s9, s1
	s_cmp_eq_u64 s[6:7], 0
	s_cselect_b64 vcc, -1, 0
	s_lshl_b64 s[0:1], s[2:3], 2
	s_waitcnt lgkmcnt(0)
	v_mov_b32_e32 v0, s14
	s_add_u32 s0, s4, s0
	v_cndmask_b32_e32 v0, v1, v0, vcc
	s_addc_u32 s1, s5, s1
	v_mov_b32_e32 v1, 0
	global_store_dword v1, v0, s[0:1]
	s_endpgm
	.section	.rodata,"a",@progbits
	.p2align	6, 0x0
	.amdhsa_kernel _ZN7rocprim17ROCPRIM_400000_NS6detail17trampoline_kernelINS0_14default_configENS1_22reduce_config_selectorIjEEZNS1_11reduce_implILb1ES3_N6thrust23THRUST_200600_302600_NS17counting_iteratorIjNS8_11hip_rocprim3tagENS8_11use_defaultESC_EEPjjNS8_4plusIjEEEE10hipError_tPvRmT1_T2_T3_mT4_P12ihipStream_tbEUlT_E0_NS1_11comp_targetILNS1_3genE0ELNS1_11target_archE4294967295ELNS1_3gpuE0ELNS1_3repE0EEENS1_30default_config_static_selectorELNS0_4arch9wavefront6targetE1EEEvSK_
		.amdhsa_group_segment_fixed_size 32
		.amdhsa_private_segment_fixed_size 0
		.amdhsa_kernarg_size 56
		.amdhsa_user_sgpr_count 2
		.amdhsa_user_sgpr_dispatch_ptr 0
		.amdhsa_user_sgpr_queue_ptr 0
		.amdhsa_user_sgpr_kernarg_segment_ptr 1
		.amdhsa_user_sgpr_dispatch_id 0
		.amdhsa_user_sgpr_kernarg_preload_length 0
		.amdhsa_user_sgpr_kernarg_preload_offset 0
		.amdhsa_user_sgpr_private_segment_size 0
		.amdhsa_uses_dynamic_stack 0
		.amdhsa_enable_private_segment 0
		.amdhsa_system_sgpr_workgroup_id_x 1
		.amdhsa_system_sgpr_workgroup_id_y 0
		.amdhsa_system_sgpr_workgroup_id_z 0
		.amdhsa_system_sgpr_workgroup_info 0
		.amdhsa_system_vgpr_workitem_id 0
		.amdhsa_next_free_vgpr 9
		.amdhsa_next_free_sgpr 17
		.amdhsa_accum_offset 12
		.amdhsa_reserve_vcc 1
		.amdhsa_float_round_mode_32 0
		.amdhsa_float_round_mode_16_64 0
		.amdhsa_float_denorm_mode_32 3
		.amdhsa_float_denorm_mode_16_64 3
		.amdhsa_dx10_clamp 1
		.amdhsa_ieee_mode 1
		.amdhsa_fp16_overflow 0
		.amdhsa_tg_split 0
		.amdhsa_exception_fp_ieee_invalid_op 0
		.amdhsa_exception_fp_denorm_src 0
		.amdhsa_exception_fp_ieee_div_zero 0
		.amdhsa_exception_fp_ieee_overflow 0
		.amdhsa_exception_fp_ieee_underflow 0
		.amdhsa_exception_fp_ieee_inexact 0
		.amdhsa_exception_int_div_zero 0
	.end_amdhsa_kernel
	.section	.text._ZN7rocprim17ROCPRIM_400000_NS6detail17trampoline_kernelINS0_14default_configENS1_22reduce_config_selectorIjEEZNS1_11reduce_implILb1ES3_N6thrust23THRUST_200600_302600_NS17counting_iteratorIjNS8_11hip_rocprim3tagENS8_11use_defaultESC_EEPjjNS8_4plusIjEEEE10hipError_tPvRmT1_T2_T3_mT4_P12ihipStream_tbEUlT_E0_NS1_11comp_targetILNS1_3genE0ELNS1_11target_archE4294967295ELNS1_3gpuE0ELNS1_3repE0EEENS1_30default_config_static_selectorELNS0_4arch9wavefront6targetE1EEEvSK_,"axG",@progbits,_ZN7rocprim17ROCPRIM_400000_NS6detail17trampoline_kernelINS0_14default_configENS1_22reduce_config_selectorIjEEZNS1_11reduce_implILb1ES3_N6thrust23THRUST_200600_302600_NS17counting_iteratorIjNS8_11hip_rocprim3tagENS8_11use_defaultESC_EEPjjNS8_4plusIjEEEE10hipError_tPvRmT1_T2_T3_mT4_P12ihipStream_tbEUlT_E0_NS1_11comp_targetILNS1_3genE0ELNS1_11target_archE4294967295ELNS1_3gpuE0ELNS1_3repE0EEENS1_30default_config_static_selectorELNS0_4arch9wavefront6targetE1EEEvSK_,comdat
.Lfunc_end1037:
	.size	_ZN7rocprim17ROCPRIM_400000_NS6detail17trampoline_kernelINS0_14default_configENS1_22reduce_config_selectorIjEEZNS1_11reduce_implILb1ES3_N6thrust23THRUST_200600_302600_NS17counting_iteratorIjNS8_11hip_rocprim3tagENS8_11use_defaultESC_EEPjjNS8_4plusIjEEEE10hipError_tPvRmT1_T2_T3_mT4_P12ihipStream_tbEUlT_E0_NS1_11comp_targetILNS1_3genE0ELNS1_11target_archE4294967295ELNS1_3gpuE0ELNS1_3repE0EEENS1_30default_config_static_selectorELNS0_4arch9wavefront6targetE1EEEvSK_, .Lfunc_end1037-_ZN7rocprim17ROCPRIM_400000_NS6detail17trampoline_kernelINS0_14default_configENS1_22reduce_config_selectorIjEEZNS1_11reduce_implILb1ES3_N6thrust23THRUST_200600_302600_NS17counting_iteratorIjNS8_11hip_rocprim3tagENS8_11use_defaultESC_EEPjjNS8_4plusIjEEEE10hipError_tPvRmT1_T2_T3_mT4_P12ihipStream_tbEUlT_E0_NS1_11comp_targetILNS1_3genE0ELNS1_11target_archE4294967295ELNS1_3gpuE0ELNS1_3repE0EEENS1_30default_config_static_selectorELNS0_4arch9wavefront6targetE1EEEvSK_
                                        ; -- End function
	.set _ZN7rocprim17ROCPRIM_400000_NS6detail17trampoline_kernelINS0_14default_configENS1_22reduce_config_selectorIjEEZNS1_11reduce_implILb1ES3_N6thrust23THRUST_200600_302600_NS17counting_iteratorIjNS8_11hip_rocprim3tagENS8_11use_defaultESC_EEPjjNS8_4plusIjEEEE10hipError_tPvRmT1_T2_T3_mT4_P12ihipStream_tbEUlT_E0_NS1_11comp_targetILNS1_3genE0ELNS1_11target_archE4294967295ELNS1_3gpuE0ELNS1_3repE0EEENS1_30default_config_static_selectorELNS0_4arch9wavefront6targetE1EEEvSK_.num_vgpr, 9
	.set _ZN7rocprim17ROCPRIM_400000_NS6detail17trampoline_kernelINS0_14default_configENS1_22reduce_config_selectorIjEEZNS1_11reduce_implILb1ES3_N6thrust23THRUST_200600_302600_NS17counting_iteratorIjNS8_11hip_rocprim3tagENS8_11use_defaultESC_EEPjjNS8_4plusIjEEEE10hipError_tPvRmT1_T2_T3_mT4_P12ihipStream_tbEUlT_E0_NS1_11comp_targetILNS1_3genE0ELNS1_11target_archE4294967295ELNS1_3gpuE0ELNS1_3repE0EEENS1_30default_config_static_selectorELNS0_4arch9wavefront6targetE1EEEvSK_.num_agpr, 0
	.set _ZN7rocprim17ROCPRIM_400000_NS6detail17trampoline_kernelINS0_14default_configENS1_22reduce_config_selectorIjEEZNS1_11reduce_implILb1ES3_N6thrust23THRUST_200600_302600_NS17counting_iteratorIjNS8_11hip_rocprim3tagENS8_11use_defaultESC_EEPjjNS8_4plusIjEEEE10hipError_tPvRmT1_T2_T3_mT4_P12ihipStream_tbEUlT_E0_NS1_11comp_targetILNS1_3genE0ELNS1_11target_archE4294967295ELNS1_3gpuE0ELNS1_3repE0EEENS1_30default_config_static_selectorELNS0_4arch9wavefront6targetE1EEEvSK_.numbered_sgpr, 17
	.set _ZN7rocprim17ROCPRIM_400000_NS6detail17trampoline_kernelINS0_14default_configENS1_22reduce_config_selectorIjEEZNS1_11reduce_implILb1ES3_N6thrust23THRUST_200600_302600_NS17counting_iteratorIjNS8_11hip_rocprim3tagENS8_11use_defaultESC_EEPjjNS8_4plusIjEEEE10hipError_tPvRmT1_T2_T3_mT4_P12ihipStream_tbEUlT_E0_NS1_11comp_targetILNS1_3genE0ELNS1_11target_archE4294967295ELNS1_3gpuE0ELNS1_3repE0EEENS1_30default_config_static_selectorELNS0_4arch9wavefront6targetE1EEEvSK_.num_named_barrier, 0
	.set _ZN7rocprim17ROCPRIM_400000_NS6detail17trampoline_kernelINS0_14default_configENS1_22reduce_config_selectorIjEEZNS1_11reduce_implILb1ES3_N6thrust23THRUST_200600_302600_NS17counting_iteratorIjNS8_11hip_rocprim3tagENS8_11use_defaultESC_EEPjjNS8_4plusIjEEEE10hipError_tPvRmT1_T2_T3_mT4_P12ihipStream_tbEUlT_E0_NS1_11comp_targetILNS1_3genE0ELNS1_11target_archE4294967295ELNS1_3gpuE0ELNS1_3repE0EEENS1_30default_config_static_selectorELNS0_4arch9wavefront6targetE1EEEvSK_.private_seg_size, 0
	.set _ZN7rocprim17ROCPRIM_400000_NS6detail17trampoline_kernelINS0_14default_configENS1_22reduce_config_selectorIjEEZNS1_11reduce_implILb1ES3_N6thrust23THRUST_200600_302600_NS17counting_iteratorIjNS8_11hip_rocprim3tagENS8_11use_defaultESC_EEPjjNS8_4plusIjEEEE10hipError_tPvRmT1_T2_T3_mT4_P12ihipStream_tbEUlT_E0_NS1_11comp_targetILNS1_3genE0ELNS1_11target_archE4294967295ELNS1_3gpuE0ELNS1_3repE0EEENS1_30default_config_static_selectorELNS0_4arch9wavefront6targetE1EEEvSK_.uses_vcc, 1
	.set _ZN7rocprim17ROCPRIM_400000_NS6detail17trampoline_kernelINS0_14default_configENS1_22reduce_config_selectorIjEEZNS1_11reduce_implILb1ES3_N6thrust23THRUST_200600_302600_NS17counting_iteratorIjNS8_11hip_rocprim3tagENS8_11use_defaultESC_EEPjjNS8_4plusIjEEEE10hipError_tPvRmT1_T2_T3_mT4_P12ihipStream_tbEUlT_E0_NS1_11comp_targetILNS1_3genE0ELNS1_11target_archE4294967295ELNS1_3gpuE0ELNS1_3repE0EEENS1_30default_config_static_selectorELNS0_4arch9wavefront6targetE1EEEvSK_.uses_flat_scratch, 0
	.set _ZN7rocprim17ROCPRIM_400000_NS6detail17trampoline_kernelINS0_14default_configENS1_22reduce_config_selectorIjEEZNS1_11reduce_implILb1ES3_N6thrust23THRUST_200600_302600_NS17counting_iteratorIjNS8_11hip_rocprim3tagENS8_11use_defaultESC_EEPjjNS8_4plusIjEEEE10hipError_tPvRmT1_T2_T3_mT4_P12ihipStream_tbEUlT_E0_NS1_11comp_targetILNS1_3genE0ELNS1_11target_archE4294967295ELNS1_3gpuE0ELNS1_3repE0EEENS1_30default_config_static_selectorELNS0_4arch9wavefront6targetE1EEEvSK_.has_dyn_sized_stack, 0
	.set _ZN7rocprim17ROCPRIM_400000_NS6detail17trampoline_kernelINS0_14default_configENS1_22reduce_config_selectorIjEEZNS1_11reduce_implILb1ES3_N6thrust23THRUST_200600_302600_NS17counting_iteratorIjNS8_11hip_rocprim3tagENS8_11use_defaultESC_EEPjjNS8_4plusIjEEEE10hipError_tPvRmT1_T2_T3_mT4_P12ihipStream_tbEUlT_E0_NS1_11comp_targetILNS1_3genE0ELNS1_11target_archE4294967295ELNS1_3gpuE0ELNS1_3repE0EEENS1_30default_config_static_selectorELNS0_4arch9wavefront6targetE1EEEvSK_.has_recursion, 0
	.set _ZN7rocprim17ROCPRIM_400000_NS6detail17trampoline_kernelINS0_14default_configENS1_22reduce_config_selectorIjEEZNS1_11reduce_implILb1ES3_N6thrust23THRUST_200600_302600_NS17counting_iteratorIjNS8_11hip_rocprim3tagENS8_11use_defaultESC_EEPjjNS8_4plusIjEEEE10hipError_tPvRmT1_T2_T3_mT4_P12ihipStream_tbEUlT_E0_NS1_11comp_targetILNS1_3genE0ELNS1_11target_archE4294967295ELNS1_3gpuE0ELNS1_3repE0EEENS1_30default_config_static_selectorELNS0_4arch9wavefront6targetE1EEEvSK_.has_indirect_call, 0
	.section	.AMDGPU.csdata,"",@progbits
; Kernel info:
; codeLenInByte = 1012
; TotalNumSgprs: 23
; NumVgprs: 9
; NumAgprs: 0
; TotalNumVgprs: 9
; ScratchSize: 0
; MemoryBound: 0
; FloatMode: 240
; IeeeMode: 1
; LDSByteSize: 32 bytes/workgroup (compile time only)
; SGPRBlocks: 2
; VGPRBlocks: 1
; NumSGPRsForWavesPerEU: 23
; NumVGPRsForWavesPerEU: 9
; AccumOffset: 12
; Occupancy: 8
; WaveLimiterHint : 0
; COMPUTE_PGM_RSRC2:SCRATCH_EN: 0
; COMPUTE_PGM_RSRC2:USER_SGPR: 2
; COMPUTE_PGM_RSRC2:TRAP_HANDLER: 0
; COMPUTE_PGM_RSRC2:TGID_X_EN: 1
; COMPUTE_PGM_RSRC2:TGID_Y_EN: 0
; COMPUTE_PGM_RSRC2:TGID_Z_EN: 0
; COMPUTE_PGM_RSRC2:TIDIG_COMP_CNT: 0
; COMPUTE_PGM_RSRC3_GFX90A:ACCUM_OFFSET: 2
; COMPUTE_PGM_RSRC3_GFX90A:TG_SPLIT: 0
	.section	.text._ZN7rocprim17ROCPRIM_400000_NS6detail17trampoline_kernelINS0_14default_configENS1_22reduce_config_selectorIjEEZNS1_11reduce_implILb1ES3_N6thrust23THRUST_200600_302600_NS17counting_iteratorIjNS8_11hip_rocprim3tagENS8_11use_defaultESC_EEPjjNS8_4plusIjEEEE10hipError_tPvRmT1_T2_T3_mT4_P12ihipStream_tbEUlT_E0_NS1_11comp_targetILNS1_3genE5ELNS1_11target_archE942ELNS1_3gpuE9ELNS1_3repE0EEENS1_30default_config_static_selectorELNS0_4arch9wavefront6targetE1EEEvSK_,"axG",@progbits,_ZN7rocprim17ROCPRIM_400000_NS6detail17trampoline_kernelINS0_14default_configENS1_22reduce_config_selectorIjEEZNS1_11reduce_implILb1ES3_N6thrust23THRUST_200600_302600_NS17counting_iteratorIjNS8_11hip_rocprim3tagENS8_11use_defaultESC_EEPjjNS8_4plusIjEEEE10hipError_tPvRmT1_T2_T3_mT4_P12ihipStream_tbEUlT_E0_NS1_11comp_targetILNS1_3genE5ELNS1_11target_archE942ELNS1_3gpuE9ELNS1_3repE0EEENS1_30default_config_static_selectorELNS0_4arch9wavefront6targetE1EEEvSK_,comdat
	.protected	_ZN7rocprim17ROCPRIM_400000_NS6detail17trampoline_kernelINS0_14default_configENS1_22reduce_config_selectorIjEEZNS1_11reduce_implILb1ES3_N6thrust23THRUST_200600_302600_NS17counting_iteratorIjNS8_11hip_rocprim3tagENS8_11use_defaultESC_EEPjjNS8_4plusIjEEEE10hipError_tPvRmT1_T2_T3_mT4_P12ihipStream_tbEUlT_E0_NS1_11comp_targetILNS1_3genE5ELNS1_11target_archE942ELNS1_3gpuE9ELNS1_3repE0EEENS1_30default_config_static_selectorELNS0_4arch9wavefront6targetE1EEEvSK_ ; -- Begin function _ZN7rocprim17ROCPRIM_400000_NS6detail17trampoline_kernelINS0_14default_configENS1_22reduce_config_selectorIjEEZNS1_11reduce_implILb1ES3_N6thrust23THRUST_200600_302600_NS17counting_iteratorIjNS8_11hip_rocprim3tagENS8_11use_defaultESC_EEPjjNS8_4plusIjEEEE10hipError_tPvRmT1_T2_T3_mT4_P12ihipStream_tbEUlT_E0_NS1_11comp_targetILNS1_3genE5ELNS1_11target_archE942ELNS1_3gpuE9ELNS1_3repE0EEENS1_30default_config_static_selectorELNS0_4arch9wavefront6targetE1EEEvSK_
	.globl	_ZN7rocprim17ROCPRIM_400000_NS6detail17trampoline_kernelINS0_14default_configENS1_22reduce_config_selectorIjEEZNS1_11reduce_implILb1ES3_N6thrust23THRUST_200600_302600_NS17counting_iteratorIjNS8_11hip_rocprim3tagENS8_11use_defaultESC_EEPjjNS8_4plusIjEEEE10hipError_tPvRmT1_T2_T3_mT4_P12ihipStream_tbEUlT_E0_NS1_11comp_targetILNS1_3genE5ELNS1_11target_archE942ELNS1_3gpuE9ELNS1_3repE0EEENS1_30default_config_static_selectorELNS0_4arch9wavefront6targetE1EEEvSK_
	.p2align	8
	.type	_ZN7rocprim17ROCPRIM_400000_NS6detail17trampoline_kernelINS0_14default_configENS1_22reduce_config_selectorIjEEZNS1_11reduce_implILb1ES3_N6thrust23THRUST_200600_302600_NS17counting_iteratorIjNS8_11hip_rocprim3tagENS8_11use_defaultESC_EEPjjNS8_4plusIjEEEE10hipError_tPvRmT1_T2_T3_mT4_P12ihipStream_tbEUlT_E0_NS1_11comp_targetILNS1_3genE5ELNS1_11target_archE942ELNS1_3gpuE9ELNS1_3repE0EEENS1_30default_config_static_selectorELNS0_4arch9wavefront6targetE1EEEvSK_,@function
_ZN7rocprim17ROCPRIM_400000_NS6detail17trampoline_kernelINS0_14default_configENS1_22reduce_config_selectorIjEEZNS1_11reduce_implILb1ES3_N6thrust23THRUST_200600_302600_NS17counting_iteratorIjNS8_11hip_rocprim3tagENS8_11use_defaultESC_EEPjjNS8_4plusIjEEEE10hipError_tPvRmT1_T2_T3_mT4_P12ihipStream_tbEUlT_E0_NS1_11comp_targetILNS1_3genE5ELNS1_11target_archE942ELNS1_3gpuE9ELNS1_3repE0EEENS1_30default_config_static_selectorELNS0_4arch9wavefront6targetE1EEEvSK_: ; @_ZN7rocprim17ROCPRIM_400000_NS6detail17trampoline_kernelINS0_14default_configENS1_22reduce_config_selectorIjEEZNS1_11reduce_implILb1ES3_N6thrust23THRUST_200600_302600_NS17counting_iteratorIjNS8_11hip_rocprim3tagENS8_11use_defaultESC_EEPjjNS8_4plusIjEEEE10hipError_tPvRmT1_T2_T3_mT4_P12ihipStream_tbEUlT_E0_NS1_11comp_targetILNS1_3genE5ELNS1_11target_archE942ELNS1_3gpuE9ELNS1_3repE0EEENS1_30default_config_static_selectorELNS0_4arch9wavefront6targetE1EEEvSK_
; %bb.0:
	.section	.rodata,"a",@progbits
	.p2align	6, 0x0
	.amdhsa_kernel _ZN7rocprim17ROCPRIM_400000_NS6detail17trampoline_kernelINS0_14default_configENS1_22reduce_config_selectorIjEEZNS1_11reduce_implILb1ES3_N6thrust23THRUST_200600_302600_NS17counting_iteratorIjNS8_11hip_rocprim3tagENS8_11use_defaultESC_EEPjjNS8_4plusIjEEEE10hipError_tPvRmT1_T2_T3_mT4_P12ihipStream_tbEUlT_E0_NS1_11comp_targetILNS1_3genE5ELNS1_11target_archE942ELNS1_3gpuE9ELNS1_3repE0EEENS1_30default_config_static_selectorELNS0_4arch9wavefront6targetE1EEEvSK_
		.amdhsa_group_segment_fixed_size 0
		.amdhsa_private_segment_fixed_size 0
		.amdhsa_kernarg_size 56
		.amdhsa_user_sgpr_count 2
		.amdhsa_user_sgpr_dispatch_ptr 0
		.amdhsa_user_sgpr_queue_ptr 0
		.amdhsa_user_sgpr_kernarg_segment_ptr 1
		.amdhsa_user_sgpr_dispatch_id 0
		.amdhsa_user_sgpr_kernarg_preload_length 0
		.amdhsa_user_sgpr_kernarg_preload_offset 0
		.amdhsa_user_sgpr_private_segment_size 0
		.amdhsa_uses_dynamic_stack 0
		.amdhsa_enable_private_segment 0
		.amdhsa_system_sgpr_workgroup_id_x 1
		.amdhsa_system_sgpr_workgroup_id_y 0
		.amdhsa_system_sgpr_workgroup_id_z 0
		.amdhsa_system_sgpr_workgroup_info 0
		.amdhsa_system_vgpr_workitem_id 0
		.amdhsa_next_free_vgpr 1
		.amdhsa_next_free_sgpr 0
		.amdhsa_accum_offset 4
		.amdhsa_reserve_vcc 0
		.amdhsa_float_round_mode_32 0
		.amdhsa_float_round_mode_16_64 0
		.amdhsa_float_denorm_mode_32 3
		.amdhsa_float_denorm_mode_16_64 3
		.amdhsa_dx10_clamp 1
		.amdhsa_ieee_mode 1
		.amdhsa_fp16_overflow 0
		.amdhsa_tg_split 0
		.amdhsa_exception_fp_ieee_invalid_op 0
		.amdhsa_exception_fp_denorm_src 0
		.amdhsa_exception_fp_ieee_div_zero 0
		.amdhsa_exception_fp_ieee_overflow 0
		.amdhsa_exception_fp_ieee_underflow 0
		.amdhsa_exception_fp_ieee_inexact 0
		.amdhsa_exception_int_div_zero 0
	.end_amdhsa_kernel
	.section	.text._ZN7rocprim17ROCPRIM_400000_NS6detail17trampoline_kernelINS0_14default_configENS1_22reduce_config_selectorIjEEZNS1_11reduce_implILb1ES3_N6thrust23THRUST_200600_302600_NS17counting_iteratorIjNS8_11hip_rocprim3tagENS8_11use_defaultESC_EEPjjNS8_4plusIjEEEE10hipError_tPvRmT1_T2_T3_mT4_P12ihipStream_tbEUlT_E0_NS1_11comp_targetILNS1_3genE5ELNS1_11target_archE942ELNS1_3gpuE9ELNS1_3repE0EEENS1_30default_config_static_selectorELNS0_4arch9wavefront6targetE1EEEvSK_,"axG",@progbits,_ZN7rocprim17ROCPRIM_400000_NS6detail17trampoline_kernelINS0_14default_configENS1_22reduce_config_selectorIjEEZNS1_11reduce_implILb1ES3_N6thrust23THRUST_200600_302600_NS17counting_iteratorIjNS8_11hip_rocprim3tagENS8_11use_defaultESC_EEPjjNS8_4plusIjEEEE10hipError_tPvRmT1_T2_T3_mT4_P12ihipStream_tbEUlT_E0_NS1_11comp_targetILNS1_3genE5ELNS1_11target_archE942ELNS1_3gpuE9ELNS1_3repE0EEENS1_30default_config_static_selectorELNS0_4arch9wavefront6targetE1EEEvSK_,comdat
.Lfunc_end1038:
	.size	_ZN7rocprim17ROCPRIM_400000_NS6detail17trampoline_kernelINS0_14default_configENS1_22reduce_config_selectorIjEEZNS1_11reduce_implILb1ES3_N6thrust23THRUST_200600_302600_NS17counting_iteratorIjNS8_11hip_rocprim3tagENS8_11use_defaultESC_EEPjjNS8_4plusIjEEEE10hipError_tPvRmT1_T2_T3_mT4_P12ihipStream_tbEUlT_E0_NS1_11comp_targetILNS1_3genE5ELNS1_11target_archE942ELNS1_3gpuE9ELNS1_3repE0EEENS1_30default_config_static_selectorELNS0_4arch9wavefront6targetE1EEEvSK_, .Lfunc_end1038-_ZN7rocprim17ROCPRIM_400000_NS6detail17trampoline_kernelINS0_14default_configENS1_22reduce_config_selectorIjEEZNS1_11reduce_implILb1ES3_N6thrust23THRUST_200600_302600_NS17counting_iteratorIjNS8_11hip_rocprim3tagENS8_11use_defaultESC_EEPjjNS8_4plusIjEEEE10hipError_tPvRmT1_T2_T3_mT4_P12ihipStream_tbEUlT_E0_NS1_11comp_targetILNS1_3genE5ELNS1_11target_archE942ELNS1_3gpuE9ELNS1_3repE0EEENS1_30default_config_static_selectorELNS0_4arch9wavefront6targetE1EEEvSK_
                                        ; -- End function
	.set _ZN7rocprim17ROCPRIM_400000_NS6detail17trampoline_kernelINS0_14default_configENS1_22reduce_config_selectorIjEEZNS1_11reduce_implILb1ES3_N6thrust23THRUST_200600_302600_NS17counting_iteratorIjNS8_11hip_rocprim3tagENS8_11use_defaultESC_EEPjjNS8_4plusIjEEEE10hipError_tPvRmT1_T2_T3_mT4_P12ihipStream_tbEUlT_E0_NS1_11comp_targetILNS1_3genE5ELNS1_11target_archE942ELNS1_3gpuE9ELNS1_3repE0EEENS1_30default_config_static_selectorELNS0_4arch9wavefront6targetE1EEEvSK_.num_vgpr, 0
	.set _ZN7rocprim17ROCPRIM_400000_NS6detail17trampoline_kernelINS0_14default_configENS1_22reduce_config_selectorIjEEZNS1_11reduce_implILb1ES3_N6thrust23THRUST_200600_302600_NS17counting_iteratorIjNS8_11hip_rocprim3tagENS8_11use_defaultESC_EEPjjNS8_4plusIjEEEE10hipError_tPvRmT1_T2_T3_mT4_P12ihipStream_tbEUlT_E0_NS1_11comp_targetILNS1_3genE5ELNS1_11target_archE942ELNS1_3gpuE9ELNS1_3repE0EEENS1_30default_config_static_selectorELNS0_4arch9wavefront6targetE1EEEvSK_.num_agpr, 0
	.set _ZN7rocprim17ROCPRIM_400000_NS6detail17trampoline_kernelINS0_14default_configENS1_22reduce_config_selectorIjEEZNS1_11reduce_implILb1ES3_N6thrust23THRUST_200600_302600_NS17counting_iteratorIjNS8_11hip_rocprim3tagENS8_11use_defaultESC_EEPjjNS8_4plusIjEEEE10hipError_tPvRmT1_T2_T3_mT4_P12ihipStream_tbEUlT_E0_NS1_11comp_targetILNS1_3genE5ELNS1_11target_archE942ELNS1_3gpuE9ELNS1_3repE0EEENS1_30default_config_static_selectorELNS0_4arch9wavefront6targetE1EEEvSK_.numbered_sgpr, 0
	.set _ZN7rocprim17ROCPRIM_400000_NS6detail17trampoline_kernelINS0_14default_configENS1_22reduce_config_selectorIjEEZNS1_11reduce_implILb1ES3_N6thrust23THRUST_200600_302600_NS17counting_iteratorIjNS8_11hip_rocprim3tagENS8_11use_defaultESC_EEPjjNS8_4plusIjEEEE10hipError_tPvRmT1_T2_T3_mT4_P12ihipStream_tbEUlT_E0_NS1_11comp_targetILNS1_3genE5ELNS1_11target_archE942ELNS1_3gpuE9ELNS1_3repE0EEENS1_30default_config_static_selectorELNS0_4arch9wavefront6targetE1EEEvSK_.num_named_barrier, 0
	.set _ZN7rocprim17ROCPRIM_400000_NS6detail17trampoline_kernelINS0_14default_configENS1_22reduce_config_selectorIjEEZNS1_11reduce_implILb1ES3_N6thrust23THRUST_200600_302600_NS17counting_iteratorIjNS8_11hip_rocprim3tagENS8_11use_defaultESC_EEPjjNS8_4plusIjEEEE10hipError_tPvRmT1_T2_T3_mT4_P12ihipStream_tbEUlT_E0_NS1_11comp_targetILNS1_3genE5ELNS1_11target_archE942ELNS1_3gpuE9ELNS1_3repE0EEENS1_30default_config_static_selectorELNS0_4arch9wavefront6targetE1EEEvSK_.private_seg_size, 0
	.set _ZN7rocprim17ROCPRIM_400000_NS6detail17trampoline_kernelINS0_14default_configENS1_22reduce_config_selectorIjEEZNS1_11reduce_implILb1ES3_N6thrust23THRUST_200600_302600_NS17counting_iteratorIjNS8_11hip_rocprim3tagENS8_11use_defaultESC_EEPjjNS8_4plusIjEEEE10hipError_tPvRmT1_T2_T3_mT4_P12ihipStream_tbEUlT_E0_NS1_11comp_targetILNS1_3genE5ELNS1_11target_archE942ELNS1_3gpuE9ELNS1_3repE0EEENS1_30default_config_static_selectorELNS0_4arch9wavefront6targetE1EEEvSK_.uses_vcc, 0
	.set _ZN7rocprim17ROCPRIM_400000_NS6detail17trampoline_kernelINS0_14default_configENS1_22reduce_config_selectorIjEEZNS1_11reduce_implILb1ES3_N6thrust23THRUST_200600_302600_NS17counting_iteratorIjNS8_11hip_rocprim3tagENS8_11use_defaultESC_EEPjjNS8_4plusIjEEEE10hipError_tPvRmT1_T2_T3_mT4_P12ihipStream_tbEUlT_E0_NS1_11comp_targetILNS1_3genE5ELNS1_11target_archE942ELNS1_3gpuE9ELNS1_3repE0EEENS1_30default_config_static_selectorELNS0_4arch9wavefront6targetE1EEEvSK_.uses_flat_scratch, 0
	.set _ZN7rocprim17ROCPRIM_400000_NS6detail17trampoline_kernelINS0_14default_configENS1_22reduce_config_selectorIjEEZNS1_11reduce_implILb1ES3_N6thrust23THRUST_200600_302600_NS17counting_iteratorIjNS8_11hip_rocprim3tagENS8_11use_defaultESC_EEPjjNS8_4plusIjEEEE10hipError_tPvRmT1_T2_T3_mT4_P12ihipStream_tbEUlT_E0_NS1_11comp_targetILNS1_3genE5ELNS1_11target_archE942ELNS1_3gpuE9ELNS1_3repE0EEENS1_30default_config_static_selectorELNS0_4arch9wavefront6targetE1EEEvSK_.has_dyn_sized_stack, 0
	.set _ZN7rocprim17ROCPRIM_400000_NS6detail17trampoline_kernelINS0_14default_configENS1_22reduce_config_selectorIjEEZNS1_11reduce_implILb1ES3_N6thrust23THRUST_200600_302600_NS17counting_iteratorIjNS8_11hip_rocprim3tagENS8_11use_defaultESC_EEPjjNS8_4plusIjEEEE10hipError_tPvRmT1_T2_T3_mT4_P12ihipStream_tbEUlT_E0_NS1_11comp_targetILNS1_3genE5ELNS1_11target_archE942ELNS1_3gpuE9ELNS1_3repE0EEENS1_30default_config_static_selectorELNS0_4arch9wavefront6targetE1EEEvSK_.has_recursion, 0
	.set _ZN7rocprim17ROCPRIM_400000_NS6detail17trampoline_kernelINS0_14default_configENS1_22reduce_config_selectorIjEEZNS1_11reduce_implILb1ES3_N6thrust23THRUST_200600_302600_NS17counting_iteratorIjNS8_11hip_rocprim3tagENS8_11use_defaultESC_EEPjjNS8_4plusIjEEEE10hipError_tPvRmT1_T2_T3_mT4_P12ihipStream_tbEUlT_E0_NS1_11comp_targetILNS1_3genE5ELNS1_11target_archE942ELNS1_3gpuE9ELNS1_3repE0EEENS1_30default_config_static_selectorELNS0_4arch9wavefront6targetE1EEEvSK_.has_indirect_call, 0
	.section	.AMDGPU.csdata,"",@progbits
; Kernel info:
; codeLenInByte = 0
; TotalNumSgprs: 6
; NumVgprs: 0
; NumAgprs: 0
; TotalNumVgprs: 0
; ScratchSize: 0
; MemoryBound: 0
; FloatMode: 240
; IeeeMode: 1
; LDSByteSize: 0 bytes/workgroup (compile time only)
; SGPRBlocks: 0
; VGPRBlocks: 0
; NumSGPRsForWavesPerEU: 6
; NumVGPRsForWavesPerEU: 1
; AccumOffset: 4
; Occupancy: 8
; WaveLimiterHint : 0
; COMPUTE_PGM_RSRC2:SCRATCH_EN: 0
; COMPUTE_PGM_RSRC2:USER_SGPR: 2
; COMPUTE_PGM_RSRC2:TRAP_HANDLER: 0
; COMPUTE_PGM_RSRC2:TGID_X_EN: 1
; COMPUTE_PGM_RSRC2:TGID_Y_EN: 0
; COMPUTE_PGM_RSRC2:TGID_Z_EN: 0
; COMPUTE_PGM_RSRC2:TIDIG_COMP_CNT: 0
; COMPUTE_PGM_RSRC3_GFX90A:ACCUM_OFFSET: 0
; COMPUTE_PGM_RSRC3_GFX90A:TG_SPLIT: 0
	.section	.text._ZN7rocprim17ROCPRIM_400000_NS6detail17trampoline_kernelINS0_14default_configENS1_22reduce_config_selectorIjEEZNS1_11reduce_implILb1ES3_N6thrust23THRUST_200600_302600_NS17counting_iteratorIjNS8_11hip_rocprim3tagENS8_11use_defaultESC_EEPjjNS8_4plusIjEEEE10hipError_tPvRmT1_T2_T3_mT4_P12ihipStream_tbEUlT_E0_NS1_11comp_targetILNS1_3genE4ELNS1_11target_archE910ELNS1_3gpuE8ELNS1_3repE0EEENS1_30default_config_static_selectorELNS0_4arch9wavefront6targetE1EEEvSK_,"axG",@progbits,_ZN7rocprim17ROCPRIM_400000_NS6detail17trampoline_kernelINS0_14default_configENS1_22reduce_config_selectorIjEEZNS1_11reduce_implILb1ES3_N6thrust23THRUST_200600_302600_NS17counting_iteratorIjNS8_11hip_rocprim3tagENS8_11use_defaultESC_EEPjjNS8_4plusIjEEEE10hipError_tPvRmT1_T2_T3_mT4_P12ihipStream_tbEUlT_E0_NS1_11comp_targetILNS1_3genE4ELNS1_11target_archE910ELNS1_3gpuE8ELNS1_3repE0EEENS1_30default_config_static_selectorELNS0_4arch9wavefront6targetE1EEEvSK_,comdat
	.protected	_ZN7rocprim17ROCPRIM_400000_NS6detail17trampoline_kernelINS0_14default_configENS1_22reduce_config_selectorIjEEZNS1_11reduce_implILb1ES3_N6thrust23THRUST_200600_302600_NS17counting_iteratorIjNS8_11hip_rocprim3tagENS8_11use_defaultESC_EEPjjNS8_4plusIjEEEE10hipError_tPvRmT1_T2_T3_mT4_P12ihipStream_tbEUlT_E0_NS1_11comp_targetILNS1_3genE4ELNS1_11target_archE910ELNS1_3gpuE8ELNS1_3repE0EEENS1_30default_config_static_selectorELNS0_4arch9wavefront6targetE1EEEvSK_ ; -- Begin function _ZN7rocprim17ROCPRIM_400000_NS6detail17trampoline_kernelINS0_14default_configENS1_22reduce_config_selectorIjEEZNS1_11reduce_implILb1ES3_N6thrust23THRUST_200600_302600_NS17counting_iteratorIjNS8_11hip_rocprim3tagENS8_11use_defaultESC_EEPjjNS8_4plusIjEEEE10hipError_tPvRmT1_T2_T3_mT4_P12ihipStream_tbEUlT_E0_NS1_11comp_targetILNS1_3genE4ELNS1_11target_archE910ELNS1_3gpuE8ELNS1_3repE0EEENS1_30default_config_static_selectorELNS0_4arch9wavefront6targetE1EEEvSK_
	.globl	_ZN7rocprim17ROCPRIM_400000_NS6detail17trampoline_kernelINS0_14default_configENS1_22reduce_config_selectorIjEEZNS1_11reduce_implILb1ES3_N6thrust23THRUST_200600_302600_NS17counting_iteratorIjNS8_11hip_rocprim3tagENS8_11use_defaultESC_EEPjjNS8_4plusIjEEEE10hipError_tPvRmT1_T2_T3_mT4_P12ihipStream_tbEUlT_E0_NS1_11comp_targetILNS1_3genE4ELNS1_11target_archE910ELNS1_3gpuE8ELNS1_3repE0EEENS1_30default_config_static_selectorELNS0_4arch9wavefront6targetE1EEEvSK_
	.p2align	8
	.type	_ZN7rocprim17ROCPRIM_400000_NS6detail17trampoline_kernelINS0_14default_configENS1_22reduce_config_selectorIjEEZNS1_11reduce_implILb1ES3_N6thrust23THRUST_200600_302600_NS17counting_iteratorIjNS8_11hip_rocprim3tagENS8_11use_defaultESC_EEPjjNS8_4plusIjEEEE10hipError_tPvRmT1_T2_T3_mT4_P12ihipStream_tbEUlT_E0_NS1_11comp_targetILNS1_3genE4ELNS1_11target_archE910ELNS1_3gpuE8ELNS1_3repE0EEENS1_30default_config_static_selectorELNS0_4arch9wavefront6targetE1EEEvSK_,@function
_ZN7rocprim17ROCPRIM_400000_NS6detail17trampoline_kernelINS0_14default_configENS1_22reduce_config_selectorIjEEZNS1_11reduce_implILb1ES3_N6thrust23THRUST_200600_302600_NS17counting_iteratorIjNS8_11hip_rocprim3tagENS8_11use_defaultESC_EEPjjNS8_4plusIjEEEE10hipError_tPvRmT1_T2_T3_mT4_P12ihipStream_tbEUlT_E0_NS1_11comp_targetILNS1_3genE4ELNS1_11target_archE910ELNS1_3gpuE8ELNS1_3repE0EEENS1_30default_config_static_selectorELNS0_4arch9wavefront6targetE1EEEvSK_: ; @_ZN7rocprim17ROCPRIM_400000_NS6detail17trampoline_kernelINS0_14default_configENS1_22reduce_config_selectorIjEEZNS1_11reduce_implILb1ES3_N6thrust23THRUST_200600_302600_NS17counting_iteratorIjNS8_11hip_rocprim3tagENS8_11use_defaultESC_EEPjjNS8_4plusIjEEEE10hipError_tPvRmT1_T2_T3_mT4_P12ihipStream_tbEUlT_E0_NS1_11comp_targetILNS1_3genE4ELNS1_11target_archE910ELNS1_3gpuE8ELNS1_3repE0EEENS1_30default_config_static_selectorELNS0_4arch9wavefront6targetE1EEEvSK_
; %bb.0:
	.section	.rodata,"a",@progbits
	.p2align	6, 0x0
	.amdhsa_kernel _ZN7rocprim17ROCPRIM_400000_NS6detail17trampoline_kernelINS0_14default_configENS1_22reduce_config_selectorIjEEZNS1_11reduce_implILb1ES3_N6thrust23THRUST_200600_302600_NS17counting_iteratorIjNS8_11hip_rocprim3tagENS8_11use_defaultESC_EEPjjNS8_4plusIjEEEE10hipError_tPvRmT1_T2_T3_mT4_P12ihipStream_tbEUlT_E0_NS1_11comp_targetILNS1_3genE4ELNS1_11target_archE910ELNS1_3gpuE8ELNS1_3repE0EEENS1_30default_config_static_selectorELNS0_4arch9wavefront6targetE1EEEvSK_
		.amdhsa_group_segment_fixed_size 0
		.amdhsa_private_segment_fixed_size 0
		.amdhsa_kernarg_size 56
		.amdhsa_user_sgpr_count 2
		.amdhsa_user_sgpr_dispatch_ptr 0
		.amdhsa_user_sgpr_queue_ptr 0
		.amdhsa_user_sgpr_kernarg_segment_ptr 1
		.amdhsa_user_sgpr_dispatch_id 0
		.amdhsa_user_sgpr_kernarg_preload_length 0
		.amdhsa_user_sgpr_kernarg_preload_offset 0
		.amdhsa_user_sgpr_private_segment_size 0
		.amdhsa_uses_dynamic_stack 0
		.amdhsa_enable_private_segment 0
		.amdhsa_system_sgpr_workgroup_id_x 1
		.amdhsa_system_sgpr_workgroup_id_y 0
		.amdhsa_system_sgpr_workgroup_id_z 0
		.amdhsa_system_sgpr_workgroup_info 0
		.amdhsa_system_vgpr_workitem_id 0
		.amdhsa_next_free_vgpr 1
		.amdhsa_next_free_sgpr 0
		.amdhsa_accum_offset 4
		.amdhsa_reserve_vcc 0
		.amdhsa_float_round_mode_32 0
		.amdhsa_float_round_mode_16_64 0
		.amdhsa_float_denorm_mode_32 3
		.amdhsa_float_denorm_mode_16_64 3
		.amdhsa_dx10_clamp 1
		.amdhsa_ieee_mode 1
		.amdhsa_fp16_overflow 0
		.amdhsa_tg_split 0
		.amdhsa_exception_fp_ieee_invalid_op 0
		.amdhsa_exception_fp_denorm_src 0
		.amdhsa_exception_fp_ieee_div_zero 0
		.amdhsa_exception_fp_ieee_overflow 0
		.amdhsa_exception_fp_ieee_underflow 0
		.amdhsa_exception_fp_ieee_inexact 0
		.amdhsa_exception_int_div_zero 0
	.end_amdhsa_kernel
	.section	.text._ZN7rocprim17ROCPRIM_400000_NS6detail17trampoline_kernelINS0_14default_configENS1_22reduce_config_selectorIjEEZNS1_11reduce_implILb1ES3_N6thrust23THRUST_200600_302600_NS17counting_iteratorIjNS8_11hip_rocprim3tagENS8_11use_defaultESC_EEPjjNS8_4plusIjEEEE10hipError_tPvRmT1_T2_T3_mT4_P12ihipStream_tbEUlT_E0_NS1_11comp_targetILNS1_3genE4ELNS1_11target_archE910ELNS1_3gpuE8ELNS1_3repE0EEENS1_30default_config_static_selectorELNS0_4arch9wavefront6targetE1EEEvSK_,"axG",@progbits,_ZN7rocprim17ROCPRIM_400000_NS6detail17trampoline_kernelINS0_14default_configENS1_22reduce_config_selectorIjEEZNS1_11reduce_implILb1ES3_N6thrust23THRUST_200600_302600_NS17counting_iteratorIjNS8_11hip_rocprim3tagENS8_11use_defaultESC_EEPjjNS8_4plusIjEEEE10hipError_tPvRmT1_T2_T3_mT4_P12ihipStream_tbEUlT_E0_NS1_11comp_targetILNS1_3genE4ELNS1_11target_archE910ELNS1_3gpuE8ELNS1_3repE0EEENS1_30default_config_static_selectorELNS0_4arch9wavefront6targetE1EEEvSK_,comdat
.Lfunc_end1039:
	.size	_ZN7rocprim17ROCPRIM_400000_NS6detail17trampoline_kernelINS0_14default_configENS1_22reduce_config_selectorIjEEZNS1_11reduce_implILb1ES3_N6thrust23THRUST_200600_302600_NS17counting_iteratorIjNS8_11hip_rocprim3tagENS8_11use_defaultESC_EEPjjNS8_4plusIjEEEE10hipError_tPvRmT1_T2_T3_mT4_P12ihipStream_tbEUlT_E0_NS1_11comp_targetILNS1_3genE4ELNS1_11target_archE910ELNS1_3gpuE8ELNS1_3repE0EEENS1_30default_config_static_selectorELNS0_4arch9wavefront6targetE1EEEvSK_, .Lfunc_end1039-_ZN7rocprim17ROCPRIM_400000_NS6detail17trampoline_kernelINS0_14default_configENS1_22reduce_config_selectorIjEEZNS1_11reduce_implILb1ES3_N6thrust23THRUST_200600_302600_NS17counting_iteratorIjNS8_11hip_rocprim3tagENS8_11use_defaultESC_EEPjjNS8_4plusIjEEEE10hipError_tPvRmT1_T2_T3_mT4_P12ihipStream_tbEUlT_E0_NS1_11comp_targetILNS1_3genE4ELNS1_11target_archE910ELNS1_3gpuE8ELNS1_3repE0EEENS1_30default_config_static_selectorELNS0_4arch9wavefront6targetE1EEEvSK_
                                        ; -- End function
	.set _ZN7rocprim17ROCPRIM_400000_NS6detail17trampoline_kernelINS0_14default_configENS1_22reduce_config_selectorIjEEZNS1_11reduce_implILb1ES3_N6thrust23THRUST_200600_302600_NS17counting_iteratorIjNS8_11hip_rocprim3tagENS8_11use_defaultESC_EEPjjNS8_4plusIjEEEE10hipError_tPvRmT1_T2_T3_mT4_P12ihipStream_tbEUlT_E0_NS1_11comp_targetILNS1_3genE4ELNS1_11target_archE910ELNS1_3gpuE8ELNS1_3repE0EEENS1_30default_config_static_selectorELNS0_4arch9wavefront6targetE1EEEvSK_.num_vgpr, 0
	.set _ZN7rocprim17ROCPRIM_400000_NS6detail17trampoline_kernelINS0_14default_configENS1_22reduce_config_selectorIjEEZNS1_11reduce_implILb1ES3_N6thrust23THRUST_200600_302600_NS17counting_iteratorIjNS8_11hip_rocprim3tagENS8_11use_defaultESC_EEPjjNS8_4plusIjEEEE10hipError_tPvRmT1_T2_T3_mT4_P12ihipStream_tbEUlT_E0_NS1_11comp_targetILNS1_3genE4ELNS1_11target_archE910ELNS1_3gpuE8ELNS1_3repE0EEENS1_30default_config_static_selectorELNS0_4arch9wavefront6targetE1EEEvSK_.num_agpr, 0
	.set _ZN7rocprim17ROCPRIM_400000_NS6detail17trampoline_kernelINS0_14default_configENS1_22reduce_config_selectorIjEEZNS1_11reduce_implILb1ES3_N6thrust23THRUST_200600_302600_NS17counting_iteratorIjNS8_11hip_rocprim3tagENS8_11use_defaultESC_EEPjjNS8_4plusIjEEEE10hipError_tPvRmT1_T2_T3_mT4_P12ihipStream_tbEUlT_E0_NS1_11comp_targetILNS1_3genE4ELNS1_11target_archE910ELNS1_3gpuE8ELNS1_3repE0EEENS1_30default_config_static_selectorELNS0_4arch9wavefront6targetE1EEEvSK_.numbered_sgpr, 0
	.set _ZN7rocprim17ROCPRIM_400000_NS6detail17trampoline_kernelINS0_14default_configENS1_22reduce_config_selectorIjEEZNS1_11reduce_implILb1ES3_N6thrust23THRUST_200600_302600_NS17counting_iteratorIjNS8_11hip_rocprim3tagENS8_11use_defaultESC_EEPjjNS8_4plusIjEEEE10hipError_tPvRmT1_T2_T3_mT4_P12ihipStream_tbEUlT_E0_NS1_11comp_targetILNS1_3genE4ELNS1_11target_archE910ELNS1_3gpuE8ELNS1_3repE0EEENS1_30default_config_static_selectorELNS0_4arch9wavefront6targetE1EEEvSK_.num_named_barrier, 0
	.set _ZN7rocprim17ROCPRIM_400000_NS6detail17trampoline_kernelINS0_14default_configENS1_22reduce_config_selectorIjEEZNS1_11reduce_implILb1ES3_N6thrust23THRUST_200600_302600_NS17counting_iteratorIjNS8_11hip_rocprim3tagENS8_11use_defaultESC_EEPjjNS8_4plusIjEEEE10hipError_tPvRmT1_T2_T3_mT4_P12ihipStream_tbEUlT_E0_NS1_11comp_targetILNS1_3genE4ELNS1_11target_archE910ELNS1_3gpuE8ELNS1_3repE0EEENS1_30default_config_static_selectorELNS0_4arch9wavefront6targetE1EEEvSK_.private_seg_size, 0
	.set _ZN7rocprim17ROCPRIM_400000_NS6detail17trampoline_kernelINS0_14default_configENS1_22reduce_config_selectorIjEEZNS1_11reduce_implILb1ES3_N6thrust23THRUST_200600_302600_NS17counting_iteratorIjNS8_11hip_rocprim3tagENS8_11use_defaultESC_EEPjjNS8_4plusIjEEEE10hipError_tPvRmT1_T2_T3_mT4_P12ihipStream_tbEUlT_E0_NS1_11comp_targetILNS1_3genE4ELNS1_11target_archE910ELNS1_3gpuE8ELNS1_3repE0EEENS1_30default_config_static_selectorELNS0_4arch9wavefront6targetE1EEEvSK_.uses_vcc, 0
	.set _ZN7rocprim17ROCPRIM_400000_NS6detail17trampoline_kernelINS0_14default_configENS1_22reduce_config_selectorIjEEZNS1_11reduce_implILb1ES3_N6thrust23THRUST_200600_302600_NS17counting_iteratorIjNS8_11hip_rocprim3tagENS8_11use_defaultESC_EEPjjNS8_4plusIjEEEE10hipError_tPvRmT1_T2_T3_mT4_P12ihipStream_tbEUlT_E0_NS1_11comp_targetILNS1_3genE4ELNS1_11target_archE910ELNS1_3gpuE8ELNS1_3repE0EEENS1_30default_config_static_selectorELNS0_4arch9wavefront6targetE1EEEvSK_.uses_flat_scratch, 0
	.set _ZN7rocprim17ROCPRIM_400000_NS6detail17trampoline_kernelINS0_14default_configENS1_22reduce_config_selectorIjEEZNS1_11reduce_implILb1ES3_N6thrust23THRUST_200600_302600_NS17counting_iteratorIjNS8_11hip_rocprim3tagENS8_11use_defaultESC_EEPjjNS8_4plusIjEEEE10hipError_tPvRmT1_T2_T3_mT4_P12ihipStream_tbEUlT_E0_NS1_11comp_targetILNS1_3genE4ELNS1_11target_archE910ELNS1_3gpuE8ELNS1_3repE0EEENS1_30default_config_static_selectorELNS0_4arch9wavefront6targetE1EEEvSK_.has_dyn_sized_stack, 0
	.set _ZN7rocprim17ROCPRIM_400000_NS6detail17trampoline_kernelINS0_14default_configENS1_22reduce_config_selectorIjEEZNS1_11reduce_implILb1ES3_N6thrust23THRUST_200600_302600_NS17counting_iteratorIjNS8_11hip_rocprim3tagENS8_11use_defaultESC_EEPjjNS8_4plusIjEEEE10hipError_tPvRmT1_T2_T3_mT4_P12ihipStream_tbEUlT_E0_NS1_11comp_targetILNS1_3genE4ELNS1_11target_archE910ELNS1_3gpuE8ELNS1_3repE0EEENS1_30default_config_static_selectorELNS0_4arch9wavefront6targetE1EEEvSK_.has_recursion, 0
	.set _ZN7rocprim17ROCPRIM_400000_NS6detail17trampoline_kernelINS0_14default_configENS1_22reduce_config_selectorIjEEZNS1_11reduce_implILb1ES3_N6thrust23THRUST_200600_302600_NS17counting_iteratorIjNS8_11hip_rocprim3tagENS8_11use_defaultESC_EEPjjNS8_4plusIjEEEE10hipError_tPvRmT1_T2_T3_mT4_P12ihipStream_tbEUlT_E0_NS1_11comp_targetILNS1_3genE4ELNS1_11target_archE910ELNS1_3gpuE8ELNS1_3repE0EEENS1_30default_config_static_selectorELNS0_4arch9wavefront6targetE1EEEvSK_.has_indirect_call, 0
	.section	.AMDGPU.csdata,"",@progbits
; Kernel info:
; codeLenInByte = 0
; TotalNumSgprs: 6
; NumVgprs: 0
; NumAgprs: 0
; TotalNumVgprs: 0
; ScratchSize: 0
; MemoryBound: 0
; FloatMode: 240
; IeeeMode: 1
; LDSByteSize: 0 bytes/workgroup (compile time only)
; SGPRBlocks: 0
; VGPRBlocks: 0
; NumSGPRsForWavesPerEU: 6
; NumVGPRsForWavesPerEU: 1
; AccumOffset: 4
; Occupancy: 8
; WaveLimiterHint : 0
; COMPUTE_PGM_RSRC2:SCRATCH_EN: 0
; COMPUTE_PGM_RSRC2:USER_SGPR: 2
; COMPUTE_PGM_RSRC2:TRAP_HANDLER: 0
; COMPUTE_PGM_RSRC2:TGID_X_EN: 1
; COMPUTE_PGM_RSRC2:TGID_Y_EN: 0
; COMPUTE_PGM_RSRC2:TGID_Z_EN: 0
; COMPUTE_PGM_RSRC2:TIDIG_COMP_CNT: 0
; COMPUTE_PGM_RSRC3_GFX90A:ACCUM_OFFSET: 0
; COMPUTE_PGM_RSRC3_GFX90A:TG_SPLIT: 0
	.section	.text._ZN7rocprim17ROCPRIM_400000_NS6detail17trampoline_kernelINS0_14default_configENS1_22reduce_config_selectorIjEEZNS1_11reduce_implILb1ES3_N6thrust23THRUST_200600_302600_NS17counting_iteratorIjNS8_11hip_rocprim3tagENS8_11use_defaultESC_EEPjjNS8_4plusIjEEEE10hipError_tPvRmT1_T2_T3_mT4_P12ihipStream_tbEUlT_E0_NS1_11comp_targetILNS1_3genE3ELNS1_11target_archE908ELNS1_3gpuE7ELNS1_3repE0EEENS1_30default_config_static_selectorELNS0_4arch9wavefront6targetE1EEEvSK_,"axG",@progbits,_ZN7rocprim17ROCPRIM_400000_NS6detail17trampoline_kernelINS0_14default_configENS1_22reduce_config_selectorIjEEZNS1_11reduce_implILb1ES3_N6thrust23THRUST_200600_302600_NS17counting_iteratorIjNS8_11hip_rocprim3tagENS8_11use_defaultESC_EEPjjNS8_4plusIjEEEE10hipError_tPvRmT1_T2_T3_mT4_P12ihipStream_tbEUlT_E0_NS1_11comp_targetILNS1_3genE3ELNS1_11target_archE908ELNS1_3gpuE7ELNS1_3repE0EEENS1_30default_config_static_selectorELNS0_4arch9wavefront6targetE1EEEvSK_,comdat
	.protected	_ZN7rocprim17ROCPRIM_400000_NS6detail17trampoline_kernelINS0_14default_configENS1_22reduce_config_selectorIjEEZNS1_11reduce_implILb1ES3_N6thrust23THRUST_200600_302600_NS17counting_iteratorIjNS8_11hip_rocprim3tagENS8_11use_defaultESC_EEPjjNS8_4plusIjEEEE10hipError_tPvRmT1_T2_T3_mT4_P12ihipStream_tbEUlT_E0_NS1_11comp_targetILNS1_3genE3ELNS1_11target_archE908ELNS1_3gpuE7ELNS1_3repE0EEENS1_30default_config_static_selectorELNS0_4arch9wavefront6targetE1EEEvSK_ ; -- Begin function _ZN7rocprim17ROCPRIM_400000_NS6detail17trampoline_kernelINS0_14default_configENS1_22reduce_config_selectorIjEEZNS1_11reduce_implILb1ES3_N6thrust23THRUST_200600_302600_NS17counting_iteratorIjNS8_11hip_rocprim3tagENS8_11use_defaultESC_EEPjjNS8_4plusIjEEEE10hipError_tPvRmT1_T2_T3_mT4_P12ihipStream_tbEUlT_E0_NS1_11comp_targetILNS1_3genE3ELNS1_11target_archE908ELNS1_3gpuE7ELNS1_3repE0EEENS1_30default_config_static_selectorELNS0_4arch9wavefront6targetE1EEEvSK_
	.globl	_ZN7rocprim17ROCPRIM_400000_NS6detail17trampoline_kernelINS0_14default_configENS1_22reduce_config_selectorIjEEZNS1_11reduce_implILb1ES3_N6thrust23THRUST_200600_302600_NS17counting_iteratorIjNS8_11hip_rocprim3tagENS8_11use_defaultESC_EEPjjNS8_4plusIjEEEE10hipError_tPvRmT1_T2_T3_mT4_P12ihipStream_tbEUlT_E0_NS1_11comp_targetILNS1_3genE3ELNS1_11target_archE908ELNS1_3gpuE7ELNS1_3repE0EEENS1_30default_config_static_selectorELNS0_4arch9wavefront6targetE1EEEvSK_
	.p2align	8
	.type	_ZN7rocprim17ROCPRIM_400000_NS6detail17trampoline_kernelINS0_14default_configENS1_22reduce_config_selectorIjEEZNS1_11reduce_implILb1ES3_N6thrust23THRUST_200600_302600_NS17counting_iteratorIjNS8_11hip_rocprim3tagENS8_11use_defaultESC_EEPjjNS8_4plusIjEEEE10hipError_tPvRmT1_T2_T3_mT4_P12ihipStream_tbEUlT_E0_NS1_11comp_targetILNS1_3genE3ELNS1_11target_archE908ELNS1_3gpuE7ELNS1_3repE0EEENS1_30default_config_static_selectorELNS0_4arch9wavefront6targetE1EEEvSK_,@function
_ZN7rocprim17ROCPRIM_400000_NS6detail17trampoline_kernelINS0_14default_configENS1_22reduce_config_selectorIjEEZNS1_11reduce_implILb1ES3_N6thrust23THRUST_200600_302600_NS17counting_iteratorIjNS8_11hip_rocprim3tagENS8_11use_defaultESC_EEPjjNS8_4plusIjEEEE10hipError_tPvRmT1_T2_T3_mT4_P12ihipStream_tbEUlT_E0_NS1_11comp_targetILNS1_3genE3ELNS1_11target_archE908ELNS1_3gpuE7ELNS1_3repE0EEENS1_30default_config_static_selectorELNS0_4arch9wavefront6targetE1EEEvSK_: ; @_ZN7rocprim17ROCPRIM_400000_NS6detail17trampoline_kernelINS0_14default_configENS1_22reduce_config_selectorIjEEZNS1_11reduce_implILb1ES3_N6thrust23THRUST_200600_302600_NS17counting_iteratorIjNS8_11hip_rocprim3tagENS8_11use_defaultESC_EEPjjNS8_4plusIjEEEE10hipError_tPvRmT1_T2_T3_mT4_P12ihipStream_tbEUlT_E0_NS1_11comp_targetILNS1_3genE3ELNS1_11target_archE908ELNS1_3gpuE7ELNS1_3repE0EEENS1_30default_config_static_selectorELNS0_4arch9wavefront6targetE1EEEvSK_
; %bb.0:
	.section	.rodata,"a",@progbits
	.p2align	6, 0x0
	.amdhsa_kernel _ZN7rocprim17ROCPRIM_400000_NS6detail17trampoline_kernelINS0_14default_configENS1_22reduce_config_selectorIjEEZNS1_11reduce_implILb1ES3_N6thrust23THRUST_200600_302600_NS17counting_iteratorIjNS8_11hip_rocprim3tagENS8_11use_defaultESC_EEPjjNS8_4plusIjEEEE10hipError_tPvRmT1_T2_T3_mT4_P12ihipStream_tbEUlT_E0_NS1_11comp_targetILNS1_3genE3ELNS1_11target_archE908ELNS1_3gpuE7ELNS1_3repE0EEENS1_30default_config_static_selectorELNS0_4arch9wavefront6targetE1EEEvSK_
		.amdhsa_group_segment_fixed_size 0
		.amdhsa_private_segment_fixed_size 0
		.amdhsa_kernarg_size 56
		.amdhsa_user_sgpr_count 2
		.amdhsa_user_sgpr_dispatch_ptr 0
		.amdhsa_user_sgpr_queue_ptr 0
		.amdhsa_user_sgpr_kernarg_segment_ptr 1
		.amdhsa_user_sgpr_dispatch_id 0
		.amdhsa_user_sgpr_kernarg_preload_length 0
		.amdhsa_user_sgpr_kernarg_preload_offset 0
		.amdhsa_user_sgpr_private_segment_size 0
		.amdhsa_uses_dynamic_stack 0
		.amdhsa_enable_private_segment 0
		.amdhsa_system_sgpr_workgroup_id_x 1
		.amdhsa_system_sgpr_workgroup_id_y 0
		.amdhsa_system_sgpr_workgroup_id_z 0
		.amdhsa_system_sgpr_workgroup_info 0
		.amdhsa_system_vgpr_workitem_id 0
		.amdhsa_next_free_vgpr 1
		.amdhsa_next_free_sgpr 0
		.amdhsa_accum_offset 4
		.amdhsa_reserve_vcc 0
		.amdhsa_float_round_mode_32 0
		.amdhsa_float_round_mode_16_64 0
		.amdhsa_float_denorm_mode_32 3
		.amdhsa_float_denorm_mode_16_64 3
		.amdhsa_dx10_clamp 1
		.amdhsa_ieee_mode 1
		.amdhsa_fp16_overflow 0
		.amdhsa_tg_split 0
		.amdhsa_exception_fp_ieee_invalid_op 0
		.amdhsa_exception_fp_denorm_src 0
		.amdhsa_exception_fp_ieee_div_zero 0
		.amdhsa_exception_fp_ieee_overflow 0
		.amdhsa_exception_fp_ieee_underflow 0
		.amdhsa_exception_fp_ieee_inexact 0
		.amdhsa_exception_int_div_zero 0
	.end_amdhsa_kernel
	.section	.text._ZN7rocprim17ROCPRIM_400000_NS6detail17trampoline_kernelINS0_14default_configENS1_22reduce_config_selectorIjEEZNS1_11reduce_implILb1ES3_N6thrust23THRUST_200600_302600_NS17counting_iteratorIjNS8_11hip_rocprim3tagENS8_11use_defaultESC_EEPjjNS8_4plusIjEEEE10hipError_tPvRmT1_T2_T3_mT4_P12ihipStream_tbEUlT_E0_NS1_11comp_targetILNS1_3genE3ELNS1_11target_archE908ELNS1_3gpuE7ELNS1_3repE0EEENS1_30default_config_static_selectorELNS0_4arch9wavefront6targetE1EEEvSK_,"axG",@progbits,_ZN7rocprim17ROCPRIM_400000_NS6detail17trampoline_kernelINS0_14default_configENS1_22reduce_config_selectorIjEEZNS1_11reduce_implILb1ES3_N6thrust23THRUST_200600_302600_NS17counting_iteratorIjNS8_11hip_rocprim3tagENS8_11use_defaultESC_EEPjjNS8_4plusIjEEEE10hipError_tPvRmT1_T2_T3_mT4_P12ihipStream_tbEUlT_E0_NS1_11comp_targetILNS1_3genE3ELNS1_11target_archE908ELNS1_3gpuE7ELNS1_3repE0EEENS1_30default_config_static_selectorELNS0_4arch9wavefront6targetE1EEEvSK_,comdat
.Lfunc_end1040:
	.size	_ZN7rocprim17ROCPRIM_400000_NS6detail17trampoline_kernelINS0_14default_configENS1_22reduce_config_selectorIjEEZNS1_11reduce_implILb1ES3_N6thrust23THRUST_200600_302600_NS17counting_iteratorIjNS8_11hip_rocprim3tagENS8_11use_defaultESC_EEPjjNS8_4plusIjEEEE10hipError_tPvRmT1_T2_T3_mT4_P12ihipStream_tbEUlT_E0_NS1_11comp_targetILNS1_3genE3ELNS1_11target_archE908ELNS1_3gpuE7ELNS1_3repE0EEENS1_30default_config_static_selectorELNS0_4arch9wavefront6targetE1EEEvSK_, .Lfunc_end1040-_ZN7rocprim17ROCPRIM_400000_NS6detail17trampoline_kernelINS0_14default_configENS1_22reduce_config_selectorIjEEZNS1_11reduce_implILb1ES3_N6thrust23THRUST_200600_302600_NS17counting_iteratorIjNS8_11hip_rocprim3tagENS8_11use_defaultESC_EEPjjNS8_4plusIjEEEE10hipError_tPvRmT1_T2_T3_mT4_P12ihipStream_tbEUlT_E0_NS1_11comp_targetILNS1_3genE3ELNS1_11target_archE908ELNS1_3gpuE7ELNS1_3repE0EEENS1_30default_config_static_selectorELNS0_4arch9wavefront6targetE1EEEvSK_
                                        ; -- End function
	.set _ZN7rocprim17ROCPRIM_400000_NS6detail17trampoline_kernelINS0_14default_configENS1_22reduce_config_selectorIjEEZNS1_11reduce_implILb1ES3_N6thrust23THRUST_200600_302600_NS17counting_iteratorIjNS8_11hip_rocprim3tagENS8_11use_defaultESC_EEPjjNS8_4plusIjEEEE10hipError_tPvRmT1_T2_T3_mT4_P12ihipStream_tbEUlT_E0_NS1_11comp_targetILNS1_3genE3ELNS1_11target_archE908ELNS1_3gpuE7ELNS1_3repE0EEENS1_30default_config_static_selectorELNS0_4arch9wavefront6targetE1EEEvSK_.num_vgpr, 0
	.set _ZN7rocprim17ROCPRIM_400000_NS6detail17trampoline_kernelINS0_14default_configENS1_22reduce_config_selectorIjEEZNS1_11reduce_implILb1ES3_N6thrust23THRUST_200600_302600_NS17counting_iteratorIjNS8_11hip_rocprim3tagENS8_11use_defaultESC_EEPjjNS8_4plusIjEEEE10hipError_tPvRmT1_T2_T3_mT4_P12ihipStream_tbEUlT_E0_NS1_11comp_targetILNS1_3genE3ELNS1_11target_archE908ELNS1_3gpuE7ELNS1_3repE0EEENS1_30default_config_static_selectorELNS0_4arch9wavefront6targetE1EEEvSK_.num_agpr, 0
	.set _ZN7rocprim17ROCPRIM_400000_NS6detail17trampoline_kernelINS0_14default_configENS1_22reduce_config_selectorIjEEZNS1_11reduce_implILb1ES3_N6thrust23THRUST_200600_302600_NS17counting_iteratorIjNS8_11hip_rocprim3tagENS8_11use_defaultESC_EEPjjNS8_4plusIjEEEE10hipError_tPvRmT1_T2_T3_mT4_P12ihipStream_tbEUlT_E0_NS1_11comp_targetILNS1_3genE3ELNS1_11target_archE908ELNS1_3gpuE7ELNS1_3repE0EEENS1_30default_config_static_selectorELNS0_4arch9wavefront6targetE1EEEvSK_.numbered_sgpr, 0
	.set _ZN7rocprim17ROCPRIM_400000_NS6detail17trampoline_kernelINS0_14default_configENS1_22reduce_config_selectorIjEEZNS1_11reduce_implILb1ES3_N6thrust23THRUST_200600_302600_NS17counting_iteratorIjNS8_11hip_rocprim3tagENS8_11use_defaultESC_EEPjjNS8_4plusIjEEEE10hipError_tPvRmT1_T2_T3_mT4_P12ihipStream_tbEUlT_E0_NS1_11comp_targetILNS1_3genE3ELNS1_11target_archE908ELNS1_3gpuE7ELNS1_3repE0EEENS1_30default_config_static_selectorELNS0_4arch9wavefront6targetE1EEEvSK_.num_named_barrier, 0
	.set _ZN7rocprim17ROCPRIM_400000_NS6detail17trampoline_kernelINS0_14default_configENS1_22reduce_config_selectorIjEEZNS1_11reduce_implILb1ES3_N6thrust23THRUST_200600_302600_NS17counting_iteratorIjNS8_11hip_rocprim3tagENS8_11use_defaultESC_EEPjjNS8_4plusIjEEEE10hipError_tPvRmT1_T2_T3_mT4_P12ihipStream_tbEUlT_E0_NS1_11comp_targetILNS1_3genE3ELNS1_11target_archE908ELNS1_3gpuE7ELNS1_3repE0EEENS1_30default_config_static_selectorELNS0_4arch9wavefront6targetE1EEEvSK_.private_seg_size, 0
	.set _ZN7rocprim17ROCPRIM_400000_NS6detail17trampoline_kernelINS0_14default_configENS1_22reduce_config_selectorIjEEZNS1_11reduce_implILb1ES3_N6thrust23THRUST_200600_302600_NS17counting_iteratorIjNS8_11hip_rocprim3tagENS8_11use_defaultESC_EEPjjNS8_4plusIjEEEE10hipError_tPvRmT1_T2_T3_mT4_P12ihipStream_tbEUlT_E0_NS1_11comp_targetILNS1_3genE3ELNS1_11target_archE908ELNS1_3gpuE7ELNS1_3repE0EEENS1_30default_config_static_selectorELNS0_4arch9wavefront6targetE1EEEvSK_.uses_vcc, 0
	.set _ZN7rocprim17ROCPRIM_400000_NS6detail17trampoline_kernelINS0_14default_configENS1_22reduce_config_selectorIjEEZNS1_11reduce_implILb1ES3_N6thrust23THRUST_200600_302600_NS17counting_iteratorIjNS8_11hip_rocprim3tagENS8_11use_defaultESC_EEPjjNS8_4plusIjEEEE10hipError_tPvRmT1_T2_T3_mT4_P12ihipStream_tbEUlT_E0_NS1_11comp_targetILNS1_3genE3ELNS1_11target_archE908ELNS1_3gpuE7ELNS1_3repE0EEENS1_30default_config_static_selectorELNS0_4arch9wavefront6targetE1EEEvSK_.uses_flat_scratch, 0
	.set _ZN7rocprim17ROCPRIM_400000_NS6detail17trampoline_kernelINS0_14default_configENS1_22reduce_config_selectorIjEEZNS1_11reduce_implILb1ES3_N6thrust23THRUST_200600_302600_NS17counting_iteratorIjNS8_11hip_rocprim3tagENS8_11use_defaultESC_EEPjjNS8_4plusIjEEEE10hipError_tPvRmT1_T2_T3_mT4_P12ihipStream_tbEUlT_E0_NS1_11comp_targetILNS1_3genE3ELNS1_11target_archE908ELNS1_3gpuE7ELNS1_3repE0EEENS1_30default_config_static_selectorELNS0_4arch9wavefront6targetE1EEEvSK_.has_dyn_sized_stack, 0
	.set _ZN7rocprim17ROCPRIM_400000_NS6detail17trampoline_kernelINS0_14default_configENS1_22reduce_config_selectorIjEEZNS1_11reduce_implILb1ES3_N6thrust23THRUST_200600_302600_NS17counting_iteratorIjNS8_11hip_rocprim3tagENS8_11use_defaultESC_EEPjjNS8_4plusIjEEEE10hipError_tPvRmT1_T2_T3_mT4_P12ihipStream_tbEUlT_E0_NS1_11comp_targetILNS1_3genE3ELNS1_11target_archE908ELNS1_3gpuE7ELNS1_3repE0EEENS1_30default_config_static_selectorELNS0_4arch9wavefront6targetE1EEEvSK_.has_recursion, 0
	.set _ZN7rocprim17ROCPRIM_400000_NS6detail17trampoline_kernelINS0_14default_configENS1_22reduce_config_selectorIjEEZNS1_11reduce_implILb1ES3_N6thrust23THRUST_200600_302600_NS17counting_iteratorIjNS8_11hip_rocprim3tagENS8_11use_defaultESC_EEPjjNS8_4plusIjEEEE10hipError_tPvRmT1_T2_T3_mT4_P12ihipStream_tbEUlT_E0_NS1_11comp_targetILNS1_3genE3ELNS1_11target_archE908ELNS1_3gpuE7ELNS1_3repE0EEENS1_30default_config_static_selectorELNS0_4arch9wavefront6targetE1EEEvSK_.has_indirect_call, 0
	.section	.AMDGPU.csdata,"",@progbits
; Kernel info:
; codeLenInByte = 0
; TotalNumSgprs: 6
; NumVgprs: 0
; NumAgprs: 0
; TotalNumVgprs: 0
; ScratchSize: 0
; MemoryBound: 0
; FloatMode: 240
; IeeeMode: 1
; LDSByteSize: 0 bytes/workgroup (compile time only)
; SGPRBlocks: 0
; VGPRBlocks: 0
; NumSGPRsForWavesPerEU: 6
; NumVGPRsForWavesPerEU: 1
; AccumOffset: 4
; Occupancy: 8
; WaveLimiterHint : 0
; COMPUTE_PGM_RSRC2:SCRATCH_EN: 0
; COMPUTE_PGM_RSRC2:USER_SGPR: 2
; COMPUTE_PGM_RSRC2:TRAP_HANDLER: 0
; COMPUTE_PGM_RSRC2:TGID_X_EN: 1
; COMPUTE_PGM_RSRC2:TGID_Y_EN: 0
; COMPUTE_PGM_RSRC2:TGID_Z_EN: 0
; COMPUTE_PGM_RSRC2:TIDIG_COMP_CNT: 0
; COMPUTE_PGM_RSRC3_GFX90A:ACCUM_OFFSET: 0
; COMPUTE_PGM_RSRC3_GFX90A:TG_SPLIT: 0
	.section	.text._ZN7rocprim17ROCPRIM_400000_NS6detail17trampoline_kernelINS0_14default_configENS1_22reduce_config_selectorIjEEZNS1_11reduce_implILb1ES3_N6thrust23THRUST_200600_302600_NS17counting_iteratorIjNS8_11hip_rocprim3tagENS8_11use_defaultESC_EEPjjNS8_4plusIjEEEE10hipError_tPvRmT1_T2_T3_mT4_P12ihipStream_tbEUlT_E0_NS1_11comp_targetILNS1_3genE2ELNS1_11target_archE906ELNS1_3gpuE6ELNS1_3repE0EEENS1_30default_config_static_selectorELNS0_4arch9wavefront6targetE1EEEvSK_,"axG",@progbits,_ZN7rocprim17ROCPRIM_400000_NS6detail17trampoline_kernelINS0_14default_configENS1_22reduce_config_selectorIjEEZNS1_11reduce_implILb1ES3_N6thrust23THRUST_200600_302600_NS17counting_iteratorIjNS8_11hip_rocprim3tagENS8_11use_defaultESC_EEPjjNS8_4plusIjEEEE10hipError_tPvRmT1_T2_T3_mT4_P12ihipStream_tbEUlT_E0_NS1_11comp_targetILNS1_3genE2ELNS1_11target_archE906ELNS1_3gpuE6ELNS1_3repE0EEENS1_30default_config_static_selectorELNS0_4arch9wavefront6targetE1EEEvSK_,comdat
	.protected	_ZN7rocprim17ROCPRIM_400000_NS6detail17trampoline_kernelINS0_14default_configENS1_22reduce_config_selectorIjEEZNS1_11reduce_implILb1ES3_N6thrust23THRUST_200600_302600_NS17counting_iteratorIjNS8_11hip_rocprim3tagENS8_11use_defaultESC_EEPjjNS8_4plusIjEEEE10hipError_tPvRmT1_T2_T3_mT4_P12ihipStream_tbEUlT_E0_NS1_11comp_targetILNS1_3genE2ELNS1_11target_archE906ELNS1_3gpuE6ELNS1_3repE0EEENS1_30default_config_static_selectorELNS0_4arch9wavefront6targetE1EEEvSK_ ; -- Begin function _ZN7rocprim17ROCPRIM_400000_NS6detail17trampoline_kernelINS0_14default_configENS1_22reduce_config_selectorIjEEZNS1_11reduce_implILb1ES3_N6thrust23THRUST_200600_302600_NS17counting_iteratorIjNS8_11hip_rocprim3tagENS8_11use_defaultESC_EEPjjNS8_4plusIjEEEE10hipError_tPvRmT1_T2_T3_mT4_P12ihipStream_tbEUlT_E0_NS1_11comp_targetILNS1_3genE2ELNS1_11target_archE906ELNS1_3gpuE6ELNS1_3repE0EEENS1_30default_config_static_selectorELNS0_4arch9wavefront6targetE1EEEvSK_
	.globl	_ZN7rocprim17ROCPRIM_400000_NS6detail17trampoline_kernelINS0_14default_configENS1_22reduce_config_selectorIjEEZNS1_11reduce_implILb1ES3_N6thrust23THRUST_200600_302600_NS17counting_iteratorIjNS8_11hip_rocprim3tagENS8_11use_defaultESC_EEPjjNS8_4plusIjEEEE10hipError_tPvRmT1_T2_T3_mT4_P12ihipStream_tbEUlT_E0_NS1_11comp_targetILNS1_3genE2ELNS1_11target_archE906ELNS1_3gpuE6ELNS1_3repE0EEENS1_30default_config_static_selectorELNS0_4arch9wavefront6targetE1EEEvSK_
	.p2align	8
	.type	_ZN7rocprim17ROCPRIM_400000_NS6detail17trampoline_kernelINS0_14default_configENS1_22reduce_config_selectorIjEEZNS1_11reduce_implILb1ES3_N6thrust23THRUST_200600_302600_NS17counting_iteratorIjNS8_11hip_rocprim3tagENS8_11use_defaultESC_EEPjjNS8_4plusIjEEEE10hipError_tPvRmT1_T2_T3_mT4_P12ihipStream_tbEUlT_E0_NS1_11comp_targetILNS1_3genE2ELNS1_11target_archE906ELNS1_3gpuE6ELNS1_3repE0EEENS1_30default_config_static_selectorELNS0_4arch9wavefront6targetE1EEEvSK_,@function
_ZN7rocprim17ROCPRIM_400000_NS6detail17trampoline_kernelINS0_14default_configENS1_22reduce_config_selectorIjEEZNS1_11reduce_implILb1ES3_N6thrust23THRUST_200600_302600_NS17counting_iteratorIjNS8_11hip_rocprim3tagENS8_11use_defaultESC_EEPjjNS8_4plusIjEEEE10hipError_tPvRmT1_T2_T3_mT4_P12ihipStream_tbEUlT_E0_NS1_11comp_targetILNS1_3genE2ELNS1_11target_archE906ELNS1_3gpuE6ELNS1_3repE0EEENS1_30default_config_static_selectorELNS0_4arch9wavefront6targetE1EEEvSK_: ; @_ZN7rocprim17ROCPRIM_400000_NS6detail17trampoline_kernelINS0_14default_configENS1_22reduce_config_selectorIjEEZNS1_11reduce_implILb1ES3_N6thrust23THRUST_200600_302600_NS17counting_iteratorIjNS8_11hip_rocprim3tagENS8_11use_defaultESC_EEPjjNS8_4plusIjEEEE10hipError_tPvRmT1_T2_T3_mT4_P12ihipStream_tbEUlT_E0_NS1_11comp_targetILNS1_3genE2ELNS1_11target_archE906ELNS1_3gpuE6ELNS1_3repE0EEENS1_30default_config_static_selectorELNS0_4arch9wavefront6targetE1EEEvSK_
; %bb.0:
	.section	.rodata,"a",@progbits
	.p2align	6, 0x0
	.amdhsa_kernel _ZN7rocprim17ROCPRIM_400000_NS6detail17trampoline_kernelINS0_14default_configENS1_22reduce_config_selectorIjEEZNS1_11reduce_implILb1ES3_N6thrust23THRUST_200600_302600_NS17counting_iteratorIjNS8_11hip_rocprim3tagENS8_11use_defaultESC_EEPjjNS8_4plusIjEEEE10hipError_tPvRmT1_T2_T3_mT4_P12ihipStream_tbEUlT_E0_NS1_11comp_targetILNS1_3genE2ELNS1_11target_archE906ELNS1_3gpuE6ELNS1_3repE0EEENS1_30default_config_static_selectorELNS0_4arch9wavefront6targetE1EEEvSK_
		.amdhsa_group_segment_fixed_size 0
		.amdhsa_private_segment_fixed_size 0
		.amdhsa_kernarg_size 56
		.amdhsa_user_sgpr_count 2
		.amdhsa_user_sgpr_dispatch_ptr 0
		.amdhsa_user_sgpr_queue_ptr 0
		.amdhsa_user_sgpr_kernarg_segment_ptr 1
		.amdhsa_user_sgpr_dispatch_id 0
		.amdhsa_user_sgpr_kernarg_preload_length 0
		.amdhsa_user_sgpr_kernarg_preload_offset 0
		.amdhsa_user_sgpr_private_segment_size 0
		.amdhsa_uses_dynamic_stack 0
		.amdhsa_enable_private_segment 0
		.amdhsa_system_sgpr_workgroup_id_x 1
		.amdhsa_system_sgpr_workgroup_id_y 0
		.amdhsa_system_sgpr_workgroup_id_z 0
		.amdhsa_system_sgpr_workgroup_info 0
		.amdhsa_system_vgpr_workitem_id 0
		.amdhsa_next_free_vgpr 1
		.amdhsa_next_free_sgpr 0
		.amdhsa_accum_offset 4
		.amdhsa_reserve_vcc 0
		.amdhsa_float_round_mode_32 0
		.amdhsa_float_round_mode_16_64 0
		.amdhsa_float_denorm_mode_32 3
		.amdhsa_float_denorm_mode_16_64 3
		.amdhsa_dx10_clamp 1
		.amdhsa_ieee_mode 1
		.amdhsa_fp16_overflow 0
		.amdhsa_tg_split 0
		.amdhsa_exception_fp_ieee_invalid_op 0
		.amdhsa_exception_fp_denorm_src 0
		.amdhsa_exception_fp_ieee_div_zero 0
		.amdhsa_exception_fp_ieee_overflow 0
		.amdhsa_exception_fp_ieee_underflow 0
		.amdhsa_exception_fp_ieee_inexact 0
		.amdhsa_exception_int_div_zero 0
	.end_amdhsa_kernel
	.section	.text._ZN7rocprim17ROCPRIM_400000_NS6detail17trampoline_kernelINS0_14default_configENS1_22reduce_config_selectorIjEEZNS1_11reduce_implILb1ES3_N6thrust23THRUST_200600_302600_NS17counting_iteratorIjNS8_11hip_rocprim3tagENS8_11use_defaultESC_EEPjjNS8_4plusIjEEEE10hipError_tPvRmT1_T2_T3_mT4_P12ihipStream_tbEUlT_E0_NS1_11comp_targetILNS1_3genE2ELNS1_11target_archE906ELNS1_3gpuE6ELNS1_3repE0EEENS1_30default_config_static_selectorELNS0_4arch9wavefront6targetE1EEEvSK_,"axG",@progbits,_ZN7rocprim17ROCPRIM_400000_NS6detail17trampoline_kernelINS0_14default_configENS1_22reduce_config_selectorIjEEZNS1_11reduce_implILb1ES3_N6thrust23THRUST_200600_302600_NS17counting_iteratorIjNS8_11hip_rocprim3tagENS8_11use_defaultESC_EEPjjNS8_4plusIjEEEE10hipError_tPvRmT1_T2_T3_mT4_P12ihipStream_tbEUlT_E0_NS1_11comp_targetILNS1_3genE2ELNS1_11target_archE906ELNS1_3gpuE6ELNS1_3repE0EEENS1_30default_config_static_selectorELNS0_4arch9wavefront6targetE1EEEvSK_,comdat
.Lfunc_end1041:
	.size	_ZN7rocprim17ROCPRIM_400000_NS6detail17trampoline_kernelINS0_14default_configENS1_22reduce_config_selectorIjEEZNS1_11reduce_implILb1ES3_N6thrust23THRUST_200600_302600_NS17counting_iteratorIjNS8_11hip_rocprim3tagENS8_11use_defaultESC_EEPjjNS8_4plusIjEEEE10hipError_tPvRmT1_T2_T3_mT4_P12ihipStream_tbEUlT_E0_NS1_11comp_targetILNS1_3genE2ELNS1_11target_archE906ELNS1_3gpuE6ELNS1_3repE0EEENS1_30default_config_static_selectorELNS0_4arch9wavefront6targetE1EEEvSK_, .Lfunc_end1041-_ZN7rocprim17ROCPRIM_400000_NS6detail17trampoline_kernelINS0_14default_configENS1_22reduce_config_selectorIjEEZNS1_11reduce_implILb1ES3_N6thrust23THRUST_200600_302600_NS17counting_iteratorIjNS8_11hip_rocprim3tagENS8_11use_defaultESC_EEPjjNS8_4plusIjEEEE10hipError_tPvRmT1_T2_T3_mT4_P12ihipStream_tbEUlT_E0_NS1_11comp_targetILNS1_3genE2ELNS1_11target_archE906ELNS1_3gpuE6ELNS1_3repE0EEENS1_30default_config_static_selectorELNS0_4arch9wavefront6targetE1EEEvSK_
                                        ; -- End function
	.set _ZN7rocprim17ROCPRIM_400000_NS6detail17trampoline_kernelINS0_14default_configENS1_22reduce_config_selectorIjEEZNS1_11reduce_implILb1ES3_N6thrust23THRUST_200600_302600_NS17counting_iteratorIjNS8_11hip_rocprim3tagENS8_11use_defaultESC_EEPjjNS8_4plusIjEEEE10hipError_tPvRmT1_T2_T3_mT4_P12ihipStream_tbEUlT_E0_NS1_11comp_targetILNS1_3genE2ELNS1_11target_archE906ELNS1_3gpuE6ELNS1_3repE0EEENS1_30default_config_static_selectorELNS0_4arch9wavefront6targetE1EEEvSK_.num_vgpr, 0
	.set _ZN7rocprim17ROCPRIM_400000_NS6detail17trampoline_kernelINS0_14default_configENS1_22reduce_config_selectorIjEEZNS1_11reduce_implILb1ES3_N6thrust23THRUST_200600_302600_NS17counting_iteratorIjNS8_11hip_rocprim3tagENS8_11use_defaultESC_EEPjjNS8_4plusIjEEEE10hipError_tPvRmT1_T2_T3_mT4_P12ihipStream_tbEUlT_E0_NS1_11comp_targetILNS1_3genE2ELNS1_11target_archE906ELNS1_3gpuE6ELNS1_3repE0EEENS1_30default_config_static_selectorELNS0_4arch9wavefront6targetE1EEEvSK_.num_agpr, 0
	.set _ZN7rocprim17ROCPRIM_400000_NS6detail17trampoline_kernelINS0_14default_configENS1_22reduce_config_selectorIjEEZNS1_11reduce_implILb1ES3_N6thrust23THRUST_200600_302600_NS17counting_iteratorIjNS8_11hip_rocprim3tagENS8_11use_defaultESC_EEPjjNS8_4plusIjEEEE10hipError_tPvRmT1_T2_T3_mT4_P12ihipStream_tbEUlT_E0_NS1_11comp_targetILNS1_3genE2ELNS1_11target_archE906ELNS1_3gpuE6ELNS1_3repE0EEENS1_30default_config_static_selectorELNS0_4arch9wavefront6targetE1EEEvSK_.numbered_sgpr, 0
	.set _ZN7rocprim17ROCPRIM_400000_NS6detail17trampoline_kernelINS0_14default_configENS1_22reduce_config_selectorIjEEZNS1_11reduce_implILb1ES3_N6thrust23THRUST_200600_302600_NS17counting_iteratorIjNS8_11hip_rocprim3tagENS8_11use_defaultESC_EEPjjNS8_4plusIjEEEE10hipError_tPvRmT1_T2_T3_mT4_P12ihipStream_tbEUlT_E0_NS1_11comp_targetILNS1_3genE2ELNS1_11target_archE906ELNS1_3gpuE6ELNS1_3repE0EEENS1_30default_config_static_selectorELNS0_4arch9wavefront6targetE1EEEvSK_.num_named_barrier, 0
	.set _ZN7rocprim17ROCPRIM_400000_NS6detail17trampoline_kernelINS0_14default_configENS1_22reduce_config_selectorIjEEZNS1_11reduce_implILb1ES3_N6thrust23THRUST_200600_302600_NS17counting_iteratorIjNS8_11hip_rocprim3tagENS8_11use_defaultESC_EEPjjNS8_4plusIjEEEE10hipError_tPvRmT1_T2_T3_mT4_P12ihipStream_tbEUlT_E0_NS1_11comp_targetILNS1_3genE2ELNS1_11target_archE906ELNS1_3gpuE6ELNS1_3repE0EEENS1_30default_config_static_selectorELNS0_4arch9wavefront6targetE1EEEvSK_.private_seg_size, 0
	.set _ZN7rocprim17ROCPRIM_400000_NS6detail17trampoline_kernelINS0_14default_configENS1_22reduce_config_selectorIjEEZNS1_11reduce_implILb1ES3_N6thrust23THRUST_200600_302600_NS17counting_iteratorIjNS8_11hip_rocprim3tagENS8_11use_defaultESC_EEPjjNS8_4plusIjEEEE10hipError_tPvRmT1_T2_T3_mT4_P12ihipStream_tbEUlT_E0_NS1_11comp_targetILNS1_3genE2ELNS1_11target_archE906ELNS1_3gpuE6ELNS1_3repE0EEENS1_30default_config_static_selectorELNS0_4arch9wavefront6targetE1EEEvSK_.uses_vcc, 0
	.set _ZN7rocprim17ROCPRIM_400000_NS6detail17trampoline_kernelINS0_14default_configENS1_22reduce_config_selectorIjEEZNS1_11reduce_implILb1ES3_N6thrust23THRUST_200600_302600_NS17counting_iteratorIjNS8_11hip_rocprim3tagENS8_11use_defaultESC_EEPjjNS8_4plusIjEEEE10hipError_tPvRmT1_T2_T3_mT4_P12ihipStream_tbEUlT_E0_NS1_11comp_targetILNS1_3genE2ELNS1_11target_archE906ELNS1_3gpuE6ELNS1_3repE0EEENS1_30default_config_static_selectorELNS0_4arch9wavefront6targetE1EEEvSK_.uses_flat_scratch, 0
	.set _ZN7rocprim17ROCPRIM_400000_NS6detail17trampoline_kernelINS0_14default_configENS1_22reduce_config_selectorIjEEZNS1_11reduce_implILb1ES3_N6thrust23THRUST_200600_302600_NS17counting_iteratorIjNS8_11hip_rocprim3tagENS8_11use_defaultESC_EEPjjNS8_4plusIjEEEE10hipError_tPvRmT1_T2_T3_mT4_P12ihipStream_tbEUlT_E0_NS1_11comp_targetILNS1_3genE2ELNS1_11target_archE906ELNS1_3gpuE6ELNS1_3repE0EEENS1_30default_config_static_selectorELNS0_4arch9wavefront6targetE1EEEvSK_.has_dyn_sized_stack, 0
	.set _ZN7rocprim17ROCPRIM_400000_NS6detail17trampoline_kernelINS0_14default_configENS1_22reduce_config_selectorIjEEZNS1_11reduce_implILb1ES3_N6thrust23THRUST_200600_302600_NS17counting_iteratorIjNS8_11hip_rocprim3tagENS8_11use_defaultESC_EEPjjNS8_4plusIjEEEE10hipError_tPvRmT1_T2_T3_mT4_P12ihipStream_tbEUlT_E0_NS1_11comp_targetILNS1_3genE2ELNS1_11target_archE906ELNS1_3gpuE6ELNS1_3repE0EEENS1_30default_config_static_selectorELNS0_4arch9wavefront6targetE1EEEvSK_.has_recursion, 0
	.set _ZN7rocprim17ROCPRIM_400000_NS6detail17trampoline_kernelINS0_14default_configENS1_22reduce_config_selectorIjEEZNS1_11reduce_implILb1ES3_N6thrust23THRUST_200600_302600_NS17counting_iteratorIjNS8_11hip_rocprim3tagENS8_11use_defaultESC_EEPjjNS8_4plusIjEEEE10hipError_tPvRmT1_T2_T3_mT4_P12ihipStream_tbEUlT_E0_NS1_11comp_targetILNS1_3genE2ELNS1_11target_archE906ELNS1_3gpuE6ELNS1_3repE0EEENS1_30default_config_static_selectorELNS0_4arch9wavefront6targetE1EEEvSK_.has_indirect_call, 0
	.section	.AMDGPU.csdata,"",@progbits
; Kernel info:
; codeLenInByte = 0
; TotalNumSgprs: 6
; NumVgprs: 0
; NumAgprs: 0
; TotalNumVgprs: 0
; ScratchSize: 0
; MemoryBound: 0
; FloatMode: 240
; IeeeMode: 1
; LDSByteSize: 0 bytes/workgroup (compile time only)
; SGPRBlocks: 0
; VGPRBlocks: 0
; NumSGPRsForWavesPerEU: 6
; NumVGPRsForWavesPerEU: 1
; AccumOffset: 4
; Occupancy: 8
; WaveLimiterHint : 0
; COMPUTE_PGM_RSRC2:SCRATCH_EN: 0
; COMPUTE_PGM_RSRC2:USER_SGPR: 2
; COMPUTE_PGM_RSRC2:TRAP_HANDLER: 0
; COMPUTE_PGM_RSRC2:TGID_X_EN: 1
; COMPUTE_PGM_RSRC2:TGID_Y_EN: 0
; COMPUTE_PGM_RSRC2:TGID_Z_EN: 0
; COMPUTE_PGM_RSRC2:TIDIG_COMP_CNT: 0
; COMPUTE_PGM_RSRC3_GFX90A:ACCUM_OFFSET: 0
; COMPUTE_PGM_RSRC3_GFX90A:TG_SPLIT: 0
	.section	.text._ZN7rocprim17ROCPRIM_400000_NS6detail17trampoline_kernelINS0_14default_configENS1_22reduce_config_selectorIjEEZNS1_11reduce_implILb1ES3_N6thrust23THRUST_200600_302600_NS17counting_iteratorIjNS8_11hip_rocprim3tagENS8_11use_defaultESC_EEPjjNS8_4plusIjEEEE10hipError_tPvRmT1_T2_T3_mT4_P12ihipStream_tbEUlT_E0_NS1_11comp_targetILNS1_3genE10ELNS1_11target_archE1201ELNS1_3gpuE5ELNS1_3repE0EEENS1_30default_config_static_selectorELNS0_4arch9wavefront6targetE1EEEvSK_,"axG",@progbits,_ZN7rocprim17ROCPRIM_400000_NS6detail17trampoline_kernelINS0_14default_configENS1_22reduce_config_selectorIjEEZNS1_11reduce_implILb1ES3_N6thrust23THRUST_200600_302600_NS17counting_iteratorIjNS8_11hip_rocprim3tagENS8_11use_defaultESC_EEPjjNS8_4plusIjEEEE10hipError_tPvRmT1_T2_T3_mT4_P12ihipStream_tbEUlT_E0_NS1_11comp_targetILNS1_3genE10ELNS1_11target_archE1201ELNS1_3gpuE5ELNS1_3repE0EEENS1_30default_config_static_selectorELNS0_4arch9wavefront6targetE1EEEvSK_,comdat
	.protected	_ZN7rocprim17ROCPRIM_400000_NS6detail17trampoline_kernelINS0_14default_configENS1_22reduce_config_selectorIjEEZNS1_11reduce_implILb1ES3_N6thrust23THRUST_200600_302600_NS17counting_iteratorIjNS8_11hip_rocprim3tagENS8_11use_defaultESC_EEPjjNS8_4plusIjEEEE10hipError_tPvRmT1_T2_T3_mT4_P12ihipStream_tbEUlT_E0_NS1_11comp_targetILNS1_3genE10ELNS1_11target_archE1201ELNS1_3gpuE5ELNS1_3repE0EEENS1_30default_config_static_selectorELNS0_4arch9wavefront6targetE1EEEvSK_ ; -- Begin function _ZN7rocprim17ROCPRIM_400000_NS6detail17trampoline_kernelINS0_14default_configENS1_22reduce_config_selectorIjEEZNS1_11reduce_implILb1ES3_N6thrust23THRUST_200600_302600_NS17counting_iteratorIjNS8_11hip_rocprim3tagENS8_11use_defaultESC_EEPjjNS8_4plusIjEEEE10hipError_tPvRmT1_T2_T3_mT4_P12ihipStream_tbEUlT_E0_NS1_11comp_targetILNS1_3genE10ELNS1_11target_archE1201ELNS1_3gpuE5ELNS1_3repE0EEENS1_30default_config_static_selectorELNS0_4arch9wavefront6targetE1EEEvSK_
	.globl	_ZN7rocprim17ROCPRIM_400000_NS6detail17trampoline_kernelINS0_14default_configENS1_22reduce_config_selectorIjEEZNS1_11reduce_implILb1ES3_N6thrust23THRUST_200600_302600_NS17counting_iteratorIjNS8_11hip_rocprim3tagENS8_11use_defaultESC_EEPjjNS8_4plusIjEEEE10hipError_tPvRmT1_T2_T3_mT4_P12ihipStream_tbEUlT_E0_NS1_11comp_targetILNS1_3genE10ELNS1_11target_archE1201ELNS1_3gpuE5ELNS1_3repE0EEENS1_30default_config_static_selectorELNS0_4arch9wavefront6targetE1EEEvSK_
	.p2align	8
	.type	_ZN7rocprim17ROCPRIM_400000_NS6detail17trampoline_kernelINS0_14default_configENS1_22reduce_config_selectorIjEEZNS1_11reduce_implILb1ES3_N6thrust23THRUST_200600_302600_NS17counting_iteratorIjNS8_11hip_rocprim3tagENS8_11use_defaultESC_EEPjjNS8_4plusIjEEEE10hipError_tPvRmT1_T2_T3_mT4_P12ihipStream_tbEUlT_E0_NS1_11comp_targetILNS1_3genE10ELNS1_11target_archE1201ELNS1_3gpuE5ELNS1_3repE0EEENS1_30default_config_static_selectorELNS0_4arch9wavefront6targetE1EEEvSK_,@function
_ZN7rocprim17ROCPRIM_400000_NS6detail17trampoline_kernelINS0_14default_configENS1_22reduce_config_selectorIjEEZNS1_11reduce_implILb1ES3_N6thrust23THRUST_200600_302600_NS17counting_iteratorIjNS8_11hip_rocprim3tagENS8_11use_defaultESC_EEPjjNS8_4plusIjEEEE10hipError_tPvRmT1_T2_T3_mT4_P12ihipStream_tbEUlT_E0_NS1_11comp_targetILNS1_3genE10ELNS1_11target_archE1201ELNS1_3gpuE5ELNS1_3repE0EEENS1_30default_config_static_selectorELNS0_4arch9wavefront6targetE1EEEvSK_: ; @_ZN7rocprim17ROCPRIM_400000_NS6detail17trampoline_kernelINS0_14default_configENS1_22reduce_config_selectorIjEEZNS1_11reduce_implILb1ES3_N6thrust23THRUST_200600_302600_NS17counting_iteratorIjNS8_11hip_rocprim3tagENS8_11use_defaultESC_EEPjjNS8_4plusIjEEEE10hipError_tPvRmT1_T2_T3_mT4_P12ihipStream_tbEUlT_E0_NS1_11comp_targetILNS1_3genE10ELNS1_11target_archE1201ELNS1_3gpuE5ELNS1_3repE0EEENS1_30default_config_static_selectorELNS0_4arch9wavefront6targetE1EEEvSK_
; %bb.0:
	.section	.rodata,"a",@progbits
	.p2align	6, 0x0
	.amdhsa_kernel _ZN7rocprim17ROCPRIM_400000_NS6detail17trampoline_kernelINS0_14default_configENS1_22reduce_config_selectorIjEEZNS1_11reduce_implILb1ES3_N6thrust23THRUST_200600_302600_NS17counting_iteratorIjNS8_11hip_rocprim3tagENS8_11use_defaultESC_EEPjjNS8_4plusIjEEEE10hipError_tPvRmT1_T2_T3_mT4_P12ihipStream_tbEUlT_E0_NS1_11comp_targetILNS1_3genE10ELNS1_11target_archE1201ELNS1_3gpuE5ELNS1_3repE0EEENS1_30default_config_static_selectorELNS0_4arch9wavefront6targetE1EEEvSK_
		.amdhsa_group_segment_fixed_size 0
		.amdhsa_private_segment_fixed_size 0
		.amdhsa_kernarg_size 56
		.amdhsa_user_sgpr_count 2
		.amdhsa_user_sgpr_dispatch_ptr 0
		.amdhsa_user_sgpr_queue_ptr 0
		.amdhsa_user_sgpr_kernarg_segment_ptr 1
		.amdhsa_user_sgpr_dispatch_id 0
		.amdhsa_user_sgpr_kernarg_preload_length 0
		.amdhsa_user_sgpr_kernarg_preload_offset 0
		.amdhsa_user_sgpr_private_segment_size 0
		.amdhsa_uses_dynamic_stack 0
		.amdhsa_enable_private_segment 0
		.amdhsa_system_sgpr_workgroup_id_x 1
		.amdhsa_system_sgpr_workgroup_id_y 0
		.amdhsa_system_sgpr_workgroup_id_z 0
		.amdhsa_system_sgpr_workgroup_info 0
		.amdhsa_system_vgpr_workitem_id 0
		.amdhsa_next_free_vgpr 1
		.amdhsa_next_free_sgpr 0
		.amdhsa_accum_offset 4
		.amdhsa_reserve_vcc 0
		.amdhsa_float_round_mode_32 0
		.amdhsa_float_round_mode_16_64 0
		.amdhsa_float_denorm_mode_32 3
		.amdhsa_float_denorm_mode_16_64 3
		.amdhsa_dx10_clamp 1
		.amdhsa_ieee_mode 1
		.amdhsa_fp16_overflow 0
		.amdhsa_tg_split 0
		.amdhsa_exception_fp_ieee_invalid_op 0
		.amdhsa_exception_fp_denorm_src 0
		.amdhsa_exception_fp_ieee_div_zero 0
		.amdhsa_exception_fp_ieee_overflow 0
		.amdhsa_exception_fp_ieee_underflow 0
		.amdhsa_exception_fp_ieee_inexact 0
		.amdhsa_exception_int_div_zero 0
	.end_amdhsa_kernel
	.section	.text._ZN7rocprim17ROCPRIM_400000_NS6detail17trampoline_kernelINS0_14default_configENS1_22reduce_config_selectorIjEEZNS1_11reduce_implILb1ES3_N6thrust23THRUST_200600_302600_NS17counting_iteratorIjNS8_11hip_rocprim3tagENS8_11use_defaultESC_EEPjjNS8_4plusIjEEEE10hipError_tPvRmT1_T2_T3_mT4_P12ihipStream_tbEUlT_E0_NS1_11comp_targetILNS1_3genE10ELNS1_11target_archE1201ELNS1_3gpuE5ELNS1_3repE0EEENS1_30default_config_static_selectorELNS0_4arch9wavefront6targetE1EEEvSK_,"axG",@progbits,_ZN7rocprim17ROCPRIM_400000_NS6detail17trampoline_kernelINS0_14default_configENS1_22reduce_config_selectorIjEEZNS1_11reduce_implILb1ES3_N6thrust23THRUST_200600_302600_NS17counting_iteratorIjNS8_11hip_rocprim3tagENS8_11use_defaultESC_EEPjjNS8_4plusIjEEEE10hipError_tPvRmT1_T2_T3_mT4_P12ihipStream_tbEUlT_E0_NS1_11comp_targetILNS1_3genE10ELNS1_11target_archE1201ELNS1_3gpuE5ELNS1_3repE0EEENS1_30default_config_static_selectorELNS0_4arch9wavefront6targetE1EEEvSK_,comdat
.Lfunc_end1042:
	.size	_ZN7rocprim17ROCPRIM_400000_NS6detail17trampoline_kernelINS0_14default_configENS1_22reduce_config_selectorIjEEZNS1_11reduce_implILb1ES3_N6thrust23THRUST_200600_302600_NS17counting_iteratorIjNS8_11hip_rocprim3tagENS8_11use_defaultESC_EEPjjNS8_4plusIjEEEE10hipError_tPvRmT1_T2_T3_mT4_P12ihipStream_tbEUlT_E0_NS1_11comp_targetILNS1_3genE10ELNS1_11target_archE1201ELNS1_3gpuE5ELNS1_3repE0EEENS1_30default_config_static_selectorELNS0_4arch9wavefront6targetE1EEEvSK_, .Lfunc_end1042-_ZN7rocprim17ROCPRIM_400000_NS6detail17trampoline_kernelINS0_14default_configENS1_22reduce_config_selectorIjEEZNS1_11reduce_implILb1ES3_N6thrust23THRUST_200600_302600_NS17counting_iteratorIjNS8_11hip_rocprim3tagENS8_11use_defaultESC_EEPjjNS8_4plusIjEEEE10hipError_tPvRmT1_T2_T3_mT4_P12ihipStream_tbEUlT_E0_NS1_11comp_targetILNS1_3genE10ELNS1_11target_archE1201ELNS1_3gpuE5ELNS1_3repE0EEENS1_30default_config_static_selectorELNS0_4arch9wavefront6targetE1EEEvSK_
                                        ; -- End function
	.set _ZN7rocprim17ROCPRIM_400000_NS6detail17trampoline_kernelINS0_14default_configENS1_22reduce_config_selectorIjEEZNS1_11reduce_implILb1ES3_N6thrust23THRUST_200600_302600_NS17counting_iteratorIjNS8_11hip_rocprim3tagENS8_11use_defaultESC_EEPjjNS8_4plusIjEEEE10hipError_tPvRmT1_T2_T3_mT4_P12ihipStream_tbEUlT_E0_NS1_11comp_targetILNS1_3genE10ELNS1_11target_archE1201ELNS1_3gpuE5ELNS1_3repE0EEENS1_30default_config_static_selectorELNS0_4arch9wavefront6targetE1EEEvSK_.num_vgpr, 0
	.set _ZN7rocprim17ROCPRIM_400000_NS6detail17trampoline_kernelINS0_14default_configENS1_22reduce_config_selectorIjEEZNS1_11reduce_implILb1ES3_N6thrust23THRUST_200600_302600_NS17counting_iteratorIjNS8_11hip_rocprim3tagENS8_11use_defaultESC_EEPjjNS8_4plusIjEEEE10hipError_tPvRmT1_T2_T3_mT4_P12ihipStream_tbEUlT_E0_NS1_11comp_targetILNS1_3genE10ELNS1_11target_archE1201ELNS1_3gpuE5ELNS1_3repE0EEENS1_30default_config_static_selectorELNS0_4arch9wavefront6targetE1EEEvSK_.num_agpr, 0
	.set _ZN7rocprim17ROCPRIM_400000_NS6detail17trampoline_kernelINS0_14default_configENS1_22reduce_config_selectorIjEEZNS1_11reduce_implILb1ES3_N6thrust23THRUST_200600_302600_NS17counting_iteratorIjNS8_11hip_rocprim3tagENS8_11use_defaultESC_EEPjjNS8_4plusIjEEEE10hipError_tPvRmT1_T2_T3_mT4_P12ihipStream_tbEUlT_E0_NS1_11comp_targetILNS1_3genE10ELNS1_11target_archE1201ELNS1_3gpuE5ELNS1_3repE0EEENS1_30default_config_static_selectorELNS0_4arch9wavefront6targetE1EEEvSK_.numbered_sgpr, 0
	.set _ZN7rocprim17ROCPRIM_400000_NS6detail17trampoline_kernelINS0_14default_configENS1_22reduce_config_selectorIjEEZNS1_11reduce_implILb1ES3_N6thrust23THRUST_200600_302600_NS17counting_iteratorIjNS8_11hip_rocprim3tagENS8_11use_defaultESC_EEPjjNS8_4plusIjEEEE10hipError_tPvRmT1_T2_T3_mT4_P12ihipStream_tbEUlT_E0_NS1_11comp_targetILNS1_3genE10ELNS1_11target_archE1201ELNS1_3gpuE5ELNS1_3repE0EEENS1_30default_config_static_selectorELNS0_4arch9wavefront6targetE1EEEvSK_.num_named_barrier, 0
	.set _ZN7rocprim17ROCPRIM_400000_NS6detail17trampoline_kernelINS0_14default_configENS1_22reduce_config_selectorIjEEZNS1_11reduce_implILb1ES3_N6thrust23THRUST_200600_302600_NS17counting_iteratorIjNS8_11hip_rocprim3tagENS8_11use_defaultESC_EEPjjNS8_4plusIjEEEE10hipError_tPvRmT1_T2_T3_mT4_P12ihipStream_tbEUlT_E0_NS1_11comp_targetILNS1_3genE10ELNS1_11target_archE1201ELNS1_3gpuE5ELNS1_3repE0EEENS1_30default_config_static_selectorELNS0_4arch9wavefront6targetE1EEEvSK_.private_seg_size, 0
	.set _ZN7rocprim17ROCPRIM_400000_NS6detail17trampoline_kernelINS0_14default_configENS1_22reduce_config_selectorIjEEZNS1_11reduce_implILb1ES3_N6thrust23THRUST_200600_302600_NS17counting_iteratorIjNS8_11hip_rocprim3tagENS8_11use_defaultESC_EEPjjNS8_4plusIjEEEE10hipError_tPvRmT1_T2_T3_mT4_P12ihipStream_tbEUlT_E0_NS1_11comp_targetILNS1_3genE10ELNS1_11target_archE1201ELNS1_3gpuE5ELNS1_3repE0EEENS1_30default_config_static_selectorELNS0_4arch9wavefront6targetE1EEEvSK_.uses_vcc, 0
	.set _ZN7rocprim17ROCPRIM_400000_NS6detail17trampoline_kernelINS0_14default_configENS1_22reduce_config_selectorIjEEZNS1_11reduce_implILb1ES3_N6thrust23THRUST_200600_302600_NS17counting_iteratorIjNS8_11hip_rocprim3tagENS8_11use_defaultESC_EEPjjNS8_4plusIjEEEE10hipError_tPvRmT1_T2_T3_mT4_P12ihipStream_tbEUlT_E0_NS1_11comp_targetILNS1_3genE10ELNS1_11target_archE1201ELNS1_3gpuE5ELNS1_3repE0EEENS1_30default_config_static_selectorELNS0_4arch9wavefront6targetE1EEEvSK_.uses_flat_scratch, 0
	.set _ZN7rocprim17ROCPRIM_400000_NS6detail17trampoline_kernelINS0_14default_configENS1_22reduce_config_selectorIjEEZNS1_11reduce_implILb1ES3_N6thrust23THRUST_200600_302600_NS17counting_iteratorIjNS8_11hip_rocprim3tagENS8_11use_defaultESC_EEPjjNS8_4plusIjEEEE10hipError_tPvRmT1_T2_T3_mT4_P12ihipStream_tbEUlT_E0_NS1_11comp_targetILNS1_3genE10ELNS1_11target_archE1201ELNS1_3gpuE5ELNS1_3repE0EEENS1_30default_config_static_selectorELNS0_4arch9wavefront6targetE1EEEvSK_.has_dyn_sized_stack, 0
	.set _ZN7rocprim17ROCPRIM_400000_NS6detail17trampoline_kernelINS0_14default_configENS1_22reduce_config_selectorIjEEZNS1_11reduce_implILb1ES3_N6thrust23THRUST_200600_302600_NS17counting_iteratorIjNS8_11hip_rocprim3tagENS8_11use_defaultESC_EEPjjNS8_4plusIjEEEE10hipError_tPvRmT1_T2_T3_mT4_P12ihipStream_tbEUlT_E0_NS1_11comp_targetILNS1_3genE10ELNS1_11target_archE1201ELNS1_3gpuE5ELNS1_3repE0EEENS1_30default_config_static_selectorELNS0_4arch9wavefront6targetE1EEEvSK_.has_recursion, 0
	.set _ZN7rocprim17ROCPRIM_400000_NS6detail17trampoline_kernelINS0_14default_configENS1_22reduce_config_selectorIjEEZNS1_11reduce_implILb1ES3_N6thrust23THRUST_200600_302600_NS17counting_iteratorIjNS8_11hip_rocprim3tagENS8_11use_defaultESC_EEPjjNS8_4plusIjEEEE10hipError_tPvRmT1_T2_T3_mT4_P12ihipStream_tbEUlT_E0_NS1_11comp_targetILNS1_3genE10ELNS1_11target_archE1201ELNS1_3gpuE5ELNS1_3repE0EEENS1_30default_config_static_selectorELNS0_4arch9wavefront6targetE1EEEvSK_.has_indirect_call, 0
	.section	.AMDGPU.csdata,"",@progbits
; Kernel info:
; codeLenInByte = 0
; TotalNumSgprs: 6
; NumVgprs: 0
; NumAgprs: 0
; TotalNumVgprs: 0
; ScratchSize: 0
; MemoryBound: 0
; FloatMode: 240
; IeeeMode: 1
; LDSByteSize: 0 bytes/workgroup (compile time only)
; SGPRBlocks: 0
; VGPRBlocks: 0
; NumSGPRsForWavesPerEU: 6
; NumVGPRsForWavesPerEU: 1
; AccumOffset: 4
; Occupancy: 8
; WaveLimiterHint : 0
; COMPUTE_PGM_RSRC2:SCRATCH_EN: 0
; COMPUTE_PGM_RSRC2:USER_SGPR: 2
; COMPUTE_PGM_RSRC2:TRAP_HANDLER: 0
; COMPUTE_PGM_RSRC2:TGID_X_EN: 1
; COMPUTE_PGM_RSRC2:TGID_Y_EN: 0
; COMPUTE_PGM_RSRC2:TGID_Z_EN: 0
; COMPUTE_PGM_RSRC2:TIDIG_COMP_CNT: 0
; COMPUTE_PGM_RSRC3_GFX90A:ACCUM_OFFSET: 0
; COMPUTE_PGM_RSRC3_GFX90A:TG_SPLIT: 0
	.section	.text._ZN7rocprim17ROCPRIM_400000_NS6detail17trampoline_kernelINS0_14default_configENS1_22reduce_config_selectorIjEEZNS1_11reduce_implILb1ES3_N6thrust23THRUST_200600_302600_NS17counting_iteratorIjNS8_11hip_rocprim3tagENS8_11use_defaultESC_EEPjjNS8_4plusIjEEEE10hipError_tPvRmT1_T2_T3_mT4_P12ihipStream_tbEUlT_E0_NS1_11comp_targetILNS1_3genE10ELNS1_11target_archE1200ELNS1_3gpuE4ELNS1_3repE0EEENS1_30default_config_static_selectorELNS0_4arch9wavefront6targetE1EEEvSK_,"axG",@progbits,_ZN7rocprim17ROCPRIM_400000_NS6detail17trampoline_kernelINS0_14default_configENS1_22reduce_config_selectorIjEEZNS1_11reduce_implILb1ES3_N6thrust23THRUST_200600_302600_NS17counting_iteratorIjNS8_11hip_rocprim3tagENS8_11use_defaultESC_EEPjjNS8_4plusIjEEEE10hipError_tPvRmT1_T2_T3_mT4_P12ihipStream_tbEUlT_E0_NS1_11comp_targetILNS1_3genE10ELNS1_11target_archE1200ELNS1_3gpuE4ELNS1_3repE0EEENS1_30default_config_static_selectorELNS0_4arch9wavefront6targetE1EEEvSK_,comdat
	.protected	_ZN7rocprim17ROCPRIM_400000_NS6detail17trampoline_kernelINS0_14default_configENS1_22reduce_config_selectorIjEEZNS1_11reduce_implILb1ES3_N6thrust23THRUST_200600_302600_NS17counting_iteratorIjNS8_11hip_rocprim3tagENS8_11use_defaultESC_EEPjjNS8_4plusIjEEEE10hipError_tPvRmT1_T2_T3_mT4_P12ihipStream_tbEUlT_E0_NS1_11comp_targetILNS1_3genE10ELNS1_11target_archE1200ELNS1_3gpuE4ELNS1_3repE0EEENS1_30default_config_static_selectorELNS0_4arch9wavefront6targetE1EEEvSK_ ; -- Begin function _ZN7rocprim17ROCPRIM_400000_NS6detail17trampoline_kernelINS0_14default_configENS1_22reduce_config_selectorIjEEZNS1_11reduce_implILb1ES3_N6thrust23THRUST_200600_302600_NS17counting_iteratorIjNS8_11hip_rocprim3tagENS8_11use_defaultESC_EEPjjNS8_4plusIjEEEE10hipError_tPvRmT1_T2_T3_mT4_P12ihipStream_tbEUlT_E0_NS1_11comp_targetILNS1_3genE10ELNS1_11target_archE1200ELNS1_3gpuE4ELNS1_3repE0EEENS1_30default_config_static_selectorELNS0_4arch9wavefront6targetE1EEEvSK_
	.globl	_ZN7rocprim17ROCPRIM_400000_NS6detail17trampoline_kernelINS0_14default_configENS1_22reduce_config_selectorIjEEZNS1_11reduce_implILb1ES3_N6thrust23THRUST_200600_302600_NS17counting_iteratorIjNS8_11hip_rocprim3tagENS8_11use_defaultESC_EEPjjNS8_4plusIjEEEE10hipError_tPvRmT1_T2_T3_mT4_P12ihipStream_tbEUlT_E0_NS1_11comp_targetILNS1_3genE10ELNS1_11target_archE1200ELNS1_3gpuE4ELNS1_3repE0EEENS1_30default_config_static_selectorELNS0_4arch9wavefront6targetE1EEEvSK_
	.p2align	8
	.type	_ZN7rocprim17ROCPRIM_400000_NS6detail17trampoline_kernelINS0_14default_configENS1_22reduce_config_selectorIjEEZNS1_11reduce_implILb1ES3_N6thrust23THRUST_200600_302600_NS17counting_iteratorIjNS8_11hip_rocprim3tagENS8_11use_defaultESC_EEPjjNS8_4plusIjEEEE10hipError_tPvRmT1_T2_T3_mT4_P12ihipStream_tbEUlT_E0_NS1_11comp_targetILNS1_3genE10ELNS1_11target_archE1200ELNS1_3gpuE4ELNS1_3repE0EEENS1_30default_config_static_selectorELNS0_4arch9wavefront6targetE1EEEvSK_,@function
_ZN7rocprim17ROCPRIM_400000_NS6detail17trampoline_kernelINS0_14default_configENS1_22reduce_config_selectorIjEEZNS1_11reduce_implILb1ES3_N6thrust23THRUST_200600_302600_NS17counting_iteratorIjNS8_11hip_rocprim3tagENS8_11use_defaultESC_EEPjjNS8_4plusIjEEEE10hipError_tPvRmT1_T2_T3_mT4_P12ihipStream_tbEUlT_E0_NS1_11comp_targetILNS1_3genE10ELNS1_11target_archE1200ELNS1_3gpuE4ELNS1_3repE0EEENS1_30default_config_static_selectorELNS0_4arch9wavefront6targetE1EEEvSK_: ; @_ZN7rocprim17ROCPRIM_400000_NS6detail17trampoline_kernelINS0_14default_configENS1_22reduce_config_selectorIjEEZNS1_11reduce_implILb1ES3_N6thrust23THRUST_200600_302600_NS17counting_iteratorIjNS8_11hip_rocprim3tagENS8_11use_defaultESC_EEPjjNS8_4plusIjEEEE10hipError_tPvRmT1_T2_T3_mT4_P12ihipStream_tbEUlT_E0_NS1_11comp_targetILNS1_3genE10ELNS1_11target_archE1200ELNS1_3gpuE4ELNS1_3repE0EEENS1_30default_config_static_selectorELNS0_4arch9wavefront6targetE1EEEvSK_
; %bb.0:
	.section	.rodata,"a",@progbits
	.p2align	6, 0x0
	.amdhsa_kernel _ZN7rocprim17ROCPRIM_400000_NS6detail17trampoline_kernelINS0_14default_configENS1_22reduce_config_selectorIjEEZNS1_11reduce_implILb1ES3_N6thrust23THRUST_200600_302600_NS17counting_iteratorIjNS8_11hip_rocprim3tagENS8_11use_defaultESC_EEPjjNS8_4plusIjEEEE10hipError_tPvRmT1_T2_T3_mT4_P12ihipStream_tbEUlT_E0_NS1_11comp_targetILNS1_3genE10ELNS1_11target_archE1200ELNS1_3gpuE4ELNS1_3repE0EEENS1_30default_config_static_selectorELNS0_4arch9wavefront6targetE1EEEvSK_
		.amdhsa_group_segment_fixed_size 0
		.amdhsa_private_segment_fixed_size 0
		.amdhsa_kernarg_size 56
		.amdhsa_user_sgpr_count 2
		.amdhsa_user_sgpr_dispatch_ptr 0
		.amdhsa_user_sgpr_queue_ptr 0
		.amdhsa_user_sgpr_kernarg_segment_ptr 1
		.amdhsa_user_sgpr_dispatch_id 0
		.amdhsa_user_sgpr_kernarg_preload_length 0
		.amdhsa_user_sgpr_kernarg_preload_offset 0
		.amdhsa_user_sgpr_private_segment_size 0
		.amdhsa_uses_dynamic_stack 0
		.amdhsa_enable_private_segment 0
		.amdhsa_system_sgpr_workgroup_id_x 1
		.amdhsa_system_sgpr_workgroup_id_y 0
		.amdhsa_system_sgpr_workgroup_id_z 0
		.amdhsa_system_sgpr_workgroup_info 0
		.amdhsa_system_vgpr_workitem_id 0
		.amdhsa_next_free_vgpr 1
		.amdhsa_next_free_sgpr 0
		.amdhsa_accum_offset 4
		.amdhsa_reserve_vcc 0
		.amdhsa_float_round_mode_32 0
		.amdhsa_float_round_mode_16_64 0
		.amdhsa_float_denorm_mode_32 3
		.amdhsa_float_denorm_mode_16_64 3
		.amdhsa_dx10_clamp 1
		.amdhsa_ieee_mode 1
		.amdhsa_fp16_overflow 0
		.amdhsa_tg_split 0
		.amdhsa_exception_fp_ieee_invalid_op 0
		.amdhsa_exception_fp_denorm_src 0
		.amdhsa_exception_fp_ieee_div_zero 0
		.amdhsa_exception_fp_ieee_overflow 0
		.amdhsa_exception_fp_ieee_underflow 0
		.amdhsa_exception_fp_ieee_inexact 0
		.amdhsa_exception_int_div_zero 0
	.end_amdhsa_kernel
	.section	.text._ZN7rocprim17ROCPRIM_400000_NS6detail17trampoline_kernelINS0_14default_configENS1_22reduce_config_selectorIjEEZNS1_11reduce_implILb1ES3_N6thrust23THRUST_200600_302600_NS17counting_iteratorIjNS8_11hip_rocprim3tagENS8_11use_defaultESC_EEPjjNS8_4plusIjEEEE10hipError_tPvRmT1_T2_T3_mT4_P12ihipStream_tbEUlT_E0_NS1_11comp_targetILNS1_3genE10ELNS1_11target_archE1200ELNS1_3gpuE4ELNS1_3repE0EEENS1_30default_config_static_selectorELNS0_4arch9wavefront6targetE1EEEvSK_,"axG",@progbits,_ZN7rocprim17ROCPRIM_400000_NS6detail17trampoline_kernelINS0_14default_configENS1_22reduce_config_selectorIjEEZNS1_11reduce_implILb1ES3_N6thrust23THRUST_200600_302600_NS17counting_iteratorIjNS8_11hip_rocprim3tagENS8_11use_defaultESC_EEPjjNS8_4plusIjEEEE10hipError_tPvRmT1_T2_T3_mT4_P12ihipStream_tbEUlT_E0_NS1_11comp_targetILNS1_3genE10ELNS1_11target_archE1200ELNS1_3gpuE4ELNS1_3repE0EEENS1_30default_config_static_selectorELNS0_4arch9wavefront6targetE1EEEvSK_,comdat
.Lfunc_end1043:
	.size	_ZN7rocprim17ROCPRIM_400000_NS6detail17trampoline_kernelINS0_14default_configENS1_22reduce_config_selectorIjEEZNS1_11reduce_implILb1ES3_N6thrust23THRUST_200600_302600_NS17counting_iteratorIjNS8_11hip_rocprim3tagENS8_11use_defaultESC_EEPjjNS8_4plusIjEEEE10hipError_tPvRmT1_T2_T3_mT4_P12ihipStream_tbEUlT_E0_NS1_11comp_targetILNS1_3genE10ELNS1_11target_archE1200ELNS1_3gpuE4ELNS1_3repE0EEENS1_30default_config_static_selectorELNS0_4arch9wavefront6targetE1EEEvSK_, .Lfunc_end1043-_ZN7rocprim17ROCPRIM_400000_NS6detail17trampoline_kernelINS0_14default_configENS1_22reduce_config_selectorIjEEZNS1_11reduce_implILb1ES3_N6thrust23THRUST_200600_302600_NS17counting_iteratorIjNS8_11hip_rocprim3tagENS8_11use_defaultESC_EEPjjNS8_4plusIjEEEE10hipError_tPvRmT1_T2_T3_mT4_P12ihipStream_tbEUlT_E0_NS1_11comp_targetILNS1_3genE10ELNS1_11target_archE1200ELNS1_3gpuE4ELNS1_3repE0EEENS1_30default_config_static_selectorELNS0_4arch9wavefront6targetE1EEEvSK_
                                        ; -- End function
	.set _ZN7rocprim17ROCPRIM_400000_NS6detail17trampoline_kernelINS0_14default_configENS1_22reduce_config_selectorIjEEZNS1_11reduce_implILb1ES3_N6thrust23THRUST_200600_302600_NS17counting_iteratorIjNS8_11hip_rocprim3tagENS8_11use_defaultESC_EEPjjNS8_4plusIjEEEE10hipError_tPvRmT1_T2_T3_mT4_P12ihipStream_tbEUlT_E0_NS1_11comp_targetILNS1_3genE10ELNS1_11target_archE1200ELNS1_3gpuE4ELNS1_3repE0EEENS1_30default_config_static_selectorELNS0_4arch9wavefront6targetE1EEEvSK_.num_vgpr, 0
	.set _ZN7rocprim17ROCPRIM_400000_NS6detail17trampoline_kernelINS0_14default_configENS1_22reduce_config_selectorIjEEZNS1_11reduce_implILb1ES3_N6thrust23THRUST_200600_302600_NS17counting_iteratorIjNS8_11hip_rocprim3tagENS8_11use_defaultESC_EEPjjNS8_4plusIjEEEE10hipError_tPvRmT1_T2_T3_mT4_P12ihipStream_tbEUlT_E0_NS1_11comp_targetILNS1_3genE10ELNS1_11target_archE1200ELNS1_3gpuE4ELNS1_3repE0EEENS1_30default_config_static_selectorELNS0_4arch9wavefront6targetE1EEEvSK_.num_agpr, 0
	.set _ZN7rocprim17ROCPRIM_400000_NS6detail17trampoline_kernelINS0_14default_configENS1_22reduce_config_selectorIjEEZNS1_11reduce_implILb1ES3_N6thrust23THRUST_200600_302600_NS17counting_iteratorIjNS8_11hip_rocprim3tagENS8_11use_defaultESC_EEPjjNS8_4plusIjEEEE10hipError_tPvRmT1_T2_T3_mT4_P12ihipStream_tbEUlT_E0_NS1_11comp_targetILNS1_3genE10ELNS1_11target_archE1200ELNS1_3gpuE4ELNS1_3repE0EEENS1_30default_config_static_selectorELNS0_4arch9wavefront6targetE1EEEvSK_.numbered_sgpr, 0
	.set _ZN7rocprim17ROCPRIM_400000_NS6detail17trampoline_kernelINS0_14default_configENS1_22reduce_config_selectorIjEEZNS1_11reduce_implILb1ES3_N6thrust23THRUST_200600_302600_NS17counting_iteratorIjNS8_11hip_rocprim3tagENS8_11use_defaultESC_EEPjjNS8_4plusIjEEEE10hipError_tPvRmT1_T2_T3_mT4_P12ihipStream_tbEUlT_E0_NS1_11comp_targetILNS1_3genE10ELNS1_11target_archE1200ELNS1_3gpuE4ELNS1_3repE0EEENS1_30default_config_static_selectorELNS0_4arch9wavefront6targetE1EEEvSK_.num_named_barrier, 0
	.set _ZN7rocprim17ROCPRIM_400000_NS6detail17trampoline_kernelINS0_14default_configENS1_22reduce_config_selectorIjEEZNS1_11reduce_implILb1ES3_N6thrust23THRUST_200600_302600_NS17counting_iteratorIjNS8_11hip_rocprim3tagENS8_11use_defaultESC_EEPjjNS8_4plusIjEEEE10hipError_tPvRmT1_T2_T3_mT4_P12ihipStream_tbEUlT_E0_NS1_11comp_targetILNS1_3genE10ELNS1_11target_archE1200ELNS1_3gpuE4ELNS1_3repE0EEENS1_30default_config_static_selectorELNS0_4arch9wavefront6targetE1EEEvSK_.private_seg_size, 0
	.set _ZN7rocprim17ROCPRIM_400000_NS6detail17trampoline_kernelINS0_14default_configENS1_22reduce_config_selectorIjEEZNS1_11reduce_implILb1ES3_N6thrust23THRUST_200600_302600_NS17counting_iteratorIjNS8_11hip_rocprim3tagENS8_11use_defaultESC_EEPjjNS8_4plusIjEEEE10hipError_tPvRmT1_T2_T3_mT4_P12ihipStream_tbEUlT_E0_NS1_11comp_targetILNS1_3genE10ELNS1_11target_archE1200ELNS1_3gpuE4ELNS1_3repE0EEENS1_30default_config_static_selectorELNS0_4arch9wavefront6targetE1EEEvSK_.uses_vcc, 0
	.set _ZN7rocprim17ROCPRIM_400000_NS6detail17trampoline_kernelINS0_14default_configENS1_22reduce_config_selectorIjEEZNS1_11reduce_implILb1ES3_N6thrust23THRUST_200600_302600_NS17counting_iteratorIjNS8_11hip_rocprim3tagENS8_11use_defaultESC_EEPjjNS8_4plusIjEEEE10hipError_tPvRmT1_T2_T3_mT4_P12ihipStream_tbEUlT_E0_NS1_11comp_targetILNS1_3genE10ELNS1_11target_archE1200ELNS1_3gpuE4ELNS1_3repE0EEENS1_30default_config_static_selectorELNS0_4arch9wavefront6targetE1EEEvSK_.uses_flat_scratch, 0
	.set _ZN7rocprim17ROCPRIM_400000_NS6detail17trampoline_kernelINS0_14default_configENS1_22reduce_config_selectorIjEEZNS1_11reduce_implILb1ES3_N6thrust23THRUST_200600_302600_NS17counting_iteratorIjNS8_11hip_rocprim3tagENS8_11use_defaultESC_EEPjjNS8_4plusIjEEEE10hipError_tPvRmT1_T2_T3_mT4_P12ihipStream_tbEUlT_E0_NS1_11comp_targetILNS1_3genE10ELNS1_11target_archE1200ELNS1_3gpuE4ELNS1_3repE0EEENS1_30default_config_static_selectorELNS0_4arch9wavefront6targetE1EEEvSK_.has_dyn_sized_stack, 0
	.set _ZN7rocprim17ROCPRIM_400000_NS6detail17trampoline_kernelINS0_14default_configENS1_22reduce_config_selectorIjEEZNS1_11reduce_implILb1ES3_N6thrust23THRUST_200600_302600_NS17counting_iteratorIjNS8_11hip_rocprim3tagENS8_11use_defaultESC_EEPjjNS8_4plusIjEEEE10hipError_tPvRmT1_T2_T3_mT4_P12ihipStream_tbEUlT_E0_NS1_11comp_targetILNS1_3genE10ELNS1_11target_archE1200ELNS1_3gpuE4ELNS1_3repE0EEENS1_30default_config_static_selectorELNS0_4arch9wavefront6targetE1EEEvSK_.has_recursion, 0
	.set _ZN7rocprim17ROCPRIM_400000_NS6detail17trampoline_kernelINS0_14default_configENS1_22reduce_config_selectorIjEEZNS1_11reduce_implILb1ES3_N6thrust23THRUST_200600_302600_NS17counting_iteratorIjNS8_11hip_rocprim3tagENS8_11use_defaultESC_EEPjjNS8_4plusIjEEEE10hipError_tPvRmT1_T2_T3_mT4_P12ihipStream_tbEUlT_E0_NS1_11comp_targetILNS1_3genE10ELNS1_11target_archE1200ELNS1_3gpuE4ELNS1_3repE0EEENS1_30default_config_static_selectorELNS0_4arch9wavefront6targetE1EEEvSK_.has_indirect_call, 0
	.section	.AMDGPU.csdata,"",@progbits
; Kernel info:
; codeLenInByte = 0
; TotalNumSgprs: 6
; NumVgprs: 0
; NumAgprs: 0
; TotalNumVgprs: 0
; ScratchSize: 0
; MemoryBound: 0
; FloatMode: 240
; IeeeMode: 1
; LDSByteSize: 0 bytes/workgroup (compile time only)
; SGPRBlocks: 0
; VGPRBlocks: 0
; NumSGPRsForWavesPerEU: 6
; NumVGPRsForWavesPerEU: 1
; AccumOffset: 4
; Occupancy: 8
; WaveLimiterHint : 0
; COMPUTE_PGM_RSRC2:SCRATCH_EN: 0
; COMPUTE_PGM_RSRC2:USER_SGPR: 2
; COMPUTE_PGM_RSRC2:TRAP_HANDLER: 0
; COMPUTE_PGM_RSRC2:TGID_X_EN: 1
; COMPUTE_PGM_RSRC2:TGID_Y_EN: 0
; COMPUTE_PGM_RSRC2:TGID_Z_EN: 0
; COMPUTE_PGM_RSRC2:TIDIG_COMP_CNT: 0
; COMPUTE_PGM_RSRC3_GFX90A:ACCUM_OFFSET: 0
; COMPUTE_PGM_RSRC3_GFX90A:TG_SPLIT: 0
	.section	.text._ZN7rocprim17ROCPRIM_400000_NS6detail17trampoline_kernelINS0_14default_configENS1_22reduce_config_selectorIjEEZNS1_11reduce_implILb1ES3_N6thrust23THRUST_200600_302600_NS17counting_iteratorIjNS8_11hip_rocprim3tagENS8_11use_defaultESC_EEPjjNS8_4plusIjEEEE10hipError_tPvRmT1_T2_T3_mT4_P12ihipStream_tbEUlT_E0_NS1_11comp_targetILNS1_3genE9ELNS1_11target_archE1100ELNS1_3gpuE3ELNS1_3repE0EEENS1_30default_config_static_selectorELNS0_4arch9wavefront6targetE1EEEvSK_,"axG",@progbits,_ZN7rocprim17ROCPRIM_400000_NS6detail17trampoline_kernelINS0_14default_configENS1_22reduce_config_selectorIjEEZNS1_11reduce_implILb1ES3_N6thrust23THRUST_200600_302600_NS17counting_iteratorIjNS8_11hip_rocprim3tagENS8_11use_defaultESC_EEPjjNS8_4plusIjEEEE10hipError_tPvRmT1_T2_T3_mT4_P12ihipStream_tbEUlT_E0_NS1_11comp_targetILNS1_3genE9ELNS1_11target_archE1100ELNS1_3gpuE3ELNS1_3repE0EEENS1_30default_config_static_selectorELNS0_4arch9wavefront6targetE1EEEvSK_,comdat
	.protected	_ZN7rocprim17ROCPRIM_400000_NS6detail17trampoline_kernelINS0_14default_configENS1_22reduce_config_selectorIjEEZNS1_11reduce_implILb1ES3_N6thrust23THRUST_200600_302600_NS17counting_iteratorIjNS8_11hip_rocprim3tagENS8_11use_defaultESC_EEPjjNS8_4plusIjEEEE10hipError_tPvRmT1_T2_T3_mT4_P12ihipStream_tbEUlT_E0_NS1_11comp_targetILNS1_3genE9ELNS1_11target_archE1100ELNS1_3gpuE3ELNS1_3repE0EEENS1_30default_config_static_selectorELNS0_4arch9wavefront6targetE1EEEvSK_ ; -- Begin function _ZN7rocprim17ROCPRIM_400000_NS6detail17trampoline_kernelINS0_14default_configENS1_22reduce_config_selectorIjEEZNS1_11reduce_implILb1ES3_N6thrust23THRUST_200600_302600_NS17counting_iteratorIjNS8_11hip_rocprim3tagENS8_11use_defaultESC_EEPjjNS8_4plusIjEEEE10hipError_tPvRmT1_T2_T3_mT4_P12ihipStream_tbEUlT_E0_NS1_11comp_targetILNS1_3genE9ELNS1_11target_archE1100ELNS1_3gpuE3ELNS1_3repE0EEENS1_30default_config_static_selectorELNS0_4arch9wavefront6targetE1EEEvSK_
	.globl	_ZN7rocprim17ROCPRIM_400000_NS6detail17trampoline_kernelINS0_14default_configENS1_22reduce_config_selectorIjEEZNS1_11reduce_implILb1ES3_N6thrust23THRUST_200600_302600_NS17counting_iteratorIjNS8_11hip_rocprim3tagENS8_11use_defaultESC_EEPjjNS8_4plusIjEEEE10hipError_tPvRmT1_T2_T3_mT4_P12ihipStream_tbEUlT_E0_NS1_11comp_targetILNS1_3genE9ELNS1_11target_archE1100ELNS1_3gpuE3ELNS1_3repE0EEENS1_30default_config_static_selectorELNS0_4arch9wavefront6targetE1EEEvSK_
	.p2align	8
	.type	_ZN7rocprim17ROCPRIM_400000_NS6detail17trampoline_kernelINS0_14default_configENS1_22reduce_config_selectorIjEEZNS1_11reduce_implILb1ES3_N6thrust23THRUST_200600_302600_NS17counting_iteratorIjNS8_11hip_rocprim3tagENS8_11use_defaultESC_EEPjjNS8_4plusIjEEEE10hipError_tPvRmT1_T2_T3_mT4_P12ihipStream_tbEUlT_E0_NS1_11comp_targetILNS1_3genE9ELNS1_11target_archE1100ELNS1_3gpuE3ELNS1_3repE0EEENS1_30default_config_static_selectorELNS0_4arch9wavefront6targetE1EEEvSK_,@function
_ZN7rocprim17ROCPRIM_400000_NS6detail17trampoline_kernelINS0_14default_configENS1_22reduce_config_selectorIjEEZNS1_11reduce_implILb1ES3_N6thrust23THRUST_200600_302600_NS17counting_iteratorIjNS8_11hip_rocprim3tagENS8_11use_defaultESC_EEPjjNS8_4plusIjEEEE10hipError_tPvRmT1_T2_T3_mT4_P12ihipStream_tbEUlT_E0_NS1_11comp_targetILNS1_3genE9ELNS1_11target_archE1100ELNS1_3gpuE3ELNS1_3repE0EEENS1_30default_config_static_selectorELNS0_4arch9wavefront6targetE1EEEvSK_: ; @_ZN7rocprim17ROCPRIM_400000_NS6detail17trampoline_kernelINS0_14default_configENS1_22reduce_config_selectorIjEEZNS1_11reduce_implILb1ES3_N6thrust23THRUST_200600_302600_NS17counting_iteratorIjNS8_11hip_rocprim3tagENS8_11use_defaultESC_EEPjjNS8_4plusIjEEEE10hipError_tPvRmT1_T2_T3_mT4_P12ihipStream_tbEUlT_E0_NS1_11comp_targetILNS1_3genE9ELNS1_11target_archE1100ELNS1_3gpuE3ELNS1_3repE0EEENS1_30default_config_static_selectorELNS0_4arch9wavefront6targetE1EEEvSK_
; %bb.0:
	.section	.rodata,"a",@progbits
	.p2align	6, 0x0
	.amdhsa_kernel _ZN7rocprim17ROCPRIM_400000_NS6detail17trampoline_kernelINS0_14default_configENS1_22reduce_config_selectorIjEEZNS1_11reduce_implILb1ES3_N6thrust23THRUST_200600_302600_NS17counting_iteratorIjNS8_11hip_rocprim3tagENS8_11use_defaultESC_EEPjjNS8_4plusIjEEEE10hipError_tPvRmT1_T2_T3_mT4_P12ihipStream_tbEUlT_E0_NS1_11comp_targetILNS1_3genE9ELNS1_11target_archE1100ELNS1_3gpuE3ELNS1_3repE0EEENS1_30default_config_static_selectorELNS0_4arch9wavefront6targetE1EEEvSK_
		.amdhsa_group_segment_fixed_size 0
		.amdhsa_private_segment_fixed_size 0
		.amdhsa_kernarg_size 56
		.amdhsa_user_sgpr_count 2
		.amdhsa_user_sgpr_dispatch_ptr 0
		.amdhsa_user_sgpr_queue_ptr 0
		.amdhsa_user_sgpr_kernarg_segment_ptr 1
		.amdhsa_user_sgpr_dispatch_id 0
		.amdhsa_user_sgpr_kernarg_preload_length 0
		.amdhsa_user_sgpr_kernarg_preload_offset 0
		.amdhsa_user_sgpr_private_segment_size 0
		.amdhsa_uses_dynamic_stack 0
		.amdhsa_enable_private_segment 0
		.amdhsa_system_sgpr_workgroup_id_x 1
		.amdhsa_system_sgpr_workgroup_id_y 0
		.amdhsa_system_sgpr_workgroup_id_z 0
		.amdhsa_system_sgpr_workgroup_info 0
		.amdhsa_system_vgpr_workitem_id 0
		.amdhsa_next_free_vgpr 1
		.amdhsa_next_free_sgpr 0
		.amdhsa_accum_offset 4
		.amdhsa_reserve_vcc 0
		.amdhsa_float_round_mode_32 0
		.amdhsa_float_round_mode_16_64 0
		.amdhsa_float_denorm_mode_32 3
		.amdhsa_float_denorm_mode_16_64 3
		.amdhsa_dx10_clamp 1
		.amdhsa_ieee_mode 1
		.amdhsa_fp16_overflow 0
		.amdhsa_tg_split 0
		.amdhsa_exception_fp_ieee_invalid_op 0
		.amdhsa_exception_fp_denorm_src 0
		.amdhsa_exception_fp_ieee_div_zero 0
		.amdhsa_exception_fp_ieee_overflow 0
		.amdhsa_exception_fp_ieee_underflow 0
		.amdhsa_exception_fp_ieee_inexact 0
		.amdhsa_exception_int_div_zero 0
	.end_amdhsa_kernel
	.section	.text._ZN7rocprim17ROCPRIM_400000_NS6detail17trampoline_kernelINS0_14default_configENS1_22reduce_config_selectorIjEEZNS1_11reduce_implILb1ES3_N6thrust23THRUST_200600_302600_NS17counting_iteratorIjNS8_11hip_rocprim3tagENS8_11use_defaultESC_EEPjjNS8_4plusIjEEEE10hipError_tPvRmT1_T2_T3_mT4_P12ihipStream_tbEUlT_E0_NS1_11comp_targetILNS1_3genE9ELNS1_11target_archE1100ELNS1_3gpuE3ELNS1_3repE0EEENS1_30default_config_static_selectorELNS0_4arch9wavefront6targetE1EEEvSK_,"axG",@progbits,_ZN7rocprim17ROCPRIM_400000_NS6detail17trampoline_kernelINS0_14default_configENS1_22reduce_config_selectorIjEEZNS1_11reduce_implILb1ES3_N6thrust23THRUST_200600_302600_NS17counting_iteratorIjNS8_11hip_rocprim3tagENS8_11use_defaultESC_EEPjjNS8_4plusIjEEEE10hipError_tPvRmT1_T2_T3_mT4_P12ihipStream_tbEUlT_E0_NS1_11comp_targetILNS1_3genE9ELNS1_11target_archE1100ELNS1_3gpuE3ELNS1_3repE0EEENS1_30default_config_static_selectorELNS0_4arch9wavefront6targetE1EEEvSK_,comdat
.Lfunc_end1044:
	.size	_ZN7rocprim17ROCPRIM_400000_NS6detail17trampoline_kernelINS0_14default_configENS1_22reduce_config_selectorIjEEZNS1_11reduce_implILb1ES3_N6thrust23THRUST_200600_302600_NS17counting_iteratorIjNS8_11hip_rocprim3tagENS8_11use_defaultESC_EEPjjNS8_4plusIjEEEE10hipError_tPvRmT1_T2_T3_mT4_P12ihipStream_tbEUlT_E0_NS1_11comp_targetILNS1_3genE9ELNS1_11target_archE1100ELNS1_3gpuE3ELNS1_3repE0EEENS1_30default_config_static_selectorELNS0_4arch9wavefront6targetE1EEEvSK_, .Lfunc_end1044-_ZN7rocprim17ROCPRIM_400000_NS6detail17trampoline_kernelINS0_14default_configENS1_22reduce_config_selectorIjEEZNS1_11reduce_implILb1ES3_N6thrust23THRUST_200600_302600_NS17counting_iteratorIjNS8_11hip_rocprim3tagENS8_11use_defaultESC_EEPjjNS8_4plusIjEEEE10hipError_tPvRmT1_T2_T3_mT4_P12ihipStream_tbEUlT_E0_NS1_11comp_targetILNS1_3genE9ELNS1_11target_archE1100ELNS1_3gpuE3ELNS1_3repE0EEENS1_30default_config_static_selectorELNS0_4arch9wavefront6targetE1EEEvSK_
                                        ; -- End function
	.set _ZN7rocprim17ROCPRIM_400000_NS6detail17trampoline_kernelINS0_14default_configENS1_22reduce_config_selectorIjEEZNS1_11reduce_implILb1ES3_N6thrust23THRUST_200600_302600_NS17counting_iteratorIjNS8_11hip_rocprim3tagENS8_11use_defaultESC_EEPjjNS8_4plusIjEEEE10hipError_tPvRmT1_T2_T3_mT4_P12ihipStream_tbEUlT_E0_NS1_11comp_targetILNS1_3genE9ELNS1_11target_archE1100ELNS1_3gpuE3ELNS1_3repE0EEENS1_30default_config_static_selectorELNS0_4arch9wavefront6targetE1EEEvSK_.num_vgpr, 0
	.set _ZN7rocprim17ROCPRIM_400000_NS6detail17trampoline_kernelINS0_14default_configENS1_22reduce_config_selectorIjEEZNS1_11reduce_implILb1ES3_N6thrust23THRUST_200600_302600_NS17counting_iteratorIjNS8_11hip_rocprim3tagENS8_11use_defaultESC_EEPjjNS8_4plusIjEEEE10hipError_tPvRmT1_T2_T3_mT4_P12ihipStream_tbEUlT_E0_NS1_11comp_targetILNS1_3genE9ELNS1_11target_archE1100ELNS1_3gpuE3ELNS1_3repE0EEENS1_30default_config_static_selectorELNS0_4arch9wavefront6targetE1EEEvSK_.num_agpr, 0
	.set _ZN7rocprim17ROCPRIM_400000_NS6detail17trampoline_kernelINS0_14default_configENS1_22reduce_config_selectorIjEEZNS1_11reduce_implILb1ES3_N6thrust23THRUST_200600_302600_NS17counting_iteratorIjNS8_11hip_rocprim3tagENS8_11use_defaultESC_EEPjjNS8_4plusIjEEEE10hipError_tPvRmT1_T2_T3_mT4_P12ihipStream_tbEUlT_E0_NS1_11comp_targetILNS1_3genE9ELNS1_11target_archE1100ELNS1_3gpuE3ELNS1_3repE0EEENS1_30default_config_static_selectorELNS0_4arch9wavefront6targetE1EEEvSK_.numbered_sgpr, 0
	.set _ZN7rocprim17ROCPRIM_400000_NS6detail17trampoline_kernelINS0_14default_configENS1_22reduce_config_selectorIjEEZNS1_11reduce_implILb1ES3_N6thrust23THRUST_200600_302600_NS17counting_iteratorIjNS8_11hip_rocprim3tagENS8_11use_defaultESC_EEPjjNS8_4plusIjEEEE10hipError_tPvRmT1_T2_T3_mT4_P12ihipStream_tbEUlT_E0_NS1_11comp_targetILNS1_3genE9ELNS1_11target_archE1100ELNS1_3gpuE3ELNS1_3repE0EEENS1_30default_config_static_selectorELNS0_4arch9wavefront6targetE1EEEvSK_.num_named_barrier, 0
	.set _ZN7rocprim17ROCPRIM_400000_NS6detail17trampoline_kernelINS0_14default_configENS1_22reduce_config_selectorIjEEZNS1_11reduce_implILb1ES3_N6thrust23THRUST_200600_302600_NS17counting_iteratorIjNS8_11hip_rocprim3tagENS8_11use_defaultESC_EEPjjNS8_4plusIjEEEE10hipError_tPvRmT1_T2_T3_mT4_P12ihipStream_tbEUlT_E0_NS1_11comp_targetILNS1_3genE9ELNS1_11target_archE1100ELNS1_3gpuE3ELNS1_3repE0EEENS1_30default_config_static_selectorELNS0_4arch9wavefront6targetE1EEEvSK_.private_seg_size, 0
	.set _ZN7rocprim17ROCPRIM_400000_NS6detail17trampoline_kernelINS0_14default_configENS1_22reduce_config_selectorIjEEZNS1_11reduce_implILb1ES3_N6thrust23THRUST_200600_302600_NS17counting_iteratorIjNS8_11hip_rocprim3tagENS8_11use_defaultESC_EEPjjNS8_4plusIjEEEE10hipError_tPvRmT1_T2_T3_mT4_P12ihipStream_tbEUlT_E0_NS1_11comp_targetILNS1_3genE9ELNS1_11target_archE1100ELNS1_3gpuE3ELNS1_3repE0EEENS1_30default_config_static_selectorELNS0_4arch9wavefront6targetE1EEEvSK_.uses_vcc, 0
	.set _ZN7rocprim17ROCPRIM_400000_NS6detail17trampoline_kernelINS0_14default_configENS1_22reduce_config_selectorIjEEZNS1_11reduce_implILb1ES3_N6thrust23THRUST_200600_302600_NS17counting_iteratorIjNS8_11hip_rocprim3tagENS8_11use_defaultESC_EEPjjNS8_4plusIjEEEE10hipError_tPvRmT1_T2_T3_mT4_P12ihipStream_tbEUlT_E0_NS1_11comp_targetILNS1_3genE9ELNS1_11target_archE1100ELNS1_3gpuE3ELNS1_3repE0EEENS1_30default_config_static_selectorELNS0_4arch9wavefront6targetE1EEEvSK_.uses_flat_scratch, 0
	.set _ZN7rocprim17ROCPRIM_400000_NS6detail17trampoline_kernelINS0_14default_configENS1_22reduce_config_selectorIjEEZNS1_11reduce_implILb1ES3_N6thrust23THRUST_200600_302600_NS17counting_iteratorIjNS8_11hip_rocprim3tagENS8_11use_defaultESC_EEPjjNS8_4plusIjEEEE10hipError_tPvRmT1_T2_T3_mT4_P12ihipStream_tbEUlT_E0_NS1_11comp_targetILNS1_3genE9ELNS1_11target_archE1100ELNS1_3gpuE3ELNS1_3repE0EEENS1_30default_config_static_selectorELNS0_4arch9wavefront6targetE1EEEvSK_.has_dyn_sized_stack, 0
	.set _ZN7rocprim17ROCPRIM_400000_NS6detail17trampoline_kernelINS0_14default_configENS1_22reduce_config_selectorIjEEZNS1_11reduce_implILb1ES3_N6thrust23THRUST_200600_302600_NS17counting_iteratorIjNS8_11hip_rocprim3tagENS8_11use_defaultESC_EEPjjNS8_4plusIjEEEE10hipError_tPvRmT1_T2_T3_mT4_P12ihipStream_tbEUlT_E0_NS1_11comp_targetILNS1_3genE9ELNS1_11target_archE1100ELNS1_3gpuE3ELNS1_3repE0EEENS1_30default_config_static_selectorELNS0_4arch9wavefront6targetE1EEEvSK_.has_recursion, 0
	.set _ZN7rocprim17ROCPRIM_400000_NS6detail17trampoline_kernelINS0_14default_configENS1_22reduce_config_selectorIjEEZNS1_11reduce_implILb1ES3_N6thrust23THRUST_200600_302600_NS17counting_iteratorIjNS8_11hip_rocprim3tagENS8_11use_defaultESC_EEPjjNS8_4plusIjEEEE10hipError_tPvRmT1_T2_T3_mT4_P12ihipStream_tbEUlT_E0_NS1_11comp_targetILNS1_3genE9ELNS1_11target_archE1100ELNS1_3gpuE3ELNS1_3repE0EEENS1_30default_config_static_selectorELNS0_4arch9wavefront6targetE1EEEvSK_.has_indirect_call, 0
	.section	.AMDGPU.csdata,"",@progbits
; Kernel info:
; codeLenInByte = 0
; TotalNumSgprs: 6
; NumVgprs: 0
; NumAgprs: 0
; TotalNumVgprs: 0
; ScratchSize: 0
; MemoryBound: 0
; FloatMode: 240
; IeeeMode: 1
; LDSByteSize: 0 bytes/workgroup (compile time only)
; SGPRBlocks: 0
; VGPRBlocks: 0
; NumSGPRsForWavesPerEU: 6
; NumVGPRsForWavesPerEU: 1
; AccumOffset: 4
; Occupancy: 8
; WaveLimiterHint : 0
; COMPUTE_PGM_RSRC2:SCRATCH_EN: 0
; COMPUTE_PGM_RSRC2:USER_SGPR: 2
; COMPUTE_PGM_RSRC2:TRAP_HANDLER: 0
; COMPUTE_PGM_RSRC2:TGID_X_EN: 1
; COMPUTE_PGM_RSRC2:TGID_Y_EN: 0
; COMPUTE_PGM_RSRC2:TGID_Z_EN: 0
; COMPUTE_PGM_RSRC2:TIDIG_COMP_CNT: 0
; COMPUTE_PGM_RSRC3_GFX90A:ACCUM_OFFSET: 0
; COMPUTE_PGM_RSRC3_GFX90A:TG_SPLIT: 0
	.section	.text._ZN7rocprim17ROCPRIM_400000_NS6detail17trampoline_kernelINS0_14default_configENS1_22reduce_config_selectorIjEEZNS1_11reduce_implILb1ES3_N6thrust23THRUST_200600_302600_NS17counting_iteratorIjNS8_11hip_rocprim3tagENS8_11use_defaultESC_EEPjjNS8_4plusIjEEEE10hipError_tPvRmT1_T2_T3_mT4_P12ihipStream_tbEUlT_E0_NS1_11comp_targetILNS1_3genE8ELNS1_11target_archE1030ELNS1_3gpuE2ELNS1_3repE0EEENS1_30default_config_static_selectorELNS0_4arch9wavefront6targetE1EEEvSK_,"axG",@progbits,_ZN7rocprim17ROCPRIM_400000_NS6detail17trampoline_kernelINS0_14default_configENS1_22reduce_config_selectorIjEEZNS1_11reduce_implILb1ES3_N6thrust23THRUST_200600_302600_NS17counting_iteratorIjNS8_11hip_rocprim3tagENS8_11use_defaultESC_EEPjjNS8_4plusIjEEEE10hipError_tPvRmT1_T2_T3_mT4_P12ihipStream_tbEUlT_E0_NS1_11comp_targetILNS1_3genE8ELNS1_11target_archE1030ELNS1_3gpuE2ELNS1_3repE0EEENS1_30default_config_static_selectorELNS0_4arch9wavefront6targetE1EEEvSK_,comdat
	.protected	_ZN7rocprim17ROCPRIM_400000_NS6detail17trampoline_kernelINS0_14default_configENS1_22reduce_config_selectorIjEEZNS1_11reduce_implILb1ES3_N6thrust23THRUST_200600_302600_NS17counting_iteratorIjNS8_11hip_rocprim3tagENS8_11use_defaultESC_EEPjjNS8_4plusIjEEEE10hipError_tPvRmT1_T2_T3_mT4_P12ihipStream_tbEUlT_E0_NS1_11comp_targetILNS1_3genE8ELNS1_11target_archE1030ELNS1_3gpuE2ELNS1_3repE0EEENS1_30default_config_static_selectorELNS0_4arch9wavefront6targetE1EEEvSK_ ; -- Begin function _ZN7rocprim17ROCPRIM_400000_NS6detail17trampoline_kernelINS0_14default_configENS1_22reduce_config_selectorIjEEZNS1_11reduce_implILb1ES3_N6thrust23THRUST_200600_302600_NS17counting_iteratorIjNS8_11hip_rocprim3tagENS8_11use_defaultESC_EEPjjNS8_4plusIjEEEE10hipError_tPvRmT1_T2_T3_mT4_P12ihipStream_tbEUlT_E0_NS1_11comp_targetILNS1_3genE8ELNS1_11target_archE1030ELNS1_3gpuE2ELNS1_3repE0EEENS1_30default_config_static_selectorELNS0_4arch9wavefront6targetE1EEEvSK_
	.globl	_ZN7rocprim17ROCPRIM_400000_NS6detail17trampoline_kernelINS0_14default_configENS1_22reduce_config_selectorIjEEZNS1_11reduce_implILb1ES3_N6thrust23THRUST_200600_302600_NS17counting_iteratorIjNS8_11hip_rocprim3tagENS8_11use_defaultESC_EEPjjNS8_4plusIjEEEE10hipError_tPvRmT1_T2_T3_mT4_P12ihipStream_tbEUlT_E0_NS1_11comp_targetILNS1_3genE8ELNS1_11target_archE1030ELNS1_3gpuE2ELNS1_3repE0EEENS1_30default_config_static_selectorELNS0_4arch9wavefront6targetE1EEEvSK_
	.p2align	8
	.type	_ZN7rocprim17ROCPRIM_400000_NS6detail17trampoline_kernelINS0_14default_configENS1_22reduce_config_selectorIjEEZNS1_11reduce_implILb1ES3_N6thrust23THRUST_200600_302600_NS17counting_iteratorIjNS8_11hip_rocprim3tagENS8_11use_defaultESC_EEPjjNS8_4plusIjEEEE10hipError_tPvRmT1_T2_T3_mT4_P12ihipStream_tbEUlT_E0_NS1_11comp_targetILNS1_3genE8ELNS1_11target_archE1030ELNS1_3gpuE2ELNS1_3repE0EEENS1_30default_config_static_selectorELNS0_4arch9wavefront6targetE1EEEvSK_,@function
_ZN7rocprim17ROCPRIM_400000_NS6detail17trampoline_kernelINS0_14default_configENS1_22reduce_config_selectorIjEEZNS1_11reduce_implILb1ES3_N6thrust23THRUST_200600_302600_NS17counting_iteratorIjNS8_11hip_rocprim3tagENS8_11use_defaultESC_EEPjjNS8_4plusIjEEEE10hipError_tPvRmT1_T2_T3_mT4_P12ihipStream_tbEUlT_E0_NS1_11comp_targetILNS1_3genE8ELNS1_11target_archE1030ELNS1_3gpuE2ELNS1_3repE0EEENS1_30default_config_static_selectorELNS0_4arch9wavefront6targetE1EEEvSK_: ; @_ZN7rocprim17ROCPRIM_400000_NS6detail17trampoline_kernelINS0_14default_configENS1_22reduce_config_selectorIjEEZNS1_11reduce_implILb1ES3_N6thrust23THRUST_200600_302600_NS17counting_iteratorIjNS8_11hip_rocprim3tagENS8_11use_defaultESC_EEPjjNS8_4plusIjEEEE10hipError_tPvRmT1_T2_T3_mT4_P12ihipStream_tbEUlT_E0_NS1_11comp_targetILNS1_3genE8ELNS1_11target_archE1030ELNS1_3gpuE2ELNS1_3repE0EEENS1_30default_config_static_selectorELNS0_4arch9wavefront6targetE1EEEvSK_
; %bb.0:
	.section	.rodata,"a",@progbits
	.p2align	6, 0x0
	.amdhsa_kernel _ZN7rocprim17ROCPRIM_400000_NS6detail17trampoline_kernelINS0_14default_configENS1_22reduce_config_selectorIjEEZNS1_11reduce_implILb1ES3_N6thrust23THRUST_200600_302600_NS17counting_iteratorIjNS8_11hip_rocprim3tagENS8_11use_defaultESC_EEPjjNS8_4plusIjEEEE10hipError_tPvRmT1_T2_T3_mT4_P12ihipStream_tbEUlT_E0_NS1_11comp_targetILNS1_3genE8ELNS1_11target_archE1030ELNS1_3gpuE2ELNS1_3repE0EEENS1_30default_config_static_selectorELNS0_4arch9wavefront6targetE1EEEvSK_
		.amdhsa_group_segment_fixed_size 0
		.amdhsa_private_segment_fixed_size 0
		.amdhsa_kernarg_size 56
		.amdhsa_user_sgpr_count 2
		.amdhsa_user_sgpr_dispatch_ptr 0
		.amdhsa_user_sgpr_queue_ptr 0
		.amdhsa_user_sgpr_kernarg_segment_ptr 1
		.amdhsa_user_sgpr_dispatch_id 0
		.amdhsa_user_sgpr_kernarg_preload_length 0
		.amdhsa_user_sgpr_kernarg_preload_offset 0
		.amdhsa_user_sgpr_private_segment_size 0
		.amdhsa_uses_dynamic_stack 0
		.amdhsa_enable_private_segment 0
		.amdhsa_system_sgpr_workgroup_id_x 1
		.amdhsa_system_sgpr_workgroup_id_y 0
		.amdhsa_system_sgpr_workgroup_id_z 0
		.amdhsa_system_sgpr_workgroup_info 0
		.amdhsa_system_vgpr_workitem_id 0
		.amdhsa_next_free_vgpr 1
		.amdhsa_next_free_sgpr 0
		.amdhsa_accum_offset 4
		.amdhsa_reserve_vcc 0
		.amdhsa_float_round_mode_32 0
		.amdhsa_float_round_mode_16_64 0
		.amdhsa_float_denorm_mode_32 3
		.amdhsa_float_denorm_mode_16_64 3
		.amdhsa_dx10_clamp 1
		.amdhsa_ieee_mode 1
		.amdhsa_fp16_overflow 0
		.amdhsa_tg_split 0
		.amdhsa_exception_fp_ieee_invalid_op 0
		.amdhsa_exception_fp_denorm_src 0
		.amdhsa_exception_fp_ieee_div_zero 0
		.amdhsa_exception_fp_ieee_overflow 0
		.amdhsa_exception_fp_ieee_underflow 0
		.amdhsa_exception_fp_ieee_inexact 0
		.amdhsa_exception_int_div_zero 0
	.end_amdhsa_kernel
	.section	.text._ZN7rocprim17ROCPRIM_400000_NS6detail17trampoline_kernelINS0_14default_configENS1_22reduce_config_selectorIjEEZNS1_11reduce_implILb1ES3_N6thrust23THRUST_200600_302600_NS17counting_iteratorIjNS8_11hip_rocprim3tagENS8_11use_defaultESC_EEPjjNS8_4plusIjEEEE10hipError_tPvRmT1_T2_T3_mT4_P12ihipStream_tbEUlT_E0_NS1_11comp_targetILNS1_3genE8ELNS1_11target_archE1030ELNS1_3gpuE2ELNS1_3repE0EEENS1_30default_config_static_selectorELNS0_4arch9wavefront6targetE1EEEvSK_,"axG",@progbits,_ZN7rocprim17ROCPRIM_400000_NS6detail17trampoline_kernelINS0_14default_configENS1_22reduce_config_selectorIjEEZNS1_11reduce_implILb1ES3_N6thrust23THRUST_200600_302600_NS17counting_iteratorIjNS8_11hip_rocprim3tagENS8_11use_defaultESC_EEPjjNS8_4plusIjEEEE10hipError_tPvRmT1_T2_T3_mT4_P12ihipStream_tbEUlT_E0_NS1_11comp_targetILNS1_3genE8ELNS1_11target_archE1030ELNS1_3gpuE2ELNS1_3repE0EEENS1_30default_config_static_selectorELNS0_4arch9wavefront6targetE1EEEvSK_,comdat
.Lfunc_end1045:
	.size	_ZN7rocprim17ROCPRIM_400000_NS6detail17trampoline_kernelINS0_14default_configENS1_22reduce_config_selectorIjEEZNS1_11reduce_implILb1ES3_N6thrust23THRUST_200600_302600_NS17counting_iteratorIjNS8_11hip_rocprim3tagENS8_11use_defaultESC_EEPjjNS8_4plusIjEEEE10hipError_tPvRmT1_T2_T3_mT4_P12ihipStream_tbEUlT_E0_NS1_11comp_targetILNS1_3genE8ELNS1_11target_archE1030ELNS1_3gpuE2ELNS1_3repE0EEENS1_30default_config_static_selectorELNS0_4arch9wavefront6targetE1EEEvSK_, .Lfunc_end1045-_ZN7rocprim17ROCPRIM_400000_NS6detail17trampoline_kernelINS0_14default_configENS1_22reduce_config_selectorIjEEZNS1_11reduce_implILb1ES3_N6thrust23THRUST_200600_302600_NS17counting_iteratorIjNS8_11hip_rocprim3tagENS8_11use_defaultESC_EEPjjNS8_4plusIjEEEE10hipError_tPvRmT1_T2_T3_mT4_P12ihipStream_tbEUlT_E0_NS1_11comp_targetILNS1_3genE8ELNS1_11target_archE1030ELNS1_3gpuE2ELNS1_3repE0EEENS1_30default_config_static_selectorELNS0_4arch9wavefront6targetE1EEEvSK_
                                        ; -- End function
	.set _ZN7rocprim17ROCPRIM_400000_NS6detail17trampoline_kernelINS0_14default_configENS1_22reduce_config_selectorIjEEZNS1_11reduce_implILb1ES3_N6thrust23THRUST_200600_302600_NS17counting_iteratorIjNS8_11hip_rocprim3tagENS8_11use_defaultESC_EEPjjNS8_4plusIjEEEE10hipError_tPvRmT1_T2_T3_mT4_P12ihipStream_tbEUlT_E0_NS1_11comp_targetILNS1_3genE8ELNS1_11target_archE1030ELNS1_3gpuE2ELNS1_3repE0EEENS1_30default_config_static_selectorELNS0_4arch9wavefront6targetE1EEEvSK_.num_vgpr, 0
	.set _ZN7rocprim17ROCPRIM_400000_NS6detail17trampoline_kernelINS0_14default_configENS1_22reduce_config_selectorIjEEZNS1_11reduce_implILb1ES3_N6thrust23THRUST_200600_302600_NS17counting_iteratorIjNS8_11hip_rocprim3tagENS8_11use_defaultESC_EEPjjNS8_4plusIjEEEE10hipError_tPvRmT1_T2_T3_mT4_P12ihipStream_tbEUlT_E0_NS1_11comp_targetILNS1_3genE8ELNS1_11target_archE1030ELNS1_3gpuE2ELNS1_3repE0EEENS1_30default_config_static_selectorELNS0_4arch9wavefront6targetE1EEEvSK_.num_agpr, 0
	.set _ZN7rocprim17ROCPRIM_400000_NS6detail17trampoline_kernelINS0_14default_configENS1_22reduce_config_selectorIjEEZNS1_11reduce_implILb1ES3_N6thrust23THRUST_200600_302600_NS17counting_iteratorIjNS8_11hip_rocprim3tagENS8_11use_defaultESC_EEPjjNS8_4plusIjEEEE10hipError_tPvRmT1_T2_T3_mT4_P12ihipStream_tbEUlT_E0_NS1_11comp_targetILNS1_3genE8ELNS1_11target_archE1030ELNS1_3gpuE2ELNS1_3repE0EEENS1_30default_config_static_selectorELNS0_4arch9wavefront6targetE1EEEvSK_.numbered_sgpr, 0
	.set _ZN7rocprim17ROCPRIM_400000_NS6detail17trampoline_kernelINS0_14default_configENS1_22reduce_config_selectorIjEEZNS1_11reduce_implILb1ES3_N6thrust23THRUST_200600_302600_NS17counting_iteratorIjNS8_11hip_rocprim3tagENS8_11use_defaultESC_EEPjjNS8_4plusIjEEEE10hipError_tPvRmT1_T2_T3_mT4_P12ihipStream_tbEUlT_E0_NS1_11comp_targetILNS1_3genE8ELNS1_11target_archE1030ELNS1_3gpuE2ELNS1_3repE0EEENS1_30default_config_static_selectorELNS0_4arch9wavefront6targetE1EEEvSK_.num_named_barrier, 0
	.set _ZN7rocprim17ROCPRIM_400000_NS6detail17trampoline_kernelINS0_14default_configENS1_22reduce_config_selectorIjEEZNS1_11reduce_implILb1ES3_N6thrust23THRUST_200600_302600_NS17counting_iteratorIjNS8_11hip_rocprim3tagENS8_11use_defaultESC_EEPjjNS8_4plusIjEEEE10hipError_tPvRmT1_T2_T3_mT4_P12ihipStream_tbEUlT_E0_NS1_11comp_targetILNS1_3genE8ELNS1_11target_archE1030ELNS1_3gpuE2ELNS1_3repE0EEENS1_30default_config_static_selectorELNS0_4arch9wavefront6targetE1EEEvSK_.private_seg_size, 0
	.set _ZN7rocprim17ROCPRIM_400000_NS6detail17trampoline_kernelINS0_14default_configENS1_22reduce_config_selectorIjEEZNS1_11reduce_implILb1ES3_N6thrust23THRUST_200600_302600_NS17counting_iteratorIjNS8_11hip_rocprim3tagENS8_11use_defaultESC_EEPjjNS8_4plusIjEEEE10hipError_tPvRmT1_T2_T3_mT4_P12ihipStream_tbEUlT_E0_NS1_11comp_targetILNS1_3genE8ELNS1_11target_archE1030ELNS1_3gpuE2ELNS1_3repE0EEENS1_30default_config_static_selectorELNS0_4arch9wavefront6targetE1EEEvSK_.uses_vcc, 0
	.set _ZN7rocprim17ROCPRIM_400000_NS6detail17trampoline_kernelINS0_14default_configENS1_22reduce_config_selectorIjEEZNS1_11reduce_implILb1ES3_N6thrust23THRUST_200600_302600_NS17counting_iteratorIjNS8_11hip_rocprim3tagENS8_11use_defaultESC_EEPjjNS8_4plusIjEEEE10hipError_tPvRmT1_T2_T3_mT4_P12ihipStream_tbEUlT_E0_NS1_11comp_targetILNS1_3genE8ELNS1_11target_archE1030ELNS1_3gpuE2ELNS1_3repE0EEENS1_30default_config_static_selectorELNS0_4arch9wavefront6targetE1EEEvSK_.uses_flat_scratch, 0
	.set _ZN7rocprim17ROCPRIM_400000_NS6detail17trampoline_kernelINS0_14default_configENS1_22reduce_config_selectorIjEEZNS1_11reduce_implILb1ES3_N6thrust23THRUST_200600_302600_NS17counting_iteratorIjNS8_11hip_rocprim3tagENS8_11use_defaultESC_EEPjjNS8_4plusIjEEEE10hipError_tPvRmT1_T2_T3_mT4_P12ihipStream_tbEUlT_E0_NS1_11comp_targetILNS1_3genE8ELNS1_11target_archE1030ELNS1_3gpuE2ELNS1_3repE0EEENS1_30default_config_static_selectorELNS0_4arch9wavefront6targetE1EEEvSK_.has_dyn_sized_stack, 0
	.set _ZN7rocprim17ROCPRIM_400000_NS6detail17trampoline_kernelINS0_14default_configENS1_22reduce_config_selectorIjEEZNS1_11reduce_implILb1ES3_N6thrust23THRUST_200600_302600_NS17counting_iteratorIjNS8_11hip_rocprim3tagENS8_11use_defaultESC_EEPjjNS8_4plusIjEEEE10hipError_tPvRmT1_T2_T3_mT4_P12ihipStream_tbEUlT_E0_NS1_11comp_targetILNS1_3genE8ELNS1_11target_archE1030ELNS1_3gpuE2ELNS1_3repE0EEENS1_30default_config_static_selectorELNS0_4arch9wavefront6targetE1EEEvSK_.has_recursion, 0
	.set _ZN7rocprim17ROCPRIM_400000_NS6detail17trampoline_kernelINS0_14default_configENS1_22reduce_config_selectorIjEEZNS1_11reduce_implILb1ES3_N6thrust23THRUST_200600_302600_NS17counting_iteratorIjNS8_11hip_rocprim3tagENS8_11use_defaultESC_EEPjjNS8_4plusIjEEEE10hipError_tPvRmT1_T2_T3_mT4_P12ihipStream_tbEUlT_E0_NS1_11comp_targetILNS1_3genE8ELNS1_11target_archE1030ELNS1_3gpuE2ELNS1_3repE0EEENS1_30default_config_static_selectorELNS0_4arch9wavefront6targetE1EEEvSK_.has_indirect_call, 0
	.section	.AMDGPU.csdata,"",@progbits
; Kernel info:
; codeLenInByte = 0
; TotalNumSgprs: 6
; NumVgprs: 0
; NumAgprs: 0
; TotalNumVgprs: 0
; ScratchSize: 0
; MemoryBound: 0
; FloatMode: 240
; IeeeMode: 1
; LDSByteSize: 0 bytes/workgroup (compile time only)
; SGPRBlocks: 0
; VGPRBlocks: 0
; NumSGPRsForWavesPerEU: 6
; NumVGPRsForWavesPerEU: 1
; AccumOffset: 4
; Occupancy: 8
; WaveLimiterHint : 0
; COMPUTE_PGM_RSRC2:SCRATCH_EN: 0
; COMPUTE_PGM_RSRC2:USER_SGPR: 2
; COMPUTE_PGM_RSRC2:TRAP_HANDLER: 0
; COMPUTE_PGM_RSRC2:TGID_X_EN: 1
; COMPUTE_PGM_RSRC2:TGID_Y_EN: 0
; COMPUTE_PGM_RSRC2:TGID_Z_EN: 0
; COMPUTE_PGM_RSRC2:TIDIG_COMP_CNT: 0
; COMPUTE_PGM_RSRC3_GFX90A:ACCUM_OFFSET: 0
; COMPUTE_PGM_RSRC3_GFX90A:TG_SPLIT: 0
	.section	.text._ZN7rocprim17ROCPRIM_400000_NS6detail17trampoline_kernelINS0_14default_configENS1_22reduce_config_selectorIjEEZNS1_11reduce_implILb1ES3_N6thrust23THRUST_200600_302600_NS17counting_iteratorIjNS8_11hip_rocprim3tagENS8_11use_defaultESC_EEPjjNS8_4plusIjEEEE10hipError_tPvRmT1_T2_T3_mT4_P12ihipStream_tbEUlT_E1_NS1_11comp_targetILNS1_3genE0ELNS1_11target_archE4294967295ELNS1_3gpuE0ELNS1_3repE0EEENS1_30default_config_static_selectorELNS0_4arch9wavefront6targetE1EEEvSK_,"axG",@progbits,_ZN7rocprim17ROCPRIM_400000_NS6detail17trampoline_kernelINS0_14default_configENS1_22reduce_config_selectorIjEEZNS1_11reduce_implILb1ES3_N6thrust23THRUST_200600_302600_NS17counting_iteratorIjNS8_11hip_rocprim3tagENS8_11use_defaultESC_EEPjjNS8_4plusIjEEEE10hipError_tPvRmT1_T2_T3_mT4_P12ihipStream_tbEUlT_E1_NS1_11comp_targetILNS1_3genE0ELNS1_11target_archE4294967295ELNS1_3gpuE0ELNS1_3repE0EEENS1_30default_config_static_selectorELNS0_4arch9wavefront6targetE1EEEvSK_,comdat
	.protected	_ZN7rocprim17ROCPRIM_400000_NS6detail17trampoline_kernelINS0_14default_configENS1_22reduce_config_selectorIjEEZNS1_11reduce_implILb1ES3_N6thrust23THRUST_200600_302600_NS17counting_iteratorIjNS8_11hip_rocprim3tagENS8_11use_defaultESC_EEPjjNS8_4plusIjEEEE10hipError_tPvRmT1_T2_T3_mT4_P12ihipStream_tbEUlT_E1_NS1_11comp_targetILNS1_3genE0ELNS1_11target_archE4294967295ELNS1_3gpuE0ELNS1_3repE0EEENS1_30default_config_static_selectorELNS0_4arch9wavefront6targetE1EEEvSK_ ; -- Begin function _ZN7rocprim17ROCPRIM_400000_NS6detail17trampoline_kernelINS0_14default_configENS1_22reduce_config_selectorIjEEZNS1_11reduce_implILb1ES3_N6thrust23THRUST_200600_302600_NS17counting_iteratorIjNS8_11hip_rocprim3tagENS8_11use_defaultESC_EEPjjNS8_4plusIjEEEE10hipError_tPvRmT1_T2_T3_mT4_P12ihipStream_tbEUlT_E1_NS1_11comp_targetILNS1_3genE0ELNS1_11target_archE4294967295ELNS1_3gpuE0ELNS1_3repE0EEENS1_30default_config_static_selectorELNS0_4arch9wavefront6targetE1EEEvSK_
	.globl	_ZN7rocprim17ROCPRIM_400000_NS6detail17trampoline_kernelINS0_14default_configENS1_22reduce_config_selectorIjEEZNS1_11reduce_implILb1ES3_N6thrust23THRUST_200600_302600_NS17counting_iteratorIjNS8_11hip_rocprim3tagENS8_11use_defaultESC_EEPjjNS8_4plusIjEEEE10hipError_tPvRmT1_T2_T3_mT4_P12ihipStream_tbEUlT_E1_NS1_11comp_targetILNS1_3genE0ELNS1_11target_archE4294967295ELNS1_3gpuE0ELNS1_3repE0EEENS1_30default_config_static_selectorELNS0_4arch9wavefront6targetE1EEEvSK_
	.p2align	8
	.type	_ZN7rocprim17ROCPRIM_400000_NS6detail17trampoline_kernelINS0_14default_configENS1_22reduce_config_selectorIjEEZNS1_11reduce_implILb1ES3_N6thrust23THRUST_200600_302600_NS17counting_iteratorIjNS8_11hip_rocprim3tagENS8_11use_defaultESC_EEPjjNS8_4plusIjEEEE10hipError_tPvRmT1_T2_T3_mT4_P12ihipStream_tbEUlT_E1_NS1_11comp_targetILNS1_3genE0ELNS1_11target_archE4294967295ELNS1_3gpuE0ELNS1_3repE0EEENS1_30default_config_static_selectorELNS0_4arch9wavefront6targetE1EEEvSK_,@function
_ZN7rocprim17ROCPRIM_400000_NS6detail17trampoline_kernelINS0_14default_configENS1_22reduce_config_selectorIjEEZNS1_11reduce_implILb1ES3_N6thrust23THRUST_200600_302600_NS17counting_iteratorIjNS8_11hip_rocprim3tagENS8_11use_defaultESC_EEPjjNS8_4plusIjEEEE10hipError_tPvRmT1_T2_T3_mT4_P12ihipStream_tbEUlT_E1_NS1_11comp_targetILNS1_3genE0ELNS1_11target_archE4294967295ELNS1_3gpuE0ELNS1_3repE0EEENS1_30default_config_static_selectorELNS0_4arch9wavefront6targetE1EEEvSK_: ; @_ZN7rocprim17ROCPRIM_400000_NS6detail17trampoline_kernelINS0_14default_configENS1_22reduce_config_selectorIjEEZNS1_11reduce_implILb1ES3_N6thrust23THRUST_200600_302600_NS17counting_iteratorIjNS8_11hip_rocprim3tagENS8_11use_defaultESC_EEPjjNS8_4plusIjEEEE10hipError_tPvRmT1_T2_T3_mT4_P12ihipStream_tbEUlT_E1_NS1_11comp_targetILNS1_3genE0ELNS1_11target_archE4294967295ELNS1_3gpuE0ELNS1_3repE0EEENS1_30default_config_static_selectorELNS0_4arch9wavefront6targetE1EEEvSK_
; %bb.0:
	s_load_dwordx2 s[10:11], s[0:1], 0x4
	s_load_dwordx4 s[12:15], s[0:1], 0x10
	s_waitcnt lgkmcnt(0)
	s_cmp_lt_i32 s10, 8
	s_cbranch_scc1 .LBB1046_11
; %bb.1:
	s_cmp_gt_i32 s10, 15
	s_cbranch_scc0 .LBB1046_12
; %bb.2:
	s_cmp_gt_i32 s10, 31
	s_cbranch_scc0 .LBB1046_13
; %bb.3:
	s_cmp_eq_u32 s10, 32
	s_mov_b64 s[16:17], 0
	s_cbranch_scc0 .LBB1046_14
; %bb.4:
	s_lshl_b32 s6, s2, 13
	s_mov_b32 s3, 0
	s_lshr_b64 s[4:5], s[12:13], 13
	s_add_i32 s18, s11, s6
	s_cmp_lg_u64 s[4:5], s[2:3]
	v_add_u32_e32 v2, s18, v0
	s_cbranch_scc0 .LBB1046_23
; %bb.5:
	v_mov_b32_e32 v1, 0x1f000
	v_lshl_add_u32 v1, v2, 5, v1
	v_mbcnt_lo_u32_b32 v3, -1, 0
	v_mbcnt_hi_u32_b32 v3, -1, v3
	v_add_u32_dpp v1, v1, v1 quad_perm:[1,0,3,2] row_mask:0xf bank_mask:0xf bound_ctrl:1
	v_lshlrev_b32_e32 v4, 2, v3
	v_or_b32_e32 v5, 0xfc, v4
	v_add_u32_dpp v1, v1, v1 quad_perm:[2,3,0,1] row_mask:0xf bank_mask:0xf bound_ctrl:1
	v_cmp_eq_u32_e32 vcc, 0, v3
	s_nop 0
	v_add_u32_dpp v1, v1, v1 row_ror:4 row_mask:0xf bank_mask:0xf bound_ctrl:1
	s_nop 1
	v_add_u32_dpp v1, v1, v1 row_ror:8 row_mask:0xf bank_mask:0xf bound_ctrl:1
	s_nop 1
	v_add_u32_dpp v1, v1, v1 row_bcast:15 row_mask:0xf bank_mask:0xf bound_ctrl:1
	s_nop 1
	v_add_u32_dpp v1, v1, v1 row_bcast:31 row_mask:0xf bank_mask:0xf bound_ctrl:1
	ds_bpermute_b32 v1, v5, v1
	s_and_saveexec_b64 s[4:5], vcc
	s_cbranch_execz .LBB1046_7
; %bb.6:
	v_lshrrev_b32_e32 v5, 4, v0
	v_and_b32_e32 v5, 12, v5
	s_waitcnt lgkmcnt(0)
	ds_write_b32 v5, v1 offset:48
.LBB1046_7:
	s_or_b64 exec, exec, s[4:5]
	v_cmp_gt_u32_e32 vcc, 64, v0
	s_waitcnt lgkmcnt(0)
	s_barrier
	s_and_saveexec_b64 s[4:5], vcc
	s_cbranch_execz .LBB1046_9
; %bb.8:
	v_and_b32_e32 v1, 3, v3
	v_lshlrev_b32_e32 v5, 2, v1
	ds_read_b32 v5, v5 offset:48
	v_cmp_ne_u32_e32 vcc, 3, v1
	s_nop 1
	v_addc_co_u32_e32 v1, vcc, 0, v3, vcc
	v_lshlrev_b32_e32 v1, 2, v1
	s_waitcnt lgkmcnt(0)
	ds_bpermute_b32 v1, v1, v5
	v_or_b32_e32 v3, 8, v4
	s_waitcnt lgkmcnt(0)
	v_add_u32_e32 v1, v1, v5
	ds_bpermute_b32 v3, v3, v1
	s_waitcnt lgkmcnt(0)
	v_add_u32_e32 v1, v3, v1
.LBB1046_9:
	s_or_b64 exec, exec, s[4:5]
.LBB1046_10:
	v_cmp_eq_u32_e64 s[4:5], 0, v0
	s_and_b64 vcc, exec, s[16:17]
	s_cbranch_vccnz .LBB1046_15
	s_branch .LBB1046_29
.LBB1046_11:
	s_mov_b64 s[4:5], 0
                                        ; implicit-def: $vgpr1
	s_cbranch_execnz .LBB1046_54
	s_branch .LBB1046_100
.LBB1046_12:
	s_mov_b64 s[4:5], 0
                                        ; implicit-def: $vgpr1
	s_cbranch_execnz .LBB1046_38
	s_branch .LBB1046_46
.LBB1046_13:
	s_mov_b64 s[16:17], -1
.LBB1046_14:
	s_mov_b64 s[4:5], 0
                                        ; implicit-def: $vgpr1
	s_and_b64 vcc, exec, s[16:17]
	s_cbranch_vccz .LBB1046_29
.LBB1046_15:
	s_cmp_eq_u32 s10, 16
	s_cbranch_scc0 .LBB1046_22
; %bb.16:
	s_mov_b32 s3, 0
	s_lshl_b32 s6, s2, 12
	s_lshr_b64 s[4:5], s[12:13], 12
	s_cmp_lg_u64 s[4:5], s[2:3]
	s_cbranch_scc0 .LBB1046_30
; %bb.17:
	v_or_b32_e32 v1, s6, v0
	v_add_u32_e32 v1, s11, v1
	v_mov_b32_e32 v2, 0x7800
	v_lshl_add_u32 v1, v1, 4, v2
	v_mbcnt_lo_u32_b32 v2, -1, 0
	v_mbcnt_hi_u32_b32 v2, -1, v2
	v_add_u32_dpp v1, v1, v1 quad_perm:[1,0,3,2] row_mask:0xf bank_mask:0xf bound_ctrl:1
	v_lshlrev_b32_e32 v3, 2, v2
	v_or_b32_e32 v4, 0xfc, v3
	v_add_u32_dpp v1, v1, v1 quad_perm:[2,3,0,1] row_mask:0xf bank_mask:0xf bound_ctrl:1
	v_cmp_eq_u32_e32 vcc, 0, v2
	s_nop 0
	v_add_u32_dpp v1, v1, v1 row_ror:4 row_mask:0xf bank_mask:0xf bound_ctrl:1
	s_nop 1
	v_add_u32_dpp v1, v1, v1 row_ror:8 row_mask:0xf bank_mask:0xf bound_ctrl:1
	s_nop 1
	v_add_u32_dpp v1, v1, v1 row_bcast:15 row_mask:0xf bank_mask:0xf bound_ctrl:1
	s_nop 1
	v_add_u32_dpp v1, v1, v1 row_bcast:31 row_mask:0xf bank_mask:0xf bound_ctrl:1
	ds_bpermute_b32 v1, v4, v1
	s_and_saveexec_b64 s[4:5], vcc
	s_cbranch_execz .LBB1046_19
; %bb.18:
	v_lshrrev_b32_e32 v4, 4, v0
	v_and_b32_e32 v4, 12, v4
	s_waitcnt lgkmcnt(0)
	ds_write_b32 v4, v1
.LBB1046_19:
	s_or_b64 exec, exec, s[4:5]
	v_cmp_gt_u32_e32 vcc, 64, v0
	s_waitcnt lgkmcnt(0)
	s_barrier
	s_and_saveexec_b64 s[4:5], vcc
	s_cbranch_execz .LBB1046_21
; %bb.20:
	v_and_b32_e32 v1, 3, v2
	v_lshlrev_b32_e32 v4, 2, v1
	ds_read_b32 v4, v4
	v_cmp_ne_u32_e32 vcc, 3, v1
	s_nop 1
	v_addc_co_u32_e32 v1, vcc, 0, v2, vcc
	v_lshlrev_b32_e32 v1, 2, v1
	s_waitcnt lgkmcnt(0)
	ds_bpermute_b32 v1, v1, v4
	v_or_b32_e32 v2, 8, v3
	s_waitcnt lgkmcnt(0)
	v_add_u32_e32 v1, v1, v4
	ds_bpermute_b32 v2, v2, v1
	s_waitcnt lgkmcnt(0)
	v_add_u32_e32 v1, v2, v1
.LBB1046_21:
	s_or_b64 exec, exec, s[4:5]
	s_mov_b64 s[4:5], 0
	s_branch .LBB1046_31
.LBB1046_22:
                                        ; implicit-def: $vgpr1
	s_branch .LBB1046_46
.LBB1046_23:
                                        ; implicit-def: $vgpr1
	s_cbranch_execz .LBB1046_10
; %bb.24:
	s_sub_i32 s19, s12, s6
	v_cmp_gt_u32_e32 vcc, s19, v0
	v_or_b32_e32 v8, 0x600, v0
	v_add_u32_e32 v9, s18, v8
	v_cndmask_b32_e32 v1, 0, v2, vcc
	v_or_b32_e32 v2, 0x100, v0
	v_add_u32_e32 v3, s18, v2
	v_cmp_gt_u32_e32 vcc, s19, v2
	v_or_b32_e32 v2, 0x200, v0
	v_add_u32_e32 v4, s18, v2
	v_cmp_gt_u32_e64 s[4:5], s19, v2
	v_or_b32_e32 v2, 0x300, v0
	v_add_u32_e32 v5, s18, v2
	v_cmp_gt_u32_e64 s[6:7], s19, v2
	;; [unrolled: 3-line block ×3, first 2 shown]
	v_or_b32_e32 v2, 0x500, v0
	v_add_u32_e32 v7, s18, v2
	v_cndmask_b32_e32 v3, 0, v3, vcc
	v_cmp_gt_u32_e32 vcc, s19, v2
	v_or_b32_e32 v10, 0x700, v0
	v_add_u32_e32 v11, s18, v10
	v_cndmask_b32_e32 v2, 0, v7, vcc
	v_cmp_gt_u32_e32 vcc, s19, v8
	;; [unrolled: 4-line block ×26, first 2 shown]
	v_cndmask_b32_e64 v4, 0, v4, s[4:5]
	v_cndmask_b32_e64 v5, 0, v5, s[6:7]
	v_cndmask_b32_e32 v31, 0, v57, vcc
	v_cmp_gt_u32_e32 vcc, s19, v58
	v_add_u32_e32 v30, v31, v30
	v_cndmask_b32_e64 v6, 0, v6, s[8:9]
	v_cndmask_b32_e32 v32, 0, v59, vcc
	v_add3_u32 v27, v30, v32, v27
	v_add3_u32 v27, v27, v28, v29
	;; [unrolled: 1-line block ×10, first 2 shown]
	v_mbcnt_lo_u32_b32 v2, -1, 0
	v_add3_u32 v1, v1, v11, v12
	v_mbcnt_hi_u32_b32 v2, -1, v2
	v_add3_u32 v1, v1, v13, v14
	v_and_b32_e32 v4, 63, v2
	v_add3_u32 v1, v1, v15, v16
	v_cmp_ne_u32_e32 vcc, 63, v4
	v_add3_u32 v1, v1, v17, v18
	v_add3_u32 v1, v1, v19, v20
	v_addc_co_u32_e32 v3, vcc, 0, v2, vcc
	v_lshlrev_b32_e32 v3, 2, v3
	ds_bpermute_b32 v3, v3, v1
	s_min_u32 s6, s19, 0x100
	v_and_b32_e32 v5, 0xc0, v0
	v_sub_u32_e64 v5, s6, v5 clamp
	v_add_u32_e32 v6, 1, v4
	v_cmp_lt_u32_e32 vcc, v6, v5
	v_add_u32_e32 v6, 2, v4
	s_waitcnt lgkmcnt(0)
	v_cndmask_b32_e32 v3, 0, v3, vcc
	v_cmp_gt_u32_e32 vcc, 62, v4
	v_add_u32_e32 v1, v3, v1
	s_nop 0
	v_cndmask_b32_e64 v3, 0, 2, vcc
	v_add_lshl_u32 v3, v3, v2, 2
	ds_bpermute_b32 v3, v3, v1
	v_cmp_lt_u32_e32 vcc, v6, v5
	v_add_u32_e32 v6, 4, v4
	s_waitcnt lgkmcnt(0)
	v_cndmask_b32_e32 v3, 0, v3, vcc
	v_cmp_gt_u32_e32 vcc, 60, v4
	v_add_u32_e32 v1, v1, v3
	s_nop 0
	v_cndmask_b32_e64 v3, 0, 4, vcc
	v_add_lshl_u32 v3, v3, v2, 2
	ds_bpermute_b32 v3, v3, v1
	;; [unrolled: 10-line block ×3, first 2 shown]
	v_cmp_lt_u32_e32 vcc, v6, v5
	v_add_u32_e32 v6, 16, v4
	s_waitcnt lgkmcnt(0)
	v_cndmask_b32_e32 v3, 0, v3, vcc
	v_cmp_gt_u32_e32 vcc, 48, v4
	v_add_u32_e32 v1, v1, v3
	v_add_u32_e32 v4, 32, v4
	v_cndmask_b32_e64 v3, 0, 16, vcc
	v_add_lshl_u32 v3, v3, v2, 2
	ds_bpermute_b32 v3, v3, v1
	v_cmp_lt_u32_e32 vcc, v6, v5
	s_waitcnt lgkmcnt(0)
	s_nop 0
	v_cndmask_b32_e32 v3, 0, v3, vcc
	v_add_u32_e32 v1, v1, v3
	v_lshlrev_b32_e32 v3, 2, v2
	v_or_b32_e32 v6, 0x80, v3
	ds_bpermute_b32 v6, v6, v1
	v_cmp_lt_u32_e32 vcc, v4, v5
	s_waitcnt lgkmcnt(0)
	s_nop 0
	v_cndmask_b32_e32 v4, 0, v6, vcc
	v_add_u32_e32 v1, v1, v4
	v_cmp_eq_u32_e32 vcc, 0, v2
	s_and_saveexec_b64 s[4:5], vcc
; %bb.25:
	v_lshrrev_b32_e32 v4, 4, v0
	v_and_b32_e32 v4, 12, v4
	ds_write_b32 v4, v1 offset:96
; %bb.26:
	s_or_b64 exec, exec, s[4:5]
	v_cmp_gt_u32_e32 vcc, 4, v0
	s_waitcnt lgkmcnt(0)
	s_barrier
	s_and_saveexec_b64 s[4:5], vcc
	s_cbranch_execz .LBB1046_28
; %bb.27:
	ds_read_b32 v1, v3 offset:96
	v_and_b32_e32 v4, 3, v2
	v_cmp_ne_u32_e32 vcc, 3, v4
	s_add_i32 s6, s6, 63
	s_lshr_b32 s6, s6, 6
	v_addc_co_u32_e32 v2, vcc, 0, v2, vcc
	v_lshlrev_b32_e32 v2, 2, v2
	s_waitcnt lgkmcnt(0)
	ds_bpermute_b32 v2, v2, v1
	v_add_u32_e32 v5, 1, v4
	v_cmp_gt_u32_e32 vcc, s6, v5
	s_waitcnt lgkmcnt(0)
	s_nop 0
	v_cndmask_b32_e32 v2, 0, v2, vcc
	v_add_u32_e32 v1, v2, v1
	v_or_b32_e32 v2, 8, v3
	ds_bpermute_b32 v2, v2, v1
	v_add_u32_e32 v3, 2, v4
	v_cmp_gt_u32_e32 vcc, s6, v3
	s_waitcnt lgkmcnt(0)
	s_nop 0
	v_cndmask_b32_e32 v2, 0, v2, vcc
	v_add_u32_e32 v1, v1, v2
.LBB1046_28:
	s_or_b64 exec, exec, s[4:5]
	v_cmp_eq_u32_e64 s[4:5], 0, v0
	s_and_b64 vcc, exec, s[16:17]
	s_cbranch_vccnz .LBB1046_15
.LBB1046_29:
	s_branch .LBB1046_46
.LBB1046_30:
	s_mov_b64 s[4:5], -1
                                        ; implicit-def: $vgpr1
.LBB1046_31:
	s_and_b64 vcc, exec, s[4:5]
	s_cbranch_vccz .LBB1046_37
; %bb.32:
	s_sub_i32 s4, s12, s6
	s_add_i32 s5, s11, s6
	v_add_u32_e32 v1, s5, v0
	v_cmp_gt_u32_e32 vcc, s4, v0
	v_or_b32_e32 v2, 0x100, v0
	v_add_u32_e32 v3, s5, v2
	v_cndmask_b32_e32 v1, 0, v1, vcc
	v_or_b32_e32 v4, 0x200, v0
	v_cmp_gt_u32_e32 vcc, s4, v2
	v_add_u32_e32 v5, s5, v4
	v_or_b32_e32 v6, 0x300, v0
	v_cndmask_b32_e32 v2, 0, v3, vcc
	v_cmp_gt_u32_e32 vcc, s4, v4
	v_add_u32_e32 v7, s5, v6
	v_or_b32_e32 v8, 0x400, v0
	v_cndmask_b32_e32 v3, 0, v5, vcc
	;; [unrolled: 4-line block ×13, first 2 shown]
	v_cmp_gt_u32_e32 vcc, s4, v28
	v_add_u32_e32 v31, s5, v30
	s_min_u32 s6, s4, 0x100
	v_cndmask_b32_e32 v15, 0, v29, vcc
	v_cmp_gt_u32_e32 vcc, s4, v30
	s_nop 1
	v_cndmask_b32_e32 v16, 0, v31, vcc
	v_add_u32_e32 v15, v16, v15
	v_add3_u32 v13, v15, v13, v14
	v_add3_u32 v11, v13, v11, v12
	;; [unrolled: 1-line block ×5, first 2 shown]
	v_mbcnt_lo_u32_b32 v2, -1, 0
	v_mbcnt_hi_u32_b32 v2, -1, v2
	v_add3_u32 v1, v1, v3, v4
	v_and_b32_e32 v4, 63, v2
	v_cmp_ne_u32_e32 vcc, 63, v4
	v_add3_u32 v1, v1, v5, v6
	v_and_b32_e32 v5, 0xc0, v0
	v_addc_co_u32_e32 v3, vcc, 0, v2, vcc
	v_lshlrev_b32_e32 v3, 2, v3
	ds_bpermute_b32 v3, v3, v1
	v_sub_u32_e64 v5, s6, v5 clamp
	v_add_u32_e32 v6, 1, v4
	v_cmp_lt_u32_e32 vcc, v6, v5
	v_add_u32_e32 v6, 2, v4
	s_waitcnt lgkmcnt(0)
	v_cndmask_b32_e32 v3, 0, v3, vcc
	v_cmp_gt_u32_e32 vcc, 62, v4
	v_add_u32_e32 v1, v3, v1
	s_nop 0
	v_cndmask_b32_e64 v3, 0, 2, vcc
	v_add_lshl_u32 v3, v3, v2, 2
	ds_bpermute_b32 v3, v3, v1
	v_cmp_lt_u32_e32 vcc, v6, v5
	v_add_u32_e32 v6, 4, v4
	s_waitcnt lgkmcnt(0)
	v_cndmask_b32_e32 v3, 0, v3, vcc
	v_cmp_gt_u32_e32 vcc, 60, v4
	v_add_u32_e32 v1, v1, v3
	s_nop 0
	v_cndmask_b32_e64 v3, 0, 4, vcc
	v_add_lshl_u32 v3, v3, v2, 2
	ds_bpermute_b32 v3, v3, v1
	;; [unrolled: 10-line block ×3, first 2 shown]
	v_cmp_lt_u32_e32 vcc, v6, v5
	v_add_u32_e32 v6, 16, v4
	s_waitcnt lgkmcnt(0)
	v_cndmask_b32_e32 v3, 0, v3, vcc
	v_cmp_gt_u32_e32 vcc, 48, v4
	v_add_u32_e32 v1, v1, v3
	v_add_u32_e32 v4, 32, v4
	v_cndmask_b32_e64 v3, 0, 16, vcc
	v_add_lshl_u32 v3, v3, v2, 2
	ds_bpermute_b32 v3, v3, v1
	v_cmp_lt_u32_e32 vcc, v6, v5
	s_waitcnt lgkmcnt(0)
	s_nop 0
	v_cndmask_b32_e32 v3, 0, v3, vcc
	v_add_u32_e32 v1, v1, v3
	v_lshlrev_b32_e32 v3, 2, v2
	v_or_b32_e32 v6, 0x80, v3
	ds_bpermute_b32 v6, v6, v1
	v_cmp_lt_u32_e32 vcc, v4, v5
	s_waitcnt lgkmcnt(0)
	s_nop 0
	v_cndmask_b32_e32 v4, 0, v6, vcc
	v_add_u32_e32 v1, v1, v4
	v_cmp_eq_u32_e32 vcc, 0, v2
	s_and_saveexec_b64 s[4:5], vcc
; %bb.33:
	v_lshrrev_b32_e32 v4, 4, v0
	v_and_b32_e32 v4, 12, v4
	ds_write_b32 v4, v1 offset:96
; %bb.34:
	s_or_b64 exec, exec, s[4:5]
	v_cmp_gt_u32_e32 vcc, 4, v0
	s_waitcnt lgkmcnt(0)
	s_barrier
	s_and_saveexec_b64 s[4:5], vcc
	s_cbranch_execz .LBB1046_36
; %bb.35:
	ds_read_b32 v1, v3 offset:96
	v_and_b32_e32 v4, 3, v2
	v_cmp_ne_u32_e32 vcc, 3, v4
	s_add_i32 s6, s6, 63
	s_lshr_b32 s6, s6, 6
	v_addc_co_u32_e32 v2, vcc, 0, v2, vcc
	v_lshlrev_b32_e32 v2, 2, v2
	s_waitcnt lgkmcnt(0)
	ds_bpermute_b32 v2, v2, v1
	v_add_u32_e32 v5, 1, v4
	v_cmp_gt_u32_e32 vcc, s6, v5
	s_waitcnt lgkmcnt(0)
	s_nop 0
	v_cndmask_b32_e32 v2, 0, v2, vcc
	v_add_u32_e32 v1, v2, v1
	v_or_b32_e32 v2, 8, v3
	ds_bpermute_b32 v2, v2, v1
	v_add_u32_e32 v3, 2, v4
	v_cmp_gt_u32_e32 vcc, s6, v3
	s_waitcnt lgkmcnt(0)
	s_nop 0
	v_cndmask_b32_e32 v2, 0, v2, vcc
	v_add_u32_e32 v1, v1, v2
.LBB1046_36:
	s_or_b64 exec, exec, s[4:5]
.LBB1046_37:
	v_cmp_eq_u32_e64 s[4:5], 0, v0
	s_branch .LBB1046_46
.LBB1046_38:
	s_cmp_eq_u32 s10, 8
	s_cbranch_scc0 .LBB1046_45
; %bb.39:
	s_mov_b32 s3, 0
	s_lshl_b32 s6, s2, 11
	s_lshr_b64 s[4:5], s[12:13], 11
	s_cmp_lg_u64 s[4:5], s[2:3]
	s_cbranch_scc0 .LBB1046_47
; %bb.40:
	v_or_b32_e32 v1, s6, v0
	v_add_u32_e32 v1, s11, v1
	v_mov_b32_e32 v2, 0x1c00
	v_lshl_add_u32 v1, v1, 3, v2
	v_mbcnt_lo_u32_b32 v2, -1, 0
	v_mbcnt_hi_u32_b32 v2, -1, v2
	v_add_u32_dpp v1, v1, v1 quad_perm:[1,0,3,2] row_mask:0xf bank_mask:0xf bound_ctrl:1
	v_lshlrev_b32_e32 v3, 2, v2
	v_or_b32_e32 v4, 0xfc, v3
	v_add_u32_dpp v1, v1, v1 quad_perm:[2,3,0,1] row_mask:0xf bank_mask:0xf bound_ctrl:1
	v_cmp_eq_u32_e32 vcc, 0, v2
	s_nop 0
	v_add_u32_dpp v1, v1, v1 row_ror:4 row_mask:0xf bank_mask:0xf bound_ctrl:1
	s_nop 1
	v_add_u32_dpp v1, v1, v1 row_ror:8 row_mask:0xf bank_mask:0xf bound_ctrl:1
	s_nop 1
	v_add_u32_dpp v1, v1, v1 row_bcast:15 row_mask:0xf bank_mask:0xf bound_ctrl:1
	s_nop 1
	v_add_u32_dpp v1, v1, v1 row_bcast:31 row_mask:0xf bank_mask:0xf bound_ctrl:1
	ds_bpermute_b32 v1, v4, v1
	s_and_saveexec_b64 s[4:5], vcc
	s_cbranch_execz .LBB1046_42
; %bb.41:
	v_lshrrev_b32_e32 v4, 4, v0
	v_and_b32_e32 v4, 12, v4
	s_waitcnt lgkmcnt(0)
	ds_write_b32 v4, v1 offset:80
.LBB1046_42:
	s_or_b64 exec, exec, s[4:5]
	v_cmp_gt_u32_e32 vcc, 64, v0
	s_waitcnt lgkmcnt(0)
	s_barrier
	s_and_saveexec_b64 s[4:5], vcc
	s_cbranch_execz .LBB1046_44
; %bb.43:
	v_and_b32_e32 v1, 3, v2
	v_lshlrev_b32_e32 v4, 2, v1
	ds_read_b32 v4, v4 offset:80
	v_cmp_ne_u32_e32 vcc, 3, v1
	s_nop 1
	v_addc_co_u32_e32 v1, vcc, 0, v2, vcc
	v_lshlrev_b32_e32 v1, 2, v1
	s_waitcnt lgkmcnt(0)
	ds_bpermute_b32 v1, v1, v4
	v_or_b32_e32 v2, 8, v3
	s_waitcnt lgkmcnt(0)
	v_add_u32_e32 v1, v1, v4
	ds_bpermute_b32 v2, v2, v1
	s_waitcnt lgkmcnt(0)
	v_add_u32_e32 v1, v2, v1
.LBB1046_44:
	s_or_b64 exec, exec, s[4:5]
	s_branch .LBB1046_53
.LBB1046_45:
                                        ; implicit-def: $vgpr1
.LBB1046_46:
	s_branch .LBB1046_100
.LBB1046_47:
                                        ; implicit-def: $vgpr1
	s_cbranch_execz .LBB1046_53
; %bb.48:
	s_sub_i32 s4, s12, s6
	s_add_i32 s5, s11, s6
	v_add_u32_e32 v1, s5, v0
	v_or_b32_e32 v2, 0x100, v0
	v_cmp_gt_u32_e32 vcc, s4, v0
	v_add_u32_e32 v3, s5, v2
	v_or_b32_e32 v4, 0x200, v0
	v_cndmask_b32_e32 v1, 0, v1, vcc
	v_cmp_gt_u32_e32 vcc, s4, v2
	v_add_u32_e32 v5, s5, v4
	v_or_b32_e32 v6, 0x300, v0
	v_cndmask_b32_e32 v2, 0, v3, vcc
	;; [unrolled: 4-line block ×6, first 2 shown]
	v_cmp_gt_u32_e32 vcc, s4, v12
	v_add_u32_e32 v15, s5, v14
	s_min_u32 s6, s4, 0x100
	v_cndmask_b32_e32 v7, 0, v13, vcc
	v_cmp_gt_u32_e32 vcc, s4, v14
	s_nop 1
	v_cndmask_b32_e32 v8, 0, v15, vcc
	v_add_u32_e32 v7, v8, v7
	v_add3_u32 v5, v7, v5, v6
	v_add3_u32 v3, v5, v3, v4
	;; [unrolled: 1-line block ×3, first 2 shown]
	v_mbcnt_lo_u32_b32 v2, -1, 0
	v_mbcnt_hi_u32_b32 v2, -1, v2
	v_and_b32_e32 v4, 63, v2
	v_cmp_ne_u32_e32 vcc, 63, v4
	v_and_b32_e32 v5, 0xc0, v0
	v_sub_u32_e64 v5, s6, v5 clamp
	v_addc_co_u32_e32 v3, vcc, 0, v2, vcc
	v_lshlrev_b32_e32 v3, 2, v3
	ds_bpermute_b32 v3, v3, v1
	v_add_u32_e32 v6, 1, v4
	v_cmp_lt_u32_e32 vcc, v6, v5
	v_add_u32_e32 v6, 2, v4
	s_waitcnt lgkmcnt(0)
	v_cndmask_b32_e32 v3, 0, v3, vcc
	v_cmp_gt_u32_e32 vcc, 62, v4
	v_add_u32_e32 v1, v3, v1
	s_nop 0
	v_cndmask_b32_e64 v3, 0, 2, vcc
	v_add_lshl_u32 v3, v3, v2, 2
	ds_bpermute_b32 v3, v3, v1
	v_cmp_lt_u32_e32 vcc, v6, v5
	v_add_u32_e32 v6, 4, v4
	s_waitcnt lgkmcnt(0)
	v_cndmask_b32_e32 v3, 0, v3, vcc
	v_cmp_gt_u32_e32 vcc, 60, v4
	v_add_u32_e32 v1, v1, v3
	s_nop 0
	v_cndmask_b32_e64 v3, 0, 4, vcc
	v_add_lshl_u32 v3, v3, v2, 2
	ds_bpermute_b32 v3, v3, v1
	;; [unrolled: 10-line block ×3, first 2 shown]
	v_cmp_lt_u32_e32 vcc, v6, v5
	v_add_u32_e32 v6, 16, v4
	s_waitcnt lgkmcnt(0)
	v_cndmask_b32_e32 v3, 0, v3, vcc
	v_cmp_gt_u32_e32 vcc, 48, v4
	v_add_u32_e32 v1, v1, v3
	v_add_u32_e32 v4, 32, v4
	v_cndmask_b32_e64 v3, 0, 16, vcc
	v_add_lshl_u32 v3, v3, v2, 2
	ds_bpermute_b32 v3, v3, v1
	v_cmp_lt_u32_e32 vcc, v6, v5
	s_waitcnt lgkmcnt(0)
	s_nop 0
	v_cndmask_b32_e32 v3, 0, v3, vcc
	v_add_u32_e32 v1, v1, v3
	v_lshlrev_b32_e32 v3, 2, v2
	v_or_b32_e32 v6, 0x80, v3
	ds_bpermute_b32 v6, v6, v1
	v_cmp_lt_u32_e32 vcc, v4, v5
	s_waitcnt lgkmcnt(0)
	s_nop 0
	v_cndmask_b32_e32 v4, 0, v6, vcc
	v_add_u32_e32 v1, v1, v4
	v_cmp_eq_u32_e32 vcc, 0, v2
	s_and_saveexec_b64 s[4:5], vcc
; %bb.49:
	v_lshrrev_b32_e32 v4, 4, v0
	v_and_b32_e32 v4, 12, v4
	ds_write_b32 v4, v1 offset:96
; %bb.50:
	s_or_b64 exec, exec, s[4:5]
	v_cmp_gt_u32_e32 vcc, 4, v0
	s_waitcnt lgkmcnt(0)
	s_barrier
	s_and_saveexec_b64 s[4:5], vcc
	s_cbranch_execz .LBB1046_52
; %bb.51:
	ds_read_b32 v1, v3 offset:96
	v_and_b32_e32 v4, 3, v2
	v_cmp_ne_u32_e32 vcc, 3, v4
	s_add_i32 s6, s6, 63
	s_lshr_b32 s6, s6, 6
	v_addc_co_u32_e32 v2, vcc, 0, v2, vcc
	v_lshlrev_b32_e32 v2, 2, v2
	s_waitcnt lgkmcnt(0)
	ds_bpermute_b32 v2, v2, v1
	v_add_u32_e32 v5, 1, v4
	v_cmp_gt_u32_e32 vcc, s6, v5
	s_waitcnt lgkmcnt(0)
	s_nop 0
	v_cndmask_b32_e32 v2, 0, v2, vcc
	v_add_u32_e32 v1, v2, v1
	v_or_b32_e32 v2, 8, v3
	ds_bpermute_b32 v2, v2, v1
	v_add_u32_e32 v3, 2, v4
	v_cmp_gt_u32_e32 vcc, s6, v3
	s_waitcnt lgkmcnt(0)
	s_nop 0
	v_cndmask_b32_e32 v2, 0, v2, vcc
	v_add_u32_e32 v1, v1, v2
.LBB1046_52:
	s_or_b64 exec, exec, s[4:5]
.LBB1046_53:
	v_cmp_eq_u32_e64 s[4:5], 0, v0
	s_branch .LBB1046_100
.LBB1046_54:
	s_cmp_gt_i32 s10, 1
	s_cbranch_scc0 .LBB1046_63
; %bb.55:
	s_cmp_gt_i32 s10, 3
	s_cbranch_scc0 .LBB1046_64
; %bb.56:
	s_cmp_eq_u32 s10, 4
	s_cbranch_scc0 .LBB1046_65
; %bb.57:
	s_mov_b32 s3, 0
	s_lshl_b32 s6, s2, 10
	s_lshr_b64 s[4:5], s[12:13], 10
	s_cmp_lg_u64 s[4:5], s[2:3]
	s_cbranch_scc0 .LBB1046_67
; %bb.58:
	v_or_b32_e32 v1, s6, v0
	v_add_u32_e32 v1, s11, v1
	v_mov_b32_e32 v2, 0x600
	v_lshl_add_u32 v1, v1, 2, v2
	v_mbcnt_lo_u32_b32 v2, -1, 0
	v_mbcnt_hi_u32_b32 v2, -1, v2
	v_add_u32_dpp v1, v1, v1 quad_perm:[1,0,3,2] row_mask:0xf bank_mask:0xf bound_ctrl:1
	v_lshlrev_b32_e32 v3, 2, v2
	v_or_b32_e32 v4, 0xfc, v3
	v_add_u32_dpp v1, v1, v1 quad_perm:[2,3,0,1] row_mask:0xf bank_mask:0xf bound_ctrl:1
	v_cmp_eq_u32_e32 vcc, 0, v2
	s_nop 0
	v_add_u32_dpp v1, v1, v1 row_ror:4 row_mask:0xf bank_mask:0xf bound_ctrl:1
	s_nop 1
	v_add_u32_dpp v1, v1, v1 row_ror:8 row_mask:0xf bank_mask:0xf bound_ctrl:1
	s_nop 1
	v_add_u32_dpp v1, v1, v1 row_bcast:15 row_mask:0xf bank_mask:0xf bound_ctrl:1
	s_nop 1
	v_add_u32_dpp v1, v1, v1 row_bcast:31 row_mask:0xf bank_mask:0xf bound_ctrl:1
	ds_bpermute_b32 v1, v4, v1
	s_and_saveexec_b64 s[4:5], vcc
	s_cbranch_execz .LBB1046_60
; %bb.59:
	v_lshrrev_b32_e32 v4, 4, v0
	v_and_b32_e32 v4, 12, v4
	s_waitcnt lgkmcnt(0)
	ds_write_b32 v4, v1 offset:64
.LBB1046_60:
	s_or_b64 exec, exec, s[4:5]
	v_cmp_gt_u32_e32 vcc, 64, v0
	s_waitcnt lgkmcnt(0)
	s_barrier
	s_and_saveexec_b64 s[4:5], vcc
	s_cbranch_execz .LBB1046_62
; %bb.61:
	v_and_b32_e32 v1, 3, v2
	v_lshlrev_b32_e32 v4, 2, v1
	ds_read_b32 v4, v4 offset:64
	v_cmp_ne_u32_e32 vcc, 3, v1
	s_nop 1
	v_addc_co_u32_e32 v1, vcc, 0, v2, vcc
	v_lshlrev_b32_e32 v1, 2, v1
	s_waitcnt lgkmcnt(0)
	ds_bpermute_b32 v1, v1, v4
	v_or_b32_e32 v2, 8, v3
	s_waitcnt lgkmcnt(0)
	v_add_u32_e32 v1, v1, v4
	ds_bpermute_b32 v2, v2, v1
	s_waitcnt lgkmcnt(0)
	v_add_u32_e32 v1, v2, v1
.LBB1046_62:
	s_or_b64 exec, exec, s[4:5]
	s_mov_b64 s[4:5], 0
	s_branch .LBB1046_68
.LBB1046_63:
                                        ; implicit-def: $vgpr1
	s_cbranch_execnz .LBB1046_91
	s_branch .LBB1046_100
.LBB1046_64:
                                        ; implicit-def: $vgpr1
	s_cbranch_execz .LBB1046_66
	s_branch .LBB1046_75
.LBB1046_65:
                                        ; implicit-def: $vgpr1
.LBB1046_66:
	s_branch .LBB1046_100
.LBB1046_67:
	s_mov_b64 s[4:5], -1
                                        ; implicit-def: $vgpr1
.LBB1046_68:
	s_and_b64 vcc, exec, s[4:5]
	s_cbranch_vccz .LBB1046_74
; %bb.69:
	s_sub_i32 s4, s12, s6
	s_add_i32 s5, s11, s6
	v_add_u32_e32 v1, s5, v0
	v_or_b32_e32 v2, 0x100, v0
	v_cmp_gt_u32_e32 vcc, s4, v0
	v_add_u32_e32 v3, s5, v2
	v_or_b32_e32 v4, 0x200, v0
	v_cndmask_b32_e32 v1, 0, v1, vcc
	v_cmp_gt_u32_e32 vcc, s4, v2
	v_add_u32_e32 v5, s5, v4
	v_or_b32_e32 v6, 0x300, v0
	v_cndmask_b32_e32 v2, 0, v3, vcc
	v_cmp_gt_u32_e32 vcc, s4, v4
	v_add_u32_e32 v7, s5, v6
	s_min_u32 s6, s4, 0x100
	v_cndmask_b32_e32 v3, 0, v5, vcc
	v_cmp_gt_u32_e32 vcc, s4, v6
	v_and_b32_e32 v5, 0xc0, v0
	v_sub_u32_e64 v5, s6, v5 clamp
	v_cndmask_b32_e32 v4, 0, v7, vcc
	v_add_u32_e32 v3, v4, v3
	v_add3_u32 v1, v3, v1, v2
	v_mbcnt_lo_u32_b32 v2, -1, 0
	v_mbcnt_hi_u32_b32 v2, -1, v2
	v_and_b32_e32 v4, 63, v2
	v_cmp_ne_u32_e32 vcc, 63, v4
	v_add_u32_e32 v6, 1, v4
	s_nop 0
	v_addc_co_u32_e32 v3, vcc, 0, v2, vcc
	v_lshlrev_b32_e32 v3, 2, v3
	ds_bpermute_b32 v3, v3, v1
	v_cmp_lt_u32_e32 vcc, v6, v5
	v_add_u32_e32 v6, 2, v4
	s_waitcnt lgkmcnt(0)
	v_cndmask_b32_e32 v3, 0, v3, vcc
	v_cmp_gt_u32_e32 vcc, 62, v4
	v_add_u32_e32 v1, v3, v1
	s_nop 0
	v_cndmask_b32_e64 v3, 0, 2, vcc
	v_add_lshl_u32 v3, v3, v2, 2
	ds_bpermute_b32 v3, v3, v1
	v_cmp_lt_u32_e32 vcc, v6, v5
	v_add_u32_e32 v6, 4, v4
	s_waitcnt lgkmcnt(0)
	v_cndmask_b32_e32 v3, 0, v3, vcc
	v_cmp_gt_u32_e32 vcc, 60, v4
	v_add_u32_e32 v1, v1, v3
	s_nop 0
	v_cndmask_b32_e64 v3, 0, 4, vcc
	v_add_lshl_u32 v3, v3, v2, 2
	;; [unrolled: 10-line block ×3, first 2 shown]
	ds_bpermute_b32 v3, v3, v1
	v_cmp_lt_u32_e32 vcc, v6, v5
	v_add_u32_e32 v6, 16, v4
	s_waitcnt lgkmcnt(0)
	v_cndmask_b32_e32 v3, 0, v3, vcc
	v_cmp_gt_u32_e32 vcc, 48, v4
	v_add_u32_e32 v1, v1, v3
	v_add_u32_e32 v4, 32, v4
	v_cndmask_b32_e64 v3, 0, 16, vcc
	v_add_lshl_u32 v3, v3, v2, 2
	ds_bpermute_b32 v3, v3, v1
	v_cmp_lt_u32_e32 vcc, v6, v5
	s_waitcnt lgkmcnt(0)
	s_nop 0
	v_cndmask_b32_e32 v3, 0, v3, vcc
	v_add_u32_e32 v1, v1, v3
	v_lshlrev_b32_e32 v3, 2, v2
	v_or_b32_e32 v6, 0x80, v3
	ds_bpermute_b32 v6, v6, v1
	v_cmp_lt_u32_e32 vcc, v4, v5
	s_waitcnt lgkmcnt(0)
	s_nop 0
	v_cndmask_b32_e32 v4, 0, v6, vcc
	v_add_u32_e32 v1, v1, v4
	v_cmp_eq_u32_e32 vcc, 0, v2
	s_and_saveexec_b64 s[4:5], vcc
; %bb.70:
	v_lshrrev_b32_e32 v4, 4, v0
	v_and_b32_e32 v4, 12, v4
	ds_write_b32 v4, v1 offset:96
; %bb.71:
	s_or_b64 exec, exec, s[4:5]
	v_cmp_gt_u32_e32 vcc, 4, v0
	s_waitcnt lgkmcnt(0)
	s_barrier
	s_and_saveexec_b64 s[4:5], vcc
	s_cbranch_execz .LBB1046_73
; %bb.72:
	ds_read_b32 v1, v3 offset:96
	v_and_b32_e32 v4, 3, v2
	v_cmp_ne_u32_e32 vcc, 3, v4
	s_add_i32 s6, s6, 63
	s_lshr_b32 s6, s6, 6
	v_addc_co_u32_e32 v2, vcc, 0, v2, vcc
	v_lshlrev_b32_e32 v2, 2, v2
	s_waitcnt lgkmcnt(0)
	ds_bpermute_b32 v2, v2, v1
	v_add_u32_e32 v5, 1, v4
	v_cmp_gt_u32_e32 vcc, s6, v5
	s_waitcnt lgkmcnt(0)
	s_nop 0
	v_cndmask_b32_e32 v2, 0, v2, vcc
	v_add_u32_e32 v1, v2, v1
	v_or_b32_e32 v2, 8, v3
	ds_bpermute_b32 v2, v2, v1
	v_add_u32_e32 v3, 2, v4
	v_cmp_gt_u32_e32 vcc, s6, v3
	s_waitcnt lgkmcnt(0)
	s_nop 0
	v_cndmask_b32_e32 v2, 0, v2, vcc
	v_add_u32_e32 v1, v1, v2
.LBB1046_73:
	s_or_b64 exec, exec, s[4:5]
.LBB1046_74:
	v_cmp_eq_u32_e64 s[4:5], 0, v0
	s_branch .LBB1046_66
.LBB1046_75:
	s_cmp_eq_u32 s10, 2
	s_cbranch_scc0 .LBB1046_82
; %bb.76:
	s_mov_b32 s3, 0
	s_lshl_b32 s6, s2, 9
	s_lshr_b64 s[4:5], s[12:13], 9
	s_cmp_lg_u64 s[4:5], s[2:3]
	s_cbranch_scc0 .LBB1046_83
; %bb.77:
	s_add_i32 s4, s11, s6
	v_add_u32_e32 v1, s4, v0
	v_mov_b32_e32 v2, 0x100
	v_lshl_add_u32 v1, v1, 1, v2
	v_mbcnt_lo_u32_b32 v2, -1, 0
	v_mbcnt_hi_u32_b32 v2, -1, v2
	v_add_u32_dpp v1, v1, v1 quad_perm:[1,0,3,2] row_mask:0xf bank_mask:0xf bound_ctrl:1
	v_lshlrev_b32_e32 v3, 2, v2
	v_or_b32_e32 v4, 0xfc, v3
	v_add_u32_dpp v1, v1, v1 quad_perm:[2,3,0,1] row_mask:0xf bank_mask:0xf bound_ctrl:1
	v_cmp_eq_u32_e32 vcc, 0, v2
	s_nop 0
	v_add_u32_dpp v1, v1, v1 row_ror:4 row_mask:0xf bank_mask:0xf bound_ctrl:1
	s_nop 1
	v_add_u32_dpp v1, v1, v1 row_ror:8 row_mask:0xf bank_mask:0xf bound_ctrl:1
	s_nop 1
	v_add_u32_dpp v1, v1, v1 row_bcast:15 row_mask:0xf bank_mask:0xf bound_ctrl:1
	s_nop 1
	v_add_u32_dpp v1, v1, v1 row_bcast:31 row_mask:0xf bank_mask:0xf bound_ctrl:1
	ds_bpermute_b32 v1, v4, v1
	s_and_saveexec_b64 s[4:5], vcc
	s_cbranch_execz .LBB1046_79
; %bb.78:
	v_lshrrev_b32_e32 v4, 4, v0
	v_and_b32_e32 v4, 12, v4
	s_waitcnt lgkmcnt(0)
	ds_write_b32 v4, v1 offset:32
.LBB1046_79:
	s_or_b64 exec, exec, s[4:5]
	v_cmp_gt_u32_e32 vcc, 64, v0
	s_waitcnt lgkmcnt(0)
	s_barrier
	s_and_saveexec_b64 s[4:5], vcc
	s_cbranch_execz .LBB1046_81
; %bb.80:
	v_and_b32_e32 v1, 3, v2
	v_lshlrev_b32_e32 v4, 2, v1
	ds_read_b32 v4, v4 offset:32
	v_cmp_ne_u32_e32 vcc, 3, v1
	s_nop 1
	v_addc_co_u32_e32 v1, vcc, 0, v2, vcc
	v_lshlrev_b32_e32 v1, 2, v1
	s_waitcnt lgkmcnt(0)
	ds_bpermute_b32 v1, v1, v4
	v_or_b32_e32 v2, 8, v3
	s_waitcnt lgkmcnt(0)
	v_add_u32_e32 v1, v1, v4
	ds_bpermute_b32 v2, v2, v1
	s_waitcnt lgkmcnt(0)
	v_add_u32_e32 v1, v2, v1
.LBB1046_81:
	s_or_b64 exec, exec, s[4:5]
	s_mov_b64 s[4:5], 0
	s_branch .LBB1046_84
.LBB1046_82:
                                        ; implicit-def: $vgpr1
	s_branch .LBB1046_100
.LBB1046_83:
	s_mov_b64 s[4:5], -1
                                        ; implicit-def: $vgpr1
.LBB1046_84:
	s_and_b64 vcc, exec, s[4:5]
	s_cbranch_vccz .LBB1046_90
; %bb.85:
	s_sub_i32 s4, s12, s6
	s_add_i32 s5, s11, s6
	v_add_u32_e32 v1, s5, v0
	v_or_b32_e32 v2, 0x100, v0
	v_cmp_gt_u32_e32 vcc, s4, v0
	v_add_u32_e32 v3, s5, v2
	s_min_u32 s6, s4, 0x100
	v_cndmask_b32_e32 v1, 0, v1, vcc
	v_cmp_gt_u32_e32 vcc, s4, v2
	v_and_b32_e32 v5, 0xc0, v0
	v_sub_u32_e64 v5, s6, v5 clamp
	v_cndmask_b32_e32 v2, 0, v3, vcc
	v_add_u32_e32 v1, v1, v2
	v_mbcnt_lo_u32_b32 v2, -1, 0
	v_mbcnt_hi_u32_b32 v2, -1, v2
	v_and_b32_e32 v4, 63, v2
	v_cmp_ne_u32_e32 vcc, 63, v4
	v_add_u32_e32 v6, 1, v4
	s_nop 0
	v_addc_co_u32_e32 v3, vcc, 0, v2, vcc
	v_lshlrev_b32_e32 v3, 2, v3
	ds_bpermute_b32 v3, v3, v1
	v_cmp_lt_u32_e32 vcc, v6, v5
	v_add_u32_e32 v6, 2, v4
	s_waitcnt lgkmcnt(0)
	v_cndmask_b32_e32 v3, 0, v3, vcc
	v_cmp_gt_u32_e32 vcc, 62, v4
	v_add_u32_e32 v1, v3, v1
	s_nop 0
	v_cndmask_b32_e64 v3, 0, 2, vcc
	v_add_lshl_u32 v3, v3, v2, 2
	ds_bpermute_b32 v3, v3, v1
	v_cmp_lt_u32_e32 vcc, v6, v5
	v_add_u32_e32 v6, 4, v4
	s_waitcnt lgkmcnt(0)
	v_cndmask_b32_e32 v3, 0, v3, vcc
	v_cmp_gt_u32_e32 vcc, 60, v4
	v_add_u32_e32 v1, v1, v3
	s_nop 0
	v_cndmask_b32_e64 v3, 0, 4, vcc
	v_add_lshl_u32 v3, v3, v2, 2
	;; [unrolled: 10-line block ×3, first 2 shown]
	ds_bpermute_b32 v3, v3, v1
	v_cmp_lt_u32_e32 vcc, v6, v5
	v_add_u32_e32 v6, 16, v4
	s_waitcnt lgkmcnt(0)
	v_cndmask_b32_e32 v3, 0, v3, vcc
	v_cmp_gt_u32_e32 vcc, 48, v4
	v_add_u32_e32 v1, v1, v3
	v_add_u32_e32 v4, 32, v4
	v_cndmask_b32_e64 v3, 0, 16, vcc
	v_add_lshl_u32 v3, v3, v2, 2
	ds_bpermute_b32 v3, v3, v1
	v_cmp_lt_u32_e32 vcc, v6, v5
	s_waitcnt lgkmcnt(0)
	s_nop 0
	v_cndmask_b32_e32 v3, 0, v3, vcc
	v_add_u32_e32 v1, v1, v3
	v_lshlrev_b32_e32 v3, 2, v2
	v_or_b32_e32 v6, 0x80, v3
	ds_bpermute_b32 v6, v6, v1
	v_cmp_lt_u32_e32 vcc, v4, v5
	s_waitcnt lgkmcnt(0)
	s_nop 0
	v_cndmask_b32_e32 v4, 0, v6, vcc
	v_add_u32_e32 v1, v1, v4
	v_cmp_eq_u32_e32 vcc, 0, v2
	s_and_saveexec_b64 s[4:5], vcc
; %bb.86:
	v_lshrrev_b32_e32 v4, 4, v0
	v_and_b32_e32 v4, 12, v4
	ds_write_b32 v4, v1 offset:96
; %bb.87:
	s_or_b64 exec, exec, s[4:5]
	v_cmp_gt_u32_e32 vcc, 4, v0
	s_waitcnt lgkmcnt(0)
	s_barrier
	s_and_saveexec_b64 s[4:5], vcc
	s_cbranch_execz .LBB1046_89
; %bb.88:
	ds_read_b32 v1, v3 offset:96
	v_and_b32_e32 v4, 3, v2
	v_cmp_ne_u32_e32 vcc, 3, v4
	s_add_i32 s6, s6, 63
	s_lshr_b32 s6, s6, 6
	v_addc_co_u32_e32 v2, vcc, 0, v2, vcc
	v_lshlrev_b32_e32 v2, 2, v2
	s_waitcnt lgkmcnt(0)
	ds_bpermute_b32 v2, v2, v1
	v_add_u32_e32 v5, 1, v4
	v_cmp_gt_u32_e32 vcc, s6, v5
	s_waitcnt lgkmcnt(0)
	s_nop 0
	v_cndmask_b32_e32 v2, 0, v2, vcc
	v_add_u32_e32 v1, v2, v1
	v_or_b32_e32 v2, 8, v3
	ds_bpermute_b32 v2, v2, v1
	v_add_u32_e32 v3, 2, v4
	v_cmp_gt_u32_e32 vcc, s6, v3
	s_waitcnt lgkmcnt(0)
	s_nop 0
	v_cndmask_b32_e32 v2, 0, v2, vcc
	v_add_u32_e32 v1, v1, v2
.LBB1046_89:
	s_or_b64 exec, exec, s[4:5]
.LBB1046_90:
	v_cmp_eq_u32_e64 s[4:5], 0, v0
	s_branch .LBB1046_100
.LBB1046_91:
	s_cmp_eq_u32 s10, 1
	s_cbranch_scc0 .LBB1046_99
; %bb.92:
	s_lshl_b32 s6, s2, 8
	s_mov_b32 s3, 0
	s_lshr_b64 s[4:5], s[12:13], 8
	s_cmp_lg_u64 s[4:5], s[2:3]
	v_mbcnt_lo_u32_b32 v2, -1, 0
	s_cbranch_scc0 .LBB1046_103
; %bb.93:
	s_add_i32 s4, s11, s6
	v_add_u32_e32 v1, s4, v0
	v_mbcnt_hi_u32_b32 v3, -1, v2
	v_lshlrev_b32_e32 v4, 2, v3
	v_add_u32_dpp v1, v1, v1 quad_perm:[1,0,3,2] row_mask:0xf bank_mask:0xf bound_ctrl:1
	v_or_b32_e32 v5, 0xfc, v4
	v_cmp_eq_u32_e32 vcc, 0, v3
	v_add_u32_dpp v1, v1, v1 quad_perm:[2,3,0,1] row_mask:0xf bank_mask:0xf bound_ctrl:1
	s_nop 1
	v_add_u32_dpp v1, v1, v1 row_ror:4 row_mask:0xf bank_mask:0xf bound_ctrl:1
	s_nop 1
	v_add_u32_dpp v1, v1, v1 row_ror:8 row_mask:0xf bank_mask:0xf bound_ctrl:1
	s_nop 1
	v_add_u32_dpp v1, v1, v1 row_bcast:15 row_mask:0xf bank_mask:0xf bound_ctrl:1
	s_nop 1
	v_add_u32_dpp v1, v1, v1 row_bcast:31 row_mask:0xf bank_mask:0xf bound_ctrl:1
	ds_bpermute_b32 v1, v5, v1
	s_and_saveexec_b64 s[4:5], vcc
	s_cbranch_execz .LBB1046_95
; %bb.94:
	v_lshrrev_b32_e32 v5, 4, v0
	v_and_b32_e32 v5, 12, v5
	s_waitcnt lgkmcnt(0)
	ds_write_b32 v5, v1 offset:16
.LBB1046_95:
	s_or_b64 exec, exec, s[4:5]
	v_cmp_gt_u32_e32 vcc, 64, v0
	s_waitcnt lgkmcnt(0)
	s_barrier
	s_and_saveexec_b64 s[4:5], vcc
	s_cbranch_execz .LBB1046_97
; %bb.96:
	v_and_b32_e32 v1, 3, v3
	v_lshlrev_b32_e32 v5, 2, v1
	ds_read_b32 v5, v5 offset:16
	v_cmp_ne_u32_e32 vcc, 3, v1
	s_nop 1
	v_addc_co_u32_e32 v1, vcc, 0, v3, vcc
	v_lshlrev_b32_e32 v1, 2, v1
	s_waitcnt lgkmcnt(0)
	ds_bpermute_b32 v1, v1, v5
	v_or_b32_e32 v3, 8, v4
	s_waitcnt lgkmcnt(0)
	v_add_u32_e32 v1, v1, v5
	ds_bpermute_b32 v3, v3, v1
	s_waitcnt lgkmcnt(0)
	v_add_u32_e32 v1, v3, v1
.LBB1046_97:
	s_or_b64 exec, exec, s[4:5]
.LBB1046_98:
	v_cmp_eq_u32_e64 s[4:5], 0, v0
	s_and_saveexec_b64 s[6:7], s[4:5]
	s_cbranch_execnz .LBB1046_101
	s_branch .LBB1046_102
.LBB1046_99:
                                        ; implicit-def: $vgpr1
                                        ; implicit-def: $sgpr2_sgpr3
.LBB1046_100:
	s_and_saveexec_b64 s[6:7], s[4:5]
	s_cbranch_execz .LBB1046_102
.LBB1046_101:
	s_load_dword s4, s[0:1], 0x20
	s_lshl_b64 s[0:1], s[2:3], 2
	s_add_u32 s0, s14, s0
	s_addc_u32 s1, s15, s1
	s_cmp_lg_u64 s[12:13], 0
	s_cselect_b64 vcc, -1, 0
	v_cndmask_b32_e32 v1, 0, v1, vcc
	v_mov_b32_e32 v0, 0
	s_waitcnt lgkmcnt(0)
	v_add_u32_e32 v1, s4, v1
	global_store_dword v0, v1, s[0:1]
.LBB1046_102:
	s_endpgm
.LBB1046_103:
                                        ; implicit-def: $vgpr1
	s_cbranch_execz .LBB1046_98
; %bb.104:
	v_mbcnt_hi_u32_b32 v2, -1, v2
	v_and_b32_e32 v4, 63, v2
	v_cmp_ne_u32_e32 vcc, 63, v4
	s_add_i32 s5, s11, s6
	v_add_u32_e32 v1, s5, v0
	v_addc_co_u32_e32 v3, vcc, 0, v2, vcc
	v_lshlrev_b32_e32 v3, 2, v3
	ds_bpermute_b32 v3, v3, v1
	s_sub_i32 s4, s12, s6
	s_min_u32 s6, s4, 0x100
	v_and_b32_e32 v5, 0xc0, v0
	v_sub_u32_e64 v5, s6, v5 clamp
	v_add_u32_e32 v6, 1, v4
	v_cmp_lt_u32_e32 vcc, v6, v5
	v_add_u32_e32 v6, 2, v4
	s_waitcnt lgkmcnt(0)
	v_cndmask_b32_e32 v3, 0, v3, vcc
	v_cmp_gt_u32_e32 vcc, 62, v4
	v_add_u32_e32 v1, v3, v1
	s_nop 0
	v_cndmask_b32_e64 v3, 0, 2, vcc
	v_add_lshl_u32 v3, v3, v2, 2
	ds_bpermute_b32 v3, v3, v1
	v_cmp_lt_u32_e32 vcc, v6, v5
	v_add_u32_e32 v6, 4, v4
	s_waitcnt lgkmcnt(0)
	v_cndmask_b32_e32 v3, 0, v3, vcc
	v_cmp_gt_u32_e32 vcc, 60, v4
	v_add_u32_e32 v1, v1, v3
	s_nop 0
	v_cndmask_b32_e64 v3, 0, 4, vcc
	v_add_lshl_u32 v3, v3, v2, 2
	ds_bpermute_b32 v3, v3, v1
	;; [unrolled: 10-line block ×3, first 2 shown]
	v_cmp_lt_u32_e32 vcc, v6, v5
	v_add_u32_e32 v6, 16, v4
	s_waitcnt lgkmcnt(0)
	v_cndmask_b32_e32 v3, 0, v3, vcc
	v_cmp_gt_u32_e32 vcc, 48, v4
	v_add_u32_e32 v1, v1, v3
	v_add_u32_e32 v4, 32, v4
	v_cndmask_b32_e64 v3, 0, 16, vcc
	v_add_lshl_u32 v3, v3, v2, 2
	ds_bpermute_b32 v3, v3, v1
	v_cmp_lt_u32_e32 vcc, v6, v5
	s_waitcnt lgkmcnt(0)
	s_nop 0
	v_cndmask_b32_e32 v3, 0, v3, vcc
	v_add_u32_e32 v1, v1, v3
	v_lshlrev_b32_e32 v3, 2, v2
	v_or_b32_e32 v6, 0x80, v3
	ds_bpermute_b32 v6, v6, v1
	v_cmp_lt_u32_e32 vcc, v4, v5
	s_waitcnt lgkmcnt(0)
	s_nop 0
	v_cndmask_b32_e32 v4, 0, v6, vcc
	v_add_u32_e32 v1, v1, v4
	v_cmp_eq_u32_e32 vcc, 0, v2
	s_and_saveexec_b64 s[4:5], vcc
; %bb.105:
	v_lshrrev_b32_e32 v4, 4, v0
	v_and_b32_e32 v4, 12, v4
	ds_write_b32 v4, v1 offset:96
; %bb.106:
	s_or_b64 exec, exec, s[4:5]
	v_cmp_gt_u32_e32 vcc, 4, v0
	s_waitcnt lgkmcnt(0)
	s_barrier
	s_and_saveexec_b64 s[4:5], vcc
	s_cbranch_execz .LBB1046_108
; %bb.107:
	ds_read_b32 v1, v3 offset:96
	v_and_b32_e32 v4, 3, v2
	v_cmp_ne_u32_e32 vcc, 3, v4
	s_add_i32 s6, s6, 63
	s_lshr_b32 s6, s6, 6
	v_addc_co_u32_e32 v2, vcc, 0, v2, vcc
	v_lshlrev_b32_e32 v2, 2, v2
	s_waitcnt lgkmcnt(0)
	ds_bpermute_b32 v2, v2, v1
	v_add_u32_e32 v5, 1, v4
	v_cmp_gt_u32_e32 vcc, s6, v5
	s_waitcnt lgkmcnt(0)
	s_nop 0
	v_cndmask_b32_e32 v2, 0, v2, vcc
	v_add_u32_e32 v1, v2, v1
	v_or_b32_e32 v2, 8, v3
	ds_bpermute_b32 v2, v2, v1
	v_add_u32_e32 v3, 2, v4
	v_cmp_gt_u32_e32 vcc, s6, v3
	s_waitcnt lgkmcnt(0)
	s_nop 0
	v_cndmask_b32_e32 v2, 0, v2, vcc
	v_add_u32_e32 v1, v1, v2
.LBB1046_108:
	s_or_b64 exec, exec, s[4:5]
	v_cmp_eq_u32_e64 s[4:5], 0, v0
	s_and_saveexec_b64 s[6:7], s[4:5]
	s_cbranch_execnz .LBB1046_101
	s_branch .LBB1046_102
	.section	.rodata,"a",@progbits
	.p2align	6, 0x0
	.amdhsa_kernel _ZN7rocprim17ROCPRIM_400000_NS6detail17trampoline_kernelINS0_14default_configENS1_22reduce_config_selectorIjEEZNS1_11reduce_implILb1ES3_N6thrust23THRUST_200600_302600_NS17counting_iteratorIjNS8_11hip_rocprim3tagENS8_11use_defaultESC_EEPjjNS8_4plusIjEEEE10hipError_tPvRmT1_T2_T3_mT4_P12ihipStream_tbEUlT_E1_NS1_11comp_targetILNS1_3genE0ELNS1_11target_archE4294967295ELNS1_3gpuE0ELNS1_3repE0EEENS1_30default_config_static_selectorELNS0_4arch9wavefront6targetE1EEEvSK_
		.amdhsa_group_segment_fixed_size 112
		.amdhsa_private_segment_fixed_size 0
		.amdhsa_kernarg_size 40
		.amdhsa_user_sgpr_count 2
		.amdhsa_user_sgpr_dispatch_ptr 0
		.amdhsa_user_sgpr_queue_ptr 0
		.amdhsa_user_sgpr_kernarg_segment_ptr 1
		.amdhsa_user_sgpr_dispatch_id 0
		.amdhsa_user_sgpr_kernarg_preload_length 0
		.amdhsa_user_sgpr_kernarg_preload_offset 0
		.amdhsa_user_sgpr_private_segment_size 0
		.amdhsa_uses_dynamic_stack 0
		.amdhsa_enable_private_segment 0
		.amdhsa_system_sgpr_workgroup_id_x 1
		.amdhsa_system_sgpr_workgroup_id_y 0
		.amdhsa_system_sgpr_workgroup_id_z 0
		.amdhsa_system_sgpr_workgroup_info 0
		.amdhsa_system_vgpr_workitem_id 0
		.amdhsa_next_free_vgpr 60
		.amdhsa_next_free_sgpr 20
		.amdhsa_accum_offset 60
		.amdhsa_reserve_vcc 1
		.amdhsa_float_round_mode_32 0
		.amdhsa_float_round_mode_16_64 0
		.amdhsa_float_denorm_mode_32 3
		.amdhsa_float_denorm_mode_16_64 3
		.amdhsa_dx10_clamp 1
		.amdhsa_ieee_mode 1
		.amdhsa_fp16_overflow 0
		.amdhsa_tg_split 0
		.amdhsa_exception_fp_ieee_invalid_op 0
		.amdhsa_exception_fp_denorm_src 0
		.amdhsa_exception_fp_ieee_div_zero 0
		.amdhsa_exception_fp_ieee_overflow 0
		.amdhsa_exception_fp_ieee_underflow 0
		.amdhsa_exception_fp_ieee_inexact 0
		.amdhsa_exception_int_div_zero 0
	.end_amdhsa_kernel
	.section	.text._ZN7rocprim17ROCPRIM_400000_NS6detail17trampoline_kernelINS0_14default_configENS1_22reduce_config_selectorIjEEZNS1_11reduce_implILb1ES3_N6thrust23THRUST_200600_302600_NS17counting_iteratorIjNS8_11hip_rocprim3tagENS8_11use_defaultESC_EEPjjNS8_4plusIjEEEE10hipError_tPvRmT1_T2_T3_mT4_P12ihipStream_tbEUlT_E1_NS1_11comp_targetILNS1_3genE0ELNS1_11target_archE4294967295ELNS1_3gpuE0ELNS1_3repE0EEENS1_30default_config_static_selectorELNS0_4arch9wavefront6targetE1EEEvSK_,"axG",@progbits,_ZN7rocprim17ROCPRIM_400000_NS6detail17trampoline_kernelINS0_14default_configENS1_22reduce_config_selectorIjEEZNS1_11reduce_implILb1ES3_N6thrust23THRUST_200600_302600_NS17counting_iteratorIjNS8_11hip_rocprim3tagENS8_11use_defaultESC_EEPjjNS8_4plusIjEEEE10hipError_tPvRmT1_T2_T3_mT4_P12ihipStream_tbEUlT_E1_NS1_11comp_targetILNS1_3genE0ELNS1_11target_archE4294967295ELNS1_3gpuE0ELNS1_3repE0EEENS1_30default_config_static_selectorELNS0_4arch9wavefront6targetE1EEEvSK_,comdat
.Lfunc_end1046:
	.size	_ZN7rocprim17ROCPRIM_400000_NS6detail17trampoline_kernelINS0_14default_configENS1_22reduce_config_selectorIjEEZNS1_11reduce_implILb1ES3_N6thrust23THRUST_200600_302600_NS17counting_iteratorIjNS8_11hip_rocprim3tagENS8_11use_defaultESC_EEPjjNS8_4plusIjEEEE10hipError_tPvRmT1_T2_T3_mT4_P12ihipStream_tbEUlT_E1_NS1_11comp_targetILNS1_3genE0ELNS1_11target_archE4294967295ELNS1_3gpuE0ELNS1_3repE0EEENS1_30default_config_static_selectorELNS0_4arch9wavefront6targetE1EEEvSK_, .Lfunc_end1046-_ZN7rocprim17ROCPRIM_400000_NS6detail17trampoline_kernelINS0_14default_configENS1_22reduce_config_selectorIjEEZNS1_11reduce_implILb1ES3_N6thrust23THRUST_200600_302600_NS17counting_iteratorIjNS8_11hip_rocprim3tagENS8_11use_defaultESC_EEPjjNS8_4plusIjEEEE10hipError_tPvRmT1_T2_T3_mT4_P12ihipStream_tbEUlT_E1_NS1_11comp_targetILNS1_3genE0ELNS1_11target_archE4294967295ELNS1_3gpuE0ELNS1_3repE0EEENS1_30default_config_static_selectorELNS0_4arch9wavefront6targetE1EEEvSK_
                                        ; -- End function
	.set _ZN7rocprim17ROCPRIM_400000_NS6detail17trampoline_kernelINS0_14default_configENS1_22reduce_config_selectorIjEEZNS1_11reduce_implILb1ES3_N6thrust23THRUST_200600_302600_NS17counting_iteratorIjNS8_11hip_rocprim3tagENS8_11use_defaultESC_EEPjjNS8_4plusIjEEEE10hipError_tPvRmT1_T2_T3_mT4_P12ihipStream_tbEUlT_E1_NS1_11comp_targetILNS1_3genE0ELNS1_11target_archE4294967295ELNS1_3gpuE0ELNS1_3repE0EEENS1_30default_config_static_selectorELNS0_4arch9wavefront6targetE1EEEvSK_.num_vgpr, 60
	.set _ZN7rocprim17ROCPRIM_400000_NS6detail17trampoline_kernelINS0_14default_configENS1_22reduce_config_selectorIjEEZNS1_11reduce_implILb1ES3_N6thrust23THRUST_200600_302600_NS17counting_iteratorIjNS8_11hip_rocprim3tagENS8_11use_defaultESC_EEPjjNS8_4plusIjEEEE10hipError_tPvRmT1_T2_T3_mT4_P12ihipStream_tbEUlT_E1_NS1_11comp_targetILNS1_3genE0ELNS1_11target_archE4294967295ELNS1_3gpuE0ELNS1_3repE0EEENS1_30default_config_static_selectorELNS0_4arch9wavefront6targetE1EEEvSK_.num_agpr, 0
	.set _ZN7rocprim17ROCPRIM_400000_NS6detail17trampoline_kernelINS0_14default_configENS1_22reduce_config_selectorIjEEZNS1_11reduce_implILb1ES3_N6thrust23THRUST_200600_302600_NS17counting_iteratorIjNS8_11hip_rocprim3tagENS8_11use_defaultESC_EEPjjNS8_4plusIjEEEE10hipError_tPvRmT1_T2_T3_mT4_P12ihipStream_tbEUlT_E1_NS1_11comp_targetILNS1_3genE0ELNS1_11target_archE4294967295ELNS1_3gpuE0ELNS1_3repE0EEENS1_30default_config_static_selectorELNS0_4arch9wavefront6targetE1EEEvSK_.numbered_sgpr, 20
	.set _ZN7rocprim17ROCPRIM_400000_NS6detail17trampoline_kernelINS0_14default_configENS1_22reduce_config_selectorIjEEZNS1_11reduce_implILb1ES3_N6thrust23THRUST_200600_302600_NS17counting_iteratorIjNS8_11hip_rocprim3tagENS8_11use_defaultESC_EEPjjNS8_4plusIjEEEE10hipError_tPvRmT1_T2_T3_mT4_P12ihipStream_tbEUlT_E1_NS1_11comp_targetILNS1_3genE0ELNS1_11target_archE4294967295ELNS1_3gpuE0ELNS1_3repE0EEENS1_30default_config_static_selectorELNS0_4arch9wavefront6targetE1EEEvSK_.num_named_barrier, 0
	.set _ZN7rocprim17ROCPRIM_400000_NS6detail17trampoline_kernelINS0_14default_configENS1_22reduce_config_selectorIjEEZNS1_11reduce_implILb1ES3_N6thrust23THRUST_200600_302600_NS17counting_iteratorIjNS8_11hip_rocprim3tagENS8_11use_defaultESC_EEPjjNS8_4plusIjEEEE10hipError_tPvRmT1_T2_T3_mT4_P12ihipStream_tbEUlT_E1_NS1_11comp_targetILNS1_3genE0ELNS1_11target_archE4294967295ELNS1_3gpuE0ELNS1_3repE0EEENS1_30default_config_static_selectorELNS0_4arch9wavefront6targetE1EEEvSK_.private_seg_size, 0
	.set _ZN7rocprim17ROCPRIM_400000_NS6detail17trampoline_kernelINS0_14default_configENS1_22reduce_config_selectorIjEEZNS1_11reduce_implILb1ES3_N6thrust23THRUST_200600_302600_NS17counting_iteratorIjNS8_11hip_rocprim3tagENS8_11use_defaultESC_EEPjjNS8_4plusIjEEEE10hipError_tPvRmT1_T2_T3_mT4_P12ihipStream_tbEUlT_E1_NS1_11comp_targetILNS1_3genE0ELNS1_11target_archE4294967295ELNS1_3gpuE0ELNS1_3repE0EEENS1_30default_config_static_selectorELNS0_4arch9wavefront6targetE1EEEvSK_.uses_vcc, 1
	.set _ZN7rocprim17ROCPRIM_400000_NS6detail17trampoline_kernelINS0_14default_configENS1_22reduce_config_selectorIjEEZNS1_11reduce_implILb1ES3_N6thrust23THRUST_200600_302600_NS17counting_iteratorIjNS8_11hip_rocprim3tagENS8_11use_defaultESC_EEPjjNS8_4plusIjEEEE10hipError_tPvRmT1_T2_T3_mT4_P12ihipStream_tbEUlT_E1_NS1_11comp_targetILNS1_3genE0ELNS1_11target_archE4294967295ELNS1_3gpuE0ELNS1_3repE0EEENS1_30default_config_static_selectorELNS0_4arch9wavefront6targetE1EEEvSK_.uses_flat_scratch, 0
	.set _ZN7rocprim17ROCPRIM_400000_NS6detail17trampoline_kernelINS0_14default_configENS1_22reduce_config_selectorIjEEZNS1_11reduce_implILb1ES3_N6thrust23THRUST_200600_302600_NS17counting_iteratorIjNS8_11hip_rocprim3tagENS8_11use_defaultESC_EEPjjNS8_4plusIjEEEE10hipError_tPvRmT1_T2_T3_mT4_P12ihipStream_tbEUlT_E1_NS1_11comp_targetILNS1_3genE0ELNS1_11target_archE4294967295ELNS1_3gpuE0ELNS1_3repE0EEENS1_30default_config_static_selectorELNS0_4arch9wavefront6targetE1EEEvSK_.has_dyn_sized_stack, 0
	.set _ZN7rocprim17ROCPRIM_400000_NS6detail17trampoline_kernelINS0_14default_configENS1_22reduce_config_selectorIjEEZNS1_11reduce_implILb1ES3_N6thrust23THRUST_200600_302600_NS17counting_iteratorIjNS8_11hip_rocprim3tagENS8_11use_defaultESC_EEPjjNS8_4plusIjEEEE10hipError_tPvRmT1_T2_T3_mT4_P12ihipStream_tbEUlT_E1_NS1_11comp_targetILNS1_3genE0ELNS1_11target_archE4294967295ELNS1_3gpuE0ELNS1_3repE0EEENS1_30default_config_static_selectorELNS0_4arch9wavefront6targetE1EEEvSK_.has_recursion, 0
	.set _ZN7rocprim17ROCPRIM_400000_NS6detail17trampoline_kernelINS0_14default_configENS1_22reduce_config_selectorIjEEZNS1_11reduce_implILb1ES3_N6thrust23THRUST_200600_302600_NS17counting_iteratorIjNS8_11hip_rocprim3tagENS8_11use_defaultESC_EEPjjNS8_4plusIjEEEE10hipError_tPvRmT1_T2_T3_mT4_P12ihipStream_tbEUlT_E1_NS1_11comp_targetILNS1_3genE0ELNS1_11target_archE4294967295ELNS1_3gpuE0ELNS1_3repE0EEENS1_30default_config_static_selectorELNS0_4arch9wavefront6targetE1EEEvSK_.has_indirect_call, 0
	.section	.AMDGPU.csdata,"",@progbits
; Kernel info:
; codeLenInByte = 6548
; TotalNumSgprs: 26
; NumVgprs: 60
; NumAgprs: 0
; TotalNumVgprs: 60
; ScratchSize: 0
; MemoryBound: 0
; FloatMode: 240
; IeeeMode: 1
; LDSByteSize: 112 bytes/workgroup (compile time only)
; SGPRBlocks: 3
; VGPRBlocks: 7
; NumSGPRsForWavesPerEU: 26
; NumVGPRsForWavesPerEU: 60
; AccumOffset: 60
; Occupancy: 8
; WaveLimiterHint : 0
; COMPUTE_PGM_RSRC2:SCRATCH_EN: 0
; COMPUTE_PGM_RSRC2:USER_SGPR: 2
; COMPUTE_PGM_RSRC2:TRAP_HANDLER: 0
; COMPUTE_PGM_RSRC2:TGID_X_EN: 1
; COMPUTE_PGM_RSRC2:TGID_Y_EN: 0
; COMPUTE_PGM_RSRC2:TGID_Z_EN: 0
; COMPUTE_PGM_RSRC2:TIDIG_COMP_CNT: 0
; COMPUTE_PGM_RSRC3_GFX90A:ACCUM_OFFSET: 14
; COMPUTE_PGM_RSRC3_GFX90A:TG_SPLIT: 0
	.section	.text._ZN7rocprim17ROCPRIM_400000_NS6detail17trampoline_kernelINS0_14default_configENS1_22reduce_config_selectorIjEEZNS1_11reduce_implILb1ES3_N6thrust23THRUST_200600_302600_NS17counting_iteratorIjNS8_11hip_rocprim3tagENS8_11use_defaultESC_EEPjjNS8_4plusIjEEEE10hipError_tPvRmT1_T2_T3_mT4_P12ihipStream_tbEUlT_E1_NS1_11comp_targetILNS1_3genE5ELNS1_11target_archE942ELNS1_3gpuE9ELNS1_3repE0EEENS1_30default_config_static_selectorELNS0_4arch9wavefront6targetE1EEEvSK_,"axG",@progbits,_ZN7rocprim17ROCPRIM_400000_NS6detail17trampoline_kernelINS0_14default_configENS1_22reduce_config_selectorIjEEZNS1_11reduce_implILb1ES3_N6thrust23THRUST_200600_302600_NS17counting_iteratorIjNS8_11hip_rocprim3tagENS8_11use_defaultESC_EEPjjNS8_4plusIjEEEE10hipError_tPvRmT1_T2_T3_mT4_P12ihipStream_tbEUlT_E1_NS1_11comp_targetILNS1_3genE5ELNS1_11target_archE942ELNS1_3gpuE9ELNS1_3repE0EEENS1_30default_config_static_selectorELNS0_4arch9wavefront6targetE1EEEvSK_,comdat
	.protected	_ZN7rocprim17ROCPRIM_400000_NS6detail17trampoline_kernelINS0_14default_configENS1_22reduce_config_selectorIjEEZNS1_11reduce_implILb1ES3_N6thrust23THRUST_200600_302600_NS17counting_iteratorIjNS8_11hip_rocprim3tagENS8_11use_defaultESC_EEPjjNS8_4plusIjEEEE10hipError_tPvRmT1_T2_T3_mT4_P12ihipStream_tbEUlT_E1_NS1_11comp_targetILNS1_3genE5ELNS1_11target_archE942ELNS1_3gpuE9ELNS1_3repE0EEENS1_30default_config_static_selectorELNS0_4arch9wavefront6targetE1EEEvSK_ ; -- Begin function _ZN7rocprim17ROCPRIM_400000_NS6detail17trampoline_kernelINS0_14default_configENS1_22reduce_config_selectorIjEEZNS1_11reduce_implILb1ES3_N6thrust23THRUST_200600_302600_NS17counting_iteratorIjNS8_11hip_rocprim3tagENS8_11use_defaultESC_EEPjjNS8_4plusIjEEEE10hipError_tPvRmT1_T2_T3_mT4_P12ihipStream_tbEUlT_E1_NS1_11comp_targetILNS1_3genE5ELNS1_11target_archE942ELNS1_3gpuE9ELNS1_3repE0EEENS1_30default_config_static_selectorELNS0_4arch9wavefront6targetE1EEEvSK_
	.globl	_ZN7rocprim17ROCPRIM_400000_NS6detail17trampoline_kernelINS0_14default_configENS1_22reduce_config_selectorIjEEZNS1_11reduce_implILb1ES3_N6thrust23THRUST_200600_302600_NS17counting_iteratorIjNS8_11hip_rocprim3tagENS8_11use_defaultESC_EEPjjNS8_4plusIjEEEE10hipError_tPvRmT1_T2_T3_mT4_P12ihipStream_tbEUlT_E1_NS1_11comp_targetILNS1_3genE5ELNS1_11target_archE942ELNS1_3gpuE9ELNS1_3repE0EEENS1_30default_config_static_selectorELNS0_4arch9wavefront6targetE1EEEvSK_
	.p2align	8
	.type	_ZN7rocprim17ROCPRIM_400000_NS6detail17trampoline_kernelINS0_14default_configENS1_22reduce_config_selectorIjEEZNS1_11reduce_implILb1ES3_N6thrust23THRUST_200600_302600_NS17counting_iteratorIjNS8_11hip_rocprim3tagENS8_11use_defaultESC_EEPjjNS8_4plusIjEEEE10hipError_tPvRmT1_T2_T3_mT4_P12ihipStream_tbEUlT_E1_NS1_11comp_targetILNS1_3genE5ELNS1_11target_archE942ELNS1_3gpuE9ELNS1_3repE0EEENS1_30default_config_static_selectorELNS0_4arch9wavefront6targetE1EEEvSK_,@function
_ZN7rocprim17ROCPRIM_400000_NS6detail17trampoline_kernelINS0_14default_configENS1_22reduce_config_selectorIjEEZNS1_11reduce_implILb1ES3_N6thrust23THRUST_200600_302600_NS17counting_iteratorIjNS8_11hip_rocprim3tagENS8_11use_defaultESC_EEPjjNS8_4plusIjEEEE10hipError_tPvRmT1_T2_T3_mT4_P12ihipStream_tbEUlT_E1_NS1_11comp_targetILNS1_3genE5ELNS1_11target_archE942ELNS1_3gpuE9ELNS1_3repE0EEENS1_30default_config_static_selectorELNS0_4arch9wavefront6targetE1EEEvSK_: ; @_ZN7rocprim17ROCPRIM_400000_NS6detail17trampoline_kernelINS0_14default_configENS1_22reduce_config_selectorIjEEZNS1_11reduce_implILb1ES3_N6thrust23THRUST_200600_302600_NS17counting_iteratorIjNS8_11hip_rocprim3tagENS8_11use_defaultESC_EEPjjNS8_4plusIjEEEE10hipError_tPvRmT1_T2_T3_mT4_P12ihipStream_tbEUlT_E1_NS1_11comp_targetILNS1_3genE5ELNS1_11target_archE942ELNS1_3gpuE9ELNS1_3repE0EEENS1_30default_config_static_selectorELNS0_4arch9wavefront6targetE1EEEvSK_
; %bb.0:
	.section	.rodata,"a",@progbits
	.p2align	6, 0x0
	.amdhsa_kernel _ZN7rocprim17ROCPRIM_400000_NS6detail17trampoline_kernelINS0_14default_configENS1_22reduce_config_selectorIjEEZNS1_11reduce_implILb1ES3_N6thrust23THRUST_200600_302600_NS17counting_iteratorIjNS8_11hip_rocprim3tagENS8_11use_defaultESC_EEPjjNS8_4plusIjEEEE10hipError_tPvRmT1_T2_T3_mT4_P12ihipStream_tbEUlT_E1_NS1_11comp_targetILNS1_3genE5ELNS1_11target_archE942ELNS1_3gpuE9ELNS1_3repE0EEENS1_30default_config_static_selectorELNS0_4arch9wavefront6targetE1EEEvSK_
		.amdhsa_group_segment_fixed_size 0
		.amdhsa_private_segment_fixed_size 0
		.amdhsa_kernarg_size 40
		.amdhsa_user_sgpr_count 2
		.amdhsa_user_sgpr_dispatch_ptr 0
		.amdhsa_user_sgpr_queue_ptr 0
		.amdhsa_user_sgpr_kernarg_segment_ptr 1
		.amdhsa_user_sgpr_dispatch_id 0
		.amdhsa_user_sgpr_kernarg_preload_length 0
		.amdhsa_user_sgpr_kernarg_preload_offset 0
		.amdhsa_user_sgpr_private_segment_size 0
		.amdhsa_uses_dynamic_stack 0
		.amdhsa_enable_private_segment 0
		.amdhsa_system_sgpr_workgroup_id_x 1
		.amdhsa_system_sgpr_workgroup_id_y 0
		.amdhsa_system_sgpr_workgroup_id_z 0
		.amdhsa_system_sgpr_workgroup_info 0
		.amdhsa_system_vgpr_workitem_id 0
		.amdhsa_next_free_vgpr 1
		.amdhsa_next_free_sgpr 0
		.amdhsa_accum_offset 4
		.amdhsa_reserve_vcc 0
		.amdhsa_float_round_mode_32 0
		.amdhsa_float_round_mode_16_64 0
		.amdhsa_float_denorm_mode_32 3
		.amdhsa_float_denorm_mode_16_64 3
		.amdhsa_dx10_clamp 1
		.amdhsa_ieee_mode 1
		.amdhsa_fp16_overflow 0
		.amdhsa_tg_split 0
		.amdhsa_exception_fp_ieee_invalid_op 0
		.amdhsa_exception_fp_denorm_src 0
		.amdhsa_exception_fp_ieee_div_zero 0
		.amdhsa_exception_fp_ieee_overflow 0
		.amdhsa_exception_fp_ieee_underflow 0
		.amdhsa_exception_fp_ieee_inexact 0
		.amdhsa_exception_int_div_zero 0
	.end_amdhsa_kernel
	.section	.text._ZN7rocprim17ROCPRIM_400000_NS6detail17trampoline_kernelINS0_14default_configENS1_22reduce_config_selectorIjEEZNS1_11reduce_implILb1ES3_N6thrust23THRUST_200600_302600_NS17counting_iteratorIjNS8_11hip_rocprim3tagENS8_11use_defaultESC_EEPjjNS8_4plusIjEEEE10hipError_tPvRmT1_T2_T3_mT4_P12ihipStream_tbEUlT_E1_NS1_11comp_targetILNS1_3genE5ELNS1_11target_archE942ELNS1_3gpuE9ELNS1_3repE0EEENS1_30default_config_static_selectorELNS0_4arch9wavefront6targetE1EEEvSK_,"axG",@progbits,_ZN7rocprim17ROCPRIM_400000_NS6detail17trampoline_kernelINS0_14default_configENS1_22reduce_config_selectorIjEEZNS1_11reduce_implILb1ES3_N6thrust23THRUST_200600_302600_NS17counting_iteratorIjNS8_11hip_rocprim3tagENS8_11use_defaultESC_EEPjjNS8_4plusIjEEEE10hipError_tPvRmT1_T2_T3_mT4_P12ihipStream_tbEUlT_E1_NS1_11comp_targetILNS1_3genE5ELNS1_11target_archE942ELNS1_3gpuE9ELNS1_3repE0EEENS1_30default_config_static_selectorELNS0_4arch9wavefront6targetE1EEEvSK_,comdat
.Lfunc_end1047:
	.size	_ZN7rocprim17ROCPRIM_400000_NS6detail17trampoline_kernelINS0_14default_configENS1_22reduce_config_selectorIjEEZNS1_11reduce_implILb1ES3_N6thrust23THRUST_200600_302600_NS17counting_iteratorIjNS8_11hip_rocprim3tagENS8_11use_defaultESC_EEPjjNS8_4plusIjEEEE10hipError_tPvRmT1_T2_T3_mT4_P12ihipStream_tbEUlT_E1_NS1_11comp_targetILNS1_3genE5ELNS1_11target_archE942ELNS1_3gpuE9ELNS1_3repE0EEENS1_30default_config_static_selectorELNS0_4arch9wavefront6targetE1EEEvSK_, .Lfunc_end1047-_ZN7rocprim17ROCPRIM_400000_NS6detail17trampoline_kernelINS0_14default_configENS1_22reduce_config_selectorIjEEZNS1_11reduce_implILb1ES3_N6thrust23THRUST_200600_302600_NS17counting_iteratorIjNS8_11hip_rocprim3tagENS8_11use_defaultESC_EEPjjNS8_4plusIjEEEE10hipError_tPvRmT1_T2_T3_mT4_P12ihipStream_tbEUlT_E1_NS1_11comp_targetILNS1_3genE5ELNS1_11target_archE942ELNS1_3gpuE9ELNS1_3repE0EEENS1_30default_config_static_selectorELNS0_4arch9wavefront6targetE1EEEvSK_
                                        ; -- End function
	.set _ZN7rocprim17ROCPRIM_400000_NS6detail17trampoline_kernelINS0_14default_configENS1_22reduce_config_selectorIjEEZNS1_11reduce_implILb1ES3_N6thrust23THRUST_200600_302600_NS17counting_iteratorIjNS8_11hip_rocprim3tagENS8_11use_defaultESC_EEPjjNS8_4plusIjEEEE10hipError_tPvRmT1_T2_T3_mT4_P12ihipStream_tbEUlT_E1_NS1_11comp_targetILNS1_3genE5ELNS1_11target_archE942ELNS1_3gpuE9ELNS1_3repE0EEENS1_30default_config_static_selectorELNS0_4arch9wavefront6targetE1EEEvSK_.num_vgpr, 0
	.set _ZN7rocprim17ROCPRIM_400000_NS6detail17trampoline_kernelINS0_14default_configENS1_22reduce_config_selectorIjEEZNS1_11reduce_implILb1ES3_N6thrust23THRUST_200600_302600_NS17counting_iteratorIjNS8_11hip_rocprim3tagENS8_11use_defaultESC_EEPjjNS8_4plusIjEEEE10hipError_tPvRmT1_T2_T3_mT4_P12ihipStream_tbEUlT_E1_NS1_11comp_targetILNS1_3genE5ELNS1_11target_archE942ELNS1_3gpuE9ELNS1_3repE0EEENS1_30default_config_static_selectorELNS0_4arch9wavefront6targetE1EEEvSK_.num_agpr, 0
	.set _ZN7rocprim17ROCPRIM_400000_NS6detail17trampoline_kernelINS0_14default_configENS1_22reduce_config_selectorIjEEZNS1_11reduce_implILb1ES3_N6thrust23THRUST_200600_302600_NS17counting_iteratorIjNS8_11hip_rocprim3tagENS8_11use_defaultESC_EEPjjNS8_4plusIjEEEE10hipError_tPvRmT1_T2_T3_mT4_P12ihipStream_tbEUlT_E1_NS1_11comp_targetILNS1_3genE5ELNS1_11target_archE942ELNS1_3gpuE9ELNS1_3repE0EEENS1_30default_config_static_selectorELNS0_4arch9wavefront6targetE1EEEvSK_.numbered_sgpr, 0
	.set _ZN7rocprim17ROCPRIM_400000_NS6detail17trampoline_kernelINS0_14default_configENS1_22reduce_config_selectorIjEEZNS1_11reduce_implILb1ES3_N6thrust23THRUST_200600_302600_NS17counting_iteratorIjNS8_11hip_rocprim3tagENS8_11use_defaultESC_EEPjjNS8_4plusIjEEEE10hipError_tPvRmT1_T2_T3_mT4_P12ihipStream_tbEUlT_E1_NS1_11comp_targetILNS1_3genE5ELNS1_11target_archE942ELNS1_3gpuE9ELNS1_3repE0EEENS1_30default_config_static_selectorELNS0_4arch9wavefront6targetE1EEEvSK_.num_named_barrier, 0
	.set _ZN7rocprim17ROCPRIM_400000_NS6detail17trampoline_kernelINS0_14default_configENS1_22reduce_config_selectorIjEEZNS1_11reduce_implILb1ES3_N6thrust23THRUST_200600_302600_NS17counting_iteratorIjNS8_11hip_rocprim3tagENS8_11use_defaultESC_EEPjjNS8_4plusIjEEEE10hipError_tPvRmT1_T2_T3_mT4_P12ihipStream_tbEUlT_E1_NS1_11comp_targetILNS1_3genE5ELNS1_11target_archE942ELNS1_3gpuE9ELNS1_3repE0EEENS1_30default_config_static_selectorELNS0_4arch9wavefront6targetE1EEEvSK_.private_seg_size, 0
	.set _ZN7rocprim17ROCPRIM_400000_NS6detail17trampoline_kernelINS0_14default_configENS1_22reduce_config_selectorIjEEZNS1_11reduce_implILb1ES3_N6thrust23THRUST_200600_302600_NS17counting_iteratorIjNS8_11hip_rocprim3tagENS8_11use_defaultESC_EEPjjNS8_4plusIjEEEE10hipError_tPvRmT1_T2_T3_mT4_P12ihipStream_tbEUlT_E1_NS1_11comp_targetILNS1_3genE5ELNS1_11target_archE942ELNS1_3gpuE9ELNS1_3repE0EEENS1_30default_config_static_selectorELNS0_4arch9wavefront6targetE1EEEvSK_.uses_vcc, 0
	.set _ZN7rocprim17ROCPRIM_400000_NS6detail17trampoline_kernelINS0_14default_configENS1_22reduce_config_selectorIjEEZNS1_11reduce_implILb1ES3_N6thrust23THRUST_200600_302600_NS17counting_iteratorIjNS8_11hip_rocprim3tagENS8_11use_defaultESC_EEPjjNS8_4plusIjEEEE10hipError_tPvRmT1_T2_T3_mT4_P12ihipStream_tbEUlT_E1_NS1_11comp_targetILNS1_3genE5ELNS1_11target_archE942ELNS1_3gpuE9ELNS1_3repE0EEENS1_30default_config_static_selectorELNS0_4arch9wavefront6targetE1EEEvSK_.uses_flat_scratch, 0
	.set _ZN7rocprim17ROCPRIM_400000_NS6detail17trampoline_kernelINS0_14default_configENS1_22reduce_config_selectorIjEEZNS1_11reduce_implILb1ES3_N6thrust23THRUST_200600_302600_NS17counting_iteratorIjNS8_11hip_rocprim3tagENS8_11use_defaultESC_EEPjjNS8_4plusIjEEEE10hipError_tPvRmT1_T2_T3_mT4_P12ihipStream_tbEUlT_E1_NS1_11comp_targetILNS1_3genE5ELNS1_11target_archE942ELNS1_3gpuE9ELNS1_3repE0EEENS1_30default_config_static_selectorELNS0_4arch9wavefront6targetE1EEEvSK_.has_dyn_sized_stack, 0
	.set _ZN7rocprim17ROCPRIM_400000_NS6detail17trampoline_kernelINS0_14default_configENS1_22reduce_config_selectorIjEEZNS1_11reduce_implILb1ES3_N6thrust23THRUST_200600_302600_NS17counting_iteratorIjNS8_11hip_rocprim3tagENS8_11use_defaultESC_EEPjjNS8_4plusIjEEEE10hipError_tPvRmT1_T2_T3_mT4_P12ihipStream_tbEUlT_E1_NS1_11comp_targetILNS1_3genE5ELNS1_11target_archE942ELNS1_3gpuE9ELNS1_3repE0EEENS1_30default_config_static_selectorELNS0_4arch9wavefront6targetE1EEEvSK_.has_recursion, 0
	.set _ZN7rocprim17ROCPRIM_400000_NS6detail17trampoline_kernelINS0_14default_configENS1_22reduce_config_selectorIjEEZNS1_11reduce_implILb1ES3_N6thrust23THRUST_200600_302600_NS17counting_iteratorIjNS8_11hip_rocprim3tagENS8_11use_defaultESC_EEPjjNS8_4plusIjEEEE10hipError_tPvRmT1_T2_T3_mT4_P12ihipStream_tbEUlT_E1_NS1_11comp_targetILNS1_3genE5ELNS1_11target_archE942ELNS1_3gpuE9ELNS1_3repE0EEENS1_30default_config_static_selectorELNS0_4arch9wavefront6targetE1EEEvSK_.has_indirect_call, 0
	.section	.AMDGPU.csdata,"",@progbits
; Kernel info:
; codeLenInByte = 0
; TotalNumSgprs: 6
; NumVgprs: 0
; NumAgprs: 0
; TotalNumVgprs: 0
; ScratchSize: 0
; MemoryBound: 0
; FloatMode: 240
; IeeeMode: 1
; LDSByteSize: 0 bytes/workgroup (compile time only)
; SGPRBlocks: 0
; VGPRBlocks: 0
; NumSGPRsForWavesPerEU: 6
; NumVGPRsForWavesPerEU: 1
; AccumOffset: 4
; Occupancy: 8
; WaveLimiterHint : 0
; COMPUTE_PGM_RSRC2:SCRATCH_EN: 0
; COMPUTE_PGM_RSRC2:USER_SGPR: 2
; COMPUTE_PGM_RSRC2:TRAP_HANDLER: 0
; COMPUTE_PGM_RSRC2:TGID_X_EN: 1
; COMPUTE_PGM_RSRC2:TGID_Y_EN: 0
; COMPUTE_PGM_RSRC2:TGID_Z_EN: 0
; COMPUTE_PGM_RSRC2:TIDIG_COMP_CNT: 0
; COMPUTE_PGM_RSRC3_GFX90A:ACCUM_OFFSET: 0
; COMPUTE_PGM_RSRC3_GFX90A:TG_SPLIT: 0
	.section	.text._ZN7rocprim17ROCPRIM_400000_NS6detail17trampoline_kernelINS0_14default_configENS1_22reduce_config_selectorIjEEZNS1_11reduce_implILb1ES3_N6thrust23THRUST_200600_302600_NS17counting_iteratorIjNS8_11hip_rocprim3tagENS8_11use_defaultESC_EEPjjNS8_4plusIjEEEE10hipError_tPvRmT1_T2_T3_mT4_P12ihipStream_tbEUlT_E1_NS1_11comp_targetILNS1_3genE4ELNS1_11target_archE910ELNS1_3gpuE8ELNS1_3repE0EEENS1_30default_config_static_selectorELNS0_4arch9wavefront6targetE1EEEvSK_,"axG",@progbits,_ZN7rocprim17ROCPRIM_400000_NS6detail17trampoline_kernelINS0_14default_configENS1_22reduce_config_selectorIjEEZNS1_11reduce_implILb1ES3_N6thrust23THRUST_200600_302600_NS17counting_iteratorIjNS8_11hip_rocprim3tagENS8_11use_defaultESC_EEPjjNS8_4plusIjEEEE10hipError_tPvRmT1_T2_T3_mT4_P12ihipStream_tbEUlT_E1_NS1_11comp_targetILNS1_3genE4ELNS1_11target_archE910ELNS1_3gpuE8ELNS1_3repE0EEENS1_30default_config_static_selectorELNS0_4arch9wavefront6targetE1EEEvSK_,comdat
	.protected	_ZN7rocprim17ROCPRIM_400000_NS6detail17trampoline_kernelINS0_14default_configENS1_22reduce_config_selectorIjEEZNS1_11reduce_implILb1ES3_N6thrust23THRUST_200600_302600_NS17counting_iteratorIjNS8_11hip_rocprim3tagENS8_11use_defaultESC_EEPjjNS8_4plusIjEEEE10hipError_tPvRmT1_T2_T3_mT4_P12ihipStream_tbEUlT_E1_NS1_11comp_targetILNS1_3genE4ELNS1_11target_archE910ELNS1_3gpuE8ELNS1_3repE0EEENS1_30default_config_static_selectorELNS0_4arch9wavefront6targetE1EEEvSK_ ; -- Begin function _ZN7rocprim17ROCPRIM_400000_NS6detail17trampoline_kernelINS0_14default_configENS1_22reduce_config_selectorIjEEZNS1_11reduce_implILb1ES3_N6thrust23THRUST_200600_302600_NS17counting_iteratorIjNS8_11hip_rocprim3tagENS8_11use_defaultESC_EEPjjNS8_4plusIjEEEE10hipError_tPvRmT1_T2_T3_mT4_P12ihipStream_tbEUlT_E1_NS1_11comp_targetILNS1_3genE4ELNS1_11target_archE910ELNS1_3gpuE8ELNS1_3repE0EEENS1_30default_config_static_selectorELNS0_4arch9wavefront6targetE1EEEvSK_
	.globl	_ZN7rocprim17ROCPRIM_400000_NS6detail17trampoline_kernelINS0_14default_configENS1_22reduce_config_selectorIjEEZNS1_11reduce_implILb1ES3_N6thrust23THRUST_200600_302600_NS17counting_iteratorIjNS8_11hip_rocprim3tagENS8_11use_defaultESC_EEPjjNS8_4plusIjEEEE10hipError_tPvRmT1_T2_T3_mT4_P12ihipStream_tbEUlT_E1_NS1_11comp_targetILNS1_3genE4ELNS1_11target_archE910ELNS1_3gpuE8ELNS1_3repE0EEENS1_30default_config_static_selectorELNS0_4arch9wavefront6targetE1EEEvSK_
	.p2align	8
	.type	_ZN7rocprim17ROCPRIM_400000_NS6detail17trampoline_kernelINS0_14default_configENS1_22reduce_config_selectorIjEEZNS1_11reduce_implILb1ES3_N6thrust23THRUST_200600_302600_NS17counting_iteratorIjNS8_11hip_rocprim3tagENS8_11use_defaultESC_EEPjjNS8_4plusIjEEEE10hipError_tPvRmT1_T2_T3_mT4_P12ihipStream_tbEUlT_E1_NS1_11comp_targetILNS1_3genE4ELNS1_11target_archE910ELNS1_3gpuE8ELNS1_3repE0EEENS1_30default_config_static_selectorELNS0_4arch9wavefront6targetE1EEEvSK_,@function
_ZN7rocprim17ROCPRIM_400000_NS6detail17trampoline_kernelINS0_14default_configENS1_22reduce_config_selectorIjEEZNS1_11reduce_implILb1ES3_N6thrust23THRUST_200600_302600_NS17counting_iteratorIjNS8_11hip_rocprim3tagENS8_11use_defaultESC_EEPjjNS8_4plusIjEEEE10hipError_tPvRmT1_T2_T3_mT4_P12ihipStream_tbEUlT_E1_NS1_11comp_targetILNS1_3genE4ELNS1_11target_archE910ELNS1_3gpuE8ELNS1_3repE0EEENS1_30default_config_static_selectorELNS0_4arch9wavefront6targetE1EEEvSK_: ; @_ZN7rocprim17ROCPRIM_400000_NS6detail17trampoline_kernelINS0_14default_configENS1_22reduce_config_selectorIjEEZNS1_11reduce_implILb1ES3_N6thrust23THRUST_200600_302600_NS17counting_iteratorIjNS8_11hip_rocprim3tagENS8_11use_defaultESC_EEPjjNS8_4plusIjEEEE10hipError_tPvRmT1_T2_T3_mT4_P12ihipStream_tbEUlT_E1_NS1_11comp_targetILNS1_3genE4ELNS1_11target_archE910ELNS1_3gpuE8ELNS1_3repE0EEENS1_30default_config_static_selectorELNS0_4arch9wavefront6targetE1EEEvSK_
; %bb.0:
	.section	.rodata,"a",@progbits
	.p2align	6, 0x0
	.amdhsa_kernel _ZN7rocprim17ROCPRIM_400000_NS6detail17trampoline_kernelINS0_14default_configENS1_22reduce_config_selectorIjEEZNS1_11reduce_implILb1ES3_N6thrust23THRUST_200600_302600_NS17counting_iteratorIjNS8_11hip_rocprim3tagENS8_11use_defaultESC_EEPjjNS8_4plusIjEEEE10hipError_tPvRmT1_T2_T3_mT4_P12ihipStream_tbEUlT_E1_NS1_11comp_targetILNS1_3genE4ELNS1_11target_archE910ELNS1_3gpuE8ELNS1_3repE0EEENS1_30default_config_static_selectorELNS0_4arch9wavefront6targetE1EEEvSK_
		.amdhsa_group_segment_fixed_size 0
		.amdhsa_private_segment_fixed_size 0
		.amdhsa_kernarg_size 40
		.amdhsa_user_sgpr_count 2
		.amdhsa_user_sgpr_dispatch_ptr 0
		.amdhsa_user_sgpr_queue_ptr 0
		.amdhsa_user_sgpr_kernarg_segment_ptr 1
		.amdhsa_user_sgpr_dispatch_id 0
		.amdhsa_user_sgpr_kernarg_preload_length 0
		.amdhsa_user_sgpr_kernarg_preload_offset 0
		.amdhsa_user_sgpr_private_segment_size 0
		.amdhsa_uses_dynamic_stack 0
		.amdhsa_enable_private_segment 0
		.amdhsa_system_sgpr_workgroup_id_x 1
		.amdhsa_system_sgpr_workgroup_id_y 0
		.amdhsa_system_sgpr_workgroup_id_z 0
		.amdhsa_system_sgpr_workgroup_info 0
		.amdhsa_system_vgpr_workitem_id 0
		.amdhsa_next_free_vgpr 1
		.amdhsa_next_free_sgpr 0
		.amdhsa_accum_offset 4
		.amdhsa_reserve_vcc 0
		.amdhsa_float_round_mode_32 0
		.amdhsa_float_round_mode_16_64 0
		.amdhsa_float_denorm_mode_32 3
		.amdhsa_float_denorm_mode_16_64 3
		.amdhsa_dx10_clamp 1
		.amdhsa_ieee_mode 1
		.amdhsa_fp16_overflow 0
		.amdhsa_tg_split 0
		.amdhsa_exception_fp_ieee_invalid_op 0
		.amdhsa_exception_fp_denorm_src 0
		.amdhsa_exception_fp_ieee_div_zero 0
		.amdhsa_exception_fp_ieee_overflow 0
		.amdhsa_exception_fp_ieee_underflow 0
		.amdhsa_exception_fp_ieee_inexact 0
		.amdhsa_exception_int_div_zero 0
	.end_amdhsa_kernel
	.section	.text._ZN7rocprim17ROCPRIM_400000_NS6detail17trampoline_kernelINS0_14default_configENS1_22reduce_config_selectorIjEEZNS1_11reduce_implILb1ES3_N6thrust23THRUST_200600_302600_NS17counting_iteratorIjNS8_11hip_rocprim3tagENS8_11use_defaultESC_EEPjjNS8_4plusIjEEEE10hipError_tPvRmT1_T2_T3_mT4_P12ihipStream_tbEUlT_E1_NS1_11comp_targetILNS1_3genE4ELNS1_11target_archE910ELNS1_3gpuE8ELNS1_3repE0EEENS1_30default_config_static_selectorELNS0_4arch9wavefront6targetE1EEEvSK_,"axG",@progbits,_ZN7rocprim17ROCPRIM_400000_NS6detail17trampoline_kernelINS0_14default_configENS1_22reduce_config_selectorIjEEZNS1_11reduce_implILb1ES3_N6thrust23THRUST_200600_302600_NS17counting_iteratorIjNS8_11hip_rocprim3tagENS8_11use_defaultESC_EEPjjNS8_4plusIjEEEE10hipError_tPvRmT1_T2_T3_mT4_P12ihipStream_tbEUlT_E1_NS1_11comp_targetILNS1_3genE4ELNS1_11target_archE910ELNS1_3gpuE8ELNS1_3repE0EEENS1_30default_config_static_selectorELNS0_4arch9wavefront6targetE1EEEvSK_,comdat
.Lfunc_end1048:
	.size	_ZN7rocprim17ROCPRIM_400000_NS6detail17trampoline_kernelINS0_14default_configENS1_22reduce_config_selectorIjEEZNS1_11reduce_implILb1ES3_N6thrust23THRUST_200600_302600_NS17counting_iteratorIjNS8_11hip_rocprim3tagENS8_11use_defaultESC_EEPjjNS8_4plusIjEEEE10hipError_tPvRmT1_T2_T3_mT4_P12ihipStream_tbEUlT_E1_NS1_11comp_targetILNS1_3genE4ELNS1_11target_archE910ELNS1_3gpuE8ELNS1_3repE0EEENS1_30default_config_static_selectorELNS0_4arch9wavefront6targetE1EEEvSK_, .Lfunc_end1048-_ZN7rocprim17ROCPRIM_400000_NS6detail17trampoline_kernelINS0_14default_configENS1_22reduce_config_selectorIjEEZNS1_11reduce_implILb1ES3_N6thrust23THRUST_200600_302600_NS17counting_iteratorIjNS8_11hip_rocprim3tagENS8_11use_defaultESC_EEPjjNS8_4plusIjEEEE10hipError_tPvRmT1_T2_T3_mT4_P12ihipStream_tbEUlT_E1_NS1_11comp_targetILNS1_3genE4ELNS1_11target_archE910ELNS1_3gpuE8ELNS1_3repE0EEENS1_30default_config_static_selectorELNS0_4arch9wavefront6targetE1EEEvSK_
                                        ; -- End function
	.set _ZN7rocprim17ROCPRIM_400000_NS6detail17trampoline_kernelINS0_14default_configENS1_22reduce_config_selectorIjEEZNS1_11reduce_implILb1ES3_N6thrust23THRUST_200600_302600_NS17counting_iteratorIjNS8_11hip_rocprim3tagENS8_11use_defaultESC_EEPjjNS8_4plusIjEEEE10hipError_tPvRmT1_T2_T3_mT4_P12ihipStream_tbEUlT_E1_NS1_11comp_targetILNS1_3genE4ELNS1_11target_archE910ELNS1_3gpuE8ELNS1_3repE0EEENS1_30default_config_static_selectorELNS0_4arch9wavefront6targetE1EEEvSK_.num_vgpr, 0
	.set _ZN7rocprim17ROCPRIM_400000_NS6detail17trampoline_kernelINS0_14default_configENS1_22reduce_config_selectorIjEEZNS1_11reduce_implILb1ES3_N6thrust23THRUST_200600_302600_NS17counting_iteratorIjNS8_11hip_rocprim3tagENS8_11use_defaultESC_EEPjjNS8_4plusIjEEEE10hipError_tPvRmT1_T2_T3_mT4_P12ihipStream_tbEUlT_E1_NS1_11comp_targetILNS1_3genE4ELNS1_11target_archE910ELNS1_3gpuE8ELNS1_3repE0EEENS1_30default_config_static_selectorELNS0_4arch9wavefront6targetE1EEEvSK_.num_agpr, 0
	.set _ZN7rocprim17ROCPRIM_400000_NS6detail17trampoline_kernelINS0_14default_configENS1_22reduce_config_selectorIjEEZNS1_11reduce_implILb1ES3_N6thrust23THRUST_200600_302600_NS17counting_iteratorIjNS8_11hip_rocprim3tagENS8_11use_defaultESC_EEPjjNS8_4plusIjEEEE10hipError_tPvRmT1_T2_T3_mT4_P12ihipStream_tbEUlT_E1_NS1_11comp_targetILNS1_3genE4ELNS1_11target_archE910ELNS1_3gpuE8ELNS1_3repE0EEENS1_30default_config_static_selectorELNS0_4arch9wavefront6targetE1EEEvSK_.numbered_sgpr, 0
	.set _ZN7rocprim17ROCPRIM_400000_NS6detail17trampoline_kernelINS0_14default_configENS1_22reduce_config_selectorIjEEZNS1_11reduce_implILb1ES3_N6thrust23THRUST_200600_302600_NS17counting_iteratorIjNS8_11hip_rocprim3tagENS8_11use_defaultESC_EEPjjNS8_4plusIjEEEE10hipError_tPvRmT1_T2_T3_mT4_P12ihipStream_tbEUlT_E1_NS1_11comp_targetILNS1_3genE4ELNS1_11target_archE910ELNS1_3gpuE8ELNS1_3repE0EEENS1_30default_config_static_selectorELNS0_4arch9wavefront6targetE1EEEvSK_.num_named_barrier, 0
	.set _ZN7rocprim17ROCPRIM_400000_NS6detail17trampoline_kernelINS0_14default_configENS1_22reduce_config_selectorIjEEZNS1_11reduce_implILb1ES3_N6thrust23THRUST_200600_302600_NS17counting_iteratorIjNS8_11hip_rocprim3tagENS8_11use_defaultESC_EEPjjNS8_4plusIjEEEE10hipError_tPvRmT1_T2_T3_mT4_P12ihipStream_tbEUlT_E1_NS1_11comp_targetILNS1_3genE4ELNS1_11target_archE910ELNS1_3gpuE8ELNS1_3repE0EEENS1_30default_config_static_selectorELNS0_4arch9wavefront6targetE1EEEvSK_.private_seg_size, 0
	.set _ZN7rocprim17ROCPRIM_400000_NS6detail17trampoline_kernelINS0_14default_configENS1_22reduce_config_selectorIjEEZNS1_11reduce_implILb1ES3_N6thrust23THRUST_200600_302600_NS17counting_iteratorIjNS8_11hip_rocprim3tagENS8_11use_defaultESC_EEPjjNS8_4plusIjEEEE10hipError_tPvRmT1_T2_T3_mT4_P12ihipStream_tbEUlT_E1_NS1_11comp_targetILNS1_3genE4ELNS1_11target_archE910ELNS1_3gpuE8ELNS1_3repE0EEENS1_30default_config_static_selectorELNS0_4arch9wavefront6targetE1EEEvSK_.uses_vcc, 0
	.set _ZN7rocprim17ROCPRIM_400000_NS6detail17trampoline_kernelINS0_14default_configENS1_22reduce_config_selectorIjEEZNS1_11reduce_implILb1ES3_N6thrust23THRUST_200600_302600_NS17counting_iteratorIjNS8_11hip_rocprim3tagENS8_11use_defaultESC_EEPjjNS8_4plusIjEEEE10hipError_tPvRmT1_T2_T3_mT4_P12ihipStream_tbEUlT_E1_NS1_11comp_targetILNS1_3genE4ELNS1_11target_archE910ELNS1_3gpuE8ELNS1_3repE0EEENS1_30default_config_static_selectorELNS0_4arch9wavefront6targetE1EEEvSK_.uses_flat_scratch, 0
	.set _ZN7rocprim17ROCPRIM_400000_NS6detail17trampoline_kernelINS0_14default_configENS1_22reduce_config_selectorIjEEZNS1_11reduce_implILb1ES3_N6thrust23THRUST_200600_302600_NS17counting_iteratorIjNS8_11hip_rocprim3tagENS8_11use_defaultESC_EEPjjNS8_4plusIjEEEE10hipError_tPvRmT1_T2_T3_mT4_P12ihipStream_tbEUlT_E1_NS1_11comp_targetILNS1_3genE4ELNS1_11target_archE910ELNS1_3gpuE8ELNS1_3repE0EEENS1_30default_config_static_selectorELNS0_4arch9wavefront6targetE1EEEvSK_.has_dyn_sized_stack, 0
	.set _ZN7rocprim17ROCPRIM_400000_NS6detail17trampoline_kernelINS0_14default_configENS1_22reduce_config_selectorIjEEZNS1_11reduce_implILb1ES3_N6thrust23THRUST_200600_302600_NS17counting_iteratorIjNS8_11hip_rocprim3tagENS8_11use_defaultESC_EEPjjNS8_4plusIjEEEE10hipError_tPvRmT1_T2_T3_mT4_P12ihipStream_tbEUlT_E1_NS1_11comp_targetILNS1_3genE4ELNS1_11target_archE910ELNS1_3gpuE8ELNS1_3repE0EEENS1_30default_config_static_selectorELNS0_4arch9wavefront6targetE1EEEvSK_.has_recursion, 0
	.set _ZN7rocprim17ROCPRIM_400000_NS6detail17trampoline_kernelINS0_14default_configENS1_22reduce_config_selectorIjEEZNS1_11reduce_implILb1ES3_N6thrust23THRUST_200600_302600_NS17counting_iteratorIjNS8_11hip_rocprim3tagENS8_11use_defaultESC_EEPjjNS8_4plusIjEEEE10hipError_tPvRmT1_T2_T3_mT4_P12ihipStream_tbEUlT_E1_NS1_11comp_targetILNS1_3genE4ELNS1_11target_archE910ELNS1_3gpuE8ELNS1_3repE0EEENS1_30default_config_static_selectorELNS0_4arch9wavefront6targetE1EEEvSK_.has_indirect_call, 0
	.section	.AMDGPU.csdata,"",@progbits
; Kernel info:
; codeLenInByte = 0
; TotalNumSgprs: 6
; NumVgprs: 0
; NumAgprs: 0
; TotalNumVgprs: 0
; ScratchSize: 0
; MemoryBound: 0
; FloatMode: 240
; IeeeMode: 1
; LDSByteSize: 0 bytes/workgroup (compile time only)
; SGPRBlocks: 0
; VGPRBlocks: 0
; NumSGPRsForWavesPerEU: 6
; NumVGPRsForWavesPerEU: 1
; AccumOffset: 4
; Occupancy: 8
; WaveLimiterHint : 0
; COMPUTE_PGM_RSRC2:SCRATCH_EN: 0
; COMPUTE_PGM_RSRC2:USER_SGPR: 2
; COMPUTE_PGM_RSRC2:TRAP_HANDLER: 0
; COMPUTE_PGM_RSRC2:TGID_X_EN: 1
; COMPUTE_PGM_RSRC2:TGID_Y_EN: 0
; COMPUTE_PGM_RSRC2:TGID_Z_EN: 0
; COMPUTE_PGM_RSRC2:TIDIG_COMP_CNT: 0
; COMPUTE_PGM_RSRC3_GFX90A:ACCUM_OFFSET: 0
; COMPUTE_PGM_RSRC3_GFX90A:TG_SPLIT: 0
	.section	.text._ZN7rocprim17ROCPRIM_400000_NS6detail17trampoline_kernelINS0_14default_configENS1_22reduce_config_selectorIjEEZNS1_11reduce_implILb1ES3_N6thrust23THRUST_200600_302600_NS17counting_iteratorIjNS8_11hip_rocprim3tagENS8_11use_defaultESC_EEPjjNS8_4plusIjEEEE10hipError_tPvRmT1_T2_T3_mT4_P12ihipStream_tbEUlT_E1_NS1_11comp_targetILNS1_3genE3ELNS1_11target_archE908ELNS1_3gpuE7ELNS1_3repE0EEENS1_30default_config_static_selectorELNS0_4arch9wavefront6targetE1EEEvSK_,"axG",@progbits,_ZN7rocprim17ROCPRIM_400000_NS6detail17trampoline_kernelINS0_14default_configENS1_22reduce_config_selectorIjEEZNS1_11reduce_implILb1ES3_N6thrust23THRUST_200600_302600_NS17counting_iteratorIjNS8_11hip_rocprim3tagENS8_11use_defaultESC_EEPjjNS8_4plusIjEEEE10hipError_tPvRmT1_T2_T3_mT4_P12ihipStream_tbEUlT_E1_NS1_11comp_targetILNS1_3genE3ELNS1_11target_archE908ELNS1_3gpuE7ELNS1_3repE0EEENS1_30default_config_static_selectorELNS0_4arch9wavefront6targetE1EEEvSK_,comdat
	.protected	_ZN7rocprim17ROCPRIM_400000_NS6detail17trampoline_kernelINS0_14default_configENS1_22reduce_config_selectorIjEEZNS1_11reduce_implILb1ES3_N6thrust23THRUST_200600_302600_NS17counting_iteratorIjNS8_11hip_rocprim3tagENS8_11use_defaultESC_EEPjjNS8_4plusIjEEEE10hipError_tPvRmT1_T2_T3_mT4_P12ihipStream_tbEUlT_E1_NS1_11comp_targetILNS1_3genE3ELNS1_11target_archE908ELNS1_3gpuE7ELNS1_3repE0EEENS1_30default_config_static_selectorELNS0_4arch9wavefront6targetE1EEEvSK_ ; -- Begin function _ZN7rocprim17ROCPRIM_400000_NS6detail17trampoline_kernelINS0_14default_configENS1_22reduce_config_selectorIjEEZNS1_11reduce_implILb1ES3_N6thrust23THRUST_200600_302600_NS17counting_iteratorIjNS8_11hip_rocprim3tagENS8_11use_defaultESC_EEPjjNS8_4plusIjEEEE10hipError_tPvRmT1_T2_T3_mT4_P12ihipStream_tbEUlT_E1_NS1_11comp_targetILNS1_3genE3ELNS1_11target_archE908ELNS1_3gpuE7ELNS1_3repE0EEENS1_30default_config_static_selectorELNS0_4arch9wavefront6targetE1EEEvSK_
	.globl	_ZN7rocprim17ROCPRIM_400000_NS6detail17trampoline_kernelINS0_14default_configENS1_22reduce_config_selectorIjEEZNS1_11reduce_implILb1ES3_N6thrust23THRUST_200600_302600_NS17counting_iteratorIjNS8_11hip_rocprim3tagENS8_11use_defaultESC_EEPjjNS8_4plusIjEEEE10hipError_tPvRmT1_T2_T3_mT4_P12ihipStream_tbEUlT_E1_NS1_11comp_targetILNS1_3genE3ELNS1_11target_archE908ELNS1_3gpuE7ELNS1_3repE0EEENS1_30default_config_static_selectorELNS0_4arch9wavefront6targetE1EEEvSK_
	.p2align	8
	.type	_ZN7rocprim17ROCPRIM_400000_NS6detail17trampoline_kernelINS0_14default_configENS1_22reduce_config_selectorIjEEZNS1_11reduce_implILb1ES3_N6thrust23THRUST_200600_302600_NS17counting_iteratorIjNS8_11hip_rocprim3tagENS8_11use_defaultESC_EEPjjNS8_4plusIjEEEE10hipError_tPvRmT1_T2_T3_mT4_P12ihipStream_tbEUlT_E1_NS1_11comp_targetILNS1_3genE3ELNS1_11target_archE908ELNS1_3gpuE7ELNS1_3repE0EEENS1_30default_config_static_selectorELNS0_4arch9wavefront6targetE1EEEvSK_,@function
_ZN7rocprim17ROCPRIM_400000_NS6detail17trampoline_kernelINS0_14default_configENS1_22reduce_config_selectorIjEEZNS1_11reduce_implILb1ES3_N6thrust23THRUST_200600_302600_NS17counting_iteratorIjNS8_11hip_rocprim3tagENS8_11use_defaultESC_EEPjjNS8_4plusIjEEEE10hipError_tPvRmT1_T2_T3_mT4_P12ihipStream_tbEUlT_E1_NS1_11comp_targetILNS1_3genE3ELNS1_11target_archE908ELNS1_3gpuE7ELNS1_3repE0EEENS1_30default_config_static_selectorELNS0_4arch9wavefront6targetE1EEEvSK_: ; @_ZN7rocprim17ROCPRIM_400000_NS6detail17trampoline_kernelINS0_14default_configENS1_22reduce_config_selectorIjEEZNS1_11reduce_implILb1ES3_N6thrust23THRUST_200600_302600_NS17counting_iteratorIjNS8_11hip_rocprim3tagENS8_11use_defaultESC_EEPjjNS8_4plusIjEEEE10hipError_tPvRmT1_T2_T3_mT4_P12ihipStream_tbEUlT_E1_NS1_11comp_targetILNS1_3genE3ELNS1_11target_archE908ELNS1_3gpuE7ELNS1_3repE0EEENS1_30default_config_static_selectorELNS0_4arch9wavefront6targetE1EEEvSK_
; %bb.0:
	.section	.rodata,"a",@progbits
	.p2align	6, 0x0
	.amdhsa_kernel _ZN7rocprim17ROCPRIM_400000_NS6detail17trampoline_kernelINS0_14default_configENS1_22reduce_config_selectorIjEEZNS1_11reduce_implILb1ES3_N6thrust23THRUST_200600_302600_NS17counting_iteratorIjNS8_11hip_rocprim3tagENS8_11use_defaultESC_EEPjjNS8_4plusIjEEEE10hipError_tPvRmT1_T2_T3_mT4_P12ihipStream_tbEUlT_E1_NS1_11comp_targetILNS1_3genE3ELNS1_11target_archE908ELNS1_3gpuE7ELNS1_3repE0EEENS1_30default_config_static_selectorELNS0_4arch9wavefront6targetE1EEEvSK_
		.amdhsa_group_segment_fixed_size 0
		.amdhsa_private_segment_fixed_size 0
		.amdhsa_kernarg_size 40
		.amdhsa_user_sgpr_count 2
		.amdhsa_user_sgpr_dispatch_ptr 0
		.amdhsa_user_sgpr_queue_ptr 0
		.amdhsa_user_sgpr_kernarg_segment_ptr 1
		.amdhsa_user_sgpr_dispatch_id 0
		.amdhsa_user_sgpr_kernarg_preload_length 0
		.amdhsa_user_sgpr_kernarg_preload_offset 0
		.amdhsa_user_sgpr_private_segment_size 0
		.amdhsa_uses_dynamic_stack 0
		.amdhsa_enable_private_segment 0
		.amdhsa_system_sgpr_workgroup_id_x 1
		.amdhsa_system_sgpr_workgroup_id_y 0
		.amdhsa_system_sgpr_workgroup_id_z 0
		.amdhsa_system_sgpr_workgroup_info 0
		.amdhsa_system_vgpr_workitem_id 0
		.amdhsa_next_free_vgpr 1
		.amdhsa_next_free_sgpr 0
		.amdhsa_accum_offset 4
		.amdhsa_reserve_vcc 0
		.amdhsa_float_round_mode_32 0
		.amdhsa_float_round_mode_16_64 0
		.amdhsa_float_denorm_mode_32 3
		.amdhsa_float_denorm_mode_16_64 3
		.amdhsa_dx10_clamp 1
		.amdhsa_ieee_mode 1
		.amdhsa_fp16_overflow 0
		.amdhsa_tg_split 0
		.amdhsa_exception_fp_ieee_invalid_op 0
		.amdhsa_exception_fp_denorm_src 0
		.amdhsa_exception_fp_ieee_div_zero 0
		.amdhsa_exception_fp_ieee_overflow 0
		.amdhsa_exception_fp_ieee_underflow 0
		.amdhsa_exception_fp_ieee_inexact 0
		.amdhsa_exception_int_div_zero 0
	.end_amdhsa_kernel
	.section	.text._ZN7rocprim17ROCPRIM_400000_NS6detail17trampoline_kernelINS0_14default_configENS1_22reduce_config_selectorIjEEZNS1_11reduce_implILb1ES3_N6thrust23THRUST_200600_302600_NS17counting_iteratorIjNS8_11hip_rocprim3tagENS8_11use_defaultESC_EEPjjNS8_4plusIjEEEE10hipError_tPvRmT1_T2_T3_mT4_P12ihipStream_tbEUlT_E1_NS1_11comp_targetILNS1_3genE3ELNS1_11target_archE908ELNS1_3gpuE7ELNS1_3repE0EEENS1_30default_config_static_selectorELNS0_4arch9wavefront6targetE1EEEvSK_,"axG",@progbits,_ZN7rocprim17ROCPRIM_400000_NS6detail17trampoline_kernelINS0_14default_configENS1_22reduce_config_selectorIjEEZNS1_11reduce_implILb1ES3_N6thrust23THRUST_200600_302600_NS17counting_iteratorIjNS8_11hip_rocprim3tagENS8_11use_defaultESC_EEPjjNS8_4plusIjEEEE10hipError_tPvRmT1_T2_T3_mT4_P12ihipStream_tbEUlT_E1_NS1_11comp_targetILNS1_3genE3ELNS1_11target_archE908ELNS1_3gpuE7ELNS1_3repE0EEENS1_30default_config_static_selectorELNS0_4arch9wavefront6targetE1EEEvSK_,comdat
.Lfunc_end1049:
	.size	_ZN7rocprim17ROCPRIM_400000_NS6detail17trampoline_kernelINS0_14default_configENS1_22reduce_config_selectorIjEEZNS1_11reduce_implILb1ES3_N6thrust23THRUST_200600_302600_NS17counting_iteratorIjNS8_11hip_rocprim3tagENS8_11use_defaultESC_EEPjjNS8_4plusIjEEEE10hipError_tPvRmT1_T2_T3_mT4_P12ihipStream_tbEUlT_E1_NS1_11comp_targetILNS1_3genE3ELNS1_11target_archE908ELNS1_3gpuE7ELNS1_3repE0EEENS1_30default_config_static_selectorELNS0_4arch9wavefront6targetE1EEEvSK_, .Lfunc_end1049-_ZN7rocprim17ROCPRIM_400000_NS6detail17trampoline_kernelINS0_14default_configENS1_22reduce_config_selectorIjEEZNS1_11reduce_implILb1ES3_N6thrust23THRUST_200600_302600_NS17counting_iteratorIjNS8_11hip_rocprim3tagENS8_11use_defaultESC_EEPjjNS8_4plusIjEEEE10hipError_tPvRmT1_T2_T3_mT4_P12ihipStream_tbEUlT_E1_NS1_11comp_targetILNS1_3genE3ELNS1_11target_archE908ELNS1_3gpuE7ELNS1_3repE0EEENS1_30default_config_static_selectorELNS0_4arch9wavefront6targetE1EEEvSK_
                                        ; -- End function
	.set _ZN7rocprim17ROCPRIM_400000_NS6detail17trampoline_kernelINS0_14default_configENS1_22reduce_config_selectorIjEEZNS1_11reduce_implILb1ES3_N6thrust23THRUST_200600_302600_NS17counting_iteratorIjNS8_11hip_rocprim3tagENS8_11use_defaultESC_EEPjjNS8_4plusIjEEEE10hipError_tPvRmT1_T2_T3_mT4_P12ihipStream_tbEUlT_E1_NS1_11comp_targetILNS1_3genE3ELNS1_11target_archE908ELNS1_3gpuE7ELNS1_3repE0EEENS1_30default_config_static_selectorELNS0_4arch9wavefront6targetE1EEEvSK_.num_vgpr, 0
	.set _ZN7rocprim17ROCPRIM_400000_NS6detail17trampoline_kernelINS0_14default_configENS1_22reduce_config_selectorIjEEZNS1_11reduce_implILb1ES3_N6thrust23THRUST_200600_302600_NS17counting_iteratorIjNS8_11hip_rocprim3tagENS8_11use_defaultESC_EEPjjNS8_4plusIjEEEE10hipError_tPvRmT1_T2_T3_mT4_P12ihipStream_tbEUlT_E1_NS1_11comp_targetILNS1_3genE3ELNS1_11target_archE908ELNS1_3gpuE7ELNS1_3repE0EEENS1_30default_config_static_selectorELNS0_4arch9wavefront6targetE1EEEvSK_.num_agpr, 0
	.set _ZN7rocprim17ROCPRIM_400000_NS6detail17trampoline_kernelINS0_14default_configENS1_22reduce_config_selectorIjEEZNS1_11reduce_implILb1ES3_N6thrust23THRUST_200600_302600_NS17counting_iteratorIjNS8_11hip_rocprim3tagENS8_11use_defaultESC_EEPjjNS8_4plusIjEEEE10hipError_tPvRmT1_T2_T3_mT4_P12ihipStream_tbEUlT_E1_NS1_11comp_targetILNS1_3genE3ELNS1_11target_archE908ELNS1_3gpuE7ELNS1_3repE0EEENS1_30default_config_static_selectorELNS0_4arch9wavefront6targetE1EEEvSK_.numbered_sgpr, 0
	.set _ZN7rocprim17ROCPRIM_400000_NS6detail17trampoline_kernelINS0_14default_configENS1_22reduce_config_selectorIjEEZNS1_11reduce_implILb1ES3_N6thrust23THRUST_200600_302600_NS17counting_iteratorIjNS8_11hip_rocprim3tagENS8_11use_defaultESC_EEPjjNS8_4plusIjEEEE10hipError_tPvRmT1_T2_T3_mT4_P12ihipStream_tbEUlT_E1_NS1_11comp_targetILNS1_3genE3ELNS1_11target_archE908ELNS1_3gpuE7ELNS1_3repE0EEENS1_30default_config_static_selectorELNS0_4arch9wavefront6targetE1EEEvSK_.num_named_barrier, 0
	.set _ZN7rocprim17ROCPRIM_400000_NS6detail17trampoline_kernelINS0_14default_configENS1_22reduce_config_selectorIjEEZNS1_11reduce_implILb1ES3_N6thrust23THRUST_200600_302600_NS17counting_iteratorIjNS8_11hip_rocprim3tagENS8_11use_defaultESC_EEPjjNS8_4plusIjEEEE10hipError_tPvRmT1_T2_T3_mT4_P12ihipStream_tbEUlT_E1_NS1_11comp_targetILNS1_3genE3ELNS1_11target_archE908ELNS1_3gpuE7ELNS1_3repE0EEENS1_30default_config_static_selectorELNS0_4arch9wavefront6targetE1EEEvSK_.private_seg_size, 0
	.set _ZN7rocprim17ROCPRIM_400000_NS6detail17trampoline_kernelINS0_14default_configENS1_22reduce_config_selectorIjEEZNS1_11reduce_implILb1ES3_N6thrust23THRUST_200600_302600_NS17counting_iteratorIjNS8_11hip_rocprim3tagENS8_11use_defaultESC_EEPjjNS8_4plusIjEEEE10hipError_tPvRmT1_T2_T3_mT4_P12ihipStream_tbEUlT_E1_NS1_11comp_targetILNS1_3genE3ELNS1_11target_archE908ELNS1_3gpuE7ELNS1_3repE0EEENS1_30default_config_static_selectorELNS0_4arch9wavefront6targetE1EEEvSK_.uses_vcc, 0
	.set _ZN7rocprim17ROCPRIM_400000_NS6detail17trampoline_kernelINS0_14default_configENS1_22reduce_config_selectorIjEEZNS1_11reduce_implILb1ES3_N6thrust23THRUST_200600_302600_NS17counting_iteratorIjNS8_11hip_rocprim3tagENS8_11use_defaultESC_EEPjjNS8_4plusIjEEEE10hipError_tPvRmT1_T2_T3_mT4_P12ihipStream_tbEUlT_E1_NS1_11comp_targetILNS1_3genE3ELNS1_11target_archE908ELNS1_3gpuE7ELNS1_3repE0EEENS1_30default_config_static_selectorELNS0_4arch9wavefront6targetE1EEEvSK_.uses_flat_scratch, 0
	.set _ZN7rocprim17ROCPRIM_400000_NS6detail17trampoline_kernelINS0_14default_configENS1_22reduce_config_selectorIjEEZNS1_11reduce_implILb1ES3_N6thrust23THRUST_200600_302600_NS17counting_iteratorIjNS8_11hip_rocprim3tagENS8_11use_defaultESC_EEPjjNS8_4plusIjEEEE10hipError_tPvRmT1_T2_T3_mT4_P12ihipStream_tbEUlT_E1_NS1_11comp_targetILNS1_3genE3ELNS1_11target_archE908ELNS1_3gpuE7ELNS1_3repE0EEENS1_30default_config_static_selectorELNS0_4arch9wavefront6targetE1EEEvSK_.has_dyn_sized_stack, 0
	.set _ZN7rocprim17ROCPRIM_400000_NS6detail17trampoline_kernelINS0_14default_configENS1_22reduce_config_selectorIjEEZNS1_11reduce_implILb1ES3_N6thrust23THRUST_200600_302600_NS17counting_iteratorIjNS8_11hip_rocprim3tagENS8_11use_defaultESC_EEPjjNS8_4plusIjEEEE10hipError_tPvRmT1_T2_T3_mT4_P12ihipStream_tbEUlT_E1_NS1_11comp_targetILNS1_3genE3ELNS1_11target_archE908ELNS1_3gpuE7ELNS1_3repE0EEENS1_30default_config_static_selectorELNS0_4arch9wavefront6targetE1EEEvSK_.has_recursion, 0
	.set _ZN7rocprim17ROCPRIM_400000_NS6detail17trampoline_kernelINS0_14default_configENS1_22reduce_config_selectorIjEEZNS1_11reduce_implILb1ES3_N6thrust23THRUST_200600_302600_NS17counting_iteratorIjNS8_11hip_rocprim3tagENS8_11use_defaultESC_EEPjjNS8_4plusIjEEEE10hipError_tPvRmT1_T2_T3_mT4_P12ihipStream_tbEUlT_E1_NS1_11comp_targetILNS1_3genE3ELNS1_11target_archE908ELNS1_3gpuE7ELNS1_3repE0EEENS1_30default_config_static_selectorELNS0_4arch9wavefront6targetE1EEEvSK_.has_indirect_call, 0
	.section	.AMDGPU.csdata,"",@progbits
; Kernel info:
; codeLenInByte = 0
; TotalNumSgprs: 6
; NumVgprs: 0
; NumAgprs: 0
; TotalNumVgprs: 0
; ScratchSize: 0
; MemoryBound: 0
; FloatMode: 240
; IeeeMode: 1
; LDSByteSize: 0 bytes/workgroup (compile time only)
; SGPRBlocks: 0
; VGPRBlocks: 0
; NumSGPRsForWavesPerEU: 6
; NumVGPRsForWavesPerEU: 1
; AccumOffset: 4
; Occupancy: 8
; WaveLimiterHint : 0
; COMPUTE_PGM_RSRC2:SCRATCH_EN: 0
; COMPUTE_PGM_RSRC2:USER_SGPR: 2
; COMPUTE_PGM_RSRC2:TRAP_HANDLER: 0
; COMPUTE_PGM_RSRC2:TGID_X_EN: 1
; COMPUTE_PGM_RSRC2:TGID_Y_EN: 0
; COMPUTE_PGM_RSRC2:TGID_Z_EN: 0
; COMPUTE_PGM_RSRC2:TIDIG_COMP_CNT: 0
; COMPUTE_PGM_RSRC3_GFX90A:ACCUM_OFFSET: 0
; COMPUTE_PGM_RSRC3_GFX90A:TG_SPLIT: 0
	.section	.text._ZN7rocprim17ROCPRIM_400000_NS6detail17trampoline_kernelINS0_14default_configENS1_22reduce_config_selectorIjEEZNS1_11reduce_implILb1ES3_N6thrust23THRUST_200600_302600_NS17counting_iteratorIjNS8_11hip_rocprim3tagENS8_11use_defaultESC_EEPjjNS8_4plusIjEEEE10hipError_tPvRmT1_T2_T3_mT4_P12ihipStream_tbEUlT_E1_NS1_11comp_targetILNS1_3genE2ELNS1_11target_archE906ELNS1_3gpuE6ELNS1_3repE0EEENS1_30default_config_static_selectorELNS0_4arch9wavefront6targetE1EEEvSK_,"axG",@progbits,_ZN7rocprim17ROCPRIM_400000_NS6detail17trampoline_kernelINS0_14default_configENS1_22reduce_config_selectorIjEEZNS1_11reduce_implILb1ES3_N6thrust23THRUST_200600_302600_NS17counting_iteratorIjNS8_11hip_rocprim3tagENS8_11use_defaultESC_EEPjjNS8_4plusIjEEEE10hipError_tPvRmT1_T2_T3_mT4_P12ihipStream_tbEUlT_E1_NS1_11comp_targetILNS1_3genE2ELNS1_11target_archE906ELNS1_3gpuE6ELNS1_3repE0EEENS1_30default_config_static_selectorELNS0_4arch9wavefront6targetE1EEEvSK_,comdat
	.protected	_ZN7rocprim17ROCPRIM_400000_NS6detail17trampoline_kernelINS0_14default_configENS1_22reduce_config_selectorIjEEZNS1_11reduce_implILb1ES3_N6thrust23THRUST_200600_302600_NS17counting_iteratorIjNS8_11hip_rocprim3tagENS8_11use_defaultESC_EEPjjNS8_4plusIjEEEE10hipError_tPvRmT1_T2_T3_mT4_P12ihipStream_tbEUlT_E1_NS1_11comp_targetILNS1_3genE2ELNS1_11target_archE906ELNS1_3gpuE6ELNS1_3repE0EEENS1_30default_config_static_selectorELNS0_4arch9wavefront6targetE1EEEvSK_ ; -- Begin function _ZN7rocprim17ROCPRIM_400000_NS6detail17trampoline_kernelINS0_14default_configENS1_22reduce_config_selectorIjEEZNS1_11reduce_implILb1ES3_N6thrust23THRUST_200600_302600_NS17counting_iteratorIjNS8_11hip_rocprim3tagENS8_11use_defaultESC_EEPjjNS8_4plusIjEEEE10hipError_tPvRmT1_T2_T3_mT4_P12ihipStream_tbEUlT_E1_NS1_11comp_targetILNS1_3genE2ELNS1_11target_archE906ELNS1_3gpuE6ELNS1_3repE0EEENS1_30default_config_static_selectorELNS0_4arch9wavefront6targetE1EEEvSK_
	.globl	_ZN7rocprim17ROCPRIM_400000_NS6detail17trampoline_kernelINS0_14default_configENS1_22reduce_config_selectorIjEEZNS1_11reduce_implILb1ES3_N6thrust23THRUST_200600_302600_NS17counting_iteratorIjNS8_11hip_rocprim3tagENS8_11use_defaultESC_EEPjjNS8_4plusIjEEEE10hipError_tPvRmT1_T2_T3_mT4_P12ihipStream_tbEUlT_E1_NS1_11comp_targetILNS1_3genE2ELNS1_11target_archE906ELNS1_3gpuE6ELNS1_3repE0EEENS1_30default_config_static_selectorELNS0_4arch9wavefront6targetE1EEEvSK_
	.p2align	8
	.type	_ZN7rocprim17ROCPRIM_400000_NS6detail17trampoline_kernelINS0_14default_configENS1_22reduce_config_selectorIjEEZNS1_11reduce_implILb1ES3_N6thrust23THRUST_200600_302600_NS17counting_iteratorIjNS8_11hip_rocprim3tagENS8_11use_defaultESC_EEPjjNS8_4plusIjEEEE10hipError_tPvRmT1_T2_T3_mT4_P12ihipStream_tbEUlT_E1_NS1_11comp_targetILNS1_3genE2ELNS1_11target_archE906ELNS1_3gpuE6ELNS1_3repE0EEENS1_30default_config_static_selectorELNS0_4arch9wavefront6targetE1EEEvSK_,@function
_ZN7rocprim17ROCPRIM_400000_NS6detail17trampoline_kernelINS0_14default_configENS1_22reduce_config_selectorIjEEZNS1_11reduce_implILb1ES3_N6thrust23THRUST_200600_302600_NS17counting_iteratorIjNS8_11hip_rocprim3tagENS8_11use_defaultESC_EEPjjNS8_4plusIjEEEE10hipError_tPvRmT1_T2_T3_mT4_P12ihipStream_tbEUlT_E1_NS1_11comp_targetILNS1_3genE2ELNS1_11target_archE906ELNS1_3gpuE6ELNS1_3repE0EEENS1_30default_config_static_selectorELNS0_4arch9wavefront6targetE1EEEvSK_: ; @_ZN7rocprim17ROCPRIM_400000_NS6detail17trampoline_kernelINS0_14default_configENS1_22reduce_config_selectorIjEEZNS1_11reduce_implILb1ES3_N6thrust23THRUST_200600_302600_NS17counting_iteratorIjNS8_11hip_rocprim3tagENS8_11use_defaultESC_EEPjjNS8_4plusIjEEEE10hipError_tPvRmT1_T2_T3_mT4_P12ihipStream_tbEUlT_E1_NS1_11comp_targetILNS1_3genE2ELNS1_11target_archE906ELNS1_3gpuE6ELNS1_3repE0EEENS1_30default_config_static_selectorELNS0_4arch9wavefront6targetE1EEEvSK_
; %bb.0:
	.section	.rodata,"a",@progbits
	.p2align	6, 0x0
	.amdhsa_kernel _ZN7rocprim17ROCPRIM_400000_NS6detail17trampoline_kernelINS0_14default_configENS1_22reduce_config_selectorIjEEZNS1_11reduce_implILb1ES3_N6thrust23THRUST_200600_302600_NS17counting_iteratorIjNS8_11hip_rocprim3tagENS8_11use_defaultESC_EEPjjNS8_4plusIjEEEE10hipError_tPvRmT1_T2_T3_mT4_P12ihipStream_tbEUlT_E1_NS1_11comp_targetILNS1_3genE2ELNS1_11target_archE906ELNS1_3gpuE6ELNS1_3repE0EEENS1_30default_config_static_selectorELNS0_4arch9wavefront6targetE1EEEvSK_
		.amdhsa_group_segment_fixed_size 0
		.amdhsa_private_segment_fixed_size 0
		.amdhsa_kernarg_size 40
		.amdhsa_user_sgpr_count 2
		.amdhsa_user_sgpr_dispatch_ptr 0
		.amdhsa_user_sgpr_queue_ptr 0
		.amdhsa_user_sgpr_kernarg_segment_ptr 1
		.amdhsa_user_sgpr_dispatch_id 0
		.amdhsa_user_sgpr_kernarg_preload_length 0
		.amdhsa_user_sgpr_kernarg_preload_offset 0
		.amdhsa_user_sgpr_private_segment_size 0
		.amdhsa_uses_dynamic_stack 0
		.amdhsa_enable_private_segment 0
		.amdhsa_system_sgpr_workgroup_id_x 1
		.amdhsa_system_sgpr_workgroup_id_y 0
		.amdhsa_system_sgpr_workgroup_id_z 0
		.amdhsa_system_sgpr_workgroup_info 0
		.amdhsa_system_vgpr_workitem_id 0
		.amdhsa_next_free_vgpr 1
		.amdhsa_next_free_sgpr 0
		.amdhsa_accum_offset 4
		.amdhsa_reserve_vcc 0
		.amdhsa_float_round_mode_32 0
		.amdhsa_float_round_mode_16_64 0
		.amdhsa_float_denorm_mode_32 3
		.amdhsa_float_denorm_mode_16_64 3
		.amdhsa_dx10_clamp 1
		.amdhsa_ieee_mode 1
		.amdhsa_fp16_overflow 0
		.amdhsa_tg_split 0
		.amdhsa_exception_fp_ieee_invalid_op 0
		.amdhsa_exception_fp_denorm_src 0
		.amdhsa_exception_fp_ieee_div_zero 0
		.amdhsa_exception_fp_ieee_overflow 0
		.amdhsa_exception_fp_ieee_underflow 0
		.amdhsa_exception_fp_ieee_inexact 0
		.amdhsa_exception_int_div_zero 0
	.end_amdhsa_kernel
	.section	.text._ZN7rocprim17ROCPRIM_400000_NS6detail17trampoline_kernelINS0_14default_configENS1_22reduce_config_selectorIjEEZNS1_11reduce_implILb1ES3_N6thrust23THRUST_200600_302600_NS17counting_iteratorIjNS8_11hip_rocprim3tagENS8_11use_defaultESC_EEPjjNS8_4plusIjEEEE10hipError_tPvRmT1_T2_T3_mT4_P12ihipStream_tbEUlT_E1_NS1_11comp_targetILNS1_3genE2ELNS1_11target_archE906ELNS1_3gpuE6ELNS1_3repE0EEENS1_30default_config_static_selectorELNS0_4arch9wavefront6targetE1EEEvSK_,"axG",@progbits,_ZN7rocprim17ROCPRIM_400000_NS6detail17trampoline_kernelINS0_14default_configENS1_22reduce_config_selectorIjEEZNS1_11reduce_implILb1ES3_N6thrust23THRUST_200600_302600_NS17counting_iteratorIjNS8_11hip_rocprim3tagENS8_11use_defaultESC_EEPjjNS8_4plusIjEEEE10hipError_tPvRmT1_T2_T3_mT4_P12ihipStream_tbEUlT_E1_NS1_11comp_targetILNS1_3genE2ELNS1_11target_archE906ELNS1_3gpuE6ELNS1_3repE0EEENS1_30default_config_static_selectorELNS0_4arch9wavefront6targetE1EEEvSK_,comdat
.Lfunc_end1050:
	.size	_ZN7rocprim17ROCPRIM_400000_NS6detail17trampoline_kernelINS0_14default_configENS1_22reduce_config_selectorIjEEZNS1_11reduce_implILb1ES3_N6thrust23THRUST_200600_302600_NS17counting_iteratorIjNS8_11hip_rocprim3tagENS8_11use_defaultESC_EEPjjNS8_4plusIjEEEE10hipError_tPvRmT1_T2_T3_mT4_P12ihipStream_tbEUlT_E1_NS1_11comp_targetILNS1_3genE2ELNS1_11target_archE906ELNS1_3gpuE6ELNS1_3repE0EEENS1_30default_config_static_selectorELNS0_4arch9wavefront6targetE1EEEvSK_, .Lfunc_end1050-_ZN7rocprim17ROCPRIM_400000_NS6detail17trampoline_kernelINS0_14default_configENS1_22reduce_config_selectorIjEEZNS1_11reduce_implILb1ES3_N6thrust23THRUST_200600_302600_NS17counting_iteratorIjNS8_11hip_rocprim3tagENS8_11use_defaultESC_EEPjjNS8_4plusIjEEEE10hipError_tPvRmT1_T2_T3_mT4_P12ihipStream_tbEUlT_E1_NS1_11comp_targetILNS1_3genE2ELNS1_11target_archE906ELNS1_3gpuE6ELNS1_3repE0EEENS1_30default_config_static_selectorELNS0_4arch9wavefront6targetE1EEEvSK_
                                        ; -- End function
	.set _ZN7rocprim17ROCPRIM_400000_NS6detail17trampoline_kernelINS0_14default_configENS1_22reduce_config_selectorIjEEZNS1_11reduce_implILb1ES3_N6thrust23THRUST_200600_302600_NS17counting_iteratorIjNS8_11hip_rocprim3tagENS8_11use_defaultESC_EEPjjNS8_4plusIjEEEE10hipError_tPvRmT1_T2_T3_mT4_P12ihipStream_tbEUlT_E1_NS1_11comp_targetILNS1_3genE2ELNS1_11target_archE906ELNS1_3gpuE6ELNS1_3repE0EEENS1_30default_config_static_selectorELNS0_4arch9wavefront6targetE1EEEvSK_.num_vgpr, 0
	.set _ZN7rocprim17ROCPRIM_400000_NS6detail17trampoline_kernelINS0_14default_configENS1_22reduce_config_selectorIjEEZNS1_11reduce_implILb1ES3_N6thrust23THRUST_200600_302600_NS17counting_iteratorIjNS8_11hip_rocprim3tagENS8_11use_defaultESC_EEPjjNS8_4plusIjEEEE10hipError_tPvRmT1_T2_T3_mT4_P12ihipStream_tbEUlT_E1_NS1_11comp_targetILNS1_3genE2ELNS1_11target_archE906ELNS1_3gpuE6ELNS1_3repE0EEENS1_30default_config_static_selectorELNS0_4arch9wavefront6targetE1EEEvSK_.num_agpr, 0
	.set _ZN7rocprim17ROCPRIM_400000_NS6detail17trampoline_kernelINS0_14default_configENS1_22reduce_config_selectorIjEEZNS1_11reduce_implILb1ES3_N6thrust23THRUST_200600_302600_NS17counting_iteratorIjNS8_11hip_rocprim3tagENS8_11use_defaultESC_EEPjjNS8_4plusIjEEEE10hipError_tPvRmT1_T2_T3_mT4_P12ihipStream_tbEUlT_E1_NS1_11comp_targetILNS1_3genE2ELNS1_11target_archE906ELNS1_3gpuE6ELNS1_3repE0EEENS1_30default_config_static_selectorELNS0_4arch9wavefront6targetE1EEEvSK_.numbered_sgpr, 0
	.set _ZN7rocprim17ROCPRIM_400000_NS6detail17trampoline_kernelINS0_14default_configENS1_22reduce_config_selectorIjEEZNS1_11reduce_implILb1ES3_N6thrust23THRUST_200600_302600_NS17counting_iteratorIjNS8_11hip_rocprim3tagENS8_11use_defaultESC_EEPjjNS8_4plusIjEEEE10hipError_tPvRmT1_T2_T3_mT4_P12ihipStream_tbEUlT_E1_NS1_11comp_targetILNS1_3genE2ELNS1_11target_archE906ELNS1_3gpuE6ELNS1_3repE0EEENS1_30default_config_static_selectorELNS0_4arch9wavefront6targetE1EEEvSK_.num_named_barrier, 0
	.set _ZN7rocprim17ROCPRIM_400000_NS6detail17trampoline_kernelINS0_14default_configENS1_22reduce_config_selectorIjEEZNS1_11reduce_implILb1ES3_N6thrust23THRUST_200600_302600_NS17counting_iteratorIjNS8_11hip_rocprim3tagENS8_11use_defaultESC_EEPjjNS8_4plusIjEEEE10hipError_tPvRmT1_T2_T3_mT4_P12ihipStream_tbEUlT_E1_NS1_11comp_targetILNS1_3genE2ELNS1_11target_archE906ELNS1_3gpuE6ELNS1_3repE0EEENS1_30default_config_static_selectorELNS0_4arch9wavefront6targetE1EEEvSK_.private_seg_size, 0
	.set _ZN7rocprim17ROCPRIM_400000_NS6detail17trampoline_kernelINS0_14default_configENS1_22reduce_config_selectorIjEEZNS1_11reduce_implILb1ES3_N6thrust23THRUST_200600_302600_NS17counting_iteratorIjNS8_11hip_rocprim3tagENS8_11use_defaultESC_EEPjjNS8_4plusIjEEEE10hipError_tPvRmT1_T2_T3_mT4_P12ihipStream_tbEUlT_E1_NS1_11comp_targetILNS1_3genE2ELNS1_11target_archE906ELNS1_3gpuE6ELNS1_3repE0EEENS1_30default_config_static_selectorELNS0_4arch9wavefront6targetE1EEEvSK_.uses_vcc, 0
	.set _ZN7rocprim17ROCPRIM_400000_NS6detail17trampoline_kernelINS0_14default_configENS1_22reduce_config_selectorIjEEZNS1_11reduce_implILb1ES3_N6thrust23THRUST_200600_302600_NS17counting_iteratorIjNS8_11hip_rocprim3tagENS8_11use_defaultESC_EEPjjNS8_4plusIjEEEE10hipError_tPvRmT1_T2_T3_mT4_P12ihipStream_tbEUlT_E1_NS1_11comp_targetILNS1_3genE2ELNS1_11target_archE906ELNS1_3gpuE6ELNS1_3repE0EEENS1_30default_config_static_selectorELNS0_4arch9wavefront6targetE1EEEvSK_.uses_flat_scratch, 0
	.set _ZN7rocprim17ROCPRIM_400000_NS6detail17trampoline_kernelINS0_14default_configENS1_22reduce_config_selectorIjEEZNS1_11reduce_implILb1ES3_N6thrust23THRUST_200600_302600_NS17counting_iteratorIjNS8_11hip_rocprim3tagENS8_11use_defaultESC_EEPjjNS8_4plusIjEEEE10hipError_tPvRmT1_T2_T3_mT4_P12ihipStream_tbEUlT_E1_NS1_11comp_targetILNS1_3genE2ELNS1_11target_archE906ELNS1_3gpuE6ELNS1_3repE0EEENS1_30default_config_static_selectorELNS0_4arch9wavefront6targetE1EEEvSK_.has_dyn_sized_stack, 0
	.set _ZN7rocprim17ROCPRIM_400000_NS6detail17trampoline_kernelINS0_14default_configENS1_22reduce_config_selectorIjEEZNS1_11reduce_implILb1ES3_N6thrust23THRUST_200600_302600_NS17counting_iteratorIjNS8_11hip_rocprim3tagENS8_11use_defaultESC_EEPjjNS8_4plusIjEEEE10hipError_tPvRmT1_T2_T3_mT4_P12ihipStream_tbEUlT_E1_NS1_11comp_targetILNS1_3genE2ELNS1_11target_archE906ELNS1_3gpuE6ELNS1_3repE0EEENS1_30default_config_static_selectorELNS0_4arch9wavefront6targetE1EEEvSK_.has_recursion, 0
	.set _ZN7rocprim17ROCPRIM_400000_NS6detail17trampoline_kernelINS0_14default_configENS1_22reduce_config_selectorIjEEZNS1_11reduce_implILb1ES3_N6thrust23THRUST_200600_302600_NS17counting_iteratorIjNS8_11hip_rocprim3tagENS8_11use_defaultESC_EEPjjNS8_4plusIjEEEE10hipError_tPvRmT1_T2_T3_mT4_P12ihipStream_tbEUlT_E1_NS1_11comp_targetILNS1_3genE2ELNS1_11target_archE906ELNS1_3gpuE6ELNS1_3repE0EEENS1_30default_config_static_selectorELNS0_4arch9wavefront6targetE1EEEvSK_.has_indirect_call, 0
	.section	.AMDGPU.csdata,"",@progbits
; Kernel info:
; codeLenInByte = 0
; TotalNumSgprs: 6
; NumVgprs: 0
; NumAgprs: 0
; TotalNumVgprs: 0
; ScratchSize: 0
; MemoryBound: 0
; FloatMode: 240
; IeeeMode: 1
; LDSByteSize: 0 bytes/workgroup (compile time only)
; SGPRBlocks: 0
; VGPRBlocks: 0
; NumSGPRsForWavesPerEU: 6
; NumVGPRsForWavesPerEU: 1
; AccumOffset: 4
; Occupancy: 8
; WaveLimiterHint : 0
; COMPUTE_PGM_RSRC2:SCRATCH_EN: 0
; COMPUTE_PGM_RSRC2:USER_SGPR: 2
; COMPUTE_PGM_RSRC2:TRAP_HANDLER: 0
; COMPUTE_PGM_RSRC2:TGID_X_EN: 1
; COMPUTE_PGM_RSRC2:TGID_Y_EN: 0
; COMPUTE_PGM_RSRC2:TGID_Z_EN: 0
; COMPUTE_PGM_RSRC2:TIDIG_COMP_CNT: 0
; COMPUTE_PGM_RSRC3_GFX90A:ACCUM_OFFSET: 0
; COMPUTE_PGM_RSRC3_GFX90A:TG_SPLIT: 0
	.section	.text._ZN7rocprim17ROCPRIM_400000_NS6detail17trampoline_kernelINS0_14default_configENS1_22reduce_config_selectorIjEEZNS1_11reduce_implILb1ES3_N6thrust23THRUST_200600_302600_NS17counting_iteratorIjNS8_11hip_rocprim3tagENS8_11use_defaultESC_EEPjjNS8_4plusIjEEEE10hipError_tPvRmT1_T2_T3_mT4_P12ihipStream_tbEUlT_E1_NS1_11comp_targetILNS1_3genE10ELNS1_11target_archE1201ELNS1_3gpuE5ELNS1_3repE0EEENS1_30default_config_static_selectorELNS0_4arch9wavefront6targetE1EEEvSK_,"axG",@progbits,_ZN7rocprim17ROCPRIM_400000_NS6detail17trampoline_kernelINS0_14default_configENS1_22reduce_config_selectorIjEEZNS1_11reduce_implILb1ES3_N6thrust23THRUST_200600_302600_NS17counting_iteratorIjNS8_11hip_rocprim3tagENS8_11use_defaultESC_EEPjjNS8_4plusIjEEEE10hipError_tPvRmT1_T2_T3_mT4_P12ihipStream_tbEUlT_E1_NS1_11comp_targetILNS1_3genE10ELNS1_11target_archE1201ELNS1_3gpuE5ELNS1_3repE0EEENS1_30default_config_static_selectorELNS0_4arch9wavefront6targetE1EEEvSK_,comdat
	.protected	_ZN7rocprim17ROCPRIM_400000_NS6detail17trampoline_kernelINS0_14default_configENS1_22reduce_config_selectorIjEEZNS1_11reduce_implILb1ES3_N6thrust23THRUST_200600_302600_NS17counting_iteratorIjNS8_11hip_rocprim3tagENS8_11use_defaultESC_EEPjjNS8_4plusIjEEEE10hipError_tPvRmT1_T2_T3_mT4_P12ihipStream_tbEUlT_E1_NS1_11comp_targetILNS1_3genE10ELNS1_11target_archE1201ELNS1_3gpuE5ELNS1_3repE0EEENS1_30default_config_static_selectorELNS0_4arch9wavefront6targetE1EEEvSK_ ; -- Begin function _ZN7rocprim17ROCPRIM_400000_NS6detail17trampoline_kernelINS0_14default_configENS1_22reduce_config_selectorIjEEZNS1_11reduce_implILb1ES3_N6thrust23THRUST_200600_302600_NS17counting_iteratorIjNS8_11hip_rocprim3tagENS8_11use_defaultESC_EEPjjNS8_4plusIjEEEE10hipError_tPvRmT1_T2_T3_mT4_P12ihipStream_tbEUlT_E1_NS1_11comp_targetILNS1_3genE10ELNS1_11target_archE1201ELNS1_3gpuE5ELNS1_3repE0EEENS1_30default_config_static_selectorELNS0_4arch9wavefront6targetE1EEEvSK_
	.globl	_ZN7rocprim17ROCPRIM_400000_NS6detail17trampoline_kernelINS0_14default_configENS1_22reduce_config_selectorIjEEZNS1_11reduce_implILb1ES3_N6thrust23THRUST_200600_302600_NS17counting_iteratorIjNS8_11hip_rocprim3tagENS8_11use_defaultESC_EEPjjNS8_4plusIjEEEE10hipError_tPvRmT1_T2_T3_mT4_P12ihipStream_tbEUlT_E1_NS1_11comp_targetILNS1_3genE10ELNS1_11target_archE1201ELNS1_3gpuE5ELNS1_3repE0EEENS1_30default_config_static_selectorELNS0_4arch9wavefront6targetE1EEEvSK_
	.p2align	8
	.type	_ZN7rocprim17ROCPRIM_400000_NS6detail17trampoline_kernelINS0_14default_configENS1_22reduce_config_selectorIjEEZNS1_11reduce_implILb1ES3_N6thrust23THRUST_200600_302600_NS17counting_iteratorIjNS8_11hip_rocprim3tagENS8_11use_defaultESC_EEPjjNS8_4plusIjEEEE10hipError_tPvRmT1_T2_T3_mT4_P12ihipStream_tbEUlT_E1_NS1_11comp_targetILNS1_3genE10ELNS1_11target_archE1201ELNS1_3gpuE5ELNS1_3repE0EEENS1_30default_config_static_selectorELNS0_4arch9wavefront6targetE1EEEvSK_,@function
_ZN7rocprim17ROCPRIM_400000_NS6detail17trampoline_kernelINS0_14default_configENS1_22reduce_config_selectorIjEEZNS1_11reduce_implILb1ES3_N6thrust23THRUST_200600_302600_NS17counting_iteratorIjNS8_11hip_rocprim3tagENS8_11use_defaultESC_EEPjjNS8_4plusIjEEEE10hipError_tPvRmT1_T2_T3_mT4_P12ihipStream_tbEUlT_E1_NS1_11comp_targetILNS1_3genE10ELNS1_11target_archE1201ELNS1_3gpuE5ELNS1_3repE0EEENS1_30default_config_static_selectorELNS0_4arch9wavefront6targetE1EEEvSK_: ; @_ZN7rocprim17ROCPRIM_400000_NS6detail17trampoline_kernelINS0_14default_configENS1_22reduce_config_selectorIjEEZNS1_11reduce_implILb1ES3_N6thrust23THRUST_200600_302600_NS17counting_iteratorIjNS8_11hip_rocprim3tagENS8_11use_defaultESC_EEPjjNS8_4plusIjEEEE10hipError_tPvRmT1_T2_T3_mT4_P12ihipStream_tbEUlT_E1_NS1_11comp_targetILNS1_3genE10ELNS1_11target_archE1201ELNS1_3gpuE5ELNS1_3repE0EEENS1_30default_config_static_selectorELNS0_4arch9wavefront6targetE1EEEvSK_
; %bb.0:
	.section	.rodata,"a",@progbits
	.p2align	6, 0x0
	.amdhsa_kernel _ZN7rocprim17ROCPRIM_400000_NS6detail17trampoline_kernelINS0_14default_configENS1_22reduce_config_selectorIjEEZNS1_11reduce_implILb1ES3_N6thrust23THRUST_200600_302600_NS17counting_iteratorIjNS8_11hip_rocprim3tagENS8_11use_defaultESC_EEPjjNS8_4plusIjEEEE10hipError_tPvRmT1_T2_T3_mT4_P12ihipStream_tbEUlT_E1_NS1_11comp_targetILNS1_3genE10ELNS1_11target_archE1201ELNS1_3gpuE5ELNS1_3repE0EEENS1_30default_config_static_selectorELNS0_4arch9wavefront6targetE1EEEvSK_
		.amdhsa_group_segment_fixed_size 0
		.amdhsa_private_segment_fixed_size 0
		.amdhsa_kernarg_size 40
		.amdhsa_user_sgpr_count 2
		.amdhsa_user_sgpr_dispatch_ptr 0
		.amdhsa_user_sgpr_queue_ptr 0
		.amdhsa_user_sgpr_kernarg_segment_ptr 1
		.amdhsa_user_sgpr_dispatch_id 0
		.amdhsa_user_sgpr_kernarg_preload_length 0
		.amdhsa_user_sgpr_kernarg_preload_offset 0
		.amdhsa_user_sgpr_private_segment_size 0
		.amdhsa_uses_dynamic_stack 0
		.amdhsa_enable_private_segment 0
		.amdhsa_system_sgpr_workgroup_id_x 1
		.amdhsa_system_sgpr_workgroup_id_y 0
		.amdhsa_system_sgpr_workgroup_id_z 0
		.amdhsa_system_sgpr_workgroup_info 0
		.amdhsa_system_vgpr_workitem_id 0
		.amdhsa_next_free_vgpr 1
		.amdhsa_next_free_sgpr 0
		.amdhsa_accum_offset 4
		.amdhsa_reserve_vcc 0
		.amdhsa_float_round_mode_32 0
		.amdhsa_float_round_mode_16_64 0
		.amdhsa_float_denorm_mode_32 3
		.amdhsa_float_denorm_mode_16_64 3
		.amdhsa_dx10_clamp 1
		.amdhsa_ieee_mode 1
		.amdhsa_fp16_overflow 0
		.amdhsa_tg_split 0
		.amdhsa_exception_fp_ieee_invalid_op 0
		.amdhsa_exception_fp_denorm_src 0
		.amdhsa_exception_fp_ieee_div_zero 0
		.amdhsa_exception_fp_ieee_overflow 0
		.amdhsa_exception_fp_ieee_underflow 0
		.amdhsa_exception_fp_ieee_inexact 0
		.amdhsa_exception_int_div_zero 0
	.end_amdhsa_kernel
	.section	.text._ZN7rocprim17ROCPRIM_400000_NS6detail17trampoline_kernelINS0_14default_configENS1_22reduce_config_selectorIjEEZNS1_11reduce_implILb1ES3_N6thrust23THRUST_200600_302600_NS17counting_iteratorIjNS8_11hip_rocprim3tagENS8_11use_defaultESC_EEPjjNS8_4plusIjEEEE10hipError_tPvRmT1_T2_T3_mT4_P12ihipStream_tbEUlT_E1_NS1_11comp_targetILNS1_3genE10ELNS1_11target_archE1201ELNS1_3gpuE5ELNS1_3repE0EEENS1_30default_config_static_selectorELNS0_4arch9wavefront6targetE1EEEvSK_,"axG",@progbits,_ZN7rocprim17ROCPRIM_400000_NS6detail17trampoline_kernelINS0_14default_configENS1_22reduce_config_selectorIjEEZNS1_11reduce_implILb1ES3_N6thrust23THRUST_200600_302600_NS17counting_iteratorIjNS8_11hip_rocprim3tagENS8_11use_defaultESC_EEPjjNS8_4plusIjEEEE10hipError_tPvRmT1_T2_T3_mT4_P12ihipStream_tbEUlT_E1_NS1_11comp_targetILNS1_3genE10ELNS1_11target_archE1201ELNS1_3gpuE5ELNS1_3repE0EEENS1_30default_config_static_selectorELNS0_4arch9wavefront6targetE1EEEvSK_,comdat
.Lfunc_end1051:
	.size	_ZN7rocprim17ROCPRIM_400000_NS6detail17trampoline_kernelINS0_14default_configENS1_22reduce_config_selectorIjEEZNS1_11reduce_implILb1ES3_N6thrust23THRUST_200600_302600_NS17counting_iteratorIjNS8_11hip_rocprim3tagENS8_11use_defaultESC_EEPjjNS8_4plusIjEEEE10hipError_tPvRmT1_T2_T3_mT4_P12ihipStream_tbEUlT_E1_NS1_11comp_targetILNS1_3genE10ELNS1_11target_archE1201ELNS1_3gpuE5ELNS1_3repE0EEENS1_30default_config_static_selectorELNS0_4arch9wavefront6targetE1EEEvSK_, .Lfunc_end1051-_ZN7rocprim17ROCPRIM_400000_NS6detail17trampoline_kernelINS0_14default_configENS1_22reduce_config_selectorIjEEZNS1_11reduce_implILb1ES3_N6thrust23THRUST_200600_302600_NS17counting_iteratorIjNS8_11hip_rocprim3tagENS8_11use_defaultESC_EEPjjNS8_4plusIjEEEE10hipError_tPvRmT1_T2_T3_mT4_P12ihipStream_tbEUlT_E1_NS1_11comp_targetILNS1_3genE10ELNS1_11target_archE1201ELNS1_3gpuE5ELNS1_3repE0EEENS1_30default_config_static_selectorELNS0_4arch9wavefront6targetE1EEEvSK_
                                        ; -- End function
	.set _ZN7rocprim17ROCPRIM_400000_NS6detail17trampoline_kernelINS0_14default_configENS1_22reduce_config_selectorIjEEZNS1_11reduce_implILb1ES3_N6thrust23THRUST_200600_302600_NS17counting_iteratorIjNS8_11hip_rocprim3tagENS8_11use_defaultESC_EEPjjNS8_4plusIjEEEE10hipError_tPvRmT1_T2_T3_mT4_P12ihipStream_tbEUlT_E1_NS1_11comp_targetILNS1_3genE10ELNS1_11target_archE1201ELNS1_3gpuE5ELNS1_3repE0EEENS1_30default_config_static_selectorELNS0_4arch9wavefront6targetE1EEEvSK_.num_vgpr, 0
	.set _ZN7rocprim17ROCPRIM_400000_NS6detail17trampoline_kernelINS0_14default_configENS1_22reduce_config_selectorIjEEZNS1_11reduce_implILb1ES3_N6thrust23THRUST_200600_302600_NS17counting_iteratorIjNS8_11hip_rocprim3tagENS8_11use_defaultESC_EEPjjNS8_4plusIjEEEE10hipError_tPvRmT1_T2_T3_mT4_P12ihipStream_tbEUlT_E1_NS1_11comp_targetILNS1_3genE10ELNS1_11target_archE1201ELNS1_3gpuE5ELNS1_3repE0EEENS1_30default_config_static_selectorELNS0_4arch9wavefront6targetE1EEEvSK_.num_agpr, 0
	.set _ZN7rocprim17ROCPRIM_400000_NS6detail17trampoline_kernelINS0_14default_configENS1_22reduce_config_selectorIjEEZNS1_11reduce_implILb1ES3_N6thrust23THRUST_200600_302600_NS17counting_iteratorIjNS8_11hip_rocprim3tagENS8_11use_defaultESC_EEPjjNS8_4plusIjEEEE10hipError_tPvRmT1_T2_T3_mT4_P12ihipStream_tbEUlT_E1_NS1_11comp_targetILNS1_3genE10ELNS1_11target_archE1201ELNS1_3gpuE5ELNS1_3repE0EEENS1_30default_config_static_selectorELNS0_4arch9wavefront6targetE1EEEvSK_.numbered_sgpr, 0
	.set _ZN7rocprim17ROCPRIM_400000_NS6detail17trampoline_kernelINS0_14default_configENS1_22reduce_config_selectorIjEEZNS1_11reduce_implILb1ES3_N6thrust23THRUST_200600_302600_NS17counting_iteratorIjNS8_11hip_rocprim3tagENS8_11use_defaultESC_EEPjjNS8_4plusIjEEEE10hipError_tPvRmT1_T2_T3_mT4_P12ihipStream_tbEUlT_E1_NS1_11comp_targetILNS1_3genE10ELNS1_11target_archE1201ELNS1_3gpuE5ELNS1_3repE0EEENS1_30default_config_static_selectorELNS0_4arch9wavefront6targetE1EEEvSK_.num_named_barrier, 0
	.set _ZN7rocprim17ROCPRIM_400000_NS6detail17trampoline_kernelINS0_14default_configENS1_22reduce_config_selectorIjEEZNS1_11reduce_implILb1ES3_N6thrust23THRUST_200600_302600_NS17counting_iteratorIjNS8_11hip_rocprim3tagENS8_11use_defaultESC_EEPjjNS8_4plusIjEEEE10hipError_tPvRmT1_T2_T3_mT4_P12ihipStream_tbEUlT_E1_NS1_11comp_targetILNS1_3genE10ELNS1_11target_archE1201ELNS1_3gpuE5ELNS1_3repE0EEENS1_30default_config_static_selectorELNS0_4arch9wavefront6targetE1EEEvSK_.private_seg_size, 0
	.set _ZN7rocprim17ROCPRIM_400000_NS6detail17trampoline_kernelINS0_14default_configENS1_22reduce_config_selectorIjEEZNS1_11reduce_implILb1ES3_N6thrust23THRUST_200600_302600_NS17counting_iteratorIjNS8_11hip_rocprim3tagENS8_11use_defaultESC_EEPjjNS8_4plusIjEEEE10hipError_tPvRmT1_T2_T3_mT4_P12ihipStream_tbEUlT_E1_NS1_11comp_targetILNS1_3genE10ELNS1_11target_archE1201ELNS1_3gpuE5ELNS1_3repE0EEENS1_30default_config_static_selectorELNS0_4arch9wavefront6targetE1EEEvSK_.uses_vcc, 0
	.set _ZN7rocprim17ROCPRIM_400000_NS6detail17trampoline_kernelINS0_14default_configENS1_22reduce_config_selectorIjEEZNS1_11reduce_implILb1ES3_N6thrust23THRUST_200600_302600_NS17counting_iteratorIjNS8_11hip_rocprim3tagENS8_11use_defaultESC_EEPjjNS8_4plusIjEEEE10hipError_tPvRmT1_T2_T3_mT4_P12ihipStream_tbEUlT_E1_NS1_11comp_targetILNS1_3genE10ELNS1_11target_archE1201ELNS1_3gpuE5ELNS1_3repE0EEENS1_30default_config_static_selectorELNS0_4arch9wavefront6targetE1EEEvSK_.uses_flat_scratch, 0
	.set _ZN7rocprim17ROCPRIM_400000_NS6detail17trampoline_kernelINS0_14default_configENS1_22reduce_config_selectorIjEEZNS1_11reduce_implILb1ES3_N6thrust23THRUST_200600_302600_NS17counting_iteratorIjNS8_11hip_rocprim3tagENS8_11use_defaultESC_EEPjjNS8_4plusIjEEEE10hipError_tPvRmT1_T2_T3_mT4_P12ihipStream_tbEUlT_E1_NS1_11comp_targetILNS1_3genE10ELNS1_11target_archE1201ELNS1_3gpuE5ELNS1_3repE0EEENS1_30default_config_static_selectorELNS0_4arch9wavefront6targetE1EEEvSK_.has_dyn_sized_stack, 0
	.set _ZN7rocprim17ROCPRIM_400000_NS6detail17trampoline_kernelINS0_14default_configENS1_22reduce_config_selectorIjEEZNS1_11reduce_implILb1ES3_N6thrust23THRUST_200600_302600_NS17counting_iteratorIjNS8_11hip_rocprim3tagENS8_11use_defaultESC_EEPjjNS8_4plusIjEEEE10hipError_tPvRmT1_T2_T3_mT4_P12ihipStream_tbEUlT_E1_NS1_11comp_targetILNS1_3genE10ELNS1_11target_archE1201ELNS1_3gpuE5ELNS1_3repE0EEENS1_30default_config_static_selectorELNS0_4arch9wavefront6targetE1EEEvSK_.has_recursion, 0
	.set _ZN7rocprim17ROCPRIM_400000_NS6detail17trampoline_kernelINS0_14default_configENS1_22reduce_config_selectorIjEEZNS1_11reduce_implILb1ES3_N6thrust23THRUST_200600_302600_NS17counting_iteratorIjNS8_11hip_rocprim3tagENS8_11use_defaultESC_EEPjjNS8_4plusIjEEEE10hipError_tPvRmT1_T2_T3_mT4_P12ihipStream_tbEUlT_E1_NS1_11comp_targetILNS1_3genE10ELNS1_11target_archE1201ELNS1_3gpuE5ELNS1_3repE0EEENS1_30default_config_static_selectorELNS0_4arch9wavefront6targetE1EEEvSK_.has_indirect_call, 0
	.section	.AMDGPU.csdata,"",@progbits
; Kernel info:
; codeLenInByte = 0
; TotalNumSgprs: 6
; NumVgprs: 0
; NumAgprs: 0
; TotalNumVgprs: 0
; ScratchSize: 0
; MemoryBound: 0
; FloatMode: 240
; IeeeMode: 1
; LDSByteSize: 0 bytes/workgroup (compile time only)
; SGPRBlocks: 0
; VGPRBlocks: 0
; NumSGPRsForWavesPerEU: 6
; NumVGPRsForWavesPerEU: 1
; AccumOffset: 4
; Occupancy: 8
; WaveLimiterHint : 0
; COMPUTE_PGM_RSRC2:SCRATCH_EN: 0
; COMPUTE_PGM_RSRC2:USER_SGPR: 2
; COMPUTE_PGM_RSRC2:TRAP_HANDLER: 0
; COMPUTE_PGM_RSRC2:TGID_X_EN: 1
; COMPUTE_PGM_RSRC2:TGID_Y_EN: 0
; COMPUTE_PGM_RSRC2:TGID_Z_EN: 0
; COMPUTE_PGM_RSRC2:TIDIG_COMP_CNT: 0
; COMPUTE_PGM_RSRC3_GFX90A:ACCUM_OFFSET: 0
; COMPUTE_PGM_RSRC3_GFX90A:TG_SPLIT: 0
	.section	.text._ZN7rocprim17ROCPRIM_400000_NS6detail17trampoline_kernelINS0_14default_configENS1_22reduce_config_selectorIjEEZNS1_11reduce_implILb1ES3_N6thrust23THRUST_200600_302600_NS17counting_iteratorIjNS8_11hip_rocprim3tagENS8_11use_defaultESC_EEPjjNS8_4plusIjEEEE10hipError_tPvRmT1_T2_T3_mT4_P12ihipStream_tbEUlT_E1_NS1_11comp_targetILNS1_3genE10ELNS1_11target_archE1200ELNS1_3gpuE4ELNS1_3repE0EEENS1_30default_config_static_selectorELNS0_4arch9wavefront6targetE1EEEvSK_,"axG",@progbits,_ZN7rocprim17ROCPRIM_400000_NS6detail17trampoline_kernelINS0_14default_configENS1_22reduce_config_selectorIjEEZNS1_11reduce_implILb1ES3_N6thrust23THRUST_200600_302600_NS17counting_iteratorIjNS8_11hip_rocprim3tagENS8_11use_defaultESC_EEPjjNS8_4plusIjEEEE10hipError_tPvRmT1_T2_T3_mT4_P12ihipStream_tbEUlT_E1_NS1_11comp_targetILNS1_3genE10ELNS1_11target_archE1200ELNS1_3gpuE4ELNS1_3repE0EEENS1_30default_config_static_selectorELNS0_4arch9wavefront6targetE1EEEvSK_,comdat
	.protected	_ZN7rocprim17ROCPRIM_400000_NS6detail17trampoline_kernelINS0_14default_configENS1_22reduce_config_selectorIjEEZNS1_11reduce_implILb1ES3_N6thrust23THRUST_200600_302600_NS17counting_iteratorIjNS8_11hip_rocprim3tagENS8_11use_defaultESC_EEPjjNS8_4plusIjEEEE10hipError_tPvRmT1_T2_T3_mT4_P12ihipStream_tbEUlT_E1_NS1_11comp_targetILNS1_3genE10ELNS1_11target_archE1200ELNS1_3gpuE4ELNS1_3repE0EEENS1_30default_config_static_selectorELNS0_4arch9wavefront6targetE1EEEvSK_ ; -- Begin function _ZN7rocprim17ROCPRIM_400000_NS6detail17trampoline_kernelINS0_14default_configENS1_22reduce_config_selectorIjEEZNS1_11reduce_implILb1ES3_N6thrust23THRUST_200600_302600_NS17counting_iteratorIjNS8_11hip_rocprim3tagENS8_11use_defaultESC_EEPjjNS8_4plusIjEEEE10hipError_tPvRmT1_T2_T3_mT4_P12ihipStream_tbEUlT_E1_NS1_11comp_targetILNS1_3genE10ELNS1_11target_archE1200ELNS1_3gpuE4ELNS1_3repE0EEENS1_30default_config_static_selectorELNS0_4arch9wavefront6targetE1EEEvSK_
	.globl	_ZN7rocprim17ROCPRIM_400000_NS6detail17trampoline_kernelINS0_14default_configENS1_22reduce_config_selectorIjEEZNS1_11reduce_implILb1ES3_N6thrust23THRUST_200600_302600_NS17counting_iteratorIjNS8_11hip_rocprim3tagENS8_11use_defaultESC_EEPjjNS8_4plusIjEEEE10hipError_tPvRmT1_T2_T3_mT4_P12ihipStream_tbEUlT_E1_NS1_11comp_targetILNS1_3genE10ELNS1_11target_archE1200ELNS1_3gpuE4ELNS1_3repE0EEENS1_30default_config_static_selectorELNS0_4arch9wavefront6targetE1EEEvSK_
	.p2align	8
	.type	_ZN7rocprim17ROCPRIM_400000_NS6detail17trampoline_kernelINS0_14default_configENS1_22reduce_config_selectorIjEEZNS1_11reduce_implILb1ES3_N6thrust23THRUST_200600_302600_NS17counting_iteratorIjNS8_11hip_rocprim3tagENS8_11use_defaultESC_EEPjjNS8_4plusIjEEEE10hipError_tPvRmT1_T2_T3_mT4_P12ihipStream_tbEUlT_E1_NS1_11comp_targetILNS1_3genE10ELNS1_11target_archE1200ELNS1_3gpuE4ELNS1_3repE0EEENS1_30default_config_static_selectorELNS0_4arch9wavefront6targetE1EEEvSK_,@function
_ZN7rocprim17ROCPRIM_400000_NS6detail17trampoline_kernelINS0_14default_configENS1_22reduce_config_selectorIjEEZNS1_11reduce_implILb1ES3_N6thrust23THRUST_200600_302600_NS17counting_iteratorIjNS8_11hip_rocprim3tagENS8_11use_defaultESC_EEPjjNS8_4plusIjEEEE10hipError_tPvRmT1_T2_T3_mT4_P12ihipStream_tbEUlT_E1_NS1_11comp_targetILNS1_3genE10ELNS1_11target_archE1200ELNS1_3gpuE4ELNS1_3repE0EEENS1_30default_config_static_selectorELNS0_4arch9wavefront6targetE1EEEvSK_: ; @_ZN7rocprim17ROCPRIM_400000_NS6detail17trampoline_kernelINS0_14default_configENS1_22reduce_config_selectorIjEEZNS1_11reduce_implILb1ES3_N6thrust23THRUST_200600_302600_NS17counting_iteratorIjNS8_11hip_rocprim3tagENS8_11use_defaultESC_EEPjjNS8_4plusIjEEEE10hipError_tPvRmT1_T2_T3_mT4_P12ihipStream_tbEUlT_E1_NS1_11comp_targetILNS1_3genE10ELNS1_11target_archE1200ELNS1_3gpuE4ELNS1_3repE0EEENS1_30default_config_static_selectorELNS0_4arch9wavefront6targetE1EEEvSK_
; %bb.0:
	.section	.rodata,"a",@progbits
	.p2align	6, 0x0
	.amdhsa_kernel _ZN7rocprim17ROCPRIM_400000_NS6detail17trampoline_kernelINS0_14default_configENS1_22reduce_config_selectorIjEEZNS1_11reduce_implILb1ES3_N6thrust23THRUST_200600_302600_NS17counting_iteratorIjNS8_11hip_rocprim3tagENS8_11use_defaultESC_EEPjjNS8_4plusIjEEEE10hipError_tPvRmT1_T2_T3_mT4_P12ihipStream_tbEUlT_E1_NS1_11comp_targetILNS1_3genE10ELNS1_11target_archE1200ELNS1_3gpuE4ELNS1_3repE0EEENS1_30default_config_static_selectorELNS0_4arch9wavefront6targetE1EEEvSK_
		.amdhsa_group_segment_fixed_size 0
		.amdhsa_private_segment_fixed_size 0
		.amdhsa_kernarg_size 40
		.amdhsa_user_sgpr_count 2
		.amdhsa_user_sgpr_dispatch_ptr 0
		.amdhsa_user_sgpr_queue_ptr 0
		.amdhsa_user_sgpr_kernarg_segment_ptr 1
		.amdhsa_user_sgpr_dispatch_id 0
		.amdhsa_user_sgpr_kernarg_preload_length 0
		.amdhsa_user_sgpr_kernarg_preload_offset 0
		.amdhsa_user_sgpr_private_segment_size 0
		.amdhsa_uses_dynamic_stack 0
		.amdhsa_enable_private_segment 0
		.amdhsa_system_sgpr_workgroup_id_x 1
		.amdhsa_system_sgpr_workgroup_id_y 0
		.amdhsa_system_sgpr_workgroup_id_z 0
		.amdhsa_system_sgpr_workgroup_info 0
		.amdhsa_system_vgpr_workitem_id 0
		.amdhsa_next_free_vgpr 1
		.amdhsa_next_free_sgpr 0
		.amdhsa_accum_offset 4
		.amdhsa_reserve_vcc 0
		.amdhsa_float_round_mode_32 0
		.amdhsa_float_round_mode_16_64 0
		.amdhsa_float_denorm_mode_32 3
		.amdhsa_float_denorm_mode_16_64 3
		.amdhsa_dx10_clamp 1
		.amdhsa_ieee_mode 1
		.amdhsa_fp16_overflow 0
		.amdhsa_tg_split 0
		.amdhsa_exception_fp_ieee_invalid_op 0
		.amdhsa_exception_fp_denorm_src 0
		.amdhsa_exception_fp_ieee_div_zero 0
		.amdhsa_exception_fp_ieee_overflow 0
		.amdhsa_exception_fp_ieee_underflow 0
		.amdhsa_exception_fp_ieee_inexact 0
		.amdhsa_exception_int_div_zero 0
	.end_amdhsa_kernel
	.section	.text._ZN7rocprim17ROCPRIM_400000_NS6detail17trampoline_kernelINS0_14default_configENS1_22reduce_config_selectorIjEEZNS1_11reduce_implILb1ES3_N6thrust23THRUST_200600_302600_NS17counting_iteratorIjNS8_11hip_rocprim3tagENS8_11use_defaultESC_EEPjjNS8_4plusIjEEEE10hipError_tPvRmT1_T2_T3_mT4_P12ihipStream_tbEUlT_E1_NS1_11comp_targetILNS1_3genE10ELNS1_11target_archE1200ELNS1_3gpuE4ELNS1_3repE0EEENS1_30default_config_static_selectorELNS0_4arch9wavefront6targetE1EEEvSK_,"axG",@progbits,_ZN7rocprim17ROCPRIM_400000_NS6detail17trampoline_kernelINS0_14default_configENS1_22reduce_config_selectorIjEEZNS1_11reduce_implILb1ES3_N6thrust23THRUST_200600_302600_NS17counting_iteratorIjNS8_11hip_rocprim3tagENS8_11use_defaultESC_EEPjjNS8_4plusIjEEEE10hipError_tPvRmT1_T2_T3_mT4_P12ihipStream_tbEUlT_E1_NS1_11comp_targetILNS1_3genE10ELNS1_11target_archE1200ELNS1_3gpuE4ELNS1_3repE0EEENS1_30default_config_static_selectorELNS0_4arch9wavefront6targetE1EEEvSK_,comdat
.Lfunc_end1052:
	.size	_ZN7rocprim17ROCPRIM_400000_NS6detail17trampoline_kernelINS0_14default_configENS1_22reduce_config_selectorIjEEZNS1_11reduce_implILb1ES3_N6thrust23THRUST_200600_302600_NS17counting_iteratorIjNS8_11hip_rocprim3tagENS8_11use_defaultESC_EEPjjNS8_4plusIjEEEE10hipError_tPvRmT1_T2_T3_mT4_P12ihipStream_tbEUlT_E1_NS1_11comp_targetILNS1_3genE10ELNS1_11target_archE1200ELNS1_3gpuE4ELNS1_3repE0EEENS1_30default_config_static_selectorELNS0_4arch9wavefront6targetE1EEEvSK_, .Lfunc_end1052-_ZN7rocprim17ROCPRIM_400000_NS6detail17trampoline_kernelINS0_14default_configENS1_22reduce_config_selectorIjEEZNS1_11reduce_implILb1ES3_N6thrust23THRUST_200600_302600_NS17counting_iteratorIjNS8_11hip_rocprim3tagENS8_11use_defaultESC_EEPjjNS8_4plusIjEEEE10hipError_tPvRmT1_T2_T3_mT4_P12ihipStream_tbEUlT_E1_NS1_11comp_targetILNS1_3genE10ELNS1_11target_archE1200ELNS1_3gpuE4ELNS1_3repE0EEENS1_30default_config_static_selectorELNS0_4arch9wavefront6targetE1EEEvSK_
                                        ; -- End function
	.set _ZN7rocprim17ROCPRIM_400000_NS6detail17trampoline_kernelINS0_14default_configENS1_22reduce_config_selectorIjEEZNS1_11reduce_implILb1ES3_N6thrust23THRUST_200600_302600_NS17counting_iteratorIjNS8_11hip_rocprim3tagENS8_11use_defaultESC_EEPjjNS8_4plusIjEEEE10hipError_tPvRmT1_T2_T3_mT4_P12ihipStream_tbEUlT_E1_NS1_11comp_targetILNS1_3genE10ELNS1_11target_archE1200ELNS1_3gpuE4ELNS1_3repE0EEENS1_30default_config_static_selectorELNS0_4arch9wavefront6targetE1EEEvSK_.num_vgpr, 0
	.set _ZN7rocprim17ROCPRIM_400000_NS6detail17trampoline_kernelINS0_14default_configENS1_22reduce_config_selectorIjEEZNS1_11reduce_implILb1ES3_N6thrust23THRUST_200600_302600_NS17counting_iteratorIjNS8_11hip_rocprim3tagENS8_11use_defaultESC_EEPjjNS8_4plusIjEEEE10hipError_tPvRmT1_T2_T3_mT4_P12ihipStream_tbEUlT_E1_NS1_11comp_targetILNS1_3genE10ELNS1_11target_archE1200ELNS1_3gpuE4ELNS1_3repE0EEENS1_30default_config_static_selectorELNS0_4arch9wavefront6targetE1EEEvSK_.num_agpr, 0
	.set _ZN7rocprim17ROCPRIM_400000_NS6detail17trampoline_kernelINS0_14default_configENS1_22reduce_config_selectorIjEEZNS1_11reduce_implILb1ES3_N6thrust23THRUST_200600_302600_NS17counting_iteratorIjNS8_11hip_rocprim3tagENS8_11use_defaultESC_EEPjjNS8_4plusIjEEEE10hipError_tPvRmT1_T2_T3_mT4_P12ihipStream_tbEUlT_E1_NS1_11comp_targetILNS1_3genE10ELNS1_11target_archE1200ELNS1_3gpuE4ELNS1_3repE0EEENS1_30default_config_static_selectorELNS0_4arch9wavefront6targetE1EEEvSK_.numbered_sgpr, 0
	.set _ZN7rocprim17ROCPRIM_400000_NS6detail17trampoline_kernelINS0_14default_configENS1_22reduce_config_selectorIjEEZNS1_11reduce_implILb1ES3_N6thrust23THRUST_200600_302600_NS17counting_iteratorIjNS8_11hip_rocprim3tagENS8_11use_defaultESC_EEPjjNS8_4plusIjEEEE10hipError_tPvRmT1_T2_T3_mT4_P12ihipStream_tbEUlT_E1_NS1_11comp_targetILNS1_3genE10ELNS1_11target_archE1200ELNS1_3gpuE4ELNS1_3repE0EEENS1_30default_config_static_selectorELNS0_4arch9wavefront6targetE1EEEvSK_.num_named_barrier, 0
	.set _ZN7rocprim17ROCPRIM_400000_NS6detail17trampoline_kernelINS0_14default_configENS1_22reduce_config_selectorIjEEZNS1_11reduce_implILb1ES3_N6thrust23THRUST_200600_302600_NS17counting_iteratorIjNS8_11hip_rocprim3tagENS8_11use_defaultESC_EEPjjNS8_4plusIjEEEE10hipError_tPvRmT1_T2_T3_mT4_P12ihipStream_tbEUlT_E1_NS1_11comp_targetILNS1_3genE10ELNS1_11target_archE1200ELNS1_3gpuE4ELNS1_3repE0EEENS1_30default_config_static_selectorELNS0_4arch9wavefront6targetE1EEEvSK_.private_seg_size, 0
	.set _ZN7rocprim17ROCPRIM_400000_NS6detail17trampoline_kernelINS0_14default_configENS1_22reduce_config_selectorIjEEZNS1_11reduce_implILb1ES3_N6thrust23THRUST_200600_302600_NS17counting_iteratorIjNS8_11hip_rocprim3tagENS8_11use_defaultESC_EEPjjNS8_4plusIjEEEE10hipError_tPvRmT1_T2_T3_mT4_P12ihipStream_tbEUlT_E1_NS1_11comp_targetILNS1_3genE10ELNS1_11target_archE1200ELNS1_3gpuE4ELNS1_3repE0EEENS1_30default_config_static_selectorELNS0_4arch9wavefront6targetE1EEEvSK_.uses_vcc, 0
	.set _ZN7rocprim17ROCPRIM_400000_NS6detail17trampoline_kernelINS0_14default_configENS1_22reduce_config_selectorIjEEZNS1_11reduce_implILb1ES3_N6thrust23THRUST_200600_302600_NS17counting_iteratorIjNS8_11hip_rocprim3tagENS8_11use_defaultESC_EEPjjNS8_4plusIjEEEE10hipError_tPvRmT1_T2_T3_mT4_P12ihipStream_tbEUlT_E1_NS1_11comp_targetILNS1_3genE10ELNS1_11target_archE1200ELNS1_3gpuE4ELNS1_3repE0EEENS1_30default_config_static_selectorELNS0_4arch9wavefront6targetE1EEEvSK_.uses_flat_scratch, 0
	.set _ZN7rocprim17ROCPRIM_400000_NS6detail17trampoline_kernelINS0_14default_configENS1_22reduce_config_selectorIjEEZNS1_11reduce_implILb1ES3_N6thrust23THRUST_200600_302600_NS17counting_iteratorIjNS8_11hip_rocprim3tagENS8_11use_defaultESC_EEPjjNS8_4plusIjEEEE10hipError_tPvRmT1_T2_T3_mT4_P12ihipStream_tbEUlT_E1_NS1_11comp_targetILNS1_3genE10ELNS1_11target_archE1200ELNS1_3gpuE4ELNS1_3repE0EEENS1_30default_config_static_selectorELNS0_4arch9wavefront6targetE1EEEvSK_.has_dyn_sized_stack, 0
	.set _ZN7rocprim17ROCPRIM_400000_NS6detail17trampoline_kernelINS0_14default_configENS1_22reduce_config_selectorIjEEZNS1_11reduce_implILb1ES3_N6thrust23THRUST_200600_302600_NS17counting_iteratorIjNS8_11hip_rocprim3tagENS8_11use_defaultESC_EEPjjNS8_4plusIjEEEE10hipError_tPvRmT1_T2_T3_mT4_P12ihipStream_tbEUlT_E1_NS1_11comp_targetILNS1_3genE10ELNS1_11target_archE1200ELNS1_3gpuE4ELNS1_3repE0EEENS1_30default_config_static_selectorELNS0_4arch9wavefront6targetE1EEEvSK_.has_recursion, 0
	.set _ZN7rocprim17ROCPRIM_400000_NS6detail17trampoline_kernelINS0_14default_configENS1_22reduce_config_selectorIjEEZNS1_11reduce_implILb1ES3_N6thrust23THRUST_200600_302600_NS17counting_iteratorIjNS8_11hip_rocprim3tagENS8_11use_defaultESC_EEPjjNS8_4plusIjEEEE10hipError_tPvRmT1_T2_T3_mT4_P12ihipStream_tbEUlT_E1_NS1_11comp_targetILNS1_3genE10ELNS1_11target_archE1200ELNS1_3gpuE4ELNS1_3repE0EEENS1_30default_config_static_selectorELNS0_4arch9wavefront6targetE1EEEvSK_.has_indirect_call, 0
	.section	.AMDGPU.csdata,"",@progbits
; Kernel info:
; codeLenInByte = 0
; TotalNumSgprs: 6
; NumVgprs: 0
; NumAgprs: 0
; TotalNumVgprs: 0
; ScratchSize: 0
; MemoryBound: 0
; FloatMode: 240
; IeeeMode: 1
; LDSByteSize: 0 bytes/workgroup (compile time only)
; SGPRBlocks: 0
; VGPRBlocks: 0
; NumSGPRsForWavesPerEU: 6
; NumVGPRsForWavesPerEU: 1
; AccumOffset: 4
; Occupancy: 8
; WaveLimiterHint : 0
; COMPUTE_PGM_RSRC2:SCRATCH_EN: 0
; COMPUTE_PGM_RSRC2:USER_SGPR: 2
; COMPUTE_PGM_RSRC2:TRAP_HANDLER: 0
; COMPUTE_PGM_RSRC2:TGID_X_EN: 1
; COMPUTE_PGM_RSRC2:TGID_Y_EN: 0
; COMPUTE_PGM_RSRC2:TGID_Z_EN: 0
; COMPUTE_PGM_RSRC2:TIDIG_COMP_CNT: 0
; COMPUTE_PGM_RSRC3_GFX90A:ACCUM_OFFSET: 0
; COMPUTE_PGM_RSRC3_GFX90A:TG_SPLIT: 0
	.section	.text._ZN7rocprim17ROCPRIM_400000_NS6detail17trampoline_kernelINS0_14default_configENS1_22reduce_config_selectorIjEEZNS1_11reduce_implILb1ES3_N6thrust23THRUST_200600_302600_NS17counting_iteratorIjNS8_11hip_rocprim3tagENS8_11use_defaultESC_EEPjjNS8_4plusIjEEEE10hipError_tPvRmT1_T2_T3_mT4_P12ihipStream_tbEUlT_E1_NS1_11comp_targetILNS1_3genE9ELNS1_11target_archE1100ELNS1_3gpuE3ELNS1_3repE0EEENS1_30default_config_static_selectorELNS0_4arch9wavefront6targetE1EEEvSK_,"axG",@progbits,_ZN7rocprim17ROCPRIM_400000_NS6detail17trampoline_kernelINS0_14default_configENS1_22reduce_config_selectorIjEEZNS1_11reduce_implILb1ES3_N6thrust23THRUST_200600_302600_NS17counting_iteratorIjNS8_11hip_rocprim3tagENS8_11use_defaultESC_EEPjjNS8_4plusIjEEEE10hipError_tPvRmT1_T2_T3_mT4_P12ihipStream_tbEUlT_E1_NS1_11comp_targetILNS1_3genE9ELNS1_11target_archE1100ELNS1_3gpuE3ELNS1_3repE0EEENS1_30default_config_static_selectorELNS0_4arch9wavefront6targetE1EEEvSK_,comdat
	.protected	_ZN7rocprim17ROCPRIM_400000_NS6detail17trampoline_kernelINS0_14default_configENS1_22reduce_config_selectorIjEEZNS1_11reduce_implILb1ES3_N6thrust23THRUST_200600_302600_NS17counting_iteratorIjNS8_11hip_rocprim3tagENS8_11use_defaultESC_EEPjjNS8_4plusIjEEEE10hipError_tPvRmT1_T2_T3_mT4_P12ihipStream_tbEUlT_E1_NS1_11comp_targetILNS1_3genE9ELNS1_11target_archE1100ELNS1_3gpuE3ELNS1_3repE0EEENS1_30default_config_static_selectorELNS0_4arch9wavefront6targetE1EEEvSK_ ; -- Begin function _ZN7rocprim17ROCPRIM_400000_NS6detail17trampoline_kernelINS0_14default_configENS1_22reduce_config_selectorIjEEZNS1_11reduce_implILb1ES3_N6thrust23THRUST_200600_302600_NS17counting_iteratorIjNS8_11hip_rocprim3tagENS8_11use_defaultESC_EEPjjNS8_4plusIjEEEE10hipError_tPvRmT1_T2_T3_mT4_P12ihipStream_tbEUlT_E1_NS1_11comp_targetILNS1_3genE9ELNS1_11target_archE1100ELNS1_3gpuE3ELNS1_3repE0EEENS1_30default_config_static_selectorELNS0_4arch9wavefront6targetE1EEEvSK_
	.globl	_ZN7rocprim17ROCPRIM_400000_NS6detail17trampoline_kernelINS0_14default_configENS1_22reduce_config_selectorIjEEZNS1_11reduce_implILb1ES3_N6thrust23THRUST_200600_302600_NS17counting_iteratorIjNS8_11hip_rocprim3tagENS8_11use_defaultESC_EEPjjNS8_4plusIjEEEE10hipError_tPvRmT1_T2_T3_mT4_P12ihipStream_tbEUlT_E1_NS1_11comp_targetILNS1_3genE9ELNS1_11target_archE1100ELNS1_3gpuE3ELNS1_3repE0EEENS1_30default_config_static_selectorELNS0_4arch9wavefront6targetE1EEEvSK_
	.p2align	8
	.type	_ZN7rocprim17ROCPRIM_400000_NS6detail17trampoline_kernelINS0_14default_configENS1_22reduce_config_selectorIjEEZNS1_11reduce_implILb1ES3_N6thrust23THRUST_200600_302600_NS17counting_iteratorIjNS8_11hip_rocprim3tagENS8_11use_defaultESC_EEPjjNS8_4plusIjEEEE10hipError_tPvRmT1_T2_T3_mT4_P12ihipStream_tbEUlT_E1_NS1_11comp_targetILNS1_3genE9ELNS1_11target_archE1100ELNS1_3gpuE3ELNS1_3repE0EEENS1_30default_config_static_selectorELNS0_4arch9wavefront6targetE1EEEvSK_,@function
_ZN7rocprim17ROCPRIM_400000_NS6detail17trampoline_kernelINS0_14default_configENS1_22reduce_config_selectorIjEEZNS1_11reduce_implILb1ES3_N6thrust23THRUST_200600_302600_NS17counting_iteratorIjNS8_11hip_rocprim3tagENS8_11use_defaultESC_EEPjjNS8_4plusIjEEEE10hipError_tPvRmT1_T2_T3_mT4_P12ihipStream_tbEUlT_E1_NS1_11comp_targetILNS1_3genE9ELNS1_11target_archE1100ELNS1_3gpuE3ELNS1_3repE0EEENS1_30default_config_static_selectorELNS0_4arch9wavefront6targetE1EEEvSK_: ; @_ZN7rocprim17ROCPRIM_400000_NS6detail17trampoline_kernelINS0_14default_configENS1_22reduce_config_selectorIjEEZNS1_11reduce_implILb1ES3_N6thrust23THRUST_200600_302600_NS17counting_iteratorIjNS8_11hip_rocprim3tagENS8_11use_defaultESC_EEPjjNS8_4plusIjEEEE10hipError_tPvRmT1_T2_T3_mT4_P12ihipStream_tbEUlT_E1_NS1_11comp_targetILNS1_3genE9ELNS1_11target_archE1100ELNS1_3gpuE3ELNS1_3repE0EEENS1_30default_config_static_selectorELNS0_4arch9wavefront6targetE1EEEvSK_
; %bb.0:
	.section	.rodata,"a",@progbits
	.p2align	6, 0x0
	.amdhsa_kernel _ZN7rocprim17ROCPRIM_400000_NS6detail17trampoline_kernelINS0_14default_configENS1_22reduce_config_selectorIjEEZNS1_11reduce_implILb1ES3_N6thrust23THRUST_200600_302600_NS17counting_iteratorIjNS8_11hip_rocprim3tagENS8_11use_defaultESC_EEPjjNS8_4plusIjEEEE10hipError_tPvRmT1_T2_T3_mT4_P12ihipStream_tbEUlT_E1_NS1_11comp_targetILNS1_3genE9ELNS1_11target_archE1100ELNS1_3gpuE3ELNS1_3repE0EEENS1_30default_config_static_selectorELNS0_4arch9wavefront6targetE1EEEvSK_
		.amdhsa_group_segment_fixed_size 0
		.amdhsa_private_segment_fixed_size 0
		.amdhsa_kernarg_size 40
		.amdhsa_user_sgpr_count 2
		.amdhsa_user_sgpr_dispatch_ptr 0
		.amdhsa_user_sgpr_queue_ptr 0
		.amdhsa_user_sgpr_kernarg_segment_ptr 1
		.amdhsa_user_sgpr_dispatch_id 0
		.amdhsa_user_sgpr_kernarg_preload_length 0
		.amdhsa_user_sgpr_kernarg_preload_offset 0
		.amdhsa_user_sgpr_private_segment_size 0
		.amdhsa_uses_dynamic_stack 0
		.amdhsa_enable_private_segment 0
		.amdhsa_system_sgpr_workgroup_id_x 1
		.amdhsa_system_sgpr_workgroup_id_y 0
		.amdhsa_system_sgpr_workgroup_id_z 0
		.amdhsa_system_sgpr_workgroup_info 0
		.amdhsa_system_vgpr_workitem_id 0
		.amdhsa_next_free_vgpr 1
		.amdhsa_next_free_sgpr 0
		.amdhsa_accum_offset 4
		.amdhsa_reserve_vcc 0
		.amdhsa_float_round_mode_32 0
		.amdhsa_float_round_mode_16_64 0
		.amdhsa_float_denorm_mode_32 3
		.amdhsa_float_denorm_mode_16_64 3
		.amdhsa_dx10_clamp 1
		.amdhsa_ieee_mode 1
		.amdhsa_fp16_overflow 0
		.amdhsa_tg_split 0
		.amdhsa_exception_fp_ieee_invalid_op 0
		.amdhsa_exception_fp_denorm_src 0
		.amdhsa_exception_fp_ieee_div_zero 0
		.amdhsa_exception_fp_ieee_overflow 0
		.amdhsa_exception_fp_ieee_underflow 0
		.amdhsa_exception_fp_ieee_inexact 0
		.amdhsa_exception_int_div_zero 0
	.end_amdhsa_kernel
	.section	.text._ZN7rocprim17ROCPRIM_400000_NS6detail17trampoline_kernelINS0_14default_configENS1_22reduce_config_selectorIjEEZNS1_11reduce_implILb1ES3_N6thrust23THRUST_200600_302600_NS17counting_iteratorIjNS8_11hip_rocprim3tagENS8_11use_defaultESC_EEPjjNS8_4plusIjEEEE10hipError_tPvRmT1_T2_T3_mT4_P12ihipStream_tbEUlT_E1_NS1_11comp_targetILNS1_3genE9ELNS1_11target_archE1100ELNS1_3gpuE3ELNS1_3repE0EEENS1_30default_config_static_selectorELNS0_4arch9wavefront6targetE1EEEvSK_,"axG",@progbits,_ZN7rocprim17ROCPRIM_400000_NS6detail17trampoline_kernelINS0_14default_configENS1_22reduce_config_selectorIjEEZNS1_11reduce_implILb1ES3_N6thrust23THRUST_200600_302600_NS17counting_iteratorIjNS8_11hip_rocprim3tagENS8_11use_defaultESC_EEPjjNS8_4plusIjEEEE10hipError_tPvRmT1_T2_T3_mT4_P12ihipStream_tbEUlT_E1_NS1_11comp_targetILNS1_3genE9ELNS1_11target_archE1100ELNS1_3gpuE3ELNS1_3repE0EEENS1_30default_config_static_selectorELNS0_4arch9wavefront6targetE1EEEvSK_,comdat
.Lfunc_end1053:
	.size	_ZN7rocprim17ROCPRIM_400000_NS6detail17trampoline_kernelINS0_14default_configENS1_22reduce_config_selectorIjEEZNS1_11reduce_implILb1ES3_N6thrust23THRUST_200600_302600_NS17counting_iteratorIjNS8_11hip_rocprim3tagENS8_11use_defaultESC_EEPjjNS8_4plusIjEEEE10hipError_tPvRmT1_T2_T3_mT4_P12ihipStream_tbEUlT_E1_NS1_11comp_targetILNS1_3genE9ELNS1_11target_archE1100ELNS1_3gpuE3ELNS1_3repE0EEENS1_30default_config_static_selectorELNS0_4arch9wavefront6targetE1EEEvSK_, .Lfunc_end1053-_ZN7rocprim17ROCPRIM_400000_NS6detail17trampoline_kernelINS0_14default_configENS1_22reduce_config_selectorIjEEZNS1_11reduce_implILb1ES3_N6thrust23THRUST_200600_302600_NS17counting_iteratorIjNS8_11hip_rocprim3tagENS8_11use_defaultESC_EEPjjNS8_4plusIjEEEE10hipError_tPvRmT1_T2_T3_mT4_P12ihipStream_tbEUlT_E1_NS1_11comp_targetILNS1_3genE9ELNS1_11target_archE1100ELNS1_3gpuE3ELNS1_3repE0EEENS1_30default_config_static_selectorELNS0_4arch9wavefront6targetE1EEEvSK_
                                        ; -- End function
	.set _ZN7rocprim17ROCPRIM_400000_NS6detail17trampoline_kernelINS0_14default_configENS1_22reduce_config_selectorIjEEZNS1_11reduce_implILb1ES3_N6thrust23THRUST_200600_302600_NS17counting_iteratorIjNS8_11hip_rocprim3tagENS8_11use_defaultESC_EEPjjNS8_4plusIjEEEE10hipError_tPvRmT1_T2_T3_mT4_P12ihipStream_tbEUlT_E1_NS1_11comp_targetILNS1_3genE9ELNS1_11target_archE1100ELNS1_3gpuE3ELNS1_3repE0EEENS1_30default_config_static_selectorELNS0_4arch9wavefront6targetE1EEEvSK_.num_vgpr, 0
	.set _ZN7rocprim17ROCPRIM_400000_NS6detail17trampoline_kernelINS0_14default_configENS1_22reduce_config_selectorIjEEZNS1_11reduce_implILb1ES3_N6thrust23THRUST_200600_302600_NS17counting_iteratorIjNS8_11hip_rocprim3tagENS8_11use_defaultESC_EEPjjNS8_4plusIjEEEE10hipError_tPvRmT1_T2_T3_mT4_P12ihipStream_tbEUlT_E1_NS1_11comp_targetILNS1_3genE9ELNS1_11target_archE1100ELNS1_3gpuE3ELNS1_3repE0EEENS1_30default_config_static_selectorELNS0_4arch9wavefront6targetE1EEEvSK_.num_agpr, 0
	.set _ZN7rocprim17ROCPRIM_400000_NS6detail17trampoline_kernelINS0_14default_configENS1_22reduce_config_selectorIjEEZNS1_11reduce_implILb1ES3_N6thrust23THRUST_200600_302600_NS17counting_iteratorIjNS8_11hip_rocprim3tagENS8_11use_defaultESC_EEPjjNS8_4plusIjEEEE10hipError_tPvRmT1_T2_T3_mT4_P12ihipStream_tbEUlT_E1_NS1_11comp_targetILNS1_3genE9ELNS1_11target_archE1100ELNS1_3gpuE3ELNS1_3repE0EEENS1_30default_config_static_selectorELNS0_4arch9wavefront6targetE1EEEvSK_.numbered_sgpr, 0
	.set _ZN7rocprim17ROCPRIM_400000_NS6detail17trampoline_kernelINS0_14default_configENS1_22reduce_config_selectorIjEEZNS1_11reduce_implILb1ES3_N6thrust23THRUST_200600_302600_NS17counting_iteratorIjNS8_11hip_rocprim3tagENS8_11use_defaultESC_EEPjjNS8_4plusIjEEEE10hipError_tPvRmT1_T2_T3_mT4_P12ihipStream_tbEUlT_E1_NS1_11comp_targetILNS1_3genE9ELNS1_11target_archE1100ELNS1_3gpuE3ELNS1_3repE0EEENS1_30default_config_static_selectorELNS0_4arch9wavefront6targetE1EEEvSK_.num_named_barrier, 0
	.set _ZN7rocprim17ROCPRIM_400000_NS6detail17trampoline_kernelINS0_14default_configENS1_22reduce_config_selectorIjEEZNS1_11reduce_implILb1ES3_N6thrust23THRUST_200600_302600_NS17counting_iteratorIjNS8_11hip_rocprim3tagENS8_11use_defaultESC_EEPjjNS8_4plusIjEEEE10hipError_tPvRmT1_T2_T3_mT4_P12ihipStream_tbEUlT_E1_NS1_11comp_targetILNS1_3genE9ELNS1_11target_archE1100ELNS1_3gpuE3ELNS1_3repE0EEENS1_30default_config_static_selectorELNS0_4arch9wavefront6targetE1EEEvSK_.private_seg_size, 0
	.set _ZN7rocprim17ROCPRIM_400000_NS6detail17trampoline_kernelINS0_14default_configENS1_22reduce_config_selectorIjEEZNS1_11reduce_implILb1ES3_N6thrust23THRUST_200600_302600_NS17counting_iteratorIjNS8_11hip_rocprim3tagENS8_11use_defaultESC_EEPjjNS8_4plusIjEEEE10hipError_tPvRmT1_T2_T3_mT4_P12ihipStream_tbEUlT_E1_NS1_11comp_targetILNS1_3genE9ELNS1_11target_archE1100ELNS1_3gpuE3ELNS1_3repE0EEENS1_30default_config_static_selectorELNS0_4arch9wavefront6targetE1EEEvSK_.uses_vcc, 0
	.set _ZN7rocprim17ROCPRIM_400000_NS6detail17trampoline_kernelINS0_14default_configENS1_22reduce_config_selectorIjEEZNS1_11reduce_implILb1ES3_N6thrust23THRUST_200600_302600_NS17counting_iteratorIjNS8_11hip_rocprim3tagENS8_11use_defaultESC_EEPjjNS8_4plusIjEEEE10hipError_tPvRmT1_T2_T3_mT4_P12ihipStream_tbEUlT_E1_NS1_11comp_targetILNS1_3genE9ELNS1_11target_archE1100ELNS1_3gpuE3ELNS1_3repE0EEENS1_30default_config_static_selectorELNS0_4arch9wavefront6targetE1EEEvSK_.uses_flat_scratch, 0
	.set _ZN7rocprim17ROCPRIM_400000_NS6detail17trampoline_kernelINS0_14default_configENS1_22reduce_config_selectorIjEEZNS1_11reduce_implILb1ES3_N6thrust23THRUST_200600_302600_NS17counting_iteratorIjNS8_11hip_rocprim3tagENS8_11use_defaultESC_EEPjjNS8_4plusIjEEEE10hipError_tPvRmT1_T2_T3_mT4_P12ihipStream_tbEUlT_E1_NS1_11comp_targetILNS1_3genE9ELNS1_11target_archE1100ELNS1_3gpuE3ELNS1_3repE0EEENS1_30default_config_static_selectorELNS0_4arch9wavefront6targetE1EEEvSK_.has_dyn_sized_stack, 0
	.set _ZN7rocprim17ROCPRIM_400000_NS6detail17trampoline_kernelINS0_14default_configENS1_22reduce_config_selectorIjEEZNS1_11reduce_implILb1ES3_N6thrust23THRUST_200600_302600_NS17counting_iteratorIjNS8_11hip_rocprim3tagENS8_11use_defaultESC_EEPjjNS8_4plusIjEEEE10hipError_tPvRmT1_T2_T3_mT4_P12ihipStream_tbEUlT_E1_NS1_11comp_targetILNS1_3genE9ELNS1_11target_archE1100ELNS1_3gpuE3ELNS1_3repE0EEENS1_30default_config_static_selectorELNS0_4arch9wavefront6targetE1EEEvSK_.has_recursion, 0
	.set _ZN7rocprim17ROCPRIM_400000_NS6detail17trampoline_kernelINS0_14default_configENS1_22reduce_config_selectorIjEEZNS1_11reduce_implILb1ES3_N6thrust23THRUST_200600_302600_NS17counting_iteratorIjNS8_11hip_rocprim3tagENS8_11use_defaultESC_EEPjjNS8_4plusIjEEEE10hipError_tPvRmT1_T2_T3_mT4_P12ihipStream_tbEUlT_E1_NS1_11comp_targetILNS1_3genE9ELNS1_11target_archE1100ELNS1_3gpuE3ELNS1_3repE0EEENS1_30default_config_static_selectorELNS0_4arch9wavefront6targetE1EEEvSK_.has_indirect_call, 0
	.section	.AMDGPU.csdata,"",@progbits
; Kernel info:
; codeLenInByte = 0
; TotalNumSgprs: 6
; NumVgprs: 0
; NumAgprs: 0
; TotalNumVgprs: 0
; ScratchSize: 0
; MemoryBound: 0
; FloatMode: 240
; IeeeMode: 1
; LDSByteSize: 0 bytes/workgroup (compile time only)
; SGPRBlocks: 0
; VGPRBlocks: 0
; NumSGPRsForWavesPerEU: 6
; NumVGPRsForWavesPerEU: 1
; AccumOffset: 4
; Occupancy: 8
; WaveLimiterHint : 0
; COMPUTE_PGM_RSRC2:SCRATCH_EN: 0
; COMPUTE_PGM_RSRC2:USER_SGPR: 2
; COMPUTE_PGM_RSRC2:TRAP_HANDLER: 0
; COMPUTE_PGM_RSRC2:TGID_X_EN: 1
; COMPUTE_PGM_RSRC2:TGID_Y_EN: 0
; COMPUTE_PGM_RSRC2:TGID_Z_EN: 0
; COMPUTE_PGM_RSRC2:TIDIG_COMP_CNT: 0
; COMPUTE_PGM_RSRC3_GFX90A:ACCUM_OFFSET: 0
; COMPUTE_PGM_RSRC3_GFX90A:TG_SPLIT: 0
	.section	.text._ZN7rocprim17ROCPRIM_400000_NS6detail17trampoline_kernelINS0_14default_configENS1_22reduce_config_selectorIjEEZNS1_11reduce_implILb1ES3_N6thrust23THRUST_200600_302600_NS17counting_iteratorIjNS8_11hip_rocprim3tagENS8_11use_defaultESC_EEPjjNS8_4plusIjEEEE10hipError_tPvRmT1_T2_T3_mT4_P12ihipStream_tbEUlT_E1_NS1_11comp_targetILNS1_3genE8ELNS1_11target_archE1030ELNS1_3gpuE2ELNS1_3repE0EEENS1_30default_config_static_selectorELNS0_4arch9wavefront6targetE1EEEvSK_,"axG",@progbits,_ZN7rocprim17ROCPRIM_400000_NS6detail17trampoline_kernelINS0_14default_configENS1_22reduce_config_selectorIjEEZNS1_11reduce_implILb1ES3_N6thrust23THRUST_200600_302600_NS17counting_iteratorIjNS8_11hip_rocprim3tagENS8_11use_defaultESC_EEPjjNS8_4plusIjEEEE10hipError_tPvRmT1_T2_T3_mT4_P12ihipStream_tbEUlT_E1_NS1_11comp_targetILNS1_3genE8ELNS1_11target_archE1030ELNS1_3gpuE2ELNS1_3repE0EEENS1_30default_config_static_selectorELNS0_4arch9wavefront6targetE1EEEvSK_,comdat
	.protected	_ZN7rocprim17ROCPRIM_400000_NS6detail17trampoline_kernelINS0_14default_configENS1_22reduce_config_selectorIjEEZNS1_11reduce_implILb1ES3_N6thrust23THRUST_200600_302600_NS17counting_iteratorIjNS8_11hip_rocprim3tagENS8_11use_defaultESC_EEPjjNS8_4plusIjEEEE10hipError_tPvRmT1_T2_T3_mT4_P12ihipStream_tbEUlT_E1_NS1_11comp_targetILNS1_3genE8ELNS1_11target_archE1030ELNS1_3gpuE2ELNS1_3repE0EEENS1_30default_config_static_selectorELNS0_4arch9wavefront6targetE1EEEvSK_ ; -- Begin function _ZN7rocprim17ROCPRIM_400000_NS6detail17trampoline_kernelINS0_14default_configENS1_22reduce_config_selectorIjEEZNS1_11reduce_implILb1ES3_N6thrust23THRUST_200600_302600_NS17counting_iteratorIjNS8_11hip_rocprim3tagENS8_11use_defaultESC_EEPjjNS8_4plusIjEEEE10hipError_tPvRmT1_T2_T3_mT4_P12ihipStream_tbEUlT_E1_NS1_11comp_targetILNS1_3genE8ELNS1_11target_archE1030ELNS1_3gpuE2ELNS1_3repE0EEENS1_30default_config_static_selectorELNS0_4arch9wavefront6targetE1EEEvSK_
	.globl	_ZN7rocprim17ROCPRIM_400000_NS6detail17trampoline_kernelINS0_14default_configENS1_22reduce_config_selectorIjEEZNS1_11reduce_implILb1ES3_N6thrust23THRUST_200600_302600_NS17counting_iteratorIjNS8_11hip_rocprim3tagENS8_11use_defaultESC_EEPjjNS8_4plusIjEEEE10hipError_tPvRmT1_T2_T3_mT4_P12ihipStream_tbEUlT_E1_NS1_11comp_targetILNS1_3genE8ELNS1_11target_archE1030ELNS1_3gpuE2ELNS1_3repE0EEENS1_30default_config_static_selectorELNS0_4arch9wavefront6targetE1EEEvSK_
	.p2align	8
	.type	_ZN7rocprim17ROCPRIM_400000_NS6detail17trampoline_kernelINS0_14default_configENS1_22reduce_config_selectorIjEEZNS1_11reduce_implILb1ES3_N6thrust23THRUST_200600_302600_NS17counting_iteratorIjNS8_11hip_rocprim3tagENS8_11use_defaultESC_EEPjjNS8_4plusIjEEEE10hipError_tPvRmT1_T2_T3_mT4_P12ihipStream_tbEUlT_E1_NS1_11comp_targetILNS1_3genE8ELNS1_11target_archE1030ELNS1_3gpuE2ELNS1_3repE0EEENS1_30default_config_static_selectorELNS0_4arch9wavefront6targetE1EEEvSK_,@function
_ZN7rocprim17ROCPRIM_400000_NS6detail17trampoline_kernelINS0_14default_configENS1_22reduce_config_selectorIjEEZNS1_11reduce_implILb1ES3_N6thrust23THRUST_200600_302600_NS17counting_iteratorIjNS8_11hip_rocprim3tagENS8_11use_defaultESC_EEPjjNS8_4plusIjEEEE10hipError_tPvRmT1_T2_T3_mT4_P12ihipStream_tbEUlT_E1_NS1_11comp_targetILNS1_3genE8ELNS1_11target_archE1030ELNS1_3gpuE2ELNS1_3repE0EEENS1_30default_config_static_selectorELNS0_4arch9wavefront6targetE1EEEvSK_: ; @_ZN7rocprim17ROCPRIM_400000_NS6detail17trampoline_kernelINS0_14default_configENS1_22reduce_config_selectorIjEEZNS1_11reduce_implILb1ES3_N6thrust23THRUST_200600_302600_NS17counting_iteratorIjNS8_11hip_rocprim3tagENS8_11use_defaultESC_EEPjjNS8_4plusIjEEEE10hipError_tPvRmT1_T2_T3_mT4_P12ihipStream_tbEUlT_E1_NS1_11comp_targetILNS1_3genE8ELNS1_11target_archE1030ELNS1_3gpuE2ELNS1_3repE0EEENS1_30default_config_static_selectorELNS0_4arch9wavefront6targetE1EEEvSK_
; %bb.0:
	.section	.rodata,"a",@progbits
	.p2align	6, 0x0
	.amdhsa_kernel _ZN7rocprim17ROCPRIM_400000_NS6detail17trampoline_kernelINS0_14default_configENS1_22reduce_config_selectorIjEEZNS1_11reduce_implILb1ES3_N6thrust23THRUST_200600_302600_NS17counting_iteratorIjNS8_11hip_rocprim3tagENS8_11use_defaultESC_EEPjjNS8_4plusIjEEEE10hipError_tPvRmT1_T2_T3_mT4_P12ihipStream_tbEUlT_E1_NS1_11comp_targetILNS1_3genE8ELNS1_11target_archE1030ELNS1_3gpuE2ELNS1_3repE0EEENS1_30default_config_static_selectorELNS0_4arch9wavefront6targetE1EEEvSK_
		.amdhsa_group_segment_fixed_size 0
		.amdhsa_private_segment_fixed_size 0
		.amdhsa_kernarg_size 40
		.amdhsa_user_sgpr_count 2
		.amdhsa_user_sgpr_dispatch_ptr 0
		.amdhsa_user_sgpr_queue_ptr 0
		.amdhsa_user_sgpr_kernarg_segment_ptr 1
		.amdhsa_user_sgpr_dispatch_id 0
		.amdhsa_user_sgpr_kernarg_preload_length 0
		.amdhsa_user_sgpr_kernarg_preload_offset 0
		.amdhsa_user_sgpr_private_segment_size 0
		.amdhsa_uses_dynamic_stack 0
		.amdhsa_enable_private_segment 0
		.amdhsa_system_sgpr_workgroup_id_x 1
		.amdhsa_system_sgpr_workgroup_id_y 0
		.amdhsa_system_sgpr_workgroup_id_z 0
		.amdhsa_system_sgpr_workgroup_info 0
		.amdhsa_system_vgpr_workitem_id 0
		.amdhsa_next_free_vgpr 1
		.amdhsa_next_free_sgpr 0
		.amdhsa_accum_offset 4
		.amdhsa_reserve_vcc 0
		.amdhsa_float_round_mode_32 0
		.amdhsa_float_round_mode_16_64 0
		.amdhsa_float_denorm_mode_32 3
		.amdhsa_float_denorm_mode_16_64 3
		.amdhsa_dx10_clamp 1
		.amdhsa_ieee_mode 1
		.amdhsa_fp16_overflow 0
		.amdhsa_tg_split 0
		.amdhsa_exception_fp_ieee_invalid_op 0
		.amdhsa_exception_fp_denorm_src 0
		.amdhsa_exception_fp_ieee_div_zero 0
		.amdhsa_exception_fp_ieee_overflow 0
		.amdhsa_exception_fp_ieee_underflow 0
		.amdhsa_exception_fp_ieee_inexact 0
		.amdhsa_exception_int_div_zero 0
	.end_amdhsa_kernel
	.section	.text._ZN7rocprim17ROCPRIM_400000_NS6detail17trampoline_kernelINS0_14default_configENS1_22reduce_config_selectorIjEEZNS1_11reduce_implILb1ES3_N6thrust23THRUST_200600_302600_NS17counting_iteratorIjNS8_11hip_rocprim3tagENS8_11use_defaultESC_EEPjjNS8_4plusIjEEEE10hipError_tPvRmT1_T2_T3_mT4_P12ihipStream_tbEUlT_E1_NS1_11comp_targetILNS1_3genE8ELNS1_11target_archE1030ELNS1_3gpuE2ELNS1_3repE0EEENS1_30default_config_static_selectorELNS0_4arch9wavefront6targetE1EEEvSK_,"axG",@progbits,_ZN7rocprim17ROCPRIM_400000_NS6detail17trampoline_kernelINS0_14default_configENS1_22reduce_config_selectorIjEEZNS1_11reduce_implILb1ES3_N6thrust23THRUST_200600_302600_NS17counting_iteratorIjNS8_11hip_rocprim3tagENS8_11use_defaultESC_EEPjjNS8_4plusIjEEEE10hipError_tPvRmT1_T2_T3_mT4_P12ihipStream_tbEUlT_E1_NS1_11comp_targetILNS1_3genE8ELNS1_11target_archE1030ELNS1_3gpuE2ELNS1_3repE0EEENS1_30default_config_static_selectorELNS0_4arch9wavefront6targetE1EEEvSK_,comdat
.Lfunc_end1054:
	.size	_ZN7rocprim17ROCPRIM_400000_NS6detail17trampoline_kernelINS0_14default_configENS1_22reduce_config_selectorIjEEZNS1_11reduce_implILb1ES3_N6thrust23THRUST_200600_302600_NS17counting_iteratorIjNS8_11hip_rocprim3tagENS8_11use_defaultESC_EEPjjNS8_4plusIjEEEE10hipError_tPvRmT1_T2_T3_mT4_P12ihipStream_tbEUlT_E1_NS1_11comp_targetILNS1_3genE8ELNS1_11target_archE1030ELNS1_3gpuE2ELNS1_3repE0EEENS1_30default_config_static_selectorELNS0_4arch9wavefront6targetE1EEEvSK_, .Lfunc_end1054-_ZN7rocprim17ROCPRIM_400000_NS6detail17trampoline_kernelINS0_14default_configENS1_22reduce_config_selectorIjEEZNS1_11reduce_implILb1ES3_N6thrust23THRUST_200600_302600_NS17counting_iteratorIjNS8_11hip_rocprim3tagENS8_11use_defaultESC_EEPjjNS8_4plusIjEEEE10hipError_tPvRmT1_T2_T3_mT4_P12ihipStream_tbEUlT_E1_NS1_11comp_targetILNS1_3genE8ELNS1_11target_archE1030ELNS1_3gpuE2ELNS1_3repE0EEENS1_30default_config_static_selectorELNS0_4arch9wavefront6targetE1EEEvSK_
                                        ; -- End function
	.set _ZN7rocprim17ROCPRIM_400000_NS6detail17trampoline_kernelINS0_14default_configENS1_22reduce_config_selectorIjEEZNS1_11reduce_implILb1ES3_N6thrust23THRUST_200600_302600_NS17counting_iteratorIjNS8_11hip_rocprim3tagENS8_11use_defaultESC_EEPjjNS8_4plusIjEEEE10hipError_tPvRmT1_T2_T3_mT4_P12ihipStream_tbEUlT_E1_NS1_11comp_targetILNS1_3genE8ELNS1_11target_archE1030ELNS1_3gpuE2ELNS1_3repE0EEENS1_30default_config_static_selectorELNS0_4arch9wavefront6targetE1EEEvSK_.num_vgpr, 0
	.set _ZN7rocprim17ROCPRIM_400000_NS6detail17trampoline_kernelINS0_14default_configENS1_22reduce_config_selectorIjEEZNS1_11reduce_implILb1ES3_N6thrust23THRUST_200600_302600_NS17counting_iteratorIjNS8_11hip_rocprim3tagENS8_11use_defaultESC_EEPjjNS8_4plusIjEEEE10hipError_tPvRmT1_T2_T3_mT4_P12ihipStream_tbEUlT_E1_NS1_11comp_targetILNS1_3genE8ELNS1_11target_archE1030ELNS1_3gpuE2ELNS1_3repE0EEENS1_30default_config_static_selectorELNS0_4arch9wavefront6targetE1EEEvSK_.num_agpr, 0
	.set _ZN7rocprim17ROCPRIM_400000_NS6detail17trampoline_kernelINS0_14default_configENS1_22reduce_config_selectorIjEEZNS1_11reduce_implILb1ES3_N6thrust23THRUST_200600_302600_NS17counting_iteratorIjNS8_11hip_rocprim3tagENS8_11use_defaultESC_EEPjjNS8_4plusIjEEEE10hipError_tPvRmT1_T2_T3_mT4_P12ihipStream_tbEUlT_E1_NS1_11comp_targetILNS1_3genE8ELNS1_11target_archE1030ELNS1_3gpuE2ELNS1_3repE0EEENS1_30default_config_static_selectorELNS0_4arch9wavefront6targetE1EEEvSK_.numbered_sgpr, 0
	.set _ZN7rocprim17ROCPRIM_400000_NS6detail17trampoline_kernelINS0_14default_configENS1_22reduce_config_selectorIjEEZNS1_11reduce_implILb1ES3_N6thrust23THRUST_200600_302600_NS17counting_iteratorIjNS8_11hip_rocprim3tagENS8_11use_defaultESC_EEPjjNS8_4plusIjEEEE10hipError_tPvRmT1_T2_T3_mT4_P12ihipStream_tbEUlT_E1_NS1_11comp_targetILNS1_3genE8ELNS1_11target_archE1030ELNS1_3gpuE2ELNS1_3repE0EEENS1_30default_config_static_selectorELNS0_4arch9wavefront6targetE1EEEvSK_.num_named_barrier, 0
	.set _ZN7rocprim17ROCPRIM_400000_NS6detail17trampoline_kernelINS0_14default_configENS1_22reduce_config_selectorIjEEZNS1_11reduce_implILb1ES3_N6thrust23THRUST_200600_302600_NS17counting_iteratorIjNS8_11hip_rocprim3tagENS8_11use_defaultESC_EEPjjNS8_4plusIjEEEE10hipError_tPvRmT1_T2_T3_mT4_P12ihipStream_tbEUlT_E1_NS1_11comp_targetILNS1_3genE8ELNS1_11target_archE1030ELNS1_3gpuE2ELNS1_3repE0EEENS1_30default_config_static_selectorELNS0_4arch9wavefront6targetE1EEEvSK_.private_seg_size, 0
	.set _ZN7rocprim17ROCPRIM_400000_NS6detail17trampoline_kernelINS0_14default_configENS1_22reduce_config_selectorIjEEZNS1_11reduce_implILb1ES3_N6thrust23THRUST_200600_302600_NS17counting_iteratorIjNS8_11hip_rocprim3tagENS8_11use_defaultESC_EEPjjNS8_4plusIjEEEE10hipError_tPvRmT1_T2_T3_mT4_P12ihipStream_tbEUlT_E1_NS1_11comp_targetILNS1_3genE8ELNS1_11target_archE1030ELNS1_3gpuE2ELNS1_3repE0EEENS1_30default_config_static_selectorELNS0_4arch9wavefront6targetE1EEEvSK_.uses_vcc, 0
	.set _ZN7rocprim17ROCPRIM_400000_NS6detail17trampoline_kernelINS0_14default_configENS1_22reduce_config_selectorIjEEZNS1_11reduce_implILb1ES3_N6thrust23THRUST_200600_302600_NS17counting_iteratorIjNS8_11hip_rocprim3tagENS8_11use_defaultESC_EEPjjNS8_4plusIjEEEE10hipError_tPvRmT1_T2_T3_mT4_P12ihipStream_tbEUlT_E1_NS1_11comp_targetILNS1_3genE8ELNS1_11target_archE1030ELNS1_3gpuE2ELNS1_3repE0EEENS1_30default_config_static_selectorELNS0_4arch9wavefront6targetE1EEEvSK_.uses_flat_scratch, 0
	.set _ZN7rocprim17ROCPRIM_400000_NS6detail17trampoline_kernelINS0_14default_configENS1_22reduce_config_selectorIjEEZNS1_11reduce_implILb1ES3_N6thrust23THRUST_200600_302600_NS17counting_iteratorIjNS8_11hip_rocprim3tagENS8_11use_defaultESC_EEPjjNS8_4plusIjEEEE10hipError_tPvRmT1_T2_T3_mT4_P12ihipStream_tbEUlT_E1_NS1_11comp_targetILNS1_3genE8ELNS1_11target_archE1030ELNS1_3gpuE2ELNS1_3repE0EEENS1_30default_config_static_selectorELNS0_4arch9wavefront6targetE1EEEvSK_.has_dyn_sized_stack, 0
	.set _ZN7rocprim17ROCPRIM_400000_NS6detail17trampoline_kernelINS0_14default_configENS1_22reduce_config_selectorIjEEZNS1_11reduce_implILb1ES3_N6thrust23THRUST_200600_302600_NS17counting_iteratorIjNS8_11hip_rocprim3tagENS8_11use_defaultESC_EEPjjNS8_4plusIjEEEE10hipError_tPvRmT1_T2_T3_mT4_P12ihipStream_tbEUlT_E1_NS1_11comp_targetILNS1_3genE8ELNS1_11target_archE1030ELNS1_3gpuE2ELNS1_3repE0EEENS1_30default_config_static_selectorELNS0_4arch9wavefront6targetE1EEEvSK_.has_recursion, 0
	.set _ZN7rocprim17ROCPRIM_400000_NS6detail17trampoline_kernelINS0_14default_configENS1_22reduce_config_selectorIjEEZNS1_11reduce_implILb1ES3_N6thrust23THRUST_200600_302600_NS17counting_iteratorIjNS8_11hip_rocprim3tagENS8_11use_defaultESC_EEPjjNS8_4plusIjEEEE10hipError_tPvRmT1_T2_T3_mT4_P12ihipStream_tbEUlT_E1_NS1_11comp_targetILNS1_3genE8ELNS1_11target_archE1030ELNS1_3gpuE2ELNS1_3repE0EEENS1_30default_config_static_selectorELNS0_4arch9wavefront6targetE1EEEvSK_.has_indirect_call, 0
	.section	.AMDGPU.csdata,"",@progbits
; Kernel info:
; codeLenInByte = 0
; TotalNumSgprs: 6
; NumVgprs: 0
; NumAgprs: 0
; TotalNumVgprs: 0
; ScratchSize: 0
; MemoryBound: 0
; FloatMode: 240
; IeeeMode: 1
; LDSByteSize: 0 bytes/workgroup (compile time only)
; SGPRBlocks: 0
; VGPRBlocks: 0
; NumSGPRsForWavesPerEU: 6
; NumVGPRsForWavesPerEU: 1
; AccumOffset: 4
; Occupancy: 8
; WaveLimiterHint : 0
; COMPUTE_PGM_RSRC2:SCRATCH_EN: 0
; COMPUTE_PGM_RSRC2:USER_SGPR: 2
; COMPUTE_PGM_RSRC2:TRAP_HANDLER: 0
; COMPUTE_PGM_RSRC2:TGID_X_EN: 1
; COMPUTE_PGM_RSRC2:TGID_Y_EN: 0
; COMPUTE_PGM_RSRC2:TGID_Z_EN: 0
; COMPUTE_PGM_RSRC2:TIDIG_COMP_CNT: 0
; COMPUTE_PGM_RSRC3_GFX90A:ACCUM_OFFSET: 0
; COMPUTE_PGM_RSRC3_GFX90A:TG_SPLIT: 0
	.section	.text._ZN7rocprim17ROCPRIM_400000_NS6detail17trampoline_kernelINS0_14default_configENS1_22reduce_config_selectorItEEZNS1_11reduce_implILb1ES3_N6thrust23THRUST_200600_302600_NS17counting_iteratorItNS8_11hip_rocprim3tagENS8_11use_defaultESC_EEPttNS8_4plusItEEEE10hipError_tPvRmT1_T2_T3_mT4_P12ihipStream_tbEUlT_E0_NS1_11comp_targetILNS1_3genE0ELNS1_11target_archE4294967295ELNS1_3gpuE0ELNS1_3repE0EEENS1_30default_config_static_selectorELNS0_4arch9wavefront6targetE1EEEvSK_,"axG",@progbits,_ZN7rocprim17ROCPRIM_400000_NS6detail17trampoline_kernelINS0_14default_configENS1_22reduce_config_selectorItEEZNS1_11reduce_implILb1ES3_N6thrust23THRUST_200600_302600_NS17counting_iteratorItNS8_11hip_rocprim3tagENS8_11use_defaultESC_EEPttNS8_4plusItEEEE10hipError_tPvRmT1_T2_T3_mT4_P12ihipStream_tbEUlT_E0_NS1_11comp_targetILNS1_3genE0ELNS1_11target_archE4294967295ELNS1_3gpuE0ELNS1_3repE0EEENS1_30default_config_static_selectorELNS0_4arch9wavefront6targetE1EEEvSK_,comdat
	.protected	_ZN7rocprim17ROCPRIM_400000_NS6detail17trampoline_kernelINS0_14default_configENS1_22reduce_config_selectorItEEZNS1_11reduce_implILb1ES3_N6thrust23THRUST_200600_302600_NS17counting_iteratorItNS8_11hip_rocprim3tagENS8_11use_defaultESC_EEPttNS8_4plusItEEEE10hipError_tPvRmT1_T2_T3_mT4_P12ihipStream_tbEUlT_E0_NS1_11comp_targetILNS1_3genE0ELNS1_11target_archE4294967295ELNS1_3gpuE0ELNS1_3repE0EEENS1_30default_config_static_selectorELNS0_4arch9wavefront6targetE1EEEvSK_ ; -- Begin function _ZN7rocprim17ROCPRIM_400000_NS6detail17trampoline_kernelINS0_14default_configENS1_22reduce_config_selectorItEEZNS1_11reduce_implILb1ES3_N6thrust23THRUST_200600_302600_NS17counting_iteratorItNS8_11hip_rocprim3tagENS8_11use_defaultESC_EEPttNS8_4plusItEEEE10hipError_tPvRmT1_T2_T3_mT4_P12ihipStream_tbEUlT_E0_NS1_11comp_targetILNS1_3genE0ELNS1_11target_archE4294967295ELNS1_3gpuE0ELNS1_3repE0EEENS1_30default_config_static_selectorELNS0_4arch9wavefront6targetE1EEEvSK_
	.globl	_ZN7rocprim17ROCPRIM_400000_NS6detail17trampoline_kernelINS0_14default_configENS1_22reduce_config_selectorItEEZNS1_11reduce_implILb1ES3_N6thrust23THRUST_200600_302600_NS17counting_iteratorItNS8_11hip_rocprim3tagENS8_11use_defaultESC_EEPttNS8_4plusItEEEE10hipError_tPvRmT1_T2_T3_mT4_P12ihipStream_tbEUlT_E0_NS1_11comp_targetILNS1_3genE0ELNS1_11target_archE4294967295ELNS1_3gpuE0ELNS1_3repE0EEENS1_30default_config_static_selectorELNS0_4arch9wavefront6targetE1EEEvSK_
	.p2align	8
	.type	_ZN7rocprim17ROCPRIM_400000_NS6detail17trampoline_kernelINS0_14default_configENS1_22reduce_config_selectorItEEZNS1_11reduce_implILb1ES3_N6thrust23THRUST_200600_302600_NS17counting_iteratorItNS8_11hip_rocprim3tagENS8_11use_defaultESC_EEPttNS8_4plusItEEEE10hipError_tPvRmT1_T2_T3_mT4_P12ihipStream_tbEUlT_E0_NS1_11comp_targetILNS1_3genE0ELNS1_11target_archE4294967295ELNS1_3gpuE0ELNS1_3repE0EEENS1_30default_config_static_selectorELNS0_4arch9wavefront6targetE1EEEvSK_,@function
_ZN7rocprim17ROCPRIM_400000_NS6detail17trampoline_kernelINS0_14default_configENS1_22reduce_config_selectorItEEZNS1_11reduce_implILb1ES3_N6thrust23THRUST_200600_302600_NS17counting_iteratorItNS8_11hip_rocprim3tagENS8_11use_defaultESC_EEPttNS8_4plusItEEEE10hipError_tPvRmT1_T2_T3_mT4_P12ihipStream_tbEUlT_E0_NS1_11comp_targetILNS1_3genE0ELNS1_11target_archE4294967295ELNS1_3gpuE0ELNS1_3repE0EEENS1_30default_config_static_selectorELNS0_4arch9wavefront6targetE1EEEvSK_: ; @_ZN7rocprim17ROCPRIM_400000_NS6detail17trampoline_kernelINS0_14default_configENS1_22reduce_config_selectorItEEZNS1_11reduce_implILb1ES3_N6thrust23THRUST_200600_302600_NS17counting_iteratorItNS8_11hip_rocprim3tagENS8_11use_defaultESC_EEPttNS8_4plusItEEEE10hipError_tPvRmT1_T2_T3_mT4_P12ihipStream_tbEUlT_E0_NS1_11comp_targetILNS1_3genE0ELNS1_11target_archE4294967295ELNS1_3gpuE0ELNS1_3repE0EEENS1_30default_config_static_selectorELNS0_4arch9wavefront6targetE1EEEvSK_
; %bb.0:
	s_load_dword s15, s[0:1], 0x0
	s_load_dwordx8 s[4:11], s[0:1], 0x8
	s_load_dwordx2 s[12:13], s[0:1], 0x28
	s_lshl_b32 s16, s2, 10
	s_mov_b32 s3, 0
	v_mbcnt_lo_u32_b32 v1, -1, 0
	s_waitcnt lgkmcnt(0)
	s_add_i32 s15, s15, s4
	s_lshr_b64 s[4:5], s[6:7], 10
	s_cmp_lg_u64 s[4:5], s[2:3]
	s_cbranch_scc0 .LBB1055_6
; %bb.1:
	v_or_b32_e32 v2, s16, v0
	v_add_u16_e32 v2, s15, v2
	v_lshlrev_b16_e32 v2, 3, v2
	v_add_u16_e32 v2, 0xe00, v2
	v_mbcnt_hi_u32_b32 v3, -1, v1
	v_lshlrev_b32_e32 v4, 2, v3
	v_add_u16_dpp v2, v2, v2 quad_perm:[1,0,3,2] row_mask:0xf bank_mask:0xf bound_ctrl:1
	v_or_b32_e32 v5, 0xfc, v4
	v_cmp_eq_u32_e32 vcc, 0, v3
	v_add_u16_dpp v2, v2, v2 quad_perm:[2,3,0,1] row_mask:0xf bank_mask:0xf bound_ctrl:1
	s_nop 1
	v_add_u16_dpp v2, v2, v2 row_ror:4 row_mask:0xf bank_mask:0xf bound_ctrl:1
	s_nop 1
	v_add_u16_dpp v2, v2, v2 row_ror:8 row_mask:0xf bank_mask:0xf bound_ctrl:1
	s_nop 1
	v_add_u16_dpp v2, v2, v2 row_bcast:15 row_mask:0xf bank_mask:0xf bound_ctrl:1
	s_nop 1
	v_add_u16_dpp v2, v2, v2 row_bcast:31 row_mask:0xf bank_mask:0xf bound_ctrl:1
	ds_bpermute_b32 v2, v5, v2
	s_and_saveexec_b64 s[4:5], vcc
	s_cbranch_execz .LBB1055_3
; %bb.2:
	v_lshrrev_b32_e32 v5, 5, v0
	v_and_b32_e32 v5, 2, v5
	s_waitcnt lgkmcnt(0)
	ds_write_b16 v5, v2
.LBB1055_3:
	s_or_b64 exec, exec, s[4:5]
	v_cmp_gt_u32_e32 vcc, 64, v0
	s_waitcnt lgkmcnt(0)
	s_barrier
	s_and_saveexec_b64 s[4:5], vcc
	s_cbranch_execz .LBB1055_5
; %bb.4:
	v_and_b32_e32 v2, 1, v3
	v_lshlrev_b32_e32 v2, 1, v2
	ds_read_u16 v2, v2
	v_or_b32_e32 v3, 4, v4
	s_waitcnt lgkmcnt(0)
	v_and_b32_e32 v4, 0xffff, v2
	ds_bpermute_b32 v3, v3, v4
	s_waitcnt lgkmcnt(0)
	v_add_u16_e32 v2, v2, v3
.LBB1055_5:
	s_or_b64 exec, exec, s[4:5]
	s_load_dword s14, s[0:1], 0x30
	s_branch .LBB1055_12
.LBB1055_6:
                                        ; implicit-def: $vgpr2
	s_load_dword s14, s[0:1], 0x30
	s_cbranch_execz .LBB1055_12
; %bb.7:
	s_sub_i32 s0, s6, s16
	s_add_i32 s15, s15, s16
	v_add_u16_e32 v2, s15, v0
	v_or_b32_e32 v3, 0x80, v0
	v_cmp_gt_u32_e32 vcc, s0, v0
	v_add_u16_e32 v4, s15, v3
	v_or_b32_e32 v5, 0x100, v0
	v_cndmask_b32_e32 v2, 0, v2, vcc
	v_cmp_gt_u32_e32 vcc, s0, v3
	v_add_u16_e32 v6, s15, v5
	v_or_b32_e32 v7, 0x180, v0
	v_cndmask_b32_e32 v3, 0, v4, vcc
	;; [unrolled: 4-line block ×6, first 2 shown]
	v_cmp_gt_u32_e32 vcc, s0, v13
	v_add_u16_e32 v16, s15, v15
	v_mbcnt_hi_u32_b32 v1, -1, v1
	v_cndmask_b32_e32 v8, 0, v14, vcc
	v_cmp_gt_u32_e32 vcc, s0, v15
	s_min_u32 s4, s0, 0x80
	s_nop 0
	v_cndmask_b32_e32 v9, 0, v16, vcc
	v_add_u16_e32 v8, v9, v8
	v_add_u16_e32 v6, v8, v6
	;; [unrolled: 1-line block ×6, first 2 shown]
	v_and_b32_e32 v4, 63, v1
	v_cmp_ne_u32_e32 vcc, 63, v4
	v_add_u16_e32 v2, v2, v5
	v_and_b32_e32 v5, 64, v0
	v_addc_co_u32_e32 v3, vcc, 0, v1, vcc
	v_lshlrev_b32_e32 v3, 2, v3
	ds_bpermute_b32 v3, v3, v2
	v_sub_u32_e64 v5, s4, v5 clamp
	v_add_u32_e32 v6, 1, v4
	v_cmp_gt_u32_e64 s[0:1], 62, v4
	v_cmp_lt_u32_e32 vcc, v6, v5
	s_waitcnt lgkmcnt(0)
	v_add_u16_e32 v3, v2, v3
	v_cndmask_b32_e64 v6, 0, 2, s[0:1]
	v_cndmask_b32_e32 v3, v2, v3, vcc
	v_add_lshl_u32 v6, v6, v1, 2
	ds_bpermute_b32 v6, v6, v3
	v_add_u32_e32 v7, 2, v4
	v_cmp_lt_u32_e64 s[0:1], v7, v5
	v_add_u32_e32 v7, 4, v4
	s_waitcnt lgkmcnt(0)
	v_add_u16_e32 v6, v3, v6
	v_cndmask_b32_e64 v3, v3, v6, s[0:1]
	v_cmp_gt_u32_e64 s[0:1], 60, v4
	s_nop 1
	v_cndmask_b32_e64 v6, 0, 4, s[0:1]
	v_add_lshl_u32 v6, v6, v1, 2
	ds_bpermute_b32 v6, v6, v3
	v_cmp_lt_u32_e64 s[0:1], v7, v5
	v_add_u32_e32 v7, 8, v4
	s_waitcnt lgkmcnt(0)
	v_add_u16_e32 v6, v3, v6
	v_cndmask_b32_e64 v3, v3, v6, s[0:1]
	v_cmp_gt_u32_e64 s[0:1], 56, v4
	s_nop 1
	v_cndmask_b32_e64 v6, 0, 8, s[0:1]
	v_add_lshl_u32 v6, v6, v1, 2
	ds_bpermute_b32 v6, v6, v3
	v_cmp_lt_u32_e64 s[0:1], v7, v5
	v_add_u32_e32 v7, 16, v4
	s_waitcnt lgkmcnt(0)
	v_add_u16_e32 v6, v3, v6
	v_cndmask_b32_e64 v3, v3, v6, s[0:1]
	v_cmp_gt_u32_e64 s[0:1], 48, v4
	v_add_u32_e32 v4, 32, v4
	s_nop 0
	v_cndmask_b32_e64 v6, 0, 16, s[0:1]
	v_add_lshl_u32 v6, v6, v1, 2
	ds_bpermute_b32 v6, v6, v3
	v_cmp_lt_u32_e64 s[0:1], v7, v5
	s_waitcnt lgkmcnt(0)
	v_add_u16_e32 v6, v3, v6
	v_cndmask_b32_e64 v6, v3, v6, s[0:1]
	v_lshlrev_b32_e32 v3, 2, v1
	v_or_b32_e32 v7, 0x80, v3
	ds_bpermute_b32 v7, v7, v6
	v_cmp_lt_u32_e64 s[0:1], v4, v5
	s_waitcnt lgkmcnt(0)
	s_nop 0
	v_cndmask_b32_e64 v4, 0, v7, s[0:1]
	v_add_u16_e32 v4, v6, v4
	v_cndmask_b32_e32 v2, v2, v4, vcc
	v_cmp_eq_u32_e32 vcc, 0, v1
	s_and_saveexec_b64 s[0:1], vcc
; %bb.8:
	v_lshrrev_b32_e32 v4, 5, v0
	v_and_b32_e32 v4, 2, v4
	ds_write_b16 v4, v2 offset:4
; %bb.9:
	s_or_b64 exec, exec, s[0:1]
	v_cmp_gt_u32_e32 vcc, 2, v0
	s_waitcnt lgkmcnt(0)
	s_barrier
	s_and_saveexec_b64 s[0:1], vcc
	s_cbranch_execz .LBB1055_11
; %bb.10:
	v_lshlrev_b32_e32 v2, 1, v1
	ds_read_u16 v2, v2 offset:4
	v_or_b32_e32 v3, 4, v3
	s_add_i32 s4, s4, 63
	v_and_b32_e32 v1, 1, v1
	s_lshr_b32 s4, s4, 6
	s_waitcnt lgkmcnt(0)
	v_and_b32_e32 v4, 0xffff, v2
	ds_bpermute_b32 v3, v3, v4
	v_add_u32_e32 v1, 1, v1
	v_cmp_gt_u32_e32 vcc, s4, v1
	s_waitcnt lgkmcnt(0)
	s_nop 0
	v_cndmask_b32_e32 v1, 0, v3, vcc
	v_add_u16_e32 v2, v1, v2
.LBB1055_11:
	s_or_b64 exec, exec, s[0:1]
.LBB1055_12:
	v_cmp_eq_u32_e32 vcc, 0, v0
	s_and_saveexec_b64 s[0:1], vcc
	s_cbranch_execnz .LBB1055_14
; %bb.13:
	s_endpgm
.LBB1055_14:
	s_mul_i32 s0, s12, s11
	s_mul_hi_u32 s1, s12, s10
	s_add_i32 s0, s1, s0
	s_mul_i32 s1, s13, s10
	s_add_i32 s1, s0, s1
	s_mul_i32 s0, s12, s10
	s_lshl_b64 s[0:1], s[0:1], 1
	s_add_u32 s4, s8, s0
	s_addc_u32 s5, s9, s1
	s_cmp_eq_u64 s[6:7], 0
	s_cselect_b64 vcc, -1, 0
	s_lshl_b64 s[0:1], s[2:3], 1
	s_waitcnt lgkmcnt(0)
	v_mov_b32_e32 v0, s14
	s_add_u32 s0, s4, s0
	v_cndmask_b32_e32 v0, v2, v0, vcc
	s_addc_u32 s1, s5, s1
	v_mov_b32_e32 v1, 0
	global_store_short v1, v0, s[0:1]
	s_endpgm
	.section	.rodata,"a",@progbits
	.p2align	6, 0x0
	.amdhsa_kernel _ZN7rocprim17ROCPRIM_400000_NS6detail17trampoline_kernelINS0_14default_configENS1_22reduce_config_selectorItEEZNS1_11reduce_implILb1ES3_N6thrust23THRUST_200600_302600_NS17counting_iteratorItNS8_11hip_rocprim3tagENS8_11use_defaultESC_EEPttNS8_4plusItEEEE10hipError_tPvRmT1_T2_T3_mT4_P12ihipStream_tbEUlT_E0_NS1_11comp_targetILNS1_3genE0ELNS1_11target_archE4294967295ELNS1_3gpuE0ELNS1_3repE0EEENS1_30default_config_static_selectorELNS0_4arch9wavefront6targetE1EEEvSK_
		.amdhsa_group_segment_fixed_size 8
		.amdhsa_private_segment_fixed_size 0
		.amdhsa_kernarg_size 56
		.amdhsa_user_sgpr_count 2
		.amdhsa_user_sgpr_dispatch_ptr 0
		.amdhsa_user_sgpr_queue_ptr 0
		.amdhsa_user_sgpr_kernarg_segment_ptr 1
		.amdhsa_user_sgpr_dispatch_id 0
		.amdhsa_user_sgpr_kernarg_preload_length 0
		.amdhsa_user_sgpr_kernarg_preload_offset 0
		.amdhsa_user_sgpr_private_segment_size 0
		.amdhsa_uses_dynamic_stack 0
		.amdhsa_enable_private_segment 0
		.amdhsa_system_sgpr_workgroup_id_x 1
		.amdhsa_system_sgpr_workgroup_id_y 0
		.amdhsa_system_sgpr_workgroup_id_z 0
		.amdhsa_system_sgpr_workgroup_info 0
		.amdhsa_system_vgpr_workitem_id 0
		.amdhsa_next_free_vgpr 17
		.amdhsa_next_free_sgpr 17
		.amdhsa_accum_offset 20
		.amdhsa_reserve_vcc 1
		.amdhsa_float_round_mode_32 0
		.amdhsa_float_round_mode_16_64 0
		.amdhsa_float_denorm_mode_32 3
		.amdhsa_float_denorm_mode_16_64 3
		.amdhsa_dx10_clamp 1
		.amdhsa_ieee_mode 1
		.amdhsa_fp16_overflow 0
		.amdhsa_tg_split 0
		.amdhsa_exception_fp_ieee_invalid_op 0
		.amdhsa_exception_fp_denorm_src 0
		.amdhsa_exception_fp_ieee_div_zero 0
		.amdhsa_exception_fp_ieee_overflow 0
		.amdhsa_exception_fp_ieee_underflow 0
		.amdhsa_exception_fp_ieee_inexact 0
		.amdhsa_exception_int_div_zero 0
	.end_amdhsa_kernel
	.section	.text._ZN7rocprim17ROCPRIM_400000_NS6detail17trampoline_kernelINS0_14default_configENS1_22reduce_config_selectorItEEZNS1_11reduce_implILb1ES3_N6thrust23THRUST_200600_302600_NS17counting_iteratorItNS8_11hip_rocprim3tagENS8_11use_defaultESC_EEPttNS8_4plusItEEEE10hipError_tPvRmT1_T2_T3_mT4_P12ihipStream_tbEUlT_E0_NS1_11comp_targetILNS1_3genE0ELNS1_11target_archE4294967295ELNS1_3gpuE0ELNS1_3repE0EEENS1_30default_config_static_selectorELNS0_4arch9wavefront6targetE1EEEvSK_,"axG",@progbits,_ZN7rocprim17ROCPRIM_400000_NS6detail17trampoline_kernelINS0_14default_configENS1_22reduce_config_selectorItEEZNS1_11reduce_implILb1ES3_N6thrust23THRUST_200600_302600_NS17counting_iteratorItNS8_11hip_rocprim3tagENS8_11use_defaultESC_EEPttNS8_4plusItEEEE10hipError_tPvRmT1_T2_T3_mT4_P12ihipStream_tbEUlT_E0_NS1_11comp_targetILNS1_3genE0ELNS1_11target_archE4294967295ELNS1_3gpuE0ELNS1_3repE0EEENS1_30default_config_static_selectorELNS0_4arch9wavefront6targetE1EEEvSK_,comdat
.Lfunc_end1055:
	.size	_ZN7rocprim17ROCPRIM_400000_NS6detail17trampoline_kernelINS0_14default_configENS1_22reduce_config_selectorItEEZNS1_11reduce_implILb1ES3_N6thrust23THRUST_200600_302600_NS17counting_iteratorItNS8_11hip_rocprim3tagENS8_11use_defaultESC_EEPttNS8_4plusItEEEE10hipError_tPvRmT1_T2_T3_mT4_P12ihipStream_tbEUlT_E0_NS1_11comp_targetILNS1_3genE0ELNS1_11target_archE4294967295ELNS1_3gpuE0ELNS1_3repE0EEENS1_30default_config_static_selectorELNS0_4arch9wavefront6targetE1EEEvSK_, .Lfunc_end1055-_ZN7rocprim17ROCPRIM_400000_NS6detail17trampoline_kernelINS0_14default_configENS1_22reduce_config_selectorItEEZNS1_11reduce_implILb1ES3_N6thrust23THRUST_200600_302600_NS17counting_iteratorItNS8_11hip_rocprim3tagENS8_11use_defaultESC_EEPttNS8_4plusItEEEE10hipError_tPvRmT1_T2_T3_mT4_P12ihipStream_tbEUlT_E0_NS1_11comp_targetILNS1_3genE0ELNS1_11target_archE4294967295ELNS1_3gpuE0ELNS1_3repE0EEENS1_30default_config_static_selectorELNS0_4arch9wavefront6targetE1EEEvSK_
                                        ; -- End function
	.set _ZN7rocprim17ROCPRIM_400000_NS6detail17trampoline_kernelINS0_14default_configENS1_22reduce_config_selectorItEEZNS1_11reduce_implILb1ES3_N6thrust23THRUST_200600_302600_NS17counting_iteratorItNS8_11hip_rocprim3tagENS8_11use_defaultESC_EEPttNS8_4plusItEEEE10hipError_tPvRmT1_T2_T3_mT4_P12ihipStream_tbEUlT_E0_NS1_11comp_targetILNS1_3genE0ELNS1_11target_archE4294967295ELNS1_3gpuE0ELNS1_3repE0EEENS1_30default_config_static_selectorELNS0_4arch9wavefront6targetE1EEEvSK_.num_vgpr, 17
	.set _ZN7rocprim17ROCPRIM_400000_NS6detail17trampoline_kernelINS0_14default_configENS1_22reduce_config_selectorItEEZNS1_11reduce_implILb1ES3_N6thrust23THRUST_200600_302600_NS17counting_iteratorItNS8_11hip_rocprim3tagENS8_11use_defaultESC_EEPttNS8_4plusItEEEE10hipError_tPvRmT1_T2_T3_mT4_P12ihipStream_tbEUlT_E0_NS1_11comp_targetILNS1_3genE0ELNS1_11target_archE4294967295ELNS1_3gpuE0ELNS1_3repE0EEENS1_30default_config_static_selectorELNS0_4arch9wavefront6targetE1EEEvSK_.num_agpr, 0
	.set _ZN7rocprim17ROCPRIM_400000_NS6detail17trampoline_kernelINS0_14default_configENS1_22reduce_config_selectorItEEZNS1_11reduce_implILb1ES3_N6thrust23THRUST_200600_302600_NS17counting_iteratorItNS8_11hip_rocprim3tagENS8_11use_defaultESC_EEPttNS8_4plusItEEEE10hipError_tPvRmT1_T2_T3_mT4_P12ihipStream_tbEUlT_E0_NS1_11comp_targetILNS1_3genE0ELNS1_11target_archE4294967295ELNS1_3gpuE0ELNS1_3repE0EEENS1_30default_config_static_selectorELNS0_4arch9wavefront6targetE1EEEvSK_.numbered_sgpr, 17
	.set _ZN7rocprim17ROCPRIM_400000_NS6detail17trampoline_kernelINS0_14default_configENS1_22reduce_config_selectorItEEZNS1_11reduce_implILb1ES3_N6thrust23THRUST_200600_302600_NS17counting_iteratorItNS8_11hip_rocprim3tagENS8_11use_defaultESC_EEPttNS8_4plusItEEEE10hipError_tPvRmT1_T2_T3_mT4_P12ihipStream_tbEUlT_E0_NS1_11comp_targetILNS1_3genE0ELNS1_11target_archE4294967295ELNS1_3gpuE0ELNS1_3repE0EEENS1_30default_config_static_selectorELNS0_4arch9wavefront6targetE1EEEvSK_.num_named_barrier, 0
	.set _ZN7rocprim17ROCPRIM_400000_NS6detail17trampoline_kernelINS0_14default_configENS1_22reduce_config_selectorItEEZNS1_11reduce_implILb1ES3_N6thrust23THRUST_200600_302600_NS17counting_iteratorItNS8_11hip_rocprim3tagENS8_11use_defaultESC_EEPttNS8_4plusItEEEE10hipError_tPvRmT1_T2_T3_mT4_P12ihipStream_tbEUlT_E0_NS1_11comp_targetILNS1_3genE0ELNS1_11target_archE4294967295ELNS1_3gpuE0ELNS1_3repE0EEENS1_30default_config_static_selectorELNS0_4arch9wavefront6targetE1EEEvSK_.private_seg_size, 0
	.set _ZN7rocprim17ROCPRIM_400000_NS6detail17trampoline_kernelINS0_14default_configENS1_22reduce_config_selectorItEEZNS1_11reduce_implILb1ES3_N6thrust23THRUST_200600_302600_NS17counting_iteratorItNS8_11hip_rocprim3tagENS8_11use_defaultESC_EEPttNS8_4plusItEEEE10hipError_tPvRmT1_T2_T3_mT4_P12ihipStream_tbEUlT_E0_NS1_11comp_targetILNS1_3genE0ELNS1_11target_archE4294967295ELNS1_3gpuE0ELNS1_3repE0EEENS1_30default_config_static_selectorELNS0_4arch9wavefront6targetE1EEEvSK_.uses_vcc, 1
	.set _ZN7rocprim17ROCPRIM_400000_NS6detail17trampoline_kernelINS0_14default_configENS1_22reduce_config_selectorItEEZNS1_11reduce_implILb1ES3_N6thrust23THRUST_200600_302600_NS17counting_iteratorItNS8_11hip_rocprim3tagENS8_11use_defaultESC_EEPttNS8_4plusItEEEE10hipError_tPvRmT1_T2_T3_mT4_P12ihipStream_tbEUlT_E0_NS1_11comp_targetILNS1_3genE0ELNS1_11target_archE4294967295ELNS1_3gpuE0ELNS1_3repE0EEENS1_30default_config_static_selectorELNS0_4arch9wavefront6targetE1EEEvSK_.uses_flat_scratch, 0
	.set _ZN7rocprim17ROCPRIM_400000_NS6detail17trampoline_kernelINS0_14default_configENS1_22reduce_config_selectorItEEZNS1_11reduce_implILb1ES3_N6thrust23THRUST_200600_302600_NS17counting_iteratorItNS8_11hip_rocprim3tagENS8_11use_defaultESC_EEPttNS8_4plusItEEEE10hipError_tPvRmT1_T2_T3_mT4_P12ihipStream_tbEUlT_E0_NS1_11comp_targetILNS1_3genE0ELNS1_11target_archE4294967295ELNS1_3gpuE0ELNS1_3repE0EEENS1_30default_config_static_selectorELNS0_4arch9wavefront6targetE1EEEvSK_.has_dyn_sized_stack, 0
	.set _ZN7rocprim17ROCPRIM_400000_NS6detail17trampoline_kernelINS0_14default_configENS1_22reduce_config_selectorItEEZNS1_11reduce_implILb1ES3_N6thrust23THRUST_200600_302600_NS17counting_iteratorItNS8_11hip_rocprim3tagENS8_11use_defaultESC_EEPttNS8_4plusItEEEE10hipError_tPvRmT1_T2_T3_mT4_P12ihipStream_tbEUlT_E0_NS1_11comp_targetILNS1_3genE0ELNS1_11target_archE4294967295ELNS1_3gpuE0ELNS1_3repE0EEENS1_30default_config_static_selectorELNS0_4arch9wavefront6targetE1EEEvSK_.has_recursion, 0
	.set _ZN7rocprim17ROCPRIM_400000_NS6detail17trampoline_kernelINS0_14default_configENS1_22reduce_config_selectorItEEZNS1_11reduce_implILb1ES3_N6thrust23THRUST_200600_302600_NS17counting_iteratorItNS8_11hip_rocprim3tagENS8_11use_defaultESC_EEPttNS8_4plusItEEEE10hipError_tPvRmT1_T2_T3_mT4_P12ihipStream_tbEUlT_E0_NS1_11comp_targetILNS1_3genE0ELNS1_11target_archE4294967295ELNS1_3gpuE0ELNS1_3repE0EEENS1_30default_config_static_selectorELNS0_4arch9wavefront6targetE1EEEvSK_.has_indirect_call, 0
	.section	.AMDGPU.csdata,"",@progbits
; Kernel info:
; codeLenInByte = 1100
; TotalNumSgprs: 23
; NumVgprs: 17
; NumAgprs: 0
; TotalNumVgprs: 17
; ScratchSize: 0
; MemoryBound: 0
; FloatMode: 240
; IeeeMode: 1
; LDSByteSize: 8 bytes/workgroup (compile time only)
; SGPRBlocks: 2
; VGPRBlocks: 2
; NumSGPRsForWavesPerEU: 23
; NumVGPRsForWavesPerEU: 17
; AccumOffset: 20
; Occupancy: 8
; WaveLimiterHint : 0
; COMPUTE_PGM_RSRC2:SCRATCH_EN: 0
; COMPUTE_PGM_RSRC2:USER_SGPR: 2
; COMPUTE_PGM_RSRC2:TRAP_HANDLER: 0
; COMPUTE_PGM_RSRC2:TGID_X_EN: 1
; COMPUTE_PGM_RSRC2:TGID_Y_EN: 0
; COMPUTE_PGM_RSRC2:TGID_Z_EN: 0
; COMPUTE_PGM_RSRC2:TIDIG_COMP_CNT: 0
; COMPUTE_PGM_RSRC3_GFX90A:ACCUM_OFFSET: 4
; COMPUTE_PGM_RSRC3_GFX90A:TG_SPLIT: 0
	.section	.text._ZN7rocprim17ROCPRIM_400000_NS6detail17trampoline_kernelINS0_14default_configENS1_22reduce_config_selectorItEEZNS1_11reduce_implILb1ES3_N6thrust23THRUST_200600_302600_NS17counting_iteratorItNS8_11hip_rocprim3tagENS8_11use_defaultESC_EEPttNS8_4plusItEEEE10hipError_tPvRmT1_T2_T3_mT4_P12ihipStream_tbEUlT_E0_NS1_11comp_targetILNS1_3genE5ELNS1_11target_archE942ELNS1_3gpuE9ELNS1_3repE0EEENS1_30default_config_static_selectorELNS0_4arch9wavefront6targetE1EEEvSK_,"axG",@progbits,_ZN7rocprim17ROCPRIM_400000_NS6detail17trampoline_kernelINS0_14default_configENS1_22reduce_config_selectorItEEZNS1_11reduce_implILb1ES3_N6thrust23THRUST_200600_302600_NS17counting_iteratorItNS8_11hip_rocprim3tagENS8_11use_defaultESC_EEPttNS8_4plusItEEEE10hipError_tPvRmT1_T2_T3_mT4_P12ihipStream_tbEUlT_E0_NS1_11comp_targetILNS1_3genE5ELNS1_11target_archE942ELNS1_3gpuE9ELNS1_3repE0EEENS1_30default_config_static_selectorELNS0_4arch9wavefront6targetE1EEEvSK_,comdat
	.protected	_ZN7rocprim17ROCPRIM_400000_NS6detail17trampoline_kernelINS0_14default_configENS1_22reduce_config_selectorItEEZNS1_11reduce_implILb1ES3_N6thrust23THRUST_200600_302600_NS17counting_iteratorItNS8_11hip_rocprim3tagENS8_11use_defaultESC_EEPttNS8_4plusItEEEE10hipError_tPvRmT1_T2_T3_mT4_P12ihipStream_tbEUlT_E0_NS1_11comp_targetILNS1_3genE5ELNS1_11target_archE942ELNS1_3gpuE9ELNS1_3repE0EEENS1_30default_config_static_selectorELNS0_4arch9wavefront6targetE1EEEvSK_ ; -- Begin function _ZN7rocprim17ROCPRIM_400000_NS6detail17trampoline_kernelINS0_14default_configENS1_22reduce_config_selectorItEEZNS1_11reduce_implILb1ES3_N6thrust23THRUST_200600_302600_NS17counting_iteratorItNS8_11hip_rocprim3tagENS8_11use_defaultESC_EEPttNS8_4plusItEEEE10hipError_tPvRmT1_T2_T3_mT4_P12ihipStream_tbEUlT_E0_NS1_11comp_targetILNS1_3genE5ELNS1_11target_archE942ELNS1_3gpuE9ELNS1_3repE0EEENS1_30default_config_static_selectorELNS0_4arch9wavefront6targetE1EEEvSK_
	.globl	_ZN7rocprim17ROCPRIM_400000_NS6detail17trampoline_kernelINS0_14default_configENS1_22reduce_config_selectorItEEZNS1_11reduce_implILb1ES3_N6thrust23THRUST_200600_302600_NS17counting_iteratorItNS8_11hip_rocprim3tagENS8_11use_defaultESC_EEPttNS8_4plusItEEEE10hipError_tPvRmT1_T2_T3_mT4_P12ihipStream_tbEUlT_E0_NS1_11comp_targetILNS1_3genE5ELNS1_11target_archE942ELNS1_3gpuE9ELNS1_3repE0EEENS1_30default_config_static_selectorELNS0_4arch9wavefront6targetE1EEEvSK_
	.p2align	8
	.type	_ZN7rocprim17ROCPRIM_400000_NS6detail17trampoline_kernelINS0_14default_configENS1_22reduce_config_selectorItEEZNS1_11reduce_implILb1ES3_N6thrust23THRUST_200600_302600_NS17counting_iteratorItNS8_11hip_rocprim3tagENS8_11use_defaultESC_EEPttNS8_4plusItEEEE10hipError_tPvRmT1_T2_T3_mT4_P12ihipStream_tbEUlT_E0_NS1_11comp_targetILNS1_3genE5ELNS1_11target_archE942ELNS1_3gpuE9ELNS1_3repE0EEENS1_30default_config_static_selectorELNS0_4arch9wavefront6targetE1EEEvSK_,@function
_ZN7rocprim17ROCPRIM_400000_NS6detail17trampoline_kernelINS0_14default_configENS1_22reduce_config_selectorItEEZNS1_11reduce_implILb1ES3_N6thrust23THRUST_200600_302600_NS17counting_iteratorItNS8_11hip_rocprim3tagENS8_11use_defaultESC_EEPttNS8_4plusItEEEE10hipError_tPvRmT1_T2_T3_mT4_P12ihipStream_tbEUlT_E0_NS1_11comp_targetILNS1_3genE5ELNS1_11target_archE942ELNS1_3gpuE9ELNS1_3repE0EEENS1_30default_config_static_selectorELNS0_4arch9wavefront6targetE1EEEvSK_: ; @_ZN7rocprim17ROCPRIM_400000_NS6detail17trampoline_kernelINS0_14default_configENS1_22reduce_config_selectorItEEZNS1_11reduce_implILb1ES3_N6thrust23THRUST_200600_302600_NS17counting_iteratorItNS8_11hip_rocprim3tagENS8_11use_defaultESC_EEPttNS8_4plusItEEEE10hipError_tPvRmT1_T2_T3_mT4_P12ihipStream_tbEUlT_E0_NS1_11comp_targetILNS1_3genE5ELNS1_11target_archE942ELNS1_3gpuE9ELNS1_3repE0EEENS1_30default_config_static_selectorELNS0_4arch9wavefront6targetE1EEEvSK_
; %bb.0:
	.section	.rodata,"a",@progbits
	.p2align	6, 0x0
	.amdhsa_kernel _ZN7rocprim17ROCPRIM_400000_NS6detail17trampoline_kernelINS0_14default_configENS1_22reduce_config_selectorItEEZNS1_11reduce_implILb1ES3_N6thrust23THRUST_200600_302600_NS17counting_iteratorItNS8_11hip_rocprim3tagENS8_11use_defaultESC_EEPttNS8_4plusItEEEE10hipError_tPvRmT1_T2_T3_mT4_P12ihipStream_tbEUlT_E0_NS1_11comp_targetILNS1_3genE5ELNS1_11target_archE942ELNS1_3gpuE9ELNS1_3repE0EEENS1_30default_config_static_selectorELNS0_4arch9wavefront6targetE1EEEvSK_
		.amdhsa_group_segment_fixed_size 0
		.amdhsa_private_segment_fixed_size 0
		.amdhsa_kernarg_size 56
		.amdhsa_user_sgpr_count 2
		.amdhsa_user_sgpr_dispatch_ptr 0
		.amdhsa_user_sgpr_queue_ptr 0
		.amdhsa_user_sgpr_kernarg_segment_ptr 1
		.amdhsa_user_sgpr_dispatch_id 0
		.amdhsa_user_sgpr_kernarg_preload_length 0
		.amdhsa_user_sgpr_kernarg_preload_offset 0
		.amdhsa_user_sgpr_private_segment_size 0
		.amdhsa_uses_dynamic_stack 0
		.amdhsa_enable_private_segment 0
		.amdhsa_system_sgpr_workgroup_id_x 1
		.amdhsa_system_sgpr_workgroup_id_y 0
		.amdhsa_system_sgpr_workgroup_id_z 0
		.amdhsa_system_sgpr_workgroup_info 0
		.amdhsa_system_vgpr_workitem_id 0
		.amdhsa_next_free_vgpr 1
		.amdhsa_next_free_sgpr 0
		.amdhsa_accum_offset 4
		.amdhsa_reserve_vcc 0
		.amdhsa_float_round_mode_32 0
		.amdhsa_float_round_mode_16_64 0
		.amdhsa_float_denorm_mode_32 3
		.amdhsa_float_denorm_mode_16_64 3
		.amdhsa_dx10_clamp 1
		.amdhsa_ieee_mode 1
		.amdhsa_fp16_overflow 0
		.amdhsa_tg_split 0
		.amdhsa_exception_fp_ieee_invalid_op 0
		.amdhsa_exception_fp_denorm_src 0
		.amdhsa_exception_fp_ieee_div_zero 0
		.amdhsa_exception_fp_ieee_overflow 0
		.amdhsa_exception_fp_ieee_underflow 0
		.amdhsa_exception_fp_ieee_inexact 0
		.amdhsa_exception_int_div_zero 0
	.end_amdhsa_kernel
	.section	.text._ZN7rocprim17ROCPRIM_400000_NS6detail17trampoline_kernelINS0_14default_configENS1_22reduce_config_selectorItEEZNS1_11reduce_implILb1ES3_N6thrust23THRUST_200600_302600_NS17counting_iteratorItNS8_11hip_rocprim3tagENS8_11use_defaultESC_EEPttNS8_4plusItEEEE10hipError_tPvRmT1_T2_T3_mT4_P12ihipStream_tbEUlT_E0_NS1_11comp_targetILNS1_3genE5ELNS1_11target_archE942ELNS1_3gpuE9ELNS1_3repE0EEENS1_30default_config_static_selectorELNS0_4arch9wavefront6targetE1EEEvSK_,"axG",@progbits,_ZN7rocprim17ROCPRIM_400000_NS6detail17trampoline_kernelINS0_14default_configENS1_22reduce_config_selectorItEEZNS1_11reduce_implILb1ES3_N6thrust23THRUST_200600_302600_NS17counting_iteratorItNS8_11hip_rocprim3tagENS8_11use_defaultESC_EEPttNS8_4plusItEEEE10hipError_tPvRmT1_T2_T3_mT4_P12ihipStream_tbEUlT_E0_NS1_11comp_targetILNS1_3genE5ELNS1_11target_archE942ELNS1_3gpuE9ELNS1_3repE0EEENS1_30default_config_static_selectorELNS0_4arch9wavefront6targetE1EEEvSK_,comdat
.Lfunc_end1056:
	.size	_ZN7rocprim17ROCPRIM_400000_NS6detail17trampoline_kernelINS0_14default_configENS1_22reduce_config_selectorItEEZNS1_11reduce_implILb1ES3_N6thrust23THRUST_200600_302600_NS17counting_iteratorItNS8_11hip_rocprim3tagENS8_11use_defaultESC_EEPttNS8_4plusItEEEE10hipError_tPvRmT1_T2_T3_mT4_P12ihipStream_tbEUlT_E0_NS1_11comp_targetILNS1_3genE5ELNS1_11target_archE942ELNS1_3gpuE9ELNS1_3repE0EEENS1_30default_config_static_selectorELNS0_4arch9wavefront6targetE1EEEvSK_, .Lfunc_end1056-_ZN7rocprim17ROCPRIM_400000_NS6detail17trampoline_kernelINS0_14default_configENS1_22reduce_config_selectorItEEZNS1_11reduce_implILb1ES3_N6thrust23THRUST_200600_302600_NS17counting_iteratorItNS8_11hip_rocprim3tagENS8_11use_defaultESC_EEPttNS8_4plusItEEEE10hipError_tPvRmT1_T2_T3_mT4_P12ihipStream_tbEUlT_E0_NS1_11comp_targetILNS1_3genE5ELNS1_11target_archE942ELNS1_3gpuE9ELNS1_3repE0EEENS1_30default_config_static_selectorELNS0_4arch9wavefront6targetE1EEEvSK_
                                        ; -- End function
	.set _ZN7rocprim17ROCPRIM_400000_NS6detail17trampoline_kernelINS0_14default_configENS1_22reduce_config_selectorItEEZNS1_11reduce_implILb1ES3_N6thrust23THRUST_200600_302600_NS17counting_iteratorItNS8_11hip_rocprim3tagENS8_11use_defaultESC_EEPttNS8_4plusItEEEE10hipError_tPvRmT1_T2_T3_mT4_P12ihipStream_tbEUlT_E0_NS1_11comp_targetILNS1_3genE5ELNS1_11target_archE942ELNS1_3gpuE9ELNS1_3repE0EEENS1_30default_config_static_selectorELNS0_4arch9wavefront6targetE1EEEvSK_.num_vgpr, 0
	.set _ZN7rocprim17ROCPRIM_400000_NS6detail17trampoline_kernelINS0_14default_configENS1_22reduce_config_selectorItEEZNS1_11reduce_implILb1ES3_N6thrust23THRUST_200600_302600_NS17counting_iteratorItNS8_11hip_rocprim3tagENS8_11use_defaultESC_EEPttNS8_4plusItEEEE10hipError_tPvRmT1_T2_T3_mT4_P12ihipStream_tbEUlT_E0_NS1_11comp_targetILNS1_3genE5ELNS1_11target_archE942ELNS1_3gpuE9ELNS1_3repE0EEENS1_30default_config_static_selectorELNS0_4arch9wavefront6targetE1EEEvSK_.num_agpr, 0
	.set _ZN7rocprim17ROCPRIM_400000_NS6detail17trampoline_kernelINS0_14default_configENS1_22reduce_config_selectorItEEZNS1_11reduce_implILb1ES3_N6thrust23THRUST_200600_302600_NS17counting_iteratorItNS8_11hip_rocprim3tagENS8_11use_defaultESC_EEPttNS8_4plusItEEEE10hipError_tPvRmT1_T2_T3_mT4_P12ihipStream_tbEUlT_E0_NS1_11comp_targetILNS1_3genE5ELNS1_11target_archE942ELNS1_3gpuE9ELNS1_3repE0EEENS1_30default_config_static_selectorELNS0_4arch9wavefront6targetE1EEEvSK_.numbered_sgpr, 0
	.set _ZN7rocprim17ROCPRIM_400000_NS6detail17trampoline_kernelINS0_14default_configENS1_22reduce_config_selectorItEEZNS1_11reduce_implILb1ES3_N6thrust23THRUST_200600_302600_NS17counting_iteratorItNS8_11hip_rocprim3tagENS8_11use_defaultESC_EEPttNS8_4plusItEEEE10hipError_tPvRmT1_T2_T3_mT4_P12ihipStream_tbEUlT_E0_NS1_11comp_targetILNS1_3genE5ELNS1_11target_archE942ELNS1_3gpuE9ELNS1_3repE0EEENS1_30default_config_static_selectorELNS0_4arch9wavefront6targetE1EEEvSK_.num_named_barrier, 0
	.set _ZN7rocprim17ROCPRIM_400000_NS6detail17trampoline_kernelINS0_14default_configENS1_22reduce_config_selectorItEEZNS1_11reduce_implILb1ES3_N6thrust23THRUST_200600_302600_NS17counting_iteratorItNS8_11hip_rocprim3tagENS8_11use_defaultESC_EEPttNS8_4plusItEEEE10hipError_tPvRmT1_T2_T3_mT4_P12ihipStream_tbEUlT_E0_NS1_11comp_targetILNS1_3genE5ELNS1_11target_archE942ELNS1_3gpuE9ELNS1_3repE0EEENS1_30default_config_static_selectorELNS0_4arch9wavefront6targetE1EEEvSK_.private_seg_size, 0
	.set _ZN7rocprim17ROCPRIM_400000_NS6detail17trampoline_kernelINS0_14default_configENS1_22reduce_config_selectorItEEZNS1_11reduce_implILb1ES3_N6thrust23THRUST_200600_302600_NS17counting_iteratorItNS8_11hip_rocprim3tagENS8_11use_defaultESC_EEPttNS8_4plusItEEEE10hipError_tPvRmT1_T2_T3_mT4_P12ihipStream_tbEUlT_E0_NS1_11comp_targetILNS1_3genE5ELNS1_11target_archE942ELNS1_3gpuE9ELNS1_3repE0EEENS1_30default_config_static_selectorELNS0_4arch9wavefront6targetE1EEEvSK_.uses_vcc, 0
	.set _ZN7rocprim17ROCPRIM_400000_NS6detail17trampoline_kernelINS0_14default_configENS1_22reduce_config_selectorItEEZNS1_11reduce_implILb1ES3_N6thrust23THRUST_200600_302600_NS17counting_iteratorItNS8_11hip_rocprim3tagENS8_11use_defaultESC_EEPttNS8_4plusItEEEE10hipError_tPvRmT1_T2_T3_mT4_P12ihipStream_tbEUlT_E0_NS1_11comp_targetILNS1_3genE5ELNS1_11target_archE942ELNS1_3gpuE9ELNS1_3repE0EEENS1_30default_config_static_selectorELNS0_4arch9wavefront6targetE1EEEvSK_.uses_flat_scratch, 0
	.set _ZN7rocprim17ROCPRIM_400000_NS6detail17trampoline_kernelINS0_14default_configENS1_22reduce_config_selectorItEEZNS1_11reduce_implILb1ES3_N6thrust23THRUST_200600_302600_NS17counting_iteratorItNS8_11hip_rocprim3tagENS8_11use_defaultESC_EEPttNS8_4plusItEEEE10hipError_tPvRmT1_T2_T3_mT4_P12ihipStream_tbEUlT_E0_NS1_11comp_targetILNS1_3genE5ELNS1_11target_archE942ELNS1_3gpuE9ELNS1_3repE0EEENS1_30default_config_static_selectorELNS0_4arch9wavefront6targetE1EEEvSK_.has_dyn_sized_stack, 0
	.set _ZN7rocprim17ROCPRIM_400000_NS6detail17trampoline_kernelINS0_14default_configENS1_22reduce_config_selectorItEEZNS1_11reduce_implILb1ES3_N6thrust23THRUST_200600_302600_NS17counting_iteratorItNS8_11hip_rocprim3tagENS8_11use_defaultESC_EEPttNS8_4plusItEEEE10hipError_tPvRmT1_T2_T3_mT4_P12ihipStream_tbEUlT_E0_NS1_11comp_targetILNS1_3genE5ELNS1_11target_archE942ELNS1_3gpuE9ELNS1_3repE0EEENS1_30default_config_static_selectorELNS0_4arch9wavefront6targetE1EEEvSK_.has_recursion, 0
	.set _ZN7rocprim17ROCPRIM_400000_NS6detail17trampoline_kernelINS0_14default_configENS1_22reduce_config_selectorItEEZNS1_11reduce_implILb1ES3_N6thrust23THRUST_200600_302600_NS17counting_iteratorItNS8_11hip_rocprim3tagENS8_11use_defaultESC_EEPttNS8_4plusItEEEE10hipError_tPvRmT1_T2_T3_mT4_P12ihipStream_tbEUlT_E0_NS1_11comp_targetILNS1_3genE5ELNS1_11target_archE942ELNS1_3gpuE9ELNS1_3repE0EEENS1_30default_config_static_selectorELNS0_4arch9wavefront6targetE1EEEvSK_.has_indirect_call, 0
	.section	.AMDGPU.csdata,"",@progbits
; Kernel info:
; codeLenInByte = 0
; TotalNumSgprs: 6
; NumVgprs: 0
; NumAgprs: 0
; TotalNumVgprs: 0
; ScratchSize: 0
; MemoryBound: 0
; FloatMode: 240
; IeeeMode: 1
; LDSByteSize: 0 bytes/workgroup (compile time only)
; SGPRBlocks: 0
; VGPRBlocks: 0
; NumSGPRsForWavesPerEU: 6
; NumVGPRsForWavesPerEU: 1
; AccumOffset: 4
; Occupancy: 8
; WaveLimiterHint : 0
; COMPUTE_PGM_RSRC2:SCRATCH_EN: 0
; COMPUTE_PGM_RSRC2:USER_SGPR: 2
; COMPUTE_PGM_RSRC2:TRAP_HANDLER: 0
; COMPUTE_PGM_RSRC2:TGID_X_EN: 1
; COMPUTE_PGM_RSRC2:TGID_Y_EN: 0
; COMPUTE_PGM_RSRC2:TGID_Z_EN: 0
; COMPUTE_PGM_RSRC2:TIDIG_COMP_CNT: 0
; COMPUTE_PGM_RSRC3_GFX90A:ACCUM_OFFSET: 0
; COMPUTE_PGM_RSRC3_GFX90A:TG_SPLIT: 0
	.section	.text._ZN7rocprim17ROCPRIM_400000_NS6detail17trampoline_kernelINS0_14default_configENS1_22reduce_config_selectorItEEZNS1_11reduce_implILb1ES3_N6thrust23THRUST_200600_302600_NS17counting_iteratorItNS8_11hip_rocprim3tagENS8_11use_defaultESC_EEPttNS8_4plusItEEEE10hipError_tPvRmT1_T2_T3_mT4_P12ihipStream_tbEUlT_E0_NS1_11comp_targetILNS1_3genE4ELNS1_11target_archE910ELNS1_3gpuE8ELNS1_3repE0EEENS1_30default_config_static_selectorELNS0_4arch9wavefront6targetE1EEEvSK_,"axG",@progbits,_ZN7rocprim17ROCPRIM_400000_NS6detail17trampoline_kernelINS0_14default_configENS1_22reduce_config_selectorItEEZNS1_11reduce_implILb1ES3_N6thrust23THRUST_200600_302600_NS17counting_iteratorItNS8_11hip_rocprim3tagENS8_11use_defaultESC_EEPttNS8_4plusItEEEE10hipError_tPvRmT1_T2_T3_mT4_P12ihipStream_tbEUlT_E0_NS1_11comp_targetILNS1_3genE4ELNS1_11target_archE910ELNS1_3gpuE8ELNS1_3repE0EEENS1_30default_config_static_selectorELNS0_4arch9wavefront6targetE1EEEvSK_,comdat
	.protected	_ZN7rocprim17ROCPRIM_400000_NS6detail17trampoline_kernelINS0_14default_configENS1_22reduce_config_selectorItEEZNS1_11reduce_implILb1ES3_N6thrust23THRUST_200600_302600_NS17counting_iteratorItNS8_11hip_rocprim3tagENS8_11use_defaultESC_EEPttNS8_4plusItEEEE10hipError_tPvRmT1_T2_T3_mT4_P12ihipStream_tbEUlT_E0_NS1_11comp_targetILNS1_3genE4ELNS1_11target_archE910ELNS1_3gpuE8ELNS1_3repE0EEENS1_30default_config_static_selectorELNS0_4arch9wavefront6targetE1EEEvSK_ ; -- Begin function _ZN7rocprim17ROCPRIM_400000_NS6detail17trampoline_kernelINS0_14default_configENS1_22reduce_config_selectorItEEZNS1_11reduce_implILb1ES3_N6thrust23THRUST_200600_302600_NS17counting_iteratorItNS8_11hip_rocprim3tagENS8_11use_defaultESC_EEPttNS8_4plusItEEEE10hipError_tPvRmT1_T2_T3_mT4_P12ihipStream_tbEUlT_E0_NS1_11comp_targetILNS1_3genE4ELNS1_11target_archE910ELNS1_3gpuE8ELNS1_3repE0EEENS1_30default_config_static_selectorELNS0_4arch9wavefront6targetE1EEEvSK_
	.globl	_ZN7rocprim17ROCPRIM_400000_NS6detail17trampoline_kernelINS0_14default_configENS1_22reduce_config_selectorItEEZNS1_11reduce_implILb1ES3_N6thrust23THRUST_200600_302600_NS17counting_iteratorItNS8_11hip_rocprim3tagENS8_11use_defaultESC_EEPttNS8_4plusItEEEE10hipError_tPvRmT1_T2_T3_mT4_P12ihipStream_tbEUlT_E0_NS1_11comp_targetILNS1_3genE4ELNS1_11target_archE910ELNS1_3gpuE8ELNS1_3repE0EEENS1_30default_config_static_selectorELNS0_4arch9wavefront6targetE1EEEvSK_
	.p2align	8
	.type	_ZN7rocprim17ROCPRIM_400000_NS6detail17trampoline_kernelINS0_14default_configENS1_22reduce_config_selectorItEEZNS1_11reduce_implILb1ES3_N6thrust23THRUST_200600_302600_NS17counting_iteratorItNS8_11hip_rocprim3tagENS8_11use_defaultESC_EEPttNS8_4plusItEEEE10hipError_tPvRmT1_T2_T3_mT4_P12ihipStream_tbEUlT_E0_NS1_11comp_targetILNS1_3genE4ELNS1_11target_archE910ELNS1_3gpuE8ELNS1_3repE0EEENS1_30default_config_static_selectorELNS0_4arch9wavefront6targetE1EEEvSK_,@function
_ZN7rocprim17ROCPRIM_400000_NS6detail17trampoline_kernelINS0_14default_configENS1_22reduce_config_selectorItEEZNS1_11reduce_implILb1ES3_N6thrust23THRUST_200600_302600_NS17counting_iteratorItNS8_11hip_rocprim3tagENS8_11use_defaultESC_EEPttNS8_4plusItEEEE10hipError_tPvRmT1_T2_T3_mT4_P12ihipStream_tbEUlT_E0_NS1_11comp_targetILNS1_3genE4ELNS1_11target_archE910ELNS1_3gpuE8ELNS1_3repE0EEENS1_30default_config_static_selectorELNS0_4arch9wavefront6targetE1EEEvSK_: ; @_ZN7rocprim17ROCPRIM_400000_NS6detail17trampoline_kernelINS0_14default_configENS1_22reduce_config_selectorItEEZNS1_11reduce_implILb1ES3_N6thrust23THRUST_200600_302600_NS17counting_iteratorItNS8_11hip_rocprim3tagENS8_11use_defaultESC_EEPttNS8_4plusItEEEE10hipError_tPvRmT1_T2_T3_mT4_P12ihipStream_tbEUlT_E0_NS1_11comp_targetILNS1_3genE4ELNS1_11target_archE910ELNS1_3gpuE8ELNS1_3repE0EEENS1_30default_config_static_selectorELNS0_4arch9wavefront6targetE1EEEvSK_
; %bb.0:
	.section	.rodata,"a",@progbits
	.p2align	6, 0x0
	.amdhsa_kernel _ZN7rocprim17ROCPRIM_400000_NS6detail17trampoline_kernelINS0_14default_configENS1_22reduce_config_selectorItEEZNS1_11reduce_implILb1ES3_N6thrust23THRUST_200600_302600_NS17counting_iteratorItNS8_11hip_rocprim3tagENS8_11use_defaultESC_EEPttNS8_4plusItEEEE10hipError_tPvRmT1_T2_T3_mT4_P12ihipStream_tbEUlT_E0_NS1_11comp_targetILNS1_3genE4ELNS1_11target_archE910ELNS1_3gpuE8ELNS1_3repE0EEENS1_30default_config_static_selectorELNS0_4arch9wavefront6targetE1EEEvSK_
		.amdhsa_group_segment_fixed_size 0
		.amdhsa_private_segment_fixed_size 0
		.amdhsa_kernarg_size 56
		.amdhsa_user_sgpr_count 2
		.amdhsa_user_sgpr_dispatch_ptr 0
		.amdhsa_user_sgpr_queue_ptr 0
		.amdhsa_user_sgpr_kernarg_segment_ptr 1
		.amdhsa_user_sgpr_dispatch_id 0
		.amdhsa_user_sgpr_kernarg_preload_length 0
		.amdhsa_user_sgpr_kernarg_preload_offset 0
		.amdhsa_user_sgpr_private_segment_size 0
		.amdhsa_uses_dynamic_stack 0
		.amdhsa_enable_private_segment 0
		.amdhsa_system_sgpr_workgroup_id_x 1
		.amdhsa_system_sgpr_workgroup_id_y 0
		.amdhsa_system_sgpr_workgroup_id_z 0
		.amdhsa_system_sgpr_workgroup_info 0
		.amdhsa_system_vgpr_workitem_id 0
		.amdhsa_next_free_vgpr 1
		.amdhsa_next_free_sgpr 0
		.amdhsa_accum_offset 4
		.amdhsa_reserve_vcc 0
		.amdhsa_float_round_mode_32 0
		.amdhsa_float_round_mode_16_64 0
		.amdhsa_float_denorm_mode_32 3
		.amdhsa_float_denorm_mode_16_64 3
		.amdhsa_dx10_clamp 1
		.amdhsa_ieee_mode 1
		.amdhsa_fp16_overflow 0
		.amdhsa_tg_split 0
		.amdhsa_exception_fp_ieee_invalid_op 0
		.amdhsa_exception_fp_denorm_src 0
		.amdhsa_exception_fp_ieee_div_zero 0
		.amdhsa_exception_fp_ieee_overflow 0
		.amdhsa_exception_fp_ieee_underflow 0
		.amdhsa_exception_fp_ieee_inexact 0
		.amdhsa_exception_int_div_zero 0
	.end_amdhsa_kernel
	.section	.text._ZN7rocprim17ROCPRIM_400000_NS6detail17trampoline_kernelINS0_14default_configENS1_22reduce_config_selectorItEEZNS1_11reduce_implILb1ES3_N6thrust23THRUST_200600_302600_NS17counting_iteratorItNS8_11hip_rocprim3tagENS8_11use_defaultESC_EEPttNS8_4plusItEEEE10hipError_tPvRmT1_T2_T3_mT4_P12ihipStream_tbEUlT_E0_NS1_11comp_targetILNS1_3genE4ELNS1_11target_archE910ELNS1_3gpuE8ELNS1_3repE0EEENS1_30default_config_static_selectorELNS0_4arch9wavefront6targetE1EEEvSK_,"axG",@progbits,_ZN7rocprim17ROCPRIM_400000_NS6detail17trampoline_kernelINS0_14default_configENS1_22reduce_config_selectorItEEZNS1_11reduce_implILb1ES3_N6thrust23THRUST_200600_302600_NS17counting_iteratorItNS8_11hip_rocprim3tagENS8_11use_defaultESC_EEPttNS8_4plusItEEEE10hipError_tPvRmT1_T2_T3_mT4_P12ihipStream_tbEUlT_E0_NS1_11comp_targetILNS1_3genE4ELNS1_11target_archE910ELNS1_3gpuE8ELNS1_3repE0EEENS1_30default_config_static_selectorELNS0_4arch9wavefront6targetE1EEEvSK_,comdat
.Lfunc_end1057:
	.size	_ZN7rocprim17ROCPRIM_400000_NS6detail17trampoline_kernelINS0_14default_configENS1_22reduce_config_selectorItEEZNS1_11reduce_implILb1ES3_N6thrust23THRUST_200600_302600_NS17counting_iteratorItNS8_11hip_rocprim3tagENS8_11use_defaultESC_EEPttNS8_4plusItEEEE10hipError_tPvRmT1_T2_T3_mT4_P12ihipStream_tbEUlT_E0_NS1_11comp_targetILNS1_3genE4ELNS1_11target_archE910ELNS1_3gpuE8ELNS1_3repE0EEENS1_30default_config_static_selectorELNS0_4arch9wavefront6targetE1EEEvSK_, .Lfunc_end1057-_ZN7rocprim17ROCPRIM_400000_NS6detail17trampoline_kernelINS0_14default_configENS1_22reduce_config_selectorItEEZNS1_11reduce_implILb1ES3_N6thrust23THRUST_200600_302600_NS17counting_iteratorItNS8_11hip_rocprim3tagENS8_11use_defaultESC_EEPttNS8_4plusItEEEE10hipError_tPvRmT1_T2_T3_mT4_P12ihipStream_tbEUlT_E0_NS1_11comp_targetILNS1_3genE4ELNS1_11target_archE910ELNS1_3gpuE8ELNS1_3repE0EEENS1_30default_config_static_selectorELNS0_4arch9wavefront6targetE1EEEvSK_
                                        ; -- End function
	.set _ZN7rocprim17ROCPRIM_400000_NS6detail17trampoline_kernelINS0_14default_configENS1_22reduce_config_selectorItEEZNS1_11reduce_implILb1ES3_N6thrust23THRUST_200600_302600_NS17counting_iteratorItNS8_11hip_rocprim3tagENS8_11use_defaultESC_EEPttNS8_4plusItEEEE10hipError_tPvRmT1_T2_T3_mT4_P12ihipStream_tbEUlT_E0_NS1_11comp_targetILNS1_3genE4ELNS1_11target_archE910ELNS1_3gpuE8ELNS1_3repE0EEENS1_30default_config_static_selectorELNS0_4arch9wavefront6targetE1EEEvSK_.num_vgpr, 0
	.set _ZN7rocprim17ROCPRIM_400000_NS6detail17trampoline_kernelINS0_14default_configENS1_22reduce_config_selectorItEEZNS1_11reduce_implILb1ES3_N6thrust23THRUST_200600_302600_NS17counting_iteratorItNS8_11hip_rocprim3tagENS8_11use_defaultESC_EEPttNS8_4plusItEEEE10hipError_tPvRmT1_T2_T3_mT4_P12ihipStream_tbEUlT_E0_NS1_11comp_targetILNS1_3genE4ELNS1_11target_archE910ELNS1_3gpuE8ELNS1_3repE0EEENS1_30default_config_static_selectorELNS0_4arch9wavefront6targetE1EEEvSK_.num_agpr, 0
	.set _ZN7rocprim17ROCPRIM_400000_NS6detail17trampoline_kernelINS0_14default_configENS1_22reduce_config_selectorItEEZNS1_11reduce_implILb1ES3_N6thrust23THRUST_200600_302600_NS17counting_iteratorItNS8_11hip_rocprim3tagENS8_11use_defaultESC_EEPttNS8_4plusItEEEE10hipError_tPvRmT1_T2_T3_mT4_P12ihipStream_tbEUlT_E0_NS1_11comp_targetILNS1_3genE4ELNS1_11target_archE910ELNS1_3gpuE8ELNS1_3repE0EEENS1_30default_config_static_selectorELNS0_4arch9wavefront6targetE1EEEvSK_.numbered_sgpr, 0
	.set _ZN7rocprim17ROCPRIM_400000_NS6detail17trampoline_kernelINS0_14default_configENS1_22reduce_config_selectorItEEZNS1_11reduce_implILb1ES3_N6thrust23THRUST_200600_302600_NS17counting_iteratorItNS8_11hip_rocprim3tagENS8_11use_defaultESC_EEPttNS8_4plusItEEEE10hipError_tPvRmT1_T2_T3_mT4_P12ihipStream_tbEUlT_E0_NS1_11comp_targetILNS1_3genE4ELNS1_11target_archE910ELNS1_3gpuE8ELNS1_3repE0EEENS1_30default_config_static_selectorELNS0_4arch9wavefront6targetE1EEEvSK_.num_named_barrier, 0
	.set _ZN7rocprim17ROCPRIM_400000_NS6detail17trampoline_kernelINS0_14default_configENS1_22reduce_config_selectorItEEZNS1_11reduce_implILb1ES3_N6thrust23THRUST_200600_302600_NS17counting_iteratorItNS8_11hip_rocprim3tagENS8_11use_defaultESC_EEPttNS8_4plusItEEEE10hipError_tPvRmT1_T2_T3_mT4_P12ihipStream_tbEUlT_E0_NS1_11comp_targetILNS1_3genE4ELNS1_11target_archE910ELNS1_3gpuE8ELNS1_3repE0EEENS1_30default_config_static_selectorELNS0_4arch9wavefront6targetE1EEEvSK_.private_seg_size, 0
	.set _ZN7rocprim17ROCPRIM_400000_NS6detail17trampoline_kernelINS0_14default_configENS1_22reduce_config_selectorItEEZNS1_11reduce_implILb1ES3_N6thrust23THRUST_200600_302600_NS17counting_iteratorItNS8_11hip_rocprim3tagENS8_11use_defaultESC_EEPttNS8_4plusItEEEE10hipError_tPvRmT1_T2_T3_mT4_P12ihipStream_tbEUlT_E0_NS1_11comp_targetILNS1_3genE4ELNS1_11target_archE910ELNS1_3gpuE8ELNS1_3repE0EEENS1_30default_config_static_selectorELNS0_4arch9wavefront6targetE1EEEvSK_.uses_vcc, 0
	.set _ZN7rocprim17ROCPRIM_400000_NS6detail17trampoline_kernelINS0_14default_configENS1_22reduce_config_selectorItEEZNS1_11reduce_implILb1ES3_N6thrust23THRUST_200600_302600_NS17counting_iteratorItNS8_11hip_rocprim3tagENS8_11use_defaultESC_EEPttNS8_4plusItEEEE10hipError_tPvRmT1_T2_T3_mT4_P12ihipStream_tbEUlT_E0_NS1_11comp_targetILNS1_3genE4ELNS1_11target_archE910ELNS1_3gpuE8ELNS1_3repE0EEENS1_30default_config_static_selectorELNS0_4arch9wavefront6targetE1EEEvSK_.uses_flat_scratch, 0
	.set _ZN7rocprim17ROCPRIM_400000_NS6detail17trampoline_kernelINS0_14default_configENS1_22reduce_config_selectorItEEZNS1_11reduce_implILb1ES3_N6thrust23THRUST_200600_302600_NS17counting_iteratorItNS8_11hip_rocprim3tagENS8_11use_defaultESC_EEPttNS8_4plusItEEEE10hipError_tPvRmT1_T2_T3_mT4_P12ihipStream_tbEUlT_E0_NS1_11comp_targetILNS1_3genE4ELNS1_11target_archE910ELNS1_3gpuE8ELNS1_3repE0EEENS1_30default_config_static_selectorELNS0_4arch9wavefront6targetE1EEEvSK_.has_dyn_sized_stack, 0
	.set _ZN7rocprim17ROCPRIM_400000_NS6detail17trampoline_kernelINS0_14default_configENS1_22reduce_config_selectorItEEZNS1_11reduce_implILb1ES3_N6thrust23THRUST_200600_302600_NS17counting_iteratorItNS8_11hip_rocprim3tagENS8_11use_defaultESC_EEPttNS8_4plusItEEEE10hipError_tPvRmT1_T2_T3_mT4_P12ihipStream_tbEUlT_E0_NS1_11comp_targetILNS1_3genE4ELNS1_11target_archE910ELNS1_3gpuE8ELNS1_3repE0EEENS1_30default_config_static_selectorELNS0_4arch9wavefront6targetE1EEEvSK_.has_recursion, 0
	.set _ZN7rocprim17ROCPRIM_400000_NS6detail17trampoline_kernelINS0_14default_configENS1_22reduce_config_selectorItEEZNS1_11reduce_implILb1ES3_N6thrust23THRUST_200600_302600_NS17counting_iteratorItNS8_11hip_rocprim3tagENS8_11use_defaultESC_EEPttNS8_4plusItEEEE10hipError_tPvRmT1_T2_T3_mT4_P12ihipStream_tbEUlT_E0_NS1_11comp_targetILNS1_3genE4ELNS1_11target_archE910ELNS1_3gpuE8ELNS1_3repE0EEENS1_30default_config_static_selectorELNS0_4arch9wavefront6targetE1EEEvSK_.has_indirect_call, 0
	.section	.AMDGPU.csdata,"",@progbits
; Kernel info:
; codeLenInByte = 0
; TotalNumSgprs: 6
; NumVgprs: 0
; NumAgprs: 0
; TotalNumVgprs: 0
; ScratchSize: 0
; MemoryBound: 0
; FloatMode: 240
; IeeeMode: 1
; LDSByteSize: 0 bytes/workgroup (compile time only)
; SGPRBlocks: 0
; VGPRBlocks: 0
; NumSGPRsForWavesPerEU: 6
; NumVGPRsForWavesPerEU: 1
; AccumOffset: 4
; Occupancy: 8
; WaveLimiterHint : 0
; COMPUTE_PGM_RSRC2:SCRATCH_EN: 0
; COMPUTE_PGM_RSRC2:USER_SGPR: 2
; COMPUTE_PGM_RSRC2:TRAP_HANDLER: 0
; COMPUTE_PGM_RSRC2:TGID_X_EN: 1
; COMPUTE_PGM_RSRC2:TGID_Y_EN: 0
; COMPUTE_PGM_RSRC2:TGID_Z_EN: 0
; COMPUTE_PGM_RSRC2:TIDIG_COMP_CNT: 0
; COMPUTE_PGM_RSRC3_GFX90A:ACCUM_OFFSET: 0
; COMPUTE_PGM_RSRC3_GFX90A:TG_SPLIT: 0
	.section	.text._ZN7rocprim17ROCPRIM_400000_NS6detail17trampoline_kernelINS0_14default_configENS1_22reduce_config_selectorItEEZNS1_11reduce_implILb1ES3_N6thrust23THRUST_200600_302600_NS17counting_iteratorItNS8_11hip_rocprim3tagENS8_11use_defaultESC_EEPttNS8_4plusItEEEE10hipError_tPvRmT1_T2_T3_mT4_P12ihipStream_tbEUlT_E0_NS1_11comp_targetILNS1_3genE3ELNS1_11target_archE908ELNS1_3gpuE7ELNS1_3repE0EEENS1_30default_config_static_selectorELNS0_4arch9wavefront6targetE1EEEvSK_,"axG",@progbits,_ZN7rocprim17ROCPRIM_400000_NS6detail17trampoline_kernelINS0_14default_configENS1_22reduce_config_selectorItEEZNS1_11reduce_implILb1ES3_N6thrust23THRUST_200600_302600_NS17counting_iteratorItNS8_11hip_rocprim3tagENS8_11use_defaultESC_EEPttNS8_4plusItEEEE10hipError_tPvRmT1_T2_T3_mT4_P12ihipStream_tbEUlT_E0_NS1_11comp_targetILNS1_3genE3ELNS1_11target_archE908ELNS1_3gpuE7ELNS1_3repE0EEENS1_30default_config_static_selectorELNS0_4arch9wavefront6targetE1EEEvSK_,comdat
	.protected	_ZN7rocprim17ROCPRIM_400000_NS6detail17trampoline_kernelINS0_14default_configENS1_22reduce_config_selectorItEEZNS1_11reduce_implILb1ES3_N6thrust23THRUST_200600_302600_NS17counting_iteratorItNS8_11hip_rocprim3tagENS8_11use_defaultESC_EEPttNS8_4plusItEEEE10hipError_tPvRmT1_T2_T3_mT4_P12ihipStream_tbEUlT_E0_NS1_11comp_targetILNS1_3genE3ELNS1_11target_archE908ELNS1_3gpuE7ELNS1_3repE0EEENS1_30default_config_static_selectorELNS0_4arch9wavefront6targetE1EEEvSK_ ; -- Begin function _ZN7rocprim17ROCPRIM_400000_NS6detail17trampoline_kernelINS0_14default_configENS1_22reduce_config_selectorItEEZNS1_11reduce_implILb1ES3_N6thrust23THRUST_200600_302600_NS17counting_iteratorItNS8_11hip_rocprim3tagENS8_11use_defaultESC_EEPttNS8_4plusItEEEE10hipError_tPvRmT1_T2_T3_mT4_P12ihipStream_tbEUlT_E0_NS1_11comp_targetILNS1_3genE3ELNS1_11target_archE908ELNS1_3gpuE7ELNS1_3repE0EEENS1_30default_config_static_selectorELNS0_4arch9wavefront6targetE1EEEvSK_
	.globl	_ZN7rocprim17ROCPRIM_400000_NS6detail17trampoline_kernelINS0_14default_configENS1_22reduce_config_selectorItEEZNS1_11reduce_implILb1ES3_N6thrust23THRUST_200600_302600_NS17counting_iteratorItNS8_11hip_rocprim3tagENS8_11use_defaultESC_EEPttNS8_4plusItEEEE10hipError_tPvRmT1_T2_T3_mT4_P12ihipStream_tbEUlT_E0_NS1_11comp_targetILNS1_3genE3ELNS1_11target_archE908ELNS1_3gpuE7ELNS1_3repE0EEENS1_30default_config_static_selectorELNS0_4arch9wavefront6targetE1EEEvSK_
	.p2align	8
	.type	_ZN7rocprim17ROCPRIM_400000_NS6detail17trampoline_kernelINS0_14default_configENS1_22reduce_config_selectorItEEZNS1_11reduce_implILb1ES3_N6thrust23THRUST_200600_302600_NS17counting_iteratorItNS8_11hip_rocprim3tagENS8_11use_defaultESC_EEPttNS8_4plusItEEEE10hipError_tPvRmT1_T2_T3_mT4_P12ihipStream_tbEUlT_E0_NS1_11comp_targetILNS1_3genE3ELNS1_11target_archE908ELNS1_3gpuE7ELNS1_3repE0EEENS1_30default_config_static_selectorELNS0_4arch9wavefront6targetE1EEEvSK_,@function
_ZN7rocprim17ROCPRIM_400000_NS6detail17trampoline_kernelINS0_14default_configENS1_22reduce_config_selectorItEEZNS1_11reduce_implILb1ES3_N6thrust23THRUST_200600_302600_NS17counting_iteratorItNS8_11hip_rocprim3tagENS8_11use_defaultESC_EEPttNS8_4plusItEEEE10hipError_tPvRmT1_T2_T3_mT4_P12ihipStream_tbEUlT_E0_NS1_11comp_targetILNS1_3genE3ELNS1_11target_archE908ELNS1_3gpuE7ELNS1_3repE0EEENS1_30default_config_static_selectorELNS0_4arch9wavefront6targetE1EEEvSK_: ; @_ZN7rocprim17ROCPRIM_400000_NS6detail17trampoline_kernelINS0_14default_configENS1_22reduce_config_selectorItEEZNS1_11reduce_implILb1ES3_N6thrust23THRUST_200600_302600_NS17counting_iteratorItNS8_11hip_rocprim3tagENS8_11use_defaultESC_EEPttNS8_4plusItEEEE10hipError_tPvRmT1_T2_T3_mT4_P12ihipStream_tbEUlT_E0_NS1_11comp_targetILNS1_3genE3ELNS1_11target_archE908ELNS1_3gpuE7ELNS1_3repE0EEENS1_30default_config_static_selectorELNS0_4arch9wavefront6targetE1EEEvSK_
; %bb.0:
	.section	.rodata,"a",@progbits
	.p2align	6, 0x0
	.amdhsa_kernel _ZN7rocprim17ROCPRIM_400000_NS6detail17trampoline_kernelINS0_14default_configENS1_22reduce_config_selectorItEEZNS1_11reduce_implILb1ES3_N6thrust23THRUST_200600_302600_NS17counting_iteratorItNS8_11hip_rocprim3tagENS8_11use_defaultESC_EEPttNS8_4plusItEEEE10hipError_tPvRmT1_T2_T3_mT4_P12ihipStream_tbEUlT_E0_NS1_11comp_targetILNS1_3genE3ELNS1_11target_archE908ELNS1_3gpuE7ELNS1_3repE0EEENS1_30default_config_static_selectorELNS0_4arch9wavefront6targetE1EEEvSK_
		.amdhsa_group_segment_fixed_size 0
		.amdhsa_private_segment_fixed_size 0
		.amdhsa_kernarg_size 56
		.amdhsa_user_sgpr_count 2
		.amdhsa_user_sgpr_dispatch_ptr 0
		.amdhsa_user_sgpr_queue_ptr 0
		.amdhsa_user_sgpr_kernarg_segment_ptr 1
		.amdhsa_user_sgpr_dispatch_id 0
		.amdhsa_user_sgpr_kernarg_preload_length 0
		.amdhsa_user_sgpr_kernarg_preload_offset 0
		.amdhsa_user_sgpr_private_segment_size 0
		.amdhsa_uses_dynamic_stack 0
		.amdhsa_enable_private_segment 0
		.amdhsa_system_sgpr_workgroup_id_x 1
		.amdhsa_system_sgpr_workgroup_id_y 0
		.amdhsa_system_sgpr_workgroup_id_z 0
		.amdhsa_system_sgpr_workgroup_info 0
		.amdhsa_system_vgpr_workitem_id 0
		.amdhsa_next_free_vgpr 1
		.amdhsa_next_free_sgpr 0
		.amdhsa_accum_offset 4
		.amdhsa_reserve_vcc 0
		.amdhsa_float_round_mode_32 0
		.amdhsa_float_round_mode_16_64 0
		.amdhsa_float_denorm_mode_32 3
		.amdhsa_float_denorm_mode_16_64 3
		.amdhsa_dx10_clamp 1
		.amdhsa_ieee_mode 1
		.amdhsa_fp16_overflow 0
		.amdhsa_tg_split 0
		.amdhsa_exception_fp_ieee_invalid_op 0
		.amdhsa_exception_fp_denorm_src 0
		.amdhsa_exception_fp_ieee_div_zero 0
		.amdhsa_exception_fp_ieee_overflow 0
		.amdhsa_exception_fp_ieee_underflow 0
		.amdhsa_exception_fp_ieee_inexact 0
		.amdhsa_exception_int_div_zero 0
	.end_amdhsa_kernel
	.section	.text._ZN7rocprim17ROCPRIM_400000_NS6detail17trampoline_kernelINS0_14default_configENS1_22reduce_config_selectorItEEZNS1_11reduce_implILb1ES3_N6thrust23THRUST_200600_302600_NS17counting_iteratorItNS8_11hip_rocprim3tagENS8_11use_defaultESC_EEPttNS8_4plusItEEEE10hipError_tPvRmT1_T2_T3_mT4_P12ihipStream_tbEUlT_E0_NS1_11comp_targetILNS1_3genE3ELNS1_11target_archE908ELNS1_3gpuE7ELNS1_3repE0EEENS1_30default_config_static_selectorELNS0_4arch9wavefront6targetE1EEEvSK_,"axG",@progbits,_ZN7rocprim17ROCPRIM_400000_NS6detail17trampoline_kernelINS0_14default_configENS1_22reduce_config_selectorItEEZNS1_11reduce_implILb1ES3_N6thrust23THRUST_200600_302600_NS17counting_iteratorItNS8_11hip_rocprim3tagENS8_11use_defaultESC_EEPttNS8_4plusItEEEE10hipError_tPvRmT1_T2_T3_mT4_P12ihipStream_tbEUlT_E0_NS1_11comp_targetILNS1_3genE3ELNS1_11target_archE908ELNS1_3gpuE7ELNS1_3repE0EEENS1_30default_config_static_selectorELNS0_4arch9wavefront6targetE1EEEvSK_,comdat
.Lfunc_end1058:
	.size	_ZN7rocprim17ROCPRIM_400000_NS6detail17trampoline_kernelINS0_14default_configENS1_22reduce_config_selectorItEEZNS1_11reduce_implILb1ES3_N6thrust23THRUST_200600_302600_NS17counting_iteratorItNS8_11hip_rocprim3tagENS8_11use_defaultESC_EEPttNS8_4plusItEEEE10hipError_tPvRmT1_T2_T3_mT4_P12ihipStream_tbEUlT_E0_NS1_11comp_targetILNS1_3genE3ELNS1_11target_archE908ELNS1_3gpuE7ELNS1_3repE0EEENS1_30default_config_static_selectorELNS0_4arch9wavefront6targetE1EEEvSK_, .Lfunc_end1058-_ZN7rocprim17ROCPRIM_400000_NS6detail17trampoline_kernelINS0_14default_configENS1_22reduce_config_selectorItEEZNS1_11reduce_implILb1ES3_N6thrust23THRUST_200600_302600_NS17counting_iteratorItNS8_11hip_rocprim3tagENS8_11use_defaultESC_EEPttNS8_4plusItEEEE10hipError_tPvRmT1_T2_T3_mT4_P12ihipStream_tbEUlT_E0_NS1_11comp_targetILNS1_3genE3ELNS1_11target_archE908ELNS1_3gpuE7ELNS1_3repE0EEENS1_30default_config_static_selectorELNS0_4arch9wavefront6targetE1EEEvSK_
                                        ; -- End function
	.set _ZN7rocprim17ROCPRIM_400000_NS6detail17trampoline_kernelINS0_14default_configENS1_22reduce_config_selectorItEEZNS1_11reduce_implILb1ES3_N6thrust23THRUST_200600_302600_NS17counting_iteratorItNS8_11hip_rocprim3tagENS8_11use_defaultESC_EEPttNS8_4plusItEEEE10hipError_tPvRmT1_T2_T3_mT4_P12ihipStream_tbEUlT_E0_NS1_11comp_targetILNS1_3genE3ELNS1_11target_archE908ELNS1_3gpuE7ELNS1_3repE0EEENS1_30default_config_static_selectorELNS0_4arch9wavefront6targetE1EEEvSK_.num_vgpr, 0
	.set _ZN7rocprim17ROCPRIM_400000_NS6detail17trampoline_kernelINS0_14default_configENS1_22reduce_config_selectorItEEZNS1_11reduce_implILb1ES3_N6thrust23THRUST_200600_302600_NS17counting_iteratorItNS8_11hip_rocprim3tagENS8_11use_defaultESC_EEPttNS8_4plusItEEEE10hipError_tPvRmT1_T2_T3_mT4_P12ihipStream_tbEUlT_E0_NS1_11comp_targetILNS1_3genE3ELNS1_11target_archE908ELNS1_3gpuE7ELNS1_3repE0EEENS1_30default_config_static_selectorELNS0_4arch9wavefront6targetE1EEEvSK_.num_agpr, 0
	.set _ZN7rocprim17ROCPRIM_400000_NS6detail17trampoline_kernelINS0_14default_configENS1_22reduce_config_selectorItEEZNS1_11reduce_implILb1ES3_N6thrust23THRUST_200600_302600_NS17counting_iteratorItNS8_11hip_rocprim3tagENS8_11use_defaultESC_EEPttNS8_4plusItEEEE10hipError_tPvRmT1_T2_T3_mT4_P12ihipStream_tbEUlT_E0_NS1_11comp_targetILNS1_3genE3ELNS1_11target_archE908ELNS1_3gpuE7ELNS1_3repE0EEENS1_30default_config_static_selectorELNS0_4arch9wavefront6targetE1EEEvSK_.numbered_sgpr, 0
	.set _ZN7rocprim17ROCPRIM_400000_NS6detail17trampoline_kernelINS0_14default_configENS1_22reduce_config_selectorItEEZNS1_11reduce_implILb1ES3_N6thrust23THRUST_200600_302600_NS17counting_iteratorItNS8_11hip_rocprim3tagENS8_11use_defaultESC_EEPttNS8_4plusItEEEE10hipError_tPvRmT1_T2_T3_mT4_P12ihipStream_tbEUlT_E0_NS1_11comp_targetILNS1_3genE3ELNS1_11target_archE908ELNS1_3gpuE7ELNS1_3repE0EEENS1_30default_config_static_selectorELNS0_4arch9wavefront6targetE1EEEvSK_.num_named_barrier, 0
	.set _ZN7rocprim17ROCPRIM_400000_NS6detail17trampoline_kernelINS0_14default_configENS1_22reduce_config_selectorItEEZNS1_11reduce_implILb1ES3_N6thrust23THRUST_200600_302600_NS17counting_iteratorItNS8_11hip_rocprim3tagENS8_11use_defaultESC_EEPttNS8_4plusItEEEE10hipError_tPvRmT1_T2_T3_mT4_P12ihipStream_tbEUlT_E0_NS1_11comp_targetILNS1_3genE3ELNS1_11target_archE908ELNS1_3gpuE7ELNS1_3repE0EEENS1_30default_config_static_selectorELNS0_4arch9wavefront6targetE1EEEvSK_.private_seg_size, 0
	.set _ZN7rocprim17ROCPRIM_400000_NS6detail17trampoline_kernelINS0_14default_configENS1_22reduce_config_selectorItEEZNS1_11reduce_implILb1ES3_N6thrust23THRUST_200600_302600_NS17counting_iteratorItNS8_11hip_rocprim3tagENS8_11use_defaultESC_EEPttNS8_4plusItEEEE10hipError_tPvRmT1_T2_T3_mT4_P12ihipStream_tbEUlT_E0_NS1_11comp_targetILNS1_3genE3ELNS1_11target_archE908ELNS1_3gpuE7ELNS1_3repE0EEENS1_30default_config_static_selectorELNS0_4arch9wavefront6targetE1EEEvSK_.uses_vcc, 0
	.set _ZN7rocprim17ROCPRIM_400000_NS6detail17trampoline_kernelINS0_14default_configENS1_22reduce_config_selectorItEEZNS1_11reduce_implILb1ES3_N6thrust23THRUST_200600_302600_NS17counting_iteratorItNS8_11hip_rocprim3tagENS8_11use_defaultESC_EEPttNS8_4plusItEEEE10hipError_tPvRmT1_T2_T3_mT4_P12ihipStream_tbEUlT_E0_NS1_11comp_targetILNS1_3genE3ELNS1_11target_archE908ELNS1_3gpuE7ELNS1_3repE0EEENS1_30default_config_static_selectorELNS0_4arch9wavefront6targetE1EEEvSK_.uses_flat_scratch, 0
	.set _ZN7rocprim17ROCPRIM_400000_NS6detail17trampoline_kernelINS0_14default_configENS1_22reduce_config_selectorItEEZNS1_11reduce_implILb1ES3_N6thrust23THRUST_200600_302600_NS17counting_iteratorItNS8_11hip_rocprim3tagENS8_11use_defaultESC_EEPttNS8_4plusItEEEE10hipError_tPvRmT1_T2_T3_mT4_P12ihipStream_tbEUlT_E0_NS1_11comp_targetILNS1_3genE3ELNS1_11target_archE908ELNS1_3gpuE7ELNS1_3repE0EEENS1_30default_config_static_selectorELNS0_4arch9wavefront6targetE1EEEvSK_.has_dyn_sized_stack, 0
	.set _ZN7rocprim17ROCPRIM_400000_NS6detail17trampoline_kernelINS0_14default_configENS1_22reduce_config_selectorItEEZNS1_11reduce_implILb1ES3_N6thrust23THRUST_200600_302600_NS17counting_iteratorItNS8_11hip_rocprim3tagENS8_11use_defaultESC_EEPttNS8_4plusItEEEE10hipError_tPvRmT1_T2_T3_mT4_P12ihipStream_tbEUlT_E0_NS1_11comp_targetILNS1_3genE3ELNS1_11target_archE908ELNS1_3gpuE7ELNS1_3repE0EEENS1_30default_config_static_selectorELNS0_4arch9wavefront6targetE1EEEvSK_.has_recursion, 0
	.set _ZN7rocprim17ROCPRIM_400000_NS6detail17trampoline_kernelINS0_14default_configENS1_22reduce_config_selectorItEEZNS1_11reduce_implILb1ES3_N6thrust23THRUST_200600_302600_NS17counting_iteratorItNS8_11hip_rocprim3tagENS8_11use_defaultESC_EEPttNS8_4plusItEEEE10hipError_tPvRmT1_T2_T3_mT4_P12ihipStream_tbEUlT_E0_NS1_11comp_targetILNS1_3genE3ELNS1_11target_archE908ELNS1_3gpuE7ELNS1_3repE0EEENS1_30default_config_static_selectorELNS0_4arch9wavefront6targetE1EEEvSK_.has_indirect_call, 0
	.section	.AMDGPU.csdata,"",@progbits
; Kernel info:
; codeLenInByte = 0
; TotalNumSgprs: 6
; NumVgprs: 0
; NumAgprs: 0
; TotalNumVgprs: 0
; ScratchSize: 0
; MemoryBound: 0
; FloatMode: 240
; IeeeMode: 1
; LDSByteSize: 0 bytes/workgroup (compile time only)
; SGPRBlocks: 0
; VGPRBlocks: 0
; NumSGPRsForWavesPerEU: 6
; NumVGPRsForWavesPerEU: 1
; AccumOffset: 4
; Occupancy: 8
; WaveLimiterHint : 0
; COMPUTE_PGM_RSRC2:SCRATCH_EN: 0
; COMPUTE_PGM_RSRC2:USER_SGPR: 2
; COMPUTE_PGM_RSRC2:TRAP_HANDLER: 0
; COMPUTE_PGM_RSRC2:TGID_X_EN: 1
; COMPUTE_PGM_RSRC2:TGID_Y_EN: 0
; COMPUTE_PGM_RSRC2:TGID_Z_EN: 0
; COMPUTE_PGM_RSRC2:TIDIG_COMP_CNT: 0
; COMPUTE_PGM_RSRC3_GFX90A:ACCUM_OFFSET: 0
; COMPUTE_PGM_RSRC3_GFX90A:TG_SPLIT: 0
	.section	.text._ZN7rocprim17ROCPRIM_400000_NS6detail17trampoline_kernelINS0_14default_configENS1_22reduce_config_selectorItEEZNS1_11reduce_implILb1ES3_N6thrust23THRUST_200600_302600_NS17counting_iteratorItNS8_11hip_rocprim3tagENS8_11use_defaultESC_EEPttNS8_4plusItEEEE10hipError_tPvRmT1_T2_T3_mT4_P12ihipStream_tbEUlT_E0_NS1_11comp_targetILNS1_3genE2ELNS1_11target_archE906ELNS1_3gpuE6ELNS1_3repE0EEENS1_30default_config_static_selectorELNS0_4arch9wavefront6targetE1EEEvSK_,"axG",@progbits,_ZN7rocprim17ROCPRIM_400000_NS6detail17trampoline_kernelINS0_14default_configENS1_22reduce_config_selectorItEEZNS1_11reduce_implILb1ES3_N6thrust23THRUST_200600_302600_NS17counting_iteratorItNS8_11hip_rocprim3tagENS8_11use_defaultESC_EEPttNS8_4plusItEEEE10hipError_tPvRmT1_T2_T3_mT4_P12ihipStream_tbEUlT_E0_NS1_11comp_targetILNS1_3genE2ELNS1_11target_archE906ELNS1_3gpuE6ELNS1_3repE0EEENS1_30default_config_static_selectorELNS0_4arch9wavefront6targetE1EEEvSK_,comdat
	.protected	_ZN7rocprim17ROCPRIM_400000_NS6detail17trampoline_kernelINS0_14default_configENS1_22reduce_config_selectorItEEZNS1_11reduce_implILb1ES3_N6thrust23THRUST_200600_302600_NS17counting_iteratorItNS8_11hip_rocprim3tagENS8_11use_defaultESC_EEPttNS8_4plusItEEEE10hipError_tPvRmT1_T2_T3_mT4_P12ihipStream_tbEUlT_E0_NS1_11comp_targetILNS1_3genE2ELNS1_11target_archE906ELNS1_3gpuE6ELNS1_3repE0EEENS1_30default_config_static_selectorELNS0_4arch9wavefront6targetE1EEEvSK_ ; -- Begin function _ZN7rocprim17ROCPRIM_400000_NS6detail17trampoline_kernelINS0_14default_configENS1_22reduce_config_selectorItEEZNS1_11reduce_implILb1ES3_N6thrust23THRUST_200600_302600_NS17counting_iteratorItNS8_11hip_rocprim3tagENS8_11use_defaultESC_EEPttNS8_4plusItEEEE10hipError_tPvRmT1_T2_T3_mT4_P12ihipStream_tbEUlT_E0_NS1_11comp_targetILNS1_3genE2ELNS1_11target_archE906ELNS1_3gpuE6ELNS1_3repE0EEENS1_30default_config_static_selectorELNS0_4arch9wavefront6targetE1EEEvSK_
	.globl	_ZN7rocprim17ROCPRIM_400000_NS6detail17trampoline_kernelINS0_14default_configENS1_22reduce_config_selectorItEEZNS1_11reduce_implILb1ES3_N6thrust23THRUST_200600_302600_NS17counting_iteratorItNS8_11hip_rocprim3tagENS8_11use_defaultESC_EEPttNS8_4plusItEEEE10hipError_tPvRmT1_T2_T3_mT4_P12ihipStream_tbEUlT_E0_NS1_11comp_targetILNS1_3genE2ELNS1_11target_archE906ELNS1_3gpuE6ELNS1_3repE0EEENS1_30default_config_static_selectorELNS0_4arch9wavefront6targetE1EEEvSK_
	.p2align	8
	.type	_ZN7rocprim17ROCPRIM_400000_NS6detail17trampoline_kernelINS0_14default_configENS1_22reduce_config_selectorItEEZNS1_11reduce_implILb1ES3_N6thrust23THRUST_200600_302600_NS17counting_iteratorItNS8_11hip_rocprim3tagENS8_11use_defaultESC_EEPttNS8_4plusItEEEE10hipError_tPvRmT1_T2_T3_mT4_P12ihipStream_tbEUlT_E0_NS1_11comp_targetILNS1_3genE2ELNS1_11target_archE906ELNS1_3gpuE6ELNS1_3repE0EEENS1_30default_config_static_selectorELNS0_4arch9wavefront6targetE1EEEvSK_,@function
_ZN7rocprim17ROCPRIM_400000_NS6detail17trampoline_kernelINS0_14default_configENS1_22reduce_config_selectorItEEZNS1_11reduce_implILb1ES3_N6thrust23THRUST_200600_302600_NS17counting_iteratorItNS8_11hip_rocprim3tagENS8_11use_defaultESC_EEPttNS8_4plusItEEEE10hipError_tPvRmT1_T2_T3_mT4_P12ihipStream_tbEUlT_E0_NS1_11comp_targetILNS1_3genE2ELNS1_11target_archE906ELNS1_3gpuE6ELNS1_3repE0EEENS1_30default_config_static_selectorELNS0_4arch9wavefront6targetE1EEEvSK_: ; @_ZN7rocprim17ROCPRIM_400000_NS6detail17trampoline_kernelINS0_14default_configENS1_22reduce_config_selectorItEEZNS1_11reduce_implILb1ES3_N6thrust23THRUST_200600_302600_NS17counting_iteratorItNS8_11hip_rocprim3tagENS8_11use_defaultESC_EEPttNS8_4plusItEEEE10hipError_tPvRmT1_T2_T3_mT4_P12ihipStream_tbEUlT_E0_NS1_11comp_targetILNS1_3genE2ELNS1_11target_archE906ELNS1_3gpuE6ELNS1_3repE0EEENS1_30default_config_static_selectorELNS0_4arch9wavefront6targetE1EEEvSK_
; %bb.0:
	.section	.rodata,"a",@progbits
	.p2align	6, 0x0
	.amdhsa_kernel _ZN7rocprim17ROCPRIM_400000_NS6detail17trampoline_kernelINS0_14default_configENS1_22reduce_config_selectorItEEZNS1_11reduce_implILb1ES3_N6thrust23THRUST_200600_302600_NS17counting_iteratorItNS8_11hip_rocprim3tagENS8_11use_defaultESC_EEPttNS8_4plusItEEEE10hipError_tPvRmT1_T2_T3_mT4_P12ihipStream_tbEUlT_E0_NS1_11comp_targetILNS1_3genE2ELNS1_11target_archE906ELNS1_3gpuE6ELNS1_3repE0EEENS1_30default_config_static_selectorELNS0_4arch9wavefront6targetE1EEEvSK_
		.amdhsa_group_segment_fixed_size 0
		.amdhsa_private_segment_fixed_size 0
		.amdhsa_kernarg_size 56
		.amdhsa_user_sgpr_count 2
		.amdhsa_user_sgpr_dispatch_ptr 0
		.amdhsa_user_sgpr_queue_ptr 0
		.amdhsa_user_sgpr_kernarg_segment_ptr 1
		.amdhsa_user_sgpr_dispatch_id 0
		.amdhsa_user_sgpr_kernarg_preload_length 0
		.amdhsa_user_sgpr_kernarg_preload_offset 0
		.amdhsa_user_sgpr_private_segment_size 0
		.amdhsa_uses_dynamic_stack 0
		.amdhsa_enable_private_segment 0
		.amdhsa_system_sgpr_workgroup_id_x 1
		.amdhsa_system_sgpr_workgroup_id_y 0
		.amdhsa_system_sgpr_workgroup_id_z 0
		.amdhsa_system_sgpr_workgroup_info 0
		.amdhsa_system_vgpr_workitem_id 0
		.amdhsa_next_free_vgpr 1
		.amdhsa_next_free_sgpr 0
		.amdhsa_accum_offset 4
		.amdhsa_reserve_vcc 0
		.amdhsa_float_round_mode_32 0
		.amdhsa_float_round_mode_16_64 0
		.amdhsa_float_denorm_mode_32 3
		.amdhsa_float_denorm_mode_16_64 3
		.amdhsa_dx10_clamp 1
		.amdhsa_ieee_mode 1
		.amdhsa_fp16_overflow 0
		.amdhsa_tg_split 0
		.amdhsa_exception_fp_ieee_invalid_op 0
		.amdhsa_exception_fp_denorm_src 0
		.amdhsa_exception_fp_ieee_div_zero 0
		.amdhsa_exception_fp_ieee_overflow 0
		.amdhsa_exception_fp_ieee_underflow 0
		.amdhsa_exception_fp_ieee_inexact 0
		.amdhsa_exception_int_div_zero 0
	.end_amdhsa_kernel
	.section	.text._ZN7rocprim17ROCPRIM_400000_NS6detail17trampoline_kernelINS0_14default_configENS1_22reduce_config_selectorItEEZNS1_11reduce_implILb1ES3_N6thrust23THRUST_200600_302600_NS17counting_iteratorItNS8_11hip_rocprim3tagENS8_11use_defaultESC_EEPttNS8_4plusItEEEE10hipError_tPvRmT1_T2_T3_mT4_P12ihipStream_tbEUlT_E0_NS1_11comp_targetILNS1_3genE2ELNS1_11target_archE906ELNS1_3gpuE6ELNS1_3repE0EEENS1_30default_config_static_selectorELNS0_4arch9wavefront6targetE1EEEvSK_,"axG",@progbits,_ZN7rocprim17ROCPRIM_400000_NS6detail17trampoline_kernelINS0_14default_configENS1_22reduce_config_selectorItEEZNS1_11reduce_implILb1ES3_N6thrust23THRUST_200600_302600_NS17counting_iteratorItNS8_11hip_rocprim3tagENS8_11use_defaultESC_EEPttNS8_4plusItEEEE10hipError_tPvRmT1_T2_T3_mT4_P12ihipStream_tbEUlT_E0_NS1_11comp_targetILNS1_3genE2ELNS1_11target_archE906ELNS1_3gpuE6ELNS1_3repE0EEENS1_30default_config_static_selectorELNS0_4arch9wavefront6targetE1EEEvSK_,comdat
.Lfunc_end1059:
	.size	_ZN7rocprim17ROCPRIM_400000_NS6detail17trampoline_kernelINS0_14default_configENS1_22reduce_config_selectorItEEZNS1_11reduce_implILb1ES3_N6thrust23THRUST_200600_302600_NS17counting_iteratorItNS8_11hip_rocprim3tagENS8_11use_defaultESC_EEPttNS8_4plusItEEEE10hipError_tPvRmT1_T2_T3_mT4_P12ihipStream_tbEUlT_E0_NS1_11comp_targetILNS1_3genE2ELNS1_11target_archE906ELNS1_3gpuE6ELNS1_3repE0EEENS1_30default_config_static_selectorELNS0_4arch9wavefront6targetE1EEEvSK_, .Lfunc_end1059-_ZN7rocprim17ROCPRIM_400000_NS6detail17trampoline_kernelINS0_14default_configENS1_22reduce_config_selectorItEEZNS1_11reduce_implILb1ES3_N6thrust23THRUST_200600_302600_NS17counting_iteratorItNS8_11hip_rocprim3tagENS8_11use_defaultESC_EEPttNS8_4plusItEEEE10hipError_tPvRmT1_T2_T3_mT4_P12ihipStream_tbEUlT_E0_NS1_11comp_targetILNS1_3genE2ELNS1_11target_archE906ELNS1_3gpuE6ELNS1_3repE0EEENS1_30default_config_static_selectorELNS0_4arch9wavefront6targetE1EEEvSK_
                                        ; -- End function
	.set _ZN7rocprim17ROCPRIM_400000_NS6detail17trampoline_kernelINS0_14default_configENS1_22reduce_config_selectorItEEZNS1_11reduce_implILb1ES3_N6thrust23THRUST_200600_302600_NS17counting_iteratorItNS8_11hip_rocprim3tagENS8_11use_defaultESC_EEPttNS8_4plusItEEEE10hipError_tPvRmT1_T2_T3_mT4_P12ihipStream_tbEUlT_E0_NS1_11comp_targetILNS1_3genE2ELNS1_11target_archE906ELNS1_3gpuE6ELNS1_3repE0EEENS1_30default_config_static_selectorELNS0_4arch9wavefront6targetE1EEEvSK_.num_vgpr, 0
	.set _ZN7rocprim17ROCPRIM_400000_NS6detail17trampoline_kernelINS0_14default_configENS1_22reduce_config_selectorItEEZNS1_11reduce_implILb1ES3_N6thrust23THRUST_200600_302600_NS17counting_iteratorItNS8_11hip_rocprim3tagENS8_11use_defaultESC_EEPttNS8_4plusItEEEE10hipError_tPvRmT1_T2_T3_mT4_P12ihipStream_tbEUlT_E0_NS1_11comp_targetILNS1_3genE2ELNS1_11target_archE906ELNS1_3gpuE6ELNS1_3repE0EEENS1_30default_config_static_selectorELNS0_4arch9wavefront6targetE1EEEvSK_.num_agpr, 0
	.set _ZN7rocprim17ROCPRIM_400000_NS6detail17trampoline_kernelINS0_14default_configENS1_22reduce_config_selectorItEEZNS1_11reduce_implILb1ES3_N6thrust23THRUST_200600_302600_NS17counting_iteratorItNS8_11hip_rocprim3tagENS8_11use_defaultESC_EEPttNS8_4plusItEEEE10hipError_tPvRmT1_T2_T3_mT4_P12ihipStream_tbEUlT_E0_NS1_11comp_targetILNS1_3genE2ELNS1_11target_archE906ELNS1_3gpuE6ELNS1_3repE0EEENS1_30default_config_static_selectorELNS0_4arch9wavefront6targetE1EEEvSK_.numbered_sgpr, 0
	.set _ZN7rocprim17ROCPRIM_400000_NS6detail17trampoline_kernelINS0_14default_configENS1_22reduce_config_selectorItEEZNS1_11reduce_implILb1ES3_N6thrust23THRUST_200600_302600_NS17counting_iteratorItNS8_11hip_rocprim3tagENS8_11use_defaultESC_EEPttNS8_4plusItEEEE10hipError_tPvRmT1_T2_T3_mT4_P12ihipStream_tbEUlT_E0_NS1_11comp_targetILNS1_3genE2ELNS1_11target_archE906ELNS1_3gpuE6ELNS1_3repE0EEENS1_30default_config_static_selectorELNS0_4arch9wavefront6targetE1EEEvSK_.num_named_barrier, 0
	.set _ZN7rocprim17ROCPRIM_400000_NS6detail17trampoline_kernelINS0_14default_configENS1_22reduce_config_selectorItEEZNS1_11reduce_implILb1ES3_N6thrust23THRUST_200600_302600_NS17counting_iteratorItNS8_11hip_rocprim3tagENS8_11use_defaultESC_EEPttNS8_4plusItEEEE10hipError_tPvRmT1_T2_T3_mT4_P12ihipStream_tbEUlT_E0_NS1_11comp_targetILNS1_3genE2ELNS1_11target_archE906ELNS1_3gpuE6ELNS1_3repE0EEENS1_30default_config_static_selectorELNS0_4arch9wavefront6targetE1EEEvSK_.private_seg_size, 0
	.set _ZN7rocprim17ROCPRIM_400000_NS6detail17trampoline_kernelINS0_14default_configENS1_22reduce_config_selectorItEEZNS1_11reduce_implILb1ES3_N6thrust23THRUST_200600_302600_NS17counting_iteratorItNS8_11hip_rocprim3tagENS8_11use_defaultESC_EEPttNS8_4plusItEEEE10hipError_tPvRmT1_T2_T3_mT4_P12ihipStream_tbEUlT_E0_NS1_11comp_targetILNS1_3genE2ELNS1_11target_archE906ELNS1_3gpuE6ELNS1_3repE0EEENS1_30default_config_static_selectorELNS0_4arch9wavefront6targetE1EEEvSK_.uses_vcc, 0
	.set _ZN7rocprim17ROCPRIM_400000_NS6detail17trampoline_kernelINS0_14default_configENS1_22reduce_config_selectorItEEZNS1_11reduce_implILb1ES3_N6thrust23THRUST_200600_302600_NS17counting_iteratorItNS8_11hip_rocprim3tagENS8_11use_defaultESC_EEPttNS8_4plusItEEEE10hipError_tPvRmT1_T2_T3_mT4_P12ihipStream_tbEUlT_E0_NS1_11comp_targetILNS1_3genE2ELNS1_11target_archE906ELNS1_3gpuE6ELNS1_3repE0EEENS1_30default_config_static_selectorELNS0_4arch9wavefront6targetE1EEEvSK_.uses_flat_scratch, 0
	.set _ZN7rocprim17ROCPRIM_400000_NS6detail17trampoline_kernelINS0_14default_configENS1_22reduce_config_selectorItEEZNS1_11reduce_implILb1ES3_N6thrust23THRUST_200600_302600_NS17counting_iteratorItNS8_11hip_rocprim3tagENS8_11use_defaultESC_EEPttNS8_4plusItEEEE10hipError_tPvRmT1_T2_T3_mT4_P12ihipStream_tbEUlT_E0_NS1_11comp_targetILNS1_3genE2ELNS1_11target_archE906ELNS1_3gpuE6ELNS1_3repE0EEENS1_30default_config_static_selectorELNS0_4arch9wavefront6targetE1EEEvSK_.has_dyn_sized_stack, 0
	.set _ZN7rocprim17ROCPRIM_400000_NS6detail17trampoline_kernelINS0_14default_configENS1_22reduce_config_selectorItEEZNS1_11reduce_implILb1ES3_N6thrust23THRUST_200600_302600_NS17counting_iteratorItNS8_11hip_rocprim3tagENS8_11use_defaultESC_EEPttNS8_4plusItEEEE10hipError_tPvRmT1_T2_T3_mT4_P12ihipStream_tbEUlT_E0_NS1_11comp_targetILNS1_3genE2ELNS1_11target_archE906ELNS1_3gpuE6ELNS1_3repE0EEENS1_30default_config_static_selectorELNS0_4arch9wavefront6targetE1EEEvSK_.has_recursion, 0
	.set _ZN7rocprim17ROCPRIM_400000_NS6detail17trampoline_kernelINS0_14default_configENS1_22reduce_config_selectorItEEZNS1_11reduce_implILb1ES3_N6thrust23THRUST_200600_302600_NS17counting_iteratorItNS8_11hip_rocprim3tagENS8_11use_defaultESC_EEPttNS8_4plusItEEEE10hipError_tPvRmT1_T2_T3_mT4_P12ihipStream_tbEUlT_E0_NS1_11comp_targetILNS1_3genE2ELNS1_11target_archE906ELNS1_3gpuE6ELNS1_3repE0EEENS1_30default_config_static_selectorELNS0_4arch9wavefront6targetE1EEEvSK_.has_indirect_call, 0
	.section	.AMDGPU.csdata,"",@progbits
; Kernel info:
; codeLenInByte = 0
; TotalNumSgprs: 6
; NumVgprs: 0
; NumAgprs: 0
; TotalNumVgprs: 0
; ScratchSize: 0
; MemoryBound: 0
; FloatMode: 240
; IeeeMode: 1
; LDSByteSize: 0 bytes/workgroup (compile time only)
; SGPRBlocks: 0
; VGPRBlocks: 0
; NumSGPRsForWavesPerEU: 6
; NumVGPRsForWavesPerEU: 1
; AccumOffset: 4
; Occupancy: 8
; WaveLimiterHint : 0
; COMPUTE_PGM_RSRC2:SCRATCH_EN: 0
; COMPUTE_PGM_RSRC2:USER_SGPR: 2
; COMPUTE_PGM_RSRC2:TRAP_HANDLER: 0
; COMPUTE_PGM_RSRC2:TGID_X_EN: 1
; COMPUTE_PGM_RSRC2:TGID_Y_EN: 0
; COMPUTE_PGM_RSRC2:TGID_Z_EN: 0
; COMPUTE_PGM_RSRC2:TIDIG_COMP_CNT: 0
; COMPUTE_PGM_RSRC3_GFX90A:ACCUM_OFFSET: 0
; COMPUTE_PGM_RSRC3_GFX90A:TG_SPLIT: 0
	.section	.text._ZN7rocprim17ROCPRIM_400000_NS6detail17trampoline_kernelINS0_14default_configENS1_22reduce_config_selectorItEEZNS1_11reduce_implILb1ES3_N6thrust23THRUST_200600_302600_NS17counting_iteratorItNS8_11hip_rocprim3tagENS8_11use_defaultESC_EEPttNS8_4plusItEEEE10hipError_tPvRmT1_T2_T3_mT4_P12ihipStream_tbEUlT_E0_NS1_11comp_targetILNS1_3genE10ELNS1_11target_archE1201ELNS1_3gpuE5ELNS1_3repE0EEENS1_30default_config_static_selectorELNS0_4arch9wavefront6targetE1EEEvSK_,"axG",@progbits,_ZN7rocprim17ROCPRIM_400000_NS6detail17trampoline_kernelINS0_14default_configENS1_22reduce_config_selectorItEEZNS1_11reduce_implILb1ES3_N6thrust23THRUST_200600_302600_NS17counting_iteratorItNS8_11hip_rocprim3tagENS8_11use_defaultESC_EEPttNS8_4plusItEEEE10hipError_tPvRmT1_T2_T3_mT4_P12ihipStream_tbEUlT_E0_NS1_11comp_targetILNS1_3genE10ELNS1_11target_archE1201ELNS1_3gpuE5ELNS1_3repE0EEENS1_30default_config_static_selectorELNS0_4arch9wavefront6targetE1EEEvSK_,comdat
	.protected	_ZN7rocprim17ROCPRIM_400000_NS6detail17trampoline_kernelINS0_14default_configENS1_22reduce_config_selectorItEEZNS1_11reduce_implILb1ES3_N6thrust23THRUST_200600_302600_NS17counting_iteratorItNS8_11hip_rocprim3tagENS8_11use_defaultESC_EEPttNS8_4plusItEEEE10hipError_tPvRmT1_T2_T3_mT4_P12ihipStream_tbEUlT_E0_NS1_11comp_targetILNS1_3genE10ELNS1_11target_archE1201ELNS1_3gpuE5ELNS1_3repE0EEENS1_30default_config_static_selectorELNS0_4arch9wavefront6targetE1EEEvSK_ ; -- Begin function _ZN7rocprim17ROCPRIM_400000_NS6detail17trampoline_kernelINS0_14default_configENS1_22reduce_config_selectorItEEZNS1_11reduce_implILb1ES3_N6thrust23THRUST_200600_302600_NS17counting_iteratorItNS8_11hip_rocprim3tagENS8_11use_defaultESC_EEPttNS8_4plusItEEEE10hipError_tPvRmT1_T2_T3_mT4_P12ihipStream_tbEUlT_E0_NS1_11comp_targetILNS1_3genE10ELNS1_11target_archE1201ELNS1_3gpuE5ELNS1_3repE0EEENS1_30default_config_static_selectorELNS0_4arch9wavefront6targetE1EEEvSK_
	.globl	_ZN7rocprim17ROCPRIM_400000_NS6detail17trampoline_kernelINS0_14default_configENS1_22reduce_config_selectorItEEZNS1_11reduce_implILb1ES3_N6thrust23THRUST_200600_302600_NS17counting_iteratorItNS8_11hip_rocprim3tagENS8_11use_defaultESC_EEPttNS8_4plusItEEEE10hipError_tPvRmT1_T2_T3_mT4_P12ihipStream_tbEUlT_E0_NS1_11comp_targetILNS1_3genE10ELNS1_11target_archE1201ELNS1_3gpuE5ELNS1_3repE0EEENS1_30default_config_static_selectorELNS0_4arch9wavefront6targetE1EEEvSK_
	.p2align	8
	.type	_ZN7rocprim17ROCPRIM_400000_NS6detail17trampoline_kernelINS0_14default_configENS1_22reduce_config_selectorItEEZNS1_11reduce_implILb1ES3_N6thrust23THRUST_200600_302600_NS17counting_iteratorItNS8_11hip_rocprim3tagENS8_11use_defaultESC_EEPttNS8_4plusItEEEE10hipError_tPvRmT1_T2_T3_mT4_P12ihipStream_tbEUlT_E0_NS1_11comp_targetILNS1_3genE10ELNS1_11target_archE1201ELNS1_3gpuE5ELNS1_3repE0EEENS1_30default_config_static_selectorELNS0_4arch9wavefront6targetE1EEEvSK_,@function
_ZN7rocprim17ROCPRIM_400000_NS6detail17trampoline_kernelINS0_14default_configENS1_22reduce_config_selectorItEEZNS1_11reduce_implILb1ES3_N6thrust23THRUST_200600_302600_NS17counting_iteratorItNS8_11hip_rocprim3tagENS8_11use_defaultESC_EEPttNS8_4plusItEEEE10hipError_tPvRmT1_T2_T3_mT4_P12ihipStream_tbEUlT_E0_NS1_11comp_targetILNS1_3genE10ELNS1_11target_archE1201ELNS1_3gpuE5ELNS1_3repE0EEENS1_30default_config_static_selectorELNS0_4arch9wavefront6targetE1EEEvSK_: ; @_ZN7rocprim17ROCPRIM_400000_NS6detail17trampoline_kernelINS0_14default_configENS1_22reduce_config_selectorItEEZNS1_11reduce_implILb1ES3_N6thrust23THRUST_200600_302600_NS17counting_iteratorItNS8_11hip_rocprim3tagENS8_11use_defaultESC_EEPttNS8_4plusItEEEE10hipError_tPvRmT1_T2_T3_mT4_P12ihipStream_tbEUlT_E0_NS1_11comp_targetILNS1_3genE10ELNS1_11target_archE1201ELNS1_3gpuE5ELNS1_3repE0EEENS1_30default_config_static_selectorELNS0_4arch9wavefront6targetE1EEEvSK_
; %bb.0:
	.section	.rodata,"a",@progbits
	.p2align	6, 0x0
	.amdhsa_kernel _ZN7rocprim17ROCPRIM_400000_NS6detail17trampoline_kernelINS0_14default_configENS1_22reduce_config_selectorItEEZNS1_11reduce_implILb1ES3_N6thrust23THRUST_200600_302600_NS17counting_iteratorItNS8_11hip_rocprim3tagENS8_11use_defaultESC_EEPttNS8_4plusItEEEE10hipError_tPvRmT1_T2_T3_mT4_P12ihipStream_tbEUlT_E0_NS1_11comp_targetILNS1_3genE10ELNS1_11target_archE1201ELNS1_3gpuE5ELNS1_3repE0EEENS1_30default_config_static_selectorELNS0_4arch9wavefront6targetE1EEEvSK_
		.amdhsa_group_segment_fixed_size 0
		.amdhsa_private_segment_fixed_size 0
		.amdhsa_kernarg_size 56
		.amdhsa_user_sgpr_count 2
		.amdhsa_user_sgpr_dispatch_ptr 0
		.amdhsa_user_sgpr_queue_ptr 0
		.amdhsa_user_sgpr_kernarg_segment_ptr 1
		.amdhsa_user_sgpr_dispatch_id 0
		.amdhsa_user_sgpr_kernarg_preload_length 0
		.amdhsa_user_sgpr_kernarg_preload_offset 0
		.amdhsa_user_sgpr_private_segment_size 0
		.amdhsa_uses_dynamic_stack 0
		.amdhsa_enable_private_segment 0
		.amdhsa_system_sgpr_workgroup_id_x 1
		.amdhsa_system_sgpr_workgroup_id_y 0
		.amdhsa_system_sgpr_workgroup_id_z 0
		.amdhsa_system_sgpr_workgroup_info 0
		.amdhsa_system_vgpr_workitem_id 0
		.amdhsa_next_free_vgpr 1
		.amdhsa_next_free_sgpr 0
		.amdhsa_accum_offset 4
		.amdhsa_reserve_vcc 0
		.amdhsa_float_round_mode_32 0
		.amdhsa_float_round_mode_16_64 0
		.amdhsa_float_denorm_mode_32 3
		.amdhsa_float_denorm_mode_16_64 3
		.amdhsa_dx10_clamp 1
		.amdhsa_ieee_mode 1
		.amdhsa_fp16_overflow 0
		.amdhsa_tg_split 0
		.amdhsa_exception_fp_ieee_invalid_op 0
		.amdhsa_exception_fp_denorm_src 0
		.amdhsa_exception_fp_ieee_div_zero 0
		.amdhsa_exception_fp_ieee_overflow 0
		.amdhsa_exception_fp_ieee_underflow 0
		.amdhsa_exception_fp_ieee_inexact 0
		.amdhsa_exception_int_div_zero 0
	.end_amdhsa_kernel
	.section	.text._ZN7rocprim17ROCPRIM_400000_NS6detail17trampoline_kernelINS0_14default_configENS1_22reduce_config_selectorItEEZNS1_11reduce_implILb1ES3_N6thrust23THRUST_200600_302600_NS17counting_iteratorItNS8_11hip_rocprim3tagENS8_11use_defaultESC_EEPttNS8_4plusItEEEE10hipError_tPvRmT1_T2_T3_mT4_P12ihipStream_tbEUlT_E0_NS1_11comp_targetILNS1_3genE10ELNS1_11target_archE1201ELNS1_3gpuE5ELNS1_3repE0EEENS1_30default_config_static_selectorELNS0_4arch9wavefront6targetE1EEEvSK_,"axG",@progbits,_ZN7rocprim17ROCPRIM_400000_NS6detail17trampoline_kernelINS0_14default_configENS1_22reduce_config_selectorItEEZNS1_11reduce_implILb1ES3_N6thrust23THRUST_200600_302600_NS17counting_iteratorItNS8_11hip_rocprim3tagENS8_11use_defaultESC_EEPttNS8_4plusItEEEE10hipError_tPvRmT1_T2_T3_mT4_P12ihipStream_tbEUlT_E0_NS1_11comp_targetILNS1_3genE10ELNS1_11target_archE1201ELNS1_3gpuE5ELNS1_3repE0EEENS1_30default_config_static_selectorELNS0_4arch9wavefront6targetE1EEEvSK_,comdat
.Lfunc_end1060:
	.size	_ZN7rocprim17ROCPRIM_400000_NS6detail17trampoline_kernelINS0_14default_configENS1_22reduce_config_selectorItEEZNS1_11reduce_implILb1ES3_N6thrust23THRUST_200600_302600_NS17counting_iteratorItNS8_11hip_rocprim3tagENS8_11use_defaultESC_EEPttNS8_4plusItEEEE10hipError_tPvRmT1_T2_T3_mT4_P12ihipStream_tbEUlT_E0_NS1_11comp_targetILNS1_3genE10ELNS1_11target_archE1201ELNS1_3gpuE5ELNS1_3repE0EEENS1_30default_config_static_selectorELNS0_4arch9wavefront6targetE1EEEvSK_, .Lfunc_end1060-_ZN7rocprim17ROCPRIM_400000_NS6detail17trampoline_kernelINS0_14default_configENS1_22reduce_config_selectorItEEZNS1_11reduce_implILb1ES3_N6thrust23THRUST_200600_302600_NS17counting_iteratorItNS8_11hip_rocprim3tagENS8_11use_defaultESC_EEPttNS8_4plusItEEEE10hipError_tPvRmT1_T2_T3_mT4_P12ihipStream_tbEUlT_E0_NS1_11comp_targetILNS1_3genE10ELNS1_11target_archE1201ELNS1_3gpuE5ELNS1_3repE0EEENS1_30default_config_static_selectorELNS0_4arch9wavefront6targetE1EEEvSK_
                                        ; -- End function
	.set _ZN7rocprim17ROCPRIM_400000_NS6detail17trampoline_kernelINS0_14default_configENS1_22reduce_config_selectorItEEZNS1_11reduce_implILb1ES3_N6thrust23THRUST_200600_302600_NS17counting_iteratorItNS8_11hip_rocprim3tagENS8_11use_defaultESC_EEPttNS8_4plusItEEEE10hipError_tPvRmT1_T2_T3_mT4_P12ihipStream_tbEUlT_E0_NS1_11comp_targetILNS1_3genE10ELNS1_11target_archE1201ELNS1_3gpuE5ELNS1_3repE0EEENS1_30default_config_static_selectorELNS0_4arch9wavefront6targetE1EEEvSK_.num_vgpr, 0
	.set _ZN7rocprim17ROCPRIM_400000_NS6detail17trampoline_kernelINS0_14default_configENS1_22reduce_config_selectorItEEZNS1_11reduce_implILb1ES3_N6thrust23THRUST_200600_302600_NS17counting_iteratorItNS8_11hip_rocprim3tagENS8_11use_defaultESC_EEPttNS8_4plusItEEEE10hipError_tPvRmT1_T2_T3_mT4_P12ihipStream_tbEUlT_E0_NS1_11comp_targetILNS1_3genE10ELNS1_11target_archE1201ELNS1_3gpuE5ELNS1_3repE0EEENS1_30default_config_static_selectorELNS0_4arch9wavefront6targetE1EEEvSK_.num_agpr, 0
	.set _ZN7rocprim17ROCPRIM_400000_NS6detail17trampoline_kernelINS0_14default_configENS1_22reduce_config_selectorItEEZNS1_11reduce_implILb1ES3_N6thrust23THRUST_200600_302600_NS17counting_iteratorItNS8_11hip_rocprim3tagENS8_11use_defaultESC_EEPttNS8_4plusItEEEE10hipError_tPvRmT1_T2_T3_mT4_P12ihipStream_tbEUlT_E0_NS1_11comp_targetILNS1_3genE10ELNS1_11target_archE1201ELNS1_3gpuE5ELNS1_3repE0EEENS1_30default_config_static_selectorELNS0_4arch9wavefront6targetE1EEEvSK_.numbered_sgpr, 0
	.set _ZN7rocprim17ROCPRIM_400000_NS6detail17trampoline_kernelINS0_14default_configENS1_22reduce_config_selectorItEEZNS1_11reduce_implILb1ES3_N6thrust23THRUST_200600_302600_NS17counting_iteratorItNS8_11hip_rocprim3tagENS8_11use_defaultESC_EEPttNS8_4plusItEEEE10hipError_tPvRmT1_T2_T3_mT4_P12ihipStream_tbEUlT_E0_NS1_11comp_targetILNS1_3genE10ELNS1_11target_archE1201ELNS1_3gpuE5ELNS1_3repE0EEENS1_30default_config_static_selectorELNS0_4arch9wavefront6targetE1EEEvSK_.num_named_barrier, 0
	.set _ZN7rocprim17ROCPRIM_400000_NS6detail17trampoline_kernelINS0_14default_configENS1_22reduce_config_selectorItEEZNS1_11reduce_implILb1ES3_N6thrust23THRUST_200600_302600_NS17counting_iteratorItNS8_11hip_rocprim3tagENS8_11use_defaultESC_EEPttNS8_4plusItEEEE10hipError_tPvRmT1_T2_T3_mT4_P12ihipStream_tbEUlT_E0_NS1_11comp_targetILNS1_3genE10ELNS1_11target_archE1201ELNS1_3gpuE5ELNS1_3repE0EEENS1_30default_config_static_selectorELNS0_4arch9wavefront6targetE1EEEvSK_.private_seg_size, 0
	.set _ZN7rocprim17ROCPRIM_400000_NS6detail17trampoline_kernelINS0_14default_configENS1_22reduce_config_selectorItEEZNS1_11reduce_implILb1ES3_N6thrust23THRUST_200600_302600_NS17counting_iteratorItNS8_11hip_rocprim3tagENS8_11use_defaultESC_EEPttNS8_4plusItEEEE10hipError_tPvRmT1_T2_T3_mT4_P12ihipStream_tbEUlT_E0_NS1_11comp_targetILNS1_3genE10ELNS1_11target_archE1201ELNS1_3gpuE5ELNS1_3repE0EEENS1_30default_config_static_selectorELNS0_4arch9wavefront6targetE1EEEvSK_.uses_vcc, 0
	.set _ZN7rocprim17ROCPRIM_400000_NS6detail17trampoline_kernelINS0_14default_configENS1_22reduce_config_selectorItEEZNS1_11reduce_implILb1ES3_N6thrust23THRUST_200600_302600_NS17counting_iteratorItNS8_11hip_rocprim3tagENS8_11use_defaultESC_EEPttNS8_4plusItEEEE10hipError_tPvRmT1_T2_T3_mT4_P12ihipStream_tbEUlT_E0_NS1_11comp_targetILNS1_3genE10ELNS1_11target_archE1201ELNS1_3gpuE5ELNS1_3repE0EEENS1_30default_config_static_selectorELNS0_4arch9wavefront6targetE1EEEvSK_.uses_flat_scratch, 0
	.set _ZN7rocprim17ROCPRIM_400000_NS6detail17trampoline_kernelINS0_14default_configENS1_22reduce_config_selectorItEEZNS1_11reduce_implILb1ES3_N6thrust23THRUST_200600_302600_NS17counting_iteratorItNS8_11hip_rocprim3tagENS8_11use_defaultESC_EEPttNS8_4plusItEEEE10hipError_tPvRmT1_T2_T3_mT4_P12ihipStream_tbEUlT_E0_NS1_11comp_targetILNS1_3genE10ELNS1_11target_archE1201ELNS1_3gpuE5ELNS1_3repE0EEENS1_30default_config_static_selectorELNS0_4arch9wavefront6targetE1EEEvSK_.has_dyn_sized_stack, 0
	.set _ZN7rocprim17ROCPRIM_400000_NS6detail17trampoline_kernelINS0_14default_configENS1_22reduce_config_selectorItEEZNS1_11reduce_implILb1ES3_N6thrust23THRUST_200600_302600_NS17counting_iteratorItNS8_11hip_rocprim3tagENS8_11use_defaultESC_EEPttNS8_4plusItEEEE10hipError_tPvRmT1_T2_T3_mT4_P12ihipStream_tbEUlT_E0_NS1_11comp_targetILNS1_3genE10ELNS1_11target_archE1201ELNS1_3gpuE5ELNS1_3repE0EEENS1_30default_config_static_selectorELNS0_4arch9wavefront6targetE1EEEvSK_.has_recursion, 0
	.set _ZN7rocprim17ROCPRIM_400000_NS6detail17trampoline_kernelINS0_14default_configENS1_22reduce_config_selectorItEEZNS1_11reduce_implILb1ES3_N6thrust23THRUST_200600_302600_NS17counting_iteratorItNS8_11hip_rocprim3tagENS8_11use_defaultESC_EEPttNS8_4plusItEEEE10hipError_tPvRmT1_T2_T3_mT4_P12ihipStream_tbEUlT_E0_NS1_11comp_targetILNS1_3genE10ELNS1_11target_archE1201ELNS1_3gpuE5ELNS1_3repE0EEENS1_30default_config_static_selectorELNS0_4arch9wavefront6targetE1EEEvSK_.has_indirect_call, 0
	.section	.AMDGPU.csdata,"",@progbits
; Kernel info:
; codeLenInByte = 0
; TotalNumSgprs: 6
; NumVgprs: 0
; NumAgprs: 0
; TotalNumVgprs: 0
; ScratchSize: 0
; MemoryBound: 0
; FloatMode: 240
; IeeeMode: 1
; LDSByteSize: 0 bytes/workgroup (compile time only)
; SGPRBlocks: 0
; VGPRBlocks: 0
; NumSGPRsForWavesPerEU: 6
; NumVGPRsForWavesPerEU: 1
; AccumOffset: 4
; Occupancy: 8
; WaveLimiterHint : 0
; COMPUTE_PGM_RSRC2:SCRATCH_EN: 0
; COMPUTE_PGM_RSRC2:USER_SGPR: 2
; COMPUTE_PGM_RSRC2:TRAP_HANDLER: 0
; COMPUTE_PGM_RSRC2:TGID_X_EN: 1
; COMPUTE_PGM_RSRC2:TGID_Y_EN: 0
; COMPUTE_PGM_RSRC2:TGID_Z_EN: 0
; COMPUTE_PGM_RSRC2:TIDIG_COMP_CNT: 0
; COMPUTE_PGM_RSRC3_GFX90A:ACCUM_OFFSET: 0
; COMPUTE_PGM_RSRC3_GFX90A:TG_SPLIT: 0
	.section	.text._ZN7rocprim17ROCPRIM_400000_NS6detail17trampoline_kernelINS0_14default_configENS1_22reduce_config_selectorItEEZNS1_11reduce_implILb1ES3_N6thrust23THRUST_200600_302600_NS17counting_iteratorItNS8_11hip_rocprim3tagENS8_11use_defaultESC_EEPttNS8_4plusItEEEE10hipError_tPvRmT1_T2_T3_mT4_P12ihipStream_tbEUlT_E0_NS1_11comp_targetILNS1_3genE10ELNS1_11target_archE1200ELNS1_3gpuE4ELNS1_3repE0EEENS1_30default_config_static_selectorELNS0_4arch9wavefront6targetE1EEEvSK_,"axG",@progbits,_ZN7rocprim17ROCPRIM_400000_NS6detail17trampoline_kernelINS0_14default_configENS1_22reduce_config_selectorItEEZNS1_11reduce_implILb1ES3_N6thrust23THRUST_200600_302600_NS17counting_iteratorItNS8_11hip_rocprim3tagENS8_11use_defaultESC_EEPttNS8_4plusItEEEE10hipError_tPvRmT1_T2_T3_mT4_P12ihipStream_tbEUlT_E0_NS1_11comp_targetILNS1_3genE10ELNS1_11target_archE1200ELNS1_3gpuE4ELNS1_3repE0EEENS1_30default_config_static_selectorELNS0_4arch9wavefront6targetE1EEEvSK_,comdat
	.protected	_ZN7rocprim17ROCPRIM_400000_NS6detail17trampoline_kernelINS0_14default_configENS1_22reduce_config_selectorItEEZNS1_11reduce_implILb1ES3_N6thrust23THRUST_200600_302600_NS17counting_iteratorItNS8_11hip_rocprim3tagENS8_11use_defaultESC_EEPttNS8_4plusItEEEE10hipError_tPvRmT1_T2_T3_mT4_P12ihipStream_tbEUlT_E0_NS1_11comp_targetILNS1_3genE10ELNS1_11target_archE1200ELNS1_3gpuE4ELNS1_3repE0EEENS1_30default_config_static_selectorELNS0_4arch9wavefront6targetE1EEEvSK_ ; -- Begin function _ZN7rocprim17ROCPRIM_400000_NS6detail17trampoline_kernelINS0_14default_configENS1_22reduce_config_selectorItEEZNS1_11reduce_implILb1ES3_N6thrust23THRUST_200600_302600_NS17counting_iteratorItNS8_11hip_rocprim3tagENS8_11use_defaultESC_EEPttNS8_4plusItEEEE10hipError_tPvRmT1_T2_T3_mT4_P12ihipStream_tbEUlT_E0_NS1_11comp_targetILNS1_3genE10ELNS1_11target_archE1200ELNS1_3gpuE4ELNS1_3repE0EEENS1_30default_config_static_selectorELNS0_4arch9wavefront6targetE1EEEvSK_
	.globl	_ZN7rocprim17ROCPRIM_400000_NS6detail17trampoline_kernelINS0_14default_configENS1_22reduce_config_selectorItEEZNS1_11reduce_implILb1ES3_N6thrust23THRUST_200600_302600_NS17counting_iteratorItNS8_11hip_rocprim3tagENS8_11use_defaultESC_EEPttNS8_4plusItEEEE10hipError_tPvRmT1_T2_T3_mT4_P12ihipStream_tbEUlT_E0_NS1_11comp_targetILNS1_3genE10ELNS1_11target_archE1200ELNS1_3gpuE4ELNS1_3repE0EEENS1_30default_config_static_selectorELNS0_4arch9wavefront6targetE1EEEvSK_
	.p2align	8
	.type	_ZN7rocprim17ROCPRIM_400000_NS6detail17trampoline_kernelINS0_14default_configENS1_22reduce_config_selectorItEEZNS1_11reduce_implILb1ES3_N6thrust23THRUST_200600_302600_NS17counting_iteratorItNS8_11hip_rocprim3tagENS8_11use_defaultESC_EEPttNS8_4plusItEEEE10hipError_tPvRmT1_T2_T3_mT4_P12ihipStream_tbEUlT_E0_NS1_11comp_targetILNS1_3genE10ELNS1_11target_archE1200ELNS1_3gpuE4ELNS1_3repE0EEENS1_30default_config_static_selectorELNS0_4arch9wavefront6targetE1EEEvSK_,@function
_ZN7rocprim17ROCPRIM_400000_NS6detail17trampoline_kernelINS0_14default_configENS1_22reduce_config_selectorItEEZNS1_11reduce_implILb1ES3_N6thrust23THRUST_200600_302600_NS17counting_iteratorItNS8_11hip_rocprim3tagENS8_11use_defaultESC_EEPttNS8_4plusItEEEE10hipError_tPvRmT1_T2_T3_mT4_P12ihipStream_tbEUlT_E0_NS1_11comp_targetILNS1_3genE10ELNS1_11target_archE1200ELNS1_3gpuE4ELNS1_3repE0EEENS1_30default_config_static_selectorELNS0_4arch9wavefront6targetE1EEEvSK_: ; @_ZN7rocprim17ROCPRIM_400000_NS6detail17trampoline_kernelINS0_14default_configENS1_22reduce_config_selectorItEEZNS1_11reduce_implILb1ES3_N6thrust23THRUST_200600_302600_NS17counting_iteratorItNS8_11hip_rocprim3tagENS8_11use_defaultESC_EEPttNS8_4plusItEEEE10hipError_tPvRmT1_T2_T3_mT4_P12ihipStream_tbEUlT_E0_NS1_11comp_targetILNS1_3genE10ELNS1_11target_archE1200ELNS1_3gpuE4ELNS1_3repE0EEENS1_30default_config_static_selectorELNS0_4arch9wavefront6targetE1EEEvSK_
; %bb.0:
	.section	.rodata,"a",@progbits
	.p2align	6, 0x0
	.amdhsa_kernel _ZN7rocprim17ROCPRIM_400000_NS6detail17trampoline_kernelINS0_14default_configENS1_22reduce_config_selectorItEEZNS1_11reduce_implILb1ES3_N6thrust23THRUST_200600_302600_NS17counting_iteratorItNS8_11hip_rocprim3tagENS8_11use_defaultESC_EEPttNS8_4plusItEEEE10hipError_tPvRmT1_T2_T3_mT4_P12ihipStream_tbEUlT_E0_NS1_11comp_targetILNS1_3genE10ELNS1_11target_archE1200ELNS1_3gpuE4ELNS1_3repE0EEENS1_30default_config_static_selectorELNS0_4arch9wavefront6targetE1EEEvSK_
		.amdhsa_group_segment_fixed_size 0
		.amdhsa_private_segment_fixed_size 0
		.amdhsa_kernarg_size 56
		.amdhsa_user_sgpr_count 2
		.amdhsa_user_sgpr_dispatch_ptr 0
		.amdhsa_user_sgpr_queue_ptr 0
		.amdhsa_user_sgpr_kernarg_segment_ptr 1
		.amdhsa_user_sgpr_dispatch_id 0
		.amdhsa_user_sgpr_kernarg_preload_length 0
		.amdhsa_user_sgpr_kernarg_preload_offset 0
		.amdhsa_user_sgpr_private_segment_size 0
		.amdhsa_uses_dynamic_stack 0
		.amdhsa_enable_private_segment 0
		.amdhsa_system_sgpr_workgroup_id_x 1
		.amdhsa_system_sgpr_workgroup_id_y 0
		.amdhsa_system_sgpr_workgroup_id_z 0
		.amdhsa_system_sgpr_workgroup_info 0
		.amdhsa_system_vgpr_workitem_id 0
		.amdhsa_next_free_vgpr 1
		.amdhsa_next_free_sgpr 0
		.amdhsa_accum_offset 4
		.amdhsa_reserve_vcc 0
		.amdhsa_float_round_mode_32 0
		.amdhsa_float_round_mode_16_64 0
		.amdhsa_float_denorm_mode_32 3
		.amdhsa_float_denorm_mode_16_64 3
		.amdhsa_dx10_clamp 1
		.amdhsa_ieee_mode 1
		.amdhsa_fp16_overflow 0
		.amdhsa_tg_split 0
		.amdhsa_exception_fp_ieee_invalid_op 0
		.amdhsa_exception_fp_denorm_src 0
		.amdhsa_exception_fp_ieee_div_zero 0
		.amdhsa_exception_fp_ieee_overflow 0
		.amdhsa_exception_fp_ieee_underflow 0
		.amdhsa_exception_fp_ieee_inexact 0
		.amdhsa_exception_int_div_zero 0
	.end_amdhsa_kernel
	.section	.text._ZN7rocprim17ROCPRIM_400000_NS6detail17trampoline_kernelINS0_14default_configENS1_22reduce_config_selectorItEEZNS1_11reduce_implILb1ES3_N6thrust23THRUST_200600_302600_NS17counting_iteratorItNS8_11hip_rocprim3tagENS8_11use_defaultESC_EEPttNS8_4plusItEEEE10hipError_tPvRmT1_T2_T3_mT4_P12ihipStream_tbEUlT_E0_NS1_11comp_targetILNS1_3genE10ELNS1_11target_archE1200ELNS1_3gpuE4ELNS1_3repE0EEENS1_30default_config_static_selectorELNS0_4arch9wavefront6targetE1EEEvSK_,"axG",@progbits,_ZN7rocprim17ROCPRIM_400000_NS6detail17trampoline_kernelINS0_14default_configENS1_22reduce_config_selectorItEEZNS1_11reduce_implILb1ES3_N6thrust23THRUST_200600_302600_NS17counting_iteratorItNS8_11hip_rocprim3tagENS8_11use_defaultESC_EEPttNS8_4plusItEEEE10hipError_tPvRmT1_T2_T3_mT4_P12ihipStream_tbEUlT_E0_NS1_11comp_targetILNS1_3genE10ELNS1_11target_archE1200ELNS1_3gpuE4ELNS1_3repE0EEENS1_30default_config_static_selectorELNS0_4arch9wavefront6targetE1EEEvSK_,comdat
.Lfunc_end1061:
	.size	_ZN7rocprim17ROCPRIM_400000_NS6detail17trampoline_kernelINS0_14default_configENS1_22reduce_config_selectorItEEZNS1_11reduce_implILb1ES3_N6thrust23THRUST_200600_302600_NS17counting_iteratorItNS8_11hip_rocprim3tagENS8_11use_defaultESC_EEPttNS8_4plusItEEEE10hipError_tPvRmT1_T2_T3_mT4_P12ihipStream_tbEUlT_E0_NS1_11comp_targetILNS1_3genE10ELNS1_11target_archE1200ELNS1_3gpuE4ELNS1_3repE0EEENS1_30default_config_static_selectorELNS0_4arch9wavefront6targetE1EEEvSK_, .Lfunc_end1061-_ZN7rocprim17ROCPRIM_400000_NS6detail17trampoline_kernelINS0_14default_configENS1_22reduce_config_selectorItEEZNS1_11reduce_implILb1ES3_N6thrust23THRUST_200600_302600_NS17counting_iteratorItNS8_11hip_rocprim3tagENS8_11use_defaultESC_EEPttNS8_4plusItEEEE10hipError_tPvRmT1_T2_T3_mT4_P12ihipStream_tbEUlT_E0_NS1_11comp_targetILNS1_3genE10ELNS1_11target_archE1200ELNS1_3gpuE4ELNS1_3repE0EEENS1_30default_config_static_selectorELNS0_4arch9wavefront6targetE1EEEvSK_
                                        ; -- End function
	.set _ZN7rocprim17ROCPRIM_400000_NS6detail17trampoline_kernelINS0_14default_configENS1_22reduce_config_selectorItEEZNS1_11reduce_implILb1ES3_N6thrust23THRUST_200600_302600_NS17counting_iteratorItNS8_11hip_rocprim3tagENS8_11use_defaultESC_EEPttNS8_4plusItEEEE10hipError_tPvRmT1_T2_T3_mT4_P12ihipStream_tbEUlT_E0_NS1_11comp_targetILNS1_3genE10ELNS1_11target_archE1200ELNS1_3gpuE4ELNS1_3repE0EEENS1_30default_config_static_selectorELNS0_4arch9wavefront6targetE1EEEvSK_.num_vgpr, 0
	.set _ZN7rocprim17ROCPRIM_400000_NS6detail17trampoline_kernelINS0_14default_configENS1_22reduce_config_selectorItEEZNS1_11reduce_implILb1ES3_N6thrust23THRUST_200600_302600_NS17counting_iteratorItNS8_11hip_rocprim3tagENS8_11use_defaultESC_EEPttNS8_4plusItEEEE10hipError_tPvRmT1_T2_T3_mT4_P12ihipStream_tbEUlT_E0_NS1_11comp_targetILNS1_3genE10ELNS1_11target_archE1200ELNS1_3gpuE4ELNS1_3repE0EEENS1_30default_config_static_selectorELNS0_4arch9wavefront6targetE1EEEvSK_.num_agpr, 0
	.set _ZN7rocprim17ROCPRIM_400000_NS6detail17trampoline_kernelINS0_14default_configENS1_22reduce_config_selectorItEEZNS1_11reduce_implILb1ES3_N6thrust23THRUST_200600_302600_NS17counting_iteratorItNS8_11hip_rocprim3tagENS8_11use_defaultESC_EEPttNS8_4plusItEEEE10hipError_tPvRmT1_T2_T3_mT4_P12ihipStream_tbEUlT_E0_NS1_11comp_targetILNS1_3genE10ELNS1_11target_archE1200ELNS1_3gpuE4ELNS1_3repE0EEENS1_30default_config_static_selectorELNS0_4arch9wavefront6targetE1EEEvSK_.numbered_sgpr, 0
	.set _ZN7rocprim17ROCPRIM_400000_NS6detail17trampoline_kernelINS0_14default_configENS1_22reduce_config_selectorItEEZNS1_11reduce_implILb1ES3_N6thrust23THRUST_200600_302600_NS17counting_iteratorItNS8_11hip_rocprim3tagENS8_11use_defaultESC_EEPttNS8_4plusItEEEE10hipError_tPvRmT1_T2_T3_mT4_P12ihipStream_tbEUlT_E0_NS1_11comp_targetILNS1_3genE10ELNS1_11target_archE1200ELNS1_3gpuE4ELNS1_3repE0EEENS1_30default_config_static_selectorELNS0_4arch9wavefront6targetE1EEEvSK_.num_named_barrier, 0
	.set _ZN7rocprim17ROCPRIM_400000_NS6detail17trampoline_kernelINS0_14default_configENS1_22reduce_config_selectorItEEZNS1_11reduce_implILb1ES3_N6thrust23THRUST_200600_302600_NS17counting_iteratorItNS8_11hip_rocprim3tagENS8_11use_defaultESC_EEPttNS8_4plusItEEEE10hipError_tPvRmT1_T2_T3_mT4_P12ihipStream_tbEUlT_E0_NS1_11comp_targetILNS1_3genE10ELNS1_11target_archE1200ELNS1_3gpuE4ELNS1_3repE0EEENS1_30default_config_static_selectorELNS0_4arch9wavefront6targetE1EEEvSK_.private_seg_size, 0
	.set _ZN7rocprim17ROCPRIM_400000_NS6detail17trampoline_kernelINS0_14default_configENS1_22reduce_config_selectorItEEZNS1_11reduce_implILb1ES3_N6thrust23THRUST_200600_302600_NS17counting_iteratorItNS8_11hip_rocprim3tagENS8_11use_defaultESC_EEPttNS8_4plusItEEEE10hipError_tPvRmT1_T2_T3_mT4_P12ihipStream_tbEUlT_E0_NS1_11comp_targetILNS1_3genE10ELNS1_11target_archE1200ELNS1_3gpuE4ELNS1_3repE0EEENS1_30default_config_static_selectorELNS0_4arch9wavefront6targetE1EEEvSK_.uses_vcc, 0
	.set _ZN7rocprim17ROCPRIM_400000_NS6detail17trampoline_kernelINS0_14default_configENS1_22reduce_config_selectorItEEZNS1_11reduce_implILb1ES3_N6thrust23THRUST_200600_302600_NS17counting_iteratorItNS8_11hip_rocprim3tagENS8_11use_defaultESC_EEPttNS8_4plusItEEEE10hipError_tPvRmT1_T2_T3_mT4_P12ihipStream_tbEUlT_E0_NS1_11comp_targetILNS1_3genE10ELNS1_11target_archE1200ELNS1_3gpuE4ELNS1_3repE0EEENS1_30default_config_static_selectorELNS0_4arch9wavefront6targetE1EEEvSK_.uses_flat_scratch, 0
	.set _ZN7rocprim17ROCPRIM_400000_NS6detail17trampoline_kernelINS0_14default_configENS1_22reduce_config_selectorItEEZNS1_11reduce_implILb1ES3_N6thrust23THRUST_200600_302600_NS17counting_iteratorItNS8_11hip_rocprim3tagENS8_11use_defaultESC_EEPttNS8_4plusItEEEE10hipError_tPvRmT1_T2_T3_mT4_P12ihipStream_tbEUlT_E0_NS1_11comp_targetILNS1_3genE10ELNS1_11target_archE1200ELNS1_3gpuE4ELNS1_3repE0EEENS1_30default_config_static_selectorELNS0_4arch9wavefront6targetE1EEEvSK_.has_dyn_sized_stack, 0
	.set _ZN7rocprim17ROCPRIM_400000_NS6detail17trampoline_kernelINS0_14default_configENS1_22reduce_config_selectorItEEZNS1_11reduce_implILb1ES3_N6thrust23THRUST_200600_302600_NS17counting_iteratorItNS8_11hip_rocprim3tagENS8_11use_defaultESC_EEPttNS8_4plusItEEEE10hipError_tPvRmT1_T2_T3_mT4_P12ihipStream_tbEUlT_E0_NS1_11comp_targetILNS1_3genE10ELNS1_11target_archE1200ELNS1_3gpuE4ELNS1_3repE0EEENS1_30default_config_static_selectorELNS0_4arch9wavefront6targetE1EEEvSK_.has_recursion, 0
	.set _ZN7rocprim17ROCPRIM_400000_NS6detail17trampoline_kernelINS0_14default_configENS1_22reduce_config_selectorItEEZNS1_11reduce_implILb1ES3_N6thrust23THRUST_200600_302600_NS17counting_iteratorItNS8_11hip_rocprim3tagENS8_11use_defaultESC_EEPttNS8_4plusItEEEE10hipError_tPvRmT1_T2_T3_mT4_P12ihipStream_tbEUlT_E0_NS1_11comp_targetILNS1_3genE10ELNS1_11target_archE1200ELNS1_3gpuE4ELNS1_3repE0EEENS1_30default_config_static_selectorELNS0_4arch9wavefront6targetE1EEEvSK_.has_indirect_call, 0
	.section	.AMDGPU.csdata,"",@progbits
; Kernel info:
; codeLenInByte = 0
; TotalNumSgprs: 6
; NumVgprs: 0
; NumAgprs: 0
; TotalNumVgprs: 0
; ScratchSize: 0
; MemoryBound: 0
; FloatMode: 240
; IeeeMode: 1
; LDSByteSize: 0 bytes/workgroup (compile time only)
; SGPRBlocks: 0
; VGPRBlocks: 0
; NumSGPRsForWavesPerEU: 6
; NumVGPRsForWavesPerEU: 1
; AccumOffset: 4
; Occupancy: 8
; WaveLimiterHint : 0
; COMPUTE_PGM_RSRC2:SCRATCH_EN: 0
; COMPUTE_PGM_RSRC2:USER_SGPR: 2
; COMPUTE_PGM_RSRC2:TRAP_HANDLER: 0
; COMPUTE_PGM_RSRC2:TGID_X_EN: 1
; COMPUTE_PGM_RSRC2:TGID_Y_EN: 0
; COMPUTE_PGM_RSRC2:TGID_Z_EN: 0
; COMPUTE_PGM_RSRC2:TIDIG_COMP_CNT: 0
; COMPUTE_PGM_RSRC3_GFX90A:ACCUM_OFFSET: 0
; COMPUTE_PGM_RSRC3_GFX90A:TG_SPLIT: 0
	.section	.text._ZN7rocprim17ROCPRIM_400000_NS6detail17trampoline_kernelINS0_14default_configENS1_22reduce_config_selectorItEEZNS1_11reduce_implILb1ES3_N6thrust23THRUST_200600_302600_NS17counting_iteratorItNS8_11hip_rocprim3tagENS8_11use_defaultESC_EEPttNS8_4plusItEEEE10hipError_tPvRmT1_T2_T3_mT4_P12ihipStream_tbEUlT_E0_NS1_11comp_targetILNS1_3genE9ELNS1_11target_archE1100ELNS1_3gpuE3ELNS1_3repE0EEENS1_30default_config_static_selectorELNS0_4arch9wavefront6targetE1EEEvSK_,"axG",@progbits,_ZN7rocprim17ROCPRIM_400000_NS6detail17trampoline_kernelINS0_14default_configENS1_22reduce_config_selectorItEEZNS1_11reduce_implILb1ES3_N6thrust23THRUST_200600_302600_NS17counting_iteratorItNS8_11hip_rocprim3tagENS8_11use_defaultESC_EEPttNS8_4plusItEEEE10hipError_tPvRmT1_T2_T3_mT4_P12ihipStream_tbEUlT_E0_NS1_11comp_targetILNS1_3genE9ELNS1_11target_archE1100ELNS1_3gpuE3ELNS1_3repE0EEENS1_30default_config_static_selectorELNS0_4arch9wavefront6targetE1EEEvSK_,comdat
	.protected	_ZN7rocprim17ROCPRIM_400000_NS6detail17trampoline_kernelINS0_14default_configENS1_22reduce_config_selectorItEEZNS1_11reduce_implILb1ES3_N6thrust23THRUST_200600_302600_NS17counting_iteratorItNS8_11hip_rocprim3tagENS8_11use_defaultESC_EEPttNS8_4plusItEEEE10hipError_tPvRmT1_T2_T3_mT4_P12ihipStream_tbEUlT_E0_NS1_11comp_targetILNS1_3genE9ELNS1_11target_archE1100ELNS1_3gpuE3ELNS1_3repE0EEENS1_30default_config_static_selectorELNS0_4arch9wavefront6targetE1EEEvSK_ ; -- Begin function _ZN7rocprim17ROCPRIM_400000_NS6detail17trampoline_kernelINS0_14default_configENS1_22reduce_config_selectorItEEZNS1_11reduce_implILb1ES3_N6thrust23THRUST_200600_302600_NS17counting_iteratorItNS8_11hip_rocprim3tagENS8_11use_defaultESC_EEPttNS8_4plusItEEEE10hipError_tPvRmT1_T2_T3_mT4_P12ihipStream_tbEUlT_E0_NS1_11comp_targetILNS1_3genE9ELNS1_11target_archE1100ELNS1_3gpuE3ELNS1_3repE0EEENS1_30default_config_static_selectorELNS0_4arch9wavefront6targetE1EEEvSK_
	.globl	_ZN7rocprim17ROCPRIM_400000_NS6detail17trampoline_kernelINS0_14default_configENS1_22reduce_config_selectorItEEZNS1_11reduce_implILb1ES3_N6thrust23THRUST_200600_302600_NS17counting_iteratorItNS8_11hip_rocprim3tagENS8_11use_defaultESC_EEPttNS8_4plusItEEEE10hipError_tPvRmT1_T2_T3_mT4_P12ihipStream_tbEUlT_E0_NS1_11comp_targetILNS1_3genE9ELNS1_11target_archE1100ELNS1_3gpuE3ELNS1_3repE0EEENS1_30default_config_static_selectorELNS0_4arch9wavefront6targetE1EEEvSK_
	.p2align	8
	.type	_ZN7rocprim17ROCPRIM_400000_NS6detail17trampoline_kernelINS0_14default_configENS1_22reduce_config_selectorItEEZNS1_11reduce_implILb1ES3_N6thrust23THRUST_200600_302600_NS17counting_iteratorItNS8_11hip_rocprim3tagENS8_11use_defaultESC_EEPttNS8_4plusItEEEE10hipError_tPvRmT1_T2_T3_mT4_P12ihipStream_tbEUlT_E0_NS1_11comp_targetILNS1_3genE9ELNS1_11target_archE1100ELNS1_3gpuE3ELNS1_3repE0EEENS1_30default_config_static_selectorELNS0_4arch9wavefront6targetE1EEEvSK_,@function
_ZN7rocprim17ROCPRIM_400000_NS6detail17trampoline_kernelINS0_14default_configENS1_22reduce_config_selectorItEEZNS1_11reduce_implILb1ES3_N6thrust23THRUST_200600_302600_NS17counting_iteratorItNS8_11hip_rocprim3tagENS8_11use_defaultESC_EEPttNS8_4plusItEEEE10hipError_tPvRmT1_T2_T3_mT4_P12ihipStream_tbEUlT_E0_NS1_11comp_targetILNS1_3genE9ELNS1_11target_archE1100ELNS1_3gpuE3ELNS1_3repE0EEENS1_30default_config_static_selectorELNS0_4arch9wavefront6targetE1EEEvSK_: ; @_ZN7rocprim17ROCPRIM_400000_NS6detail17trampoline_kernelINS0_14default_configENS1_22reduce_config_selectorItEEZNS1_11reduce_implILb1ES3_N6thrust23THRUST_200600_302600_NS17counting_iteratorItNS8_11hip_rocprim3tagENS8_11use_defaultESC_EEPttNS8_4plusItEEEE10hipError_tPvRmT1_T2_T3_mT4_P12ihipStream_tbEUlT_E0_NS1_11comp_targetILNS1_3genE9ELNS1_11target_archE1100ELNS1_3gpuE3ELNS1_3repE0EEENS1_30default_config_static_selectorELNS0_4arch9wavefront6targetE1EEEvSK_
; %bb.0:
	.section	.rodata,"a",@progbits
	.p2align	6, 0x0
	.amdhsa_kernel _ZN7rocprim17ROCPRIM_400000_NS6detail17trampoline_kernelINS0_14default_configENS1_22reduce_config_selectorItEEZNS1_11reduce_implILb1ES3_N6thrust23THRUST_200600_302600_NS17counting_iteratorItNS8_11hip_rocprim3tagENS8_11use_defaultESC_EEPttNS8_4plusItEEEE10hipError_tPvRmT1_T2_T3_mT4_P12ihipStream_tbEUlT_E0_NS1_11comp_targetILNS1_3genE9ELNS1_11target_archE1100ELNS1_3gpuE3ELNS1_3repE0EEENS1_30default_config_static_selectorELNS0_4arch9wavefront6targetE1EEEvSK_
		.amdhsa_group_segment_fixed_size 0
		.amdhsa_private_segment_fixed_size 0
		.amdhsa_kernarg_size 56
		.amdhsa_user_sgpr_count 2
		.amdhsa_user_sgpr_dispatch_ptr 0
		.amdhsa_user_sgpr_queue_ptr 0
		.amdhsa_user_sgpr_kernarg_segment_ptr 1
		.amdhsa_user_sgpr_dispatch_id 0
		.amdhsa_user_sgpr_kernarg_preload_length 0
		.amdhsa_user_sgpr_kernarg_preload_offset 0
		.amdhsa_user_sgpr_private_segment_size 0
		.amdhsa_uses_dynamic_stack 0
		.amdhsa_enable_private_segment 0
		.amdhsa_system_sgpr_workgroup_id_x 1
		.amdhsa_system_sgpr_workgroup_id_y 0
		.amdhsa_system_sgpr_workgroup_id_z 0
		.amdhsa_system_sgpr_workgroup_info 0
		.amdhsa_system_vgpr_workitem_id 0
		.amdhsa_next_free_vgpr 1
		.amdhsa_next_free_sgpr 0
		.amdhsa_accum_offset 4
		.amdhsa_reserve_vcc 0
		.amdhsa_float_round_mode_32 0
		.amdhsa_float_round_mode_16_64 0
		.amdhsa_float_denorm_mode_32 3
		.amdhsa_float_denorm_mode_16_64 3
		.amdhsa_dx10_clamp 1
		.amdhsa_ieee_mode 1
		.amdhsa_fp16_overflow 0
		.amdhsa_tg_split 0
		.amdhsa_exception_fp_ieee_invalid_op 0
		.amdhsa_exception_fp_denorm_src 0
		.amdhsa_exception_fp_ieee_div_zero 0
		.amdhsa_exception_fp_ieee_overflow 0
		.amdhsa_exception_fp_ieee_underflow 0
		.amdhsa_exception_fp_ieee_inexact 0
		.amdhsa_exception_int_div_zero 0
	.end_amdhsa_kernel
	.section	.text._ZN7rocprim17ROCPRIM_400000_NS6detail17trampoline_kernelINS0_14default_configENS1_22reduce_config_selectorItEEZNS1_11reduce_implILb1ES3_N6thrust23THRUST_200600_302600_NS17counting_iteratorItNS8_11hip_rocprim3tagENS8_11use_defaultESC_EEPttNS8_4plusItEEEE10hipError_tPvRmT1_T2_T3_mT4_P12ihipStream_tbEUlT_E0_NS1_11comp_targetILNS1_3genE9ELNS1_11target_archE1100ELNS1_3gpuE3ELNS1_3repE0EEENS1_30default_config_static_selectorELNS0_4arch9wavefront6targetE1EEEvSK_,"axG",@progbits,_ZN7rocprim17ROCPRIM_400000_NS6detail17trampoline_kernelINS0_14default_configENS1_22reduce_config_selectorItEEZNS1_11reduce_implILb1ES3_N6thrust23THRUST_200600_302600_NS17counting_iteratorItNS8_11hip_rocprim3tagENS8_11use_defaultESC_EEPttNS8_4plusItEEEE10hipError_tPvRmT1_T2_T3_mT4_P12ihipStream_tbEUlT_E0_NS1_11comp_targetILNS1_3genE9ELNS1_11target_archE1100ELNS1_3gpuE3ELNS1_3repE0EEENS1_30default_config_static_selectorELNS0_4arch9wavefront6targetE1EEEvSK_,comdat
.Lfunc_end1062:
	.size	_ZN7rocprim17ROCPRIM_400000_NS6detail17trampoline_kernelINS0_14default_configENS1_22reduce_config_selectorItEEZNS1_11reduce_implILb1ES3_N6thrust23THRUST_200600_302600_NS17counting_iteratorItNS8_11hip_rocprim3tagENS8_11use_defaultESC_EEPttNS8_4plusItEEEE10hipError_tPvRmT1_T2_T3_mT4_P12ihipStream_tbEUlT_E0_NS1_11comp_targetILNS1_3genE9ELNS1_11target_archE1100ELNS1_3gpuE3ELNS1_3repE0EEENS1_30default_config_static_selectorELNS0_4arch9wavefront6targetE1EEEvSK_, .Lfunc_end1062-_ZN7rocprim17ROCPRIM_400000_NS6detail17trampoline_kernelINS0_14default_configENS1_22reduce_config_selectorItEEZNS1_11reduce_implILb1ES3_N6thrust23THRUST_200600_302600_NS17counting_iteratorItNS8_11hip_rocprim3tagENS8_11use_defaultESC_EEPttNS8_4plusItEEEE10hipError_tPvRmT1_T2_T3_mT4_P12ihipStream_tbEUlT_E0_NS1_11comp_targetILNS1_3genE9ELNS1_11target_archE1100ELNS1_3gpuE3ELNS1_3repE0EEENS1_30default_config_static_selectorELNS0_4arch9wavefront6targetE1EEEvSK_
                                        ; -- End function
	.set _ZN7rocprim17ROCPRIM_400000_NS6detail17trampoline_kernelINS0_14default_configENS1_22reduce_config_selectorItEEZNS1_11reduce_implILb1ES3_N6thrust23THRUST_200600_302600_NS17counting_iteratorItNS8_11hip_rocprim3tagENS8_11use_defaultESC_EEPttNS8_4plusItEEEE10hipError_tPvRmT1_T2_T3_mT4_P12ihipStream_tbEUlT_E0_NS1_11comp_targetILNS1_3genE9ELNS1_11target_archE1100ELNS1_3gpuE3ELNS1_3repE0EEENS1_30default_config_static_selectorELNS0_4arch9wavefront6targetE1EEEvSK_.num_vgpr, 0
	.set _ZN7rocprim17ROCPRIM_400000_NS6detail17trampoline_kernelINS0_14default_configENS1_22reduce_config_selectorItEEZNS1_11reduce_implILb1ES3_N6thrust23THRUST_200600_302600_NS17counting_iteratorItNS8_11hip_rocprim3tagENS8_11use_defaultESC_EEPttNS8_4plusItEEEE10hipError_tPvRmT1_T2_T3_mT4_P12ihipStream_tbEUlT_E0_NS1_11comp_targetILNS1_3genE9ELNS1_11target_archE1100ELNS1_3gpuE3ELNS1_3repE0EEENS1_30default_config_static_selectorELNS0_4arch9wavefront6targetE1EEEvSK_.num_agpr, 0
	.set _ZN7rocprim17ROCPRIM_400000_NS6detail17trampoline_kernelINS0_14default_configENS1_22reduce_config_selectorItEEZNS1_11reduce_implILb1ES3_N6thrust23THRUST_200600_302600_NS17counting_iteratorItNS8_11hip_rocprim3tagENS8_11use_defaultESC_EEPttNS8_4plusItEEEE10hipError_tPvRmT1_T2_T3_mT4_P12ihipStream_tbEUlT_E0_NS1_11comp_targetILNS1_3genE9ELNS1_11target_archE1100ELNS1_3gpuE3ELNS1_3repE0EEENS1_30default_config_static_selectorELNS0_4arch9wavefront6targetE1EEEvSK_.numbered_sgpr, 0
	.set _ZN7rocprim17ROCPRIM_400000_NS6detail17trampoline_kernelINS0_14default_configENS1_22reduce_config_selectorItEEZNS1_11reduce_implILb1ES3_N6thrust23THRUST_200600_302600_NS17counting_iteratorItNS8_11hip_rocprim3tagENS8_11use_defaultESC_EEPttNS8_4plusItEEEE10hipError_tPvRmT1_T2_T3_mT4_P12ihipStream_tbEUlT_E0_NS1_11comp_targetILNS1_3genE9ELNS1_11target_archE1100ELNS1_3gpuE3ELNS1_3repE0EEENS1_30default_config_static_selectorELNS0_4arch9wavefront6targetE1EEEvSK_.num_named_barrier, 0
	.set _ZN7rocprim17ROCPRIM_400000_NS6detail17trampoline_kernelINS0_14default_configENS1_22reduce_config_selectorItEEZNS1_11reduce_implILb1ES3_N6thrust23THRUST_200600_302600_NS17counting_iteratorItNS8_11hip_rocprim3tagENS8_11use_defaultESC_EEPttNS8_4plusItEEEE10hipError_tPvRmT1_T2_T3_mT4_P12ihipStream_tbEUlT_E0_NS1_11comp_targetILNS1_3genE9ELNS1_11target_archE1100ELNS1_3gpuE3ELNS1_3repE0EEENS1_30default_config_static_selectorELNS0_4arch9wavefront6targetE1EEEvSK_.private_seg_size, 0
	.set _ZN7rocprim17ROCPRIM_400000_NS6detail17trampoline_kernelINS0_14default_configENS1_22reduce_config_selectorItEEZNS1_11reduce_implILb1ES3_N6thrust23THRUST_200600_302600_NS17counting_iteratorItNS8_11hip_rocprim3tagENS8_11use_defaultESC_EEPttNS8_4plusItEEEE10hipError_tPvRmT1_T2_T3_mT4_P12ihipStream_tbEUlT_E0_NS1_11comp_targetILNS1_3genE9ELNS1_11target_archE1100ELNS1_3gpuE3ELNS1_3repE0EEENS1_30default_config_static_selectorELNS0_4arch9wavefront6targetE1EEEvSK_.uses_vcc, 0
	.set _ZN7rocprim17ROCPRIM_400000_NS6detail17trampoline_kernelINS0_14default_configENS1_22reduce_config_selectorItEEZNS1_11reduce_implILb1ES3_N6thrust23THRUST_200600_302600_NS17counting_iteratorItNS8_11hip_rocprim3tagENS8_11use_defaultESC_EEPttNS8_4plusItEEEE10hipError_tPvRmT1_T2_T3_mT4_P12ihipStream_tbEUlT_E0_NS1_11comp_targetILNS1_3genE9ELNS1_11target_archE1100ELNS1_3gpuE3ELNS1_3repE0EEENS1_30default_config_static_selectorELNS0_4arch9wavefront6targetE1EEEvSK_.uses_flat_scratch, 0
	.set _ZN7rocprim17ROCPRIM_400000_NS6detail17trampoline_kernelINS0_14default_configENS1_22reduce_config_selectorItEEZNS1_11reduce_implILb1ES3_N6thrust23THRUST_200600_302600_NS17counting_iteratorItNS8_11hip_rocprim3tagENS8_11use_defaultESC_EEPttNS8_4plusItEEEE10hipError_tPvRmT1_T2_T3_mT4_P12ihipStream_tbEUlT_E0_NS1_11comp_targetILNS1_3genE9ELNS1_11target_archE1100ELNS1_3gpuE3ELNS1_3repE0EEENS1_30default_config_static_selectorELNS0_4arch9wavefront6targetE1EEEvSK_.has_dyn_sized_stack, 0
	.set _ZN7rocprim17ROCPRIM_400000_NS6detail17trampoline_kernelINS0_14default_configENS1_22reduce_config_selectorItEEZNS1_11reduce_implILb1ES3_N6thrust23THRUST_200600_302600_NS17counting_iteratorItNS8_11hip_rocprim3tagENS8_11use_defaultESC_EEPttNS8_4plusItEEEE10hipError_tPvRmT1_T2_T3_mT4_P12ihipStream_tbEUlT_E0_NS1_11comp_targetILNS1_3genE9ELNS1_11target_archE1100ELNS1_3gpuE3ELNS1_3repE0EEENS1_30default_config_static_selectorELNS0_4arch9wavefront6targetE1EEEvSK_.has_recursion, 0
	.set _ZN7rocprim17ROCPRIM_400000_NS6detail17trampoline_kernelINS0_14default_configENS1_22reduce_config_selectorItEEZNS1_11reduce_implILb1ES3_N6thrust23THRUST_200600_302600_NS17counting_iteratorItNS8_11hip_rocprim3tagENS8_11use_defaultESC_EEPttNS8_4plusItEEEE10hipError_tPvRmT1_T2_T3_mT4_P12ihipStream_tbEUlT_E0_NS1_11comp_targetILNS1_3genE9ELNS1_11target_archE1100ELNS1_3gpuE3ELNS1_3repE0EEENS1_30default_config_static_selectorELNS0_4arch9wavefront6targetE1EEEvSK_.has_indirect_call, 0
	.section	.AMDGPU.csdata,"",@progbits
; Kernel info:
; codeLenInByte = 0
; TotalNumSgprs: 6
; NumVgprs: 0
; NumAgprs: 0
; TotalNumVgprs: 0
; ScratchSize: 0
; MemoryBound: 0
; FloatMode: 240
; IeeeMode: 1
; LDSByteSize: 0 bytes/workgroup (compile time only)
; SGPRBlocks: 0
; VGPRBlocks: 0
; NumSGPRsForWavesPerEU: 6
; NumVGPRsForWavesPerEU: 1
; AccumOffset: 4
; Occupancy: 8
; WaveLimiterHint : 0
; COMPUTE_PGM_RSRC2:SCRATCH_EN: 0
; COMPUTE_PGM_RSRC2:USER_SGPR: 2
; COMPUTE_PGM_RSRC2:TRAP_HANDLER: 0
; COMPUTE_PGM_RSRC2:TGID_X_EN: 1
; COMPUTE_PGM_RSRC2:TGID_Y_EN: 0
; COMPUTE_PGM_RSRC2:TGID_Z_EN: 0
; COMPUTE_PGM_RSRC2:TIDIG_COMP_CNT: 0
; COMPUTE_PGM_RSRC3_GFX90A:ACCUM_OFFSET: 0
; COMPUTE_PGM_RSRC3_GFX90A:TG_SPLIT: 0
	.section	.text._ZN7rocprim17ROCPRIM_400000_NS6detail17trampoline_kernelINS0_14default_configENS1_22reduce_config_selectorItEEZNS1_11reduce_implILb1ES3_N6thrust23THRUST_200600_302600_NS17counting_iteratorItNS8_11hip_rocprim3tagENS8_11use_defaultESC_EEPttNS8_4plusItEEEE10hipError_tPvRmT1_T2_T3_mT4_P12ihipStream_tbEUlT_E0_NS1_11comp_targetILNS1_3genE8ELNS1_11target_archE1030ELNS1_3gpuE2ELNS1_3repE0EEENS1_30default_config_static_selectorELNS0_4arch9wavefront6targetE1EEEvSK_,"axG",@progbits,_ZN7rocprim17ROCPRIM_400000_NS6detail17trampoline_kernelINS0_14default_configENS1_22reduce_config_selectorItEEZNS1_11reduce_implILb1ES3_N6thrust23THRUST_200600_302600_NS17counting_iteratorItNS8_11hip_rocprim3tagENS8_11use_defaultESC_EEPttNS8_4plusItEEEE10hipError_tPvRmT1_T2_T3_mT4_P12ihipStream_tbEUlT_E0_NS1_11comp_targetILNS1_3genE8ELNS1_11target_archE1030ELNS1_3gpuE2ELNS1_3repE0EEENS1_30default_config_static_selectorELNS0_4arch9wavefront6targetE1EEEvSK_,comdat
	.protected	_ZN7rocprim17ROCPRIM_400000_NS6detail17trampoline_kernelINS0_14default_configENS1_22reduce_config_selectorItEEZNS1_11reduce_implILb1ES3_N6thrust23THRUST_200600_302600_NS17counting_iteratorItNS8_11hip_rocprim3tagENS8_11use_defaultESC_EEPttNS8_4plusItEEEE10hipError_tPvRmT1_T2_T3_mT4_P12ihipStream_tbEUlT_E0_NS1_11comp_targetILNS1_3genE8ELNS1_11target_archE1030ELNS1_3gpuE2ELNS1_3repE0EEENS1_30default_config_static_selectorELNS0_4arch9wavefront6targetE1EEEvSK_ ; -- Begin function _ZN7rocprim17ROCPRIM_400000_NS6detail17trampoline_kernelINS0_14default_configENS1_22reduce_config_selectorItEEZNS1_11reduce_implILb1ES3_N6thrust23THRUST_200600_302600_NS17counting_iteratorItNS8_11hip_rocprim3tagENS8_11use_defaultESC_EEPttNS8_4plusItEEEE10hipError_tPvRmT1_T2_T3_mT4_P12ihipStream_tbEUlT_E0_NS1_11comp_targetILNS1_3genE8ELNS1_11target_archE1030ELNS1_3gpuE2ELNS1_3repE0EEENS1_30default_config_static_selectorELNS0_4arch9wavefront6targetE1EEEvSK_
	.globl	_ZN7rocprim17ROCPRIM_400000_NS6detail17trampoline_kernelINS0_14default_configENS1_22reduce_config_selectorItEEZNS1_11reduce_implILb1ES3_N6thrust23THRUST_200600_302600_NS17counting_iteratorItNS8_11hip_rocprim3tagENS8_11use_defaultESC_EEPttNS8_4plusItEEEE10hipError_tPvRmT1_T2_T3_mT4_P12ihipStream_tbEUlT_E0_NS1_11comp_targetILNS1_3genE8ELNS1_11target_archE1030ELNS1_3gpuE2ELNS1_3repE0EEENS1_30default_config_static_selectorELNS0_4arch9wavefront6targetE1EEEvSK_
	.p2align	8
	.type	_ZN7rocprim17ROCPRIM_400000_NS6detail17trampoline_kernelINS0_14default_configENS1_22reduce_config_selectorItEEZNS1_11reduce_implILb1ES3_N6thrust23THRUST_200600_302600_NS17counting_iteratorItNS8_11hip_rocprim3tagENS8_11use_defaultESC_EEPttNS8_4plusItEEEE10hipError_tPvRmT1_T2_T3_mT4_P12ihipStream_tbEUlT_E0_NS1_11comp_targetILNS1_3genE8ELNS1_11target_archE1030ELNS1_3gpuE2ELNS1_3repE0EEENS1_30default_config_static_selectorELNS0_4arch9wavefront6targetE1EEEvSK_,@function
_ZN7rocprim17ROCPRIM_400000_NS6detail17trampoline_kernelINS0_14default_configENS1_22reduce_config_selectorItEEZNS1_11reduce_implILb1ES3_N6thrust23THRUST_200600_302600_NS17counting_iteratorItNS8_11hip_rocprim3tagENS8_11use_defaultESC_EEPttNS8_4plusItEEEE10hipError_tPvRmT1_T2_T3_mT4_P12ihipStream_tbEUlT_E0_NS1_11comp_targetILNS1_3genE8ELNS1_11target_archE1030ELNS1_3gpuE2ELNS1_3repE0EEENS1_30default_config_static_selectorELNS0_4arch9wavefront6targetE1EEEvSK_: ; @_ZN7rocprim17ROCPRIM_400000_NS6detail17trampoline_kernelINS0_14default_configENS1_22reduce_config_selectorItEEZNS1_11reduce_implILb1ES3_N6thrust23THRUST_200600_302600_NS17counting_iteratorItNS8_11hip_rocprim3tagENS8_11use_defaultESC_EEPttNS8_4plusItEEEE10hipError_tPvRmT1_T2_T3_mT4_P12ihipStream_tbEUlT_E0_NS1_11comp_targetILNS1_3genE8ELNS1_11target_archE1030ELNS1_3gpuE2ELNS1_3repE0EEENS1_30default_config_static_selectorELNS0_4arch9wavefront6targetE1EEEvSK_
; %bb.0:
	.section	.rodata,"a",@progbits
	.p2align	6, 0x0
	.amdhsa_kernel _ZN7rocprim17ROCPRIM_400000_NS6detail17trampoline_kernelINS0_14default_configENS1_22reduce_config_selectorItEEZNS1_11reduce_implILb1ES3_N6thrust23THRUST_200600_302600_NS17counting_iteratorItNS8_11hip_rocprim3tagENS8_11use_defaultESC_EEPttNS8_4plusItEEEE10hipError_tPvRmT1_T2_T3_mT4_P12ihipStream_tbEUlT_E0_NS1_11comp_targetILNS1_3genE8ELNS1_11target_archE1030ELNS1_3gpuE2ELNS1_3repE0EEENS1_30default_config_static_selectorELNS0_4arch9wavefront6targetE1EEEvSK_
		.amdhsa_group_segment_fixed_size 0
		.amdhsa_private_segment_fixed_size 0
		.amdhsa_kernarg_size 56
		.amdhsa_user_sgpr_count 2
		.amdhsa_user_sgpr_dispatch_ptr 0
		.amdhsa_user_sgpr_queue_ptr 0
		.amdhsa_user_sgpr_kernarg_segment_ptr 1
		.amdhsa_user_sgpr_dispatch_id 0
		.amdhsa_user_sgpr_kernarg_preload_length 0
		.amdhsa_user_sgpr_kernarg_preload_offset 0
		.amdhsa_user_sgpr_private_segment_size 0
		.amdhsa_uses_dynamic_stack 0
		.amdhsa_enable_private_segment 0
		.amdhsa_system_sgpr_workgroup_id_x 1
		.amdhsa_system_sgpr_workgroup_id_y 0
		.amdhsa_system_sgpr_workgroup_id_z 0
		.amdhsa_system_sgpr_workgroup_info 0
		.amdhsa_system_vgpr_workitem_id 0
		.amdhsa_next_free_vgpr 1
		.amdhsa_next_free_sgpr 0
		.amdhsa_accum_offset 4
		.amdhsa_reserve_vcc 0
		.amdhsa_float_round_mode_32 0
		.amdhsa_float_round_mode_16_64 0
		.amdhsa_float_denorm_mode_32 3
		.amdhsa_float_denorm_mode_16_64 3
		.amdhsa_dx10_clamp 1
		.amdhsa_ieee_mode 1
		.amdhsa_fp16_overflow 0
		.amdhsa_tg_split 0
		.amdhsa_exception_fp_ieee_invalid_op 0
		.amdhsa_exception_fp_denorm_src 0
		.amdhsa_exception_fp_ieee_div_zero 0
		.amdhsa_exception_fp_ieee_overflow 0
		.amdhsa_exception_fp_ieee_underflow 0
		.amdhsa_exception_fp_ieee_inexact 0
		.amdhsa_exception_int_div_zero 0
	.end_amdhsa_kernel
	.section	.text._ZN7rocprim17ROCPRIM_400000_NS6detail17trampoline_kernelINS0_14default_configENS1_22reduce_config_selectorItEEZNS1_11reduce_implILb1ES3_N6thrust23THRUST_200600_302600_NS17counting_iteratorItNS8_11hip_rocprim3tagENS8_11use_defaultESC_EEPttNS8_4plusItEEEE10hipError_tPvRmT1_T2_T3_mT4_P12ihipStream_tbEUlT_E0_NS1_11comp_targetILNS1_3genE8ELNS1_11target_archE1030ELNS1_3gpuE2ELNS1_3repE0EEENS1_30default_config_static_selectorELNS0_4arch9wavefront6targetE1EEEvSK_,"axG",@progbits,_ZN7rocprim17ROCPRIM_400000_NS6detail17trampoline_kernelINS0_14default_configENS1_22reduce_config_selectorItEEZNS1_11reduce_implILb1ES3_N6thrust23THRUST_200600_302600_NS17counting_iteratorItNS8_11hip_rocprim3tagENS8_11use_defaultESC_EEPttNS8_4plusItEEEE10hipError_tPvRmT1_T2_T3_mT4_P12ihipStream_tbEUlT_E0_NS1_11comp_targetILNS1_3genE8ELNS1_11target_archE1030ELNS1_3gpuE2ELNS1_3repE0EEENS1_30default_config_static_selectorELNS0_4arch9wavefront6targetE1EEEvSK_,comdat
.Lfunc_end1063:
	.size	_ZN7rocprim17ROCPRIM_400000_NS6detail17trampoline_kernelINS0_14default_configENS1_22reduce_config_selectorItEEZNS1_11reduce_implILb1ES3_N6thrust23THRUST_200600_302600_NS17counting_iteratorItNS8_11hip_rocprim3tagENS8_11use_defaultESC_EEPttNS8_4plusItEEEE10hipError_tPvRmT1_T2_T3_mT4_P12ihipStream_tbEUlT_E0_NS1_11comp_targetILNS1_3genE8ELNS1_11target_archE1030ELNS1_3gpuE2ELNS1_3repE0EEENS1_30default_config_static_selectorELNS0_4arch9wavefront6targetE1EEEvSK_, .Lfunc_end1063-_ZN7rocprim17ROCPRIM_400000_NS6detail17trampoline_kernelINS0_14default_configENS1_22reduce_config_selectorItEEZNS1_11reduce_implILb1ES3_N6thrust23THRUST_200600_302600_NS17counting_iteratorItNS8_11hip_rocprim3tagENS8_11use_defaultESC_EEPttNS8_4plusItEEEE10hipError_tPvRmT1_T2_T3_mT4_P12ihipStream_tbEUlT_E0_NS1_11comp_targetILNS1_3genE8ELNS1_11target_archE1030ELNS1_3gpuE2ELNS1_3repE0EEENS1_30default_config_static_selectorELNS0_4arch9wavefront6targetE1EEEvSK_
                                        ; -- End function
	.set _ZN7rocprim17ROCPRIM_400000_NS6detail17trampoline_kernelINS0_14default_configENS1_22reduce_config_selectorItEEZNS1_11reduce_implILb1ES3_N6thrust23THRUST_200600_302600_NS17counting_iteratorItNS8_11hip_rocprim3tagENS8_11use_defaultESC_EEPttNS8_4plusItEEEE10hipError_tPvRmT1_T2_T3_mT4_P12ihipStream_tbEUlT_E0_NS1_11comp_targetILNS1_3genE8ELNS1_11target_archE1030ELNS1_3gpuE2ELNS1_3repE0EEENS1_30default_config_static_selectorELNS0_4arch9wavefront6targetE1EEEvSK_.num_vgpr, 0
	.set _ZN7rocprim17ROCPRIM_400000_NS6detail17trampoline_kernelINS0_14default_configENS1_22reduce_config_selectorItEEZNS1_11reduce_implILb1ES3_N6thrust23THRUST_200600_302600_NS17counting_iteratorItNS8_11hip_rocprim3tagENS8_11use_defaultESC_EEPttNS8_4plusItEEEE10hipError_tPvRmT1_T2_T3_mT4_P12ihipStream_tbEUlT_E0_NS1_11comp_targetILNS1_3genE8ELNS1_11target_archE1030ELNS1_3gpuE2ELNS1_3repE0EEENS1_30default_config_static_selectorELNS0_4arch9wavefront6targetE1EEEvSK_.num_agpr, 0
	.set _ZN7rocprim17ROCPRIM_400000_NS6detail17trampoline_kernelINS0_14default_configENS1_22reduce_config_selectorItEEZNS1_11reduce_implILb1ES3_N6thrust23THRUST_200600_302600_NS17counting_iteratorItNS8_11hip_rocprim3tagENS8_11use_defaultESC_EEPttNS8_4plusItEEEE10hipError_tPvRmT1_T2_T3_mT4_P12ihipStream_tbEUlT_E0_NS1_11comp_targetILNS1_3genE8ELNS1_11target_archE1030ELNS1_3gpuE2ELNS1_3repE0EEENS1_30default_config_static_selectorELNS0_4arch9wavefront6targetE1EEEvSK_.numbered_sgpr, 0
	.set _ZN7rocprim17ROCPRIM_400000_NS6detail17trampoline_kernelINS0_14default_configENS1_22reduce_config_selectorItEEZNS1_11reduce_implILb1ES3_N6thrust23THRUST_200600_302600_NS17counting_iteratorItNS8_11hip_rocprim3tagENS8_11use_defaultESC_EEPttNS8_4plusItEEEE10hipError_tPvRmT1_T2_T3_mT4_P12ihipStream_tbEUlT_E0_NS1_11comp_targetILNS1_3genE8ELNS1_11target_archE1030ELNS1_3gpuE2ELNS1_3repE0EEENS1_30default_config_static_selectorELNS0_4arch9wavefront6targetE1EEEvSK_.num_named_barrier, 0
	.set _ZN7rocprim17ROCPRIM_400000_NS6detail17trampoline_kernelINS0_14default_configENS1_22reduce_config_selectorItEEZNS1_11reduce_implILb1ES3_N6thrust23THRUST_200600_302600_NS17counting_iteratorItNS8_11hip_rocprim3tagENS8_11use_defaultESC_EEPttNS8_4plusItEEEE10hipError_tPvRmT1_T2_T3_mT4_P12ihipStream_tbEUlT_E0_NS1_11comp_targetILNS1_3genE8ELNS1_11target_archE1030ELNS1_3gpuE2ELNS1_3repE0EEENS1_30default_config_static_selectorELNS0_4arch9wavefront6targetE1EEEvSK_.private_seg_size, 0
	.set _ZN7rocprim17ROCPRIM_400000_NS6detail17trampoline_kernelINS0_14default_configENS1_22reduce_config_selectorItEEZNS1_11reduce_implILb1ES3_N6thrust23THRUST_200600_302600_NS17counting_iteratorItNS8_11hip_rocprim3tagENS8_11use_defaultESC_EEPttNS8_4plusItEEEE10hipError_tPvRmT1_T2_T3_mT4_P12ihipStream_tbEUlT_E0_NS1_11comp_targetILNS1_3genE8ELNS1_11target_archE1030ELNS1_3gpuE2ELNS1_3repE0EEENS1_30default_config_static_selectorELNS0_4arch9wavefront6targetE1EEEvSK_.uses_vcc, 0
	.set _ZN7rocprim17ROCPRIM_400000_NS6detail17trampoline_kernelINS0_14default_configENS1_22reduce_config_selectorItEEZNS1_11reduce_implILb1ES3_N6thrust23THRUST_200600_302600_NS17counting_iteratorItNS8_11hip_rocprim3tagENS8_11use_defaultESC_EEPttNS8_4plusItEEEE10hipError_tPvRmT1_T2_T3_mT4_P12ihipStream_tbEUlT_E0_NS1_11comp_targetILNS1_3genE8ELNS1_11target_archE1030ELNS1_3gpuE2ELNS1_3repE0EEENS1_30default_config_static_selectorELNS0_4arch9wavefront6targetE1EEEvSK_.uses_flat_scratch, 0
	.set _ZN7rocprim17ROCPRIM_400000_NS6detail17trampoline_kernelINS0_14default_configENS1_22reduce_config_selectorItEEZNS1_11reduce_implILb1ES3_N6thrust23THRUST_200600_302600_NS17counting_iteratorItNS8_11hip_rocprim3tagENS8_11use_defaultESC_EEPttNS8_4plusItEEEE10hipError_tPvRmT1_T2_T3_mT4_P12ihipStream_tbEUlT_E0_NS1_11comp_targetILNS1_3genE8ELNS1_11target_archE1030ELNS1_3gpuE2ELNS1_3repE0EEENS1_30default_config_static_selectorELNS0_4arch9wavefront6targetE1EEEvSK_.has_dyn_sized_stack, 0
	.set _ZN7rocprim17ROCPRIM_400000_NS6detail17trampoline_kernelINS0_14default_configENS1_22reduce_config_selectorItEEZNS1_11reduce_implILb1ES3_N6thrust23THRUST_200600_302600_NS17counting_iteratorItNS8_11hip_rocprim3tagENS8_11use_defaultESC_EEPttNS8_4plusItEEEE10hipError_tPvRmT1_T2_T3_mT4_P12ihipStream_tbEUlT_E0_NS1_11comp_targetILNS1_3genE8ELNS1_11target_archE1030ELNS1_3gpuE2ELNS1_3repE0EEENS1_30default_config_static_selectorELNS0_4arch9wavefront6targetE1EEEvSK_.has_recursion, 0
	.set _ZN7rocprim17ROCPRIM_400000_NS6detail17trampoline_kernelINS0_14default_configENS1_22reduce_config_selectorItEEZNS1_11reduce_implILb1ES3_N6thrust23THRUST_200600_302600_NS17counting_iteratorItNS8_11hip_rocprim3tagENS8_11use_defaultESC_EEPttNS8_4plusItEEEE10hipError_tPvRmT1_T2_T3_mT4_P12ihipStream_tbEUlT_E0_NS1_11comp_targetILNS1_3genE8ELNS1_11target_archE1030ELNS1_3gpuE2ELNS1_3repE0EEENS1_30default_config_static_selectorELNS0_4arch9wavefront6targetE1EEEvSK_.has_indirect_call, 0
	.section	.AMDGPU.csdata,"",@progbits
; Kernel info:
; codeLenInByte = 0
; TotalNumSgprs: 6
; NumVgprs: 0
; NumAgprs: 0
; TotalNumVgprs: 0
; ScratchSize: 0
; MemoryBound: 0
; FloatMode: 240
; IeeeMode: 1
; LDSByteSize: 0 bytes/workgroup (compile time only)
; SGPRBlocks: 0
; VGPRBlocks: 0
; NumSGPRsForWavesPerEU: 6
; NumVGPRsForWavesPerEU: 1
; AccumOffset: 4
; Occupancy: 8
; WaveLimiterHint : 0
; COMPUTE_PGM_RSRC2:SCRATCH_EN: 0
; COMPUTE_PGM_RSRC2:USER_SGPR: 2
; COMPUTE_PGM_RSRC2:TRAP_HANDLER: 0
; COMPUTE_PGM_RSRC2:TGID_X_EN: 1
; COMPUTE_PGM_RSRC2:TGID_Y_EN: 0
; COMPUTE_PGM_RSRC2:TGID_Z_EN: 0
; COMPUTE_PGM_RSRC2:TIDIG_COMP_CNT: 0
; COMPUTE_PGM_RSRC3_GFX90A:ACCUM_OFFSET: 0
; COMPUTE_PGM_RSRC3_GFX90A:TG_SPLIT: 0
	.section	.text._ZN7rocprim17ROCPRIM_400000_NS6detail17trampoline_kernelINS0_14default_configENS1_22reduce_config_selectorItEEZNS1_11reduce_implILb1ES3_N6thrust23THRUST_200600_302600_NS17counting_iteratorItNS8_11hip_rocprim3tagENS8_11use_defaultESC_EEPttNS8_4plusItEEEE10hipError_tPvRmT1_T2_T3_mT4_P12ihipStream_tbEUlT_E1_NS1_11comp_targetILNS1_3genE0ELNS1_11target_archE4294967295ELNS1_3gpuE0ELNS1_3repE0EEENS1_30default_config_static_selectorELNS0_4arch9wavefront6targetE1EEEvSK_,"axG",@progbits,_ZN7rocprim17ROCPRIM_400000_NS6detail17trampoline_kernelINS0_14default_configENS1_22reduce_config_selectorItEEZNS1_11reduce_implILb1ES3_N6thrust23THRUST_200600_302600_NS17counting_iteratorItNS8_11hip_rocprim3tagENS8_11use_defaultESC_EEPttNS8_4plusItEEEE10hipError_tPvRmT1_T2_T3_mT4_P12ihipStream_tbEUlT_E1_NS1_11comp_targetILNS1_3genE0ELNS1_11target_archE4294967295ELNS1_3gpuE0ELNS1_3repE0EEENS1_30default_config_static_selectorELNS0_4arch9wavefront6targetE1EEEvSK_,comdat
	.protected	_ZN7rocprim17ROCPRIM_400000_NS6detail17trampoline_kernelINS0_14default_configENS1_22reduce_config_selectorItEEZNS1_11reduce_implILb1ES3_N6thrust23THRUST_200600_302600_NS17counting_iteratorItNS8_11hip_rocprim3tagENS8_11use_defaultESC_EEPttNS8_4plusItEEEE10hipError_tPvRmT1_T2_T3_mT4_P12ihipStream_tbEUlT_E1_NS1_11comp_targetILNS1_3genE0ELNS1_11target_archE4294967295ELNS1_3gpuE0ELNS1_3repE0EEENS1_30default_config_static_selectorELNS0_4arch9wavefront6targetE1EEEvSK_ ; -- Begin function _ZN7rocprim17ROCPRIM_400000_NS6detail17trampoline_kernelINS0_14default_configENS1_22reduce_config_selectorItEEZNS1_11reduce_implILb1ES3_N6thrust23THRUST_200600_302600_NS17counting_iteratorItNS8_11hip_rocprim3tagENS8_11use_defaultESC_EEPttNS8_4plusItEEEE10hipError_tPvRmT1_T2_T3_mT4_P12ihipStream_tbEUlT_E1_NS1_11comp_targetILNS1_3genE0ELNS1_11target_archE4294967295ELNS1_3gpuE0ELNS1_3repE0EEENS1_30default_config_static_selectorELNS0_4arch9wavefront6targetE1EEEvSK_
	.globl	_ZN7rocprim17ROCPRIM_400000_NS6detail17trampoline_kernelINS0_14default_configENS1_22reduce_config_selectorItEEZNS1_11reduce_implILb1ES3_N6thrust23THRUST_200600_302600_NS17counting_iteratorItNS8_11hip_rocprim3tagENS8_11use_defaultESC_EEPttNS8_4plusItEEEE10hipError_tPvRmT1_T2_T3_mT4_P12ihipStream_tbEUlT_E1_NS1_11comp_targetILNS1_3genE0ELNS1_11target_archE4294967295ELNS1_3gpuE0ELNS1_3repE0EEENS1_30default_config_static_selectorELNS0_4arch9wavefront6targetE1EEEvSK_
	.p2align	8
	.type	_ZN7rocprim17ROCPRIM_400000_NS6detail17trampoline_kernelINS0_14default_configENS1_22reduce_config_selectorItEEZNS1_11reduce_implILb1ES3_N6thrust23THRUST_200600_302600_NS17counting_iteratorItNS8_11hip_rocprim3tagENS8_11use_defaultESC_EEPttNS8_4plusItEEEE10hipError_tPvRmT1_T2_T3_mT4_P12ihipStream_tbEUlT_E1_NS1_11comp_targetILNS1_3genE0ELNS1_11target_archE4294967295ELNS1_3gpuE0ELNS1_3repE0EEENS1_30default_config_static_selectorELNS0_4arch9wavefront6targetE1EEEvSK_,@function
_ZN7rocprim17ROCPRIM_400000_NS6detail17trampoline_kernelINS0_14default_configENS1_22reduce_config_selectorItEEZNS1_11reduce_implILb1ES3_N6thrust23THRUST_200600_302600_NS17counting_iteratorItNS8_11hip_rocprim3tagENS8_11use_defaultESC_EEPttNS8_4plusItEEEE10hipError_tPvRmT1_T2_T3_mT4_P12ihipStream_tbEUlT_E1_NS1_11comp_targetILNS1_3genE0ELNS1_11target_archE4294967295ELNS1_3gpuE0ELNS1_3repE0EEENS1_30default_config_static_selectorELNS0_4arch9wavefront6targetE1EEEvSK_: ; @_ZN7rocprim17ROCPRIM_400000_NS6detail17trampoline_kernelINS0_14default_configENS1_22reduce_config_selectorItEEZNS1_11reduce_implILb1ES3_N6thrust23THRUST_200600_302600_NS17counting_iteratorItNS8_11hip_rocprim3tagENS8_11use_defaultESC_EEPttNS8_4plusItEEEE10hipError_tPvRmT1_T2_T3_mT4_P12ihipStream_tbEUlT_E1_NS1_11comp_targetILNS1_3genE0ELNS1_11target_archE4294967295ELNS1_3gpuE0ELNS1_3repE0EEENS1_30default_config_static_selectorELNS0_4arch9wavefront6targetE1EEEvSK_
; %bb.0:
	s_load_dwordx2 s[96:97], s[0:1], 0x4
	s_load_dwordx4 s[92:95], s[0:1], 0x10
	s_waitcnt lgkmcnt(0)
	s_cmp_lt_i32 s96, 8
	s_cbranch_scc1 .LBB1064_12
; %bb.1:
	s_cmp_gt_i32 s96, 31
	s_cbranch_scc0 .LBB1064_13
; %bb.2:
	s_cmp_gt_i32 s96, 63
	s_cbranch_scc0 .LBB1064_22
; %bb.3:
	s_cmp_eq_u32 s96, 64
	s_mov_b64 s[98:99], 0
	s_cbranch_scc0 .LBB1064_23
; %bb.4:
	s_mov_b32 s3, 0
	s_lshr_b64 s[4:5], s[92:93], 13
	s_cmp_lg_u64 s[4:5], s[2:3]
	s_cbranch_scc0 .LBB1064_34
; %bb.5:
	v_add_u16_e32 v1, s97, v0
	v_lshlrev_b16_e32 v1, 6, v1
	v_add_u16_e32 v1, 0xf000, v1
	v_mbcnt_lo_u32_b32 v2, -1, 0
	v_mbcnt_hi_u32_b32 v2, -1, v2
	v_add_u16_dpp v1, v1, v1 quad_perm:[1,0,3,2] row_mask:0xf bank_mask:0xf bound_ctrl:1
	v_lshlrev_b32_e32 v3, 2, v2
	v_or_b32_e32 v4, 0xfc, v3
	v_add_u16_dpp v1, v1, v1 quad_perm:[2,3,0,1] row_mask:0xf bank_mask:0xf bound_ctrl:1
	v_cmp_eq_u32_e32 vcc, 0, v2
	s_nop 0
	v_add_u16_dpp v1, v1, v1 row_ror:4 row_mask:0xf bank_mask:0xf bound_ctrl:1
	s_nop 1
	v_add_u16_dpp v1, v1, v1 row_ror:8 row_mask:0xf bank_mask:0xf bound_ctrl:1
	s_nop 1
	v_add_u16_dpp v1, v1, v1 row_bcast:15 row_mask:0xf bank_mask:0xf bound_ctrl:1
	s_nop 1
	v_add_u16_dpp v1, v1, v1 row_bcast:31 row_mask:0xf bank_mask:0xf bound_ctrl:1
	ds_bpermute_b32 v1, v4, v1
	s_and_saveexec_b64 s[4:5], vcc
	s_cbranch_execz .LBB1064_7
; %bb.6:
	v_lshrrev_b32_e32 v4, 5, v0
	v_and_b32_e32 v4, 2, v4
	s_waitcnt lgkmcnt(0)
	ds_write_b16 v4, v1 offset:20
.LBB1064_7:
	s_or_b64 exec, exec, s[4:5]
	v_cmp_gt_u32_e32 vcc, 64, v0
	s_waitcnt lgkmcnt(0)
	s_barrier
	s_and_saveexec_b64 s[4:5], vcc
	s_cbranch_execz .LBB1064_9
; %bb.8:
	v_and_b32_e32 v1, 1, v2
	v_lshlrev_b32_e32 v1, 1, v1
	ds_read_u16 v1, v1 offset:20
	v_or_b32_e32 v2, 4, v3
	s_waitcnt lgkmcnt(0)
	v_and_b32_e32 v3, 0xffff, v1
	ds_bpermute_b32 v2, v2, v3
	s_waitcnt lgkmcnt(0)
	v_add_u16_e32 v1, v1, v2
.LBB1064_9:
	s_or_b64 exec, exec, s[4:5]
.LBB1064_10:
	v_cmp_eq_u32_e64 s[4:5], 0, v0
	s_and_b64 vcc, exec, s[98:99]
	s_cbranch_vccnz .LBB1064_24
.LBB1064_11:
	s_branch .LBB1064_64
.LBB1064_12:
	s_mov_b64 s[4:5], 0
                                        ; implicit-def: $vgpr1
	s_cbranch_execz .LBB1064_119
	s_branch .LBB1064_65
.LBB1064_13:
	s_mov_b64 s[4:5], 0
                                        ; implicit-def: $vgpr1
	s_cbranch_execz .LBB1064_64
; %bb.14:
	s_cmp_gt_i32 s96, 15
	s_cbranch_scc0 .LBB1064_31
; %bb.15:
	s_cmp_eq_u32 s96, 16
	s_cbranch_scc0 .LBB1064_32
; %bb.16:
	s_mov_b32 s3, 0
	s_lshl_b32 s6, s2, 11
	s_lshr_b64 s[4:5], s[92:93], 11
	s_cmp_lg_u64 s[4:5], s[2:3]
	s_cbranch_scc0 .LBB1064_40
; %bb.17:
	v_or_b32_e32 v1, s6, v0
	v_add_u16_e32 v1, s97, v1
	v_lshlrev_b16_e32 v1, 4, v1
	v_add_u16_e32 v1, 0x3c00, v1
	v_mbcnt_lo_u32_b32 v2, -1, 0
	v_mbcnt_hi_u32_b32 v2, -1, v2
	v_add_u16_dpp v1, v1, v1 quad_perm:[1,0,3,2] row_mask:0xf bank_mask:0xf bound_ctrl:1
	v_lshlrev_b32_e32 v3, 2, v2
	v_or_b32_e32 v4, 0xfc, v3
	v_add_u16_dpp v1, v1, v1 quad_perm:[2,3,0,1] row_mask:0xf bank_mask:0xf bound_ctrl:1
	v_cmp_eq_u32_e32 vcc, 0, v2
	s_nop 0
	v_add_u16_dpp v1, v1, v1 row_ror:4 row_mask:0xf bank_mask:0xf bound_ctrl:1
	s_nop 1
	v_add_u16_dpp v1, v1, v1 row_ror:8 row_mask:0xf bank_mask:0xf bound_ctrl:1
	s_nop 1
	v_add_u16_dpp v1, v1, v1 row_bcast:15 row_mask:0xf bank_mask:0xf bound_ctrl:1
	s_nop 1
	v_add_u16_dpp v1, v1, v1 row_bcast:31 row_mask:0xf bank_mask:0xf bound_ctrl:1
	ds_bpermute_b32 v1, v4, v1
	s_and_saveexec_b64 s[4:5], vcc
	s_cbranch_execz .LBB1064_19
; %bb.18:
	v_lshrrev_b32_e32 v4, 5, v0
	v_and_b32_e32 v4, 2, v4
	s_waitcnt lgkmcnt(0)
	ds_write_b16 v4, v1
.LBB1064_19:
	s_or_b64 exec, exec, s[4:5]
	v_cmp_gt_u32_e32 vcc, 64, v0
	s_waitcnt lgkmcnt(0)
	s_barrier
	s_and_saveexec_b64 s[4:5], vcc
	s_cbranch_execz .LBB1064_21
; %bb.20:
	v_and_b32_e32 v1, 1, v2
	v_lshlrev_b32_e32 v1, 1, v1
	ds_read_u16 v1, v1
	v_or_b32_e32 v2, 4, v3
	s_waitcnt lgkmcnt(0)
	v_and_b32_e32 v3, 0xffff, v1
	ds_bpermute_b32 v2, v2, v3
	s_waitcnt lgkmcnt(0)
	v_add_u16_e32 v1, v1, v2
.LBB1064_21:
	s_or_b64 exec, exec, s[4:5]
	s_mov_b64 s[4:5], 0
	s_branch .LBB1064_41
.LBB1064_22:
	s_mov_b64 s[98:99], -1
.LBB1064_23:
	s_mov_b64 s[4:5], 0
                                        ; implicit-def: $vgpr1
	s_and_b64 vcc, exec, s[98:99]
	s_cbranch_vccz .LBB1064_11
.LBB1064_24:
	s_cmp_eq_u32 s96, 32
	s_cbranch_scc0 .LBB1064_33
; %bb.25:
	s_mov_b32 s3, 0
	s_lshr_b64 s[4:5], s[92:93], 12
	s_cmp_lg_u64 s[4:5], s[2:3]
	s_cbranch_scc0 .LBB1064_56
; %bb.26:
	v_add_u16_e32 v1, s97, v0
	v_lshlrev_b16_e32 v1, 5, v1
	v_add_u16_e32 v1, 0xf800, v1
	v_mbcnt_lo_u32_b32 v2, -1, 0
	v_mbcnt_hi_u32_b32 v2, -1, v2
	v_add_u16_dpp v1, v1, v1 quad_perm:[1,0,3,2] row_mask:0xf bank_mask:0xf bound_ctrl:1
	v_lshlrev_b32_e32 v3, 2, v2
	v_or_b32_e32 v4, 0xfc, v3
	v_add_u16_dpp v1, v1, v1 quad_perm:[2,3,0,1] row_mask:0xf bank_mask:0xf bound_ctrl:1
	v_cmp_eq_u32_e32 vcc, 0, v2
	s_nop 0
	v_add_u16_dpp v1, v1, v1 row_ror:4 row_mask:0xf bank_mask:0xf bound_ctrl:1
	s_nop 1
	v_add_u16_dpp v1, v1, v1 row_ror:8 row_mask:0xf bank_mask:0xf bound_ctrl:1
	s_nop 1
	v_add_u16_dpp v1, v1, v1 row_bcast:15 row_mask:0xf bank_mask:0xf bound_ctrl:1
	s_nop 1
	v_add_u16_dpp v1, v1, v1 row_bcast:31 row_mask:0xf bank_mask:0xf bound_ctrl:1
	ds_bpermute_b32 v1, v4, v1
	s_and_saveexec_b64 s[4:5], vcc
	s_cbranch_execz .LBB1064_28
; %bb.27:
	v_lshrrev_b32_e32 v4, 5, v0
	v_and_b32_e32 v4, 2, v4
	s_waitcnt lgkmcnt(0)
	ds_write_b16 v4, v1 offset:12
.LBB1064_28:
	s_or_b64 exec, exec, s[4:5]
	v_cmp_gt_u32_e32 vcc, 64, v0
	s_waitcnt lgkmcnt(0)
	s_barrier
	s_and_saveexec_b64 s[4:5], vcc
	s_cbranch_execz .LBB1064_30
; %bb.29:
	v_and_b32_e32 v1, 1, v2
	v_lshlrev_b32_e32 v1, 1, v1
	ds_read_u16 v1, v1 offset:12
	v_or_b32_e32 v2, 4, v3
	s_waitcnt lgkmcnt(0)
	v_and_b32_e32 v3, 0xffff, v1
	ds_bpermute_b32 v2, v2, v3
	s_waitcnt lgkmcnt(0)
	v_add_u16_e32 v1, v1, v2
.LBB1064_30:
	s_or_b64 exec, exec, s[4:5]
	s_mov_b64 s[4:5], 0
	s_branch .LBB1064_57
.LBB1064_31:
                                        ; implicit-def: $vgpr1
	s_cbranch_execz .LBB1064_64
	s_branch .LBB1064_48
.LBB1064_32:
                                        ; implicit-def: $vgpr1
	s_branch .LBB1064_64
.LBB1064_33:
                                        ; implicit-def: $vgpr1
	s_branch .LBB1064_64
.LBB1064_34:
                                        ; implicit-def: $vgpr1
	s_cbranch_execz .LBB1064_10
; %bb.35:
	s_lshl_b32 s4, s2, 13
	s_sub_i32 s33, s92, s4
	s_add_i32 s10, s97, s4
	v_add_u16_e32 v1, s10, v0
	v_cmp_gt_u32_e32 vcc, s33, v0
	v_or_b32_e32 v2, 0x80, v0
	v_add_u16_e32 v3, s10, v2
	v_cndmask_b32_e32 v1, 0, v1, vcc
	s_mov_b32 s11, 0x5040100
	v_perm_b32 v3, v3, v1, s11
	v_cmp_gt_u32_e32 vcc, s33, v2
	v_or_b32_e32 v2, 0x100, v0
	v_cmp_gt_u32_e64 s[4:5], s33, v2
	v_cndmask_b32_e32 v1, v1, v3, vcc
	v_add_u16_e32 v3, s10, v2
	v_cndmask_b32_e64 v2, 0, v3, s[4:5]
	v_or_b32_e32 v3, 0x180, v0
	v_add_u16_e32 v4, s10, v3
	v_perm_b32 v4, v4, v2, s11
	v_cmp_gt_u32_e64 s[6:7], s33, v3
	v_or_b32_e32 v3, 0x200, v0
	v_cmp_gt_u32_e64 s[8:9], s33, v3
	v_cndmask_b32_e64 v2, v2, v4, s[6:7]
	v_add_u16_e32 v4, s10, v3
	v_cndmask_b32_e64 v3, 0, v4, s[8:9]
	v_or_b32_e32 v4, 0x280, v0
	v_add_u16_e32 v5, s10, v4
	v_perm_b32 v5, v5, v3, s11
	v_cmp_gt_u32_e64 s[78:79], s33, v4
	v_or_b32_e32 v4, 0x300, v0
	v_cmp_gt_u32_e64 s[12:13], s33, v4
	v_cndmask_b32_e64 v3, v3, v5, s[78:79]
	;; [unrolled: 9-line block ×7, first 2 shown]
	v_add_u16_e32 v10, s10, v9
	v_or_b32_e32 v33, 0x1000, v0
	v_cndmask_b32_e64 v9, 0, v10, s[34:35]
	v_or_b32_e32 v10, 0x880, v0
	v_or_b32_e32 v12, 0x900, v0
	;; [unrolled: 1-line block ×4, first 2 shown]
	v_add_u16_e32 v34, s10, v33
	v_cmp_gt_u32_e64 s[52:53], s33, v33
	v_or_b32_e32 v36, 0x1100, v0
	v_add_u16_e32 v11, s10, v10
	v_add_u16_e32 v13, s10, v12
	v_cmp_gt_u32_e64 s[36:37], s33, v12
	v_or_b32_e32 v15, 0xa00, v0
	v_add_u16_e32 v19, s10, v18
	v_cmp_gt_u32_e64 s[40:41], s33, v18
	v_add_u16_e32 v22, s10, v21
	v_cmp_gt_u32_e64 s[42:43], s33, v21
	v_cndmask_b32_e64 v33, 0, v34, s[52:53]
	v_or_b32_e32 v34, 0x1080, v0
	v_add_u16_e32 v37, s10, v36
	v_cmp_gt_u32_e64 s[56:57], s33, v36
	v_perm_b32 v11, v11, v9, s11
	v_cndmask_b32_e64 v12, 0, v13, s[36:37]
	v_or_b32_e32 v13, 0x980, v0
	v_add_u16_e32 v16, s10, v15
	v_cmp_gt_u32_e64 s[38:39], s33, v15
	v_cndmask_b32_e64 v18, 0, v19, s[40:41]
	v_or_b32_e32 v19, 0xb80, v0
	v_cndmask_b32_e64 v21, 0, v22, s[42:43]
	v_or_b32_e32 v22, 0xc80, v0
	v_add_u16_e32 v35, s10, v34
	v_cndmask_b32_e64 v36, 0, v37, s[56:57]
	v_or_b32_e32 v37, 0x1180, v0
	v_or_b32_e32 v39, 0x1200, v0
	v_cmp_gt_u32_e64 s[68:69], s33, v10
	v_add_u16_e32 v14, s10, v13
	v_cndmask_b32_e64 v15, 0, v16, s[38:39]
	v_or_b32_e32 v16, 0xa80, v0
	v_add_u16_e32 v20, s10, v19
	v_add_u16_e32 v23, s10, v22
	v_perm_b32 v35, v35, v33, s11
	v_add_u16_e32 v38, s10, v37
	v_add_u16_e32 v40, s10, v39
	v_cmp_gt_u32_e64 s[62:63], s33, v39
	v_cndmask_b32_e64 v9, v9, v11, s[68:69]
	v_cmp_gt_u32_e64 s[84:85], s33, v34
	v_perm_b32 v14, v14, v12, s11
	v_add_u16_e32 v17, s10, v16
	v_perm_b32 v20, v20, v18, s11
	v_perm_b32 v23, v23, v21, s11
	v_or_b32_e32 v24, 0xd00, v0
	v_perm_b32 v38, v38, v36, s11
	v_cndmask_b32_e64 v39, 0, v40, s[62:63]
	v_or_b32_e32 v40, 0x1280, v0
	v_or_b32_e32 v42, 0x1300, v0
	v_cmp_gt_u32_e64 s[70:71], s33, v13
	v_cmp_gt_u32_e64 s[74:75], s33, v19
	;; [unrolled: 1-line block ×3, first 2 shown]
	v_cndmask_b32_e64 v22, v33, v35, s[84:85]
	v_cmp_gt_u32_e64 s[86:87], s33, v37
	v_cndmask_b32_e64 v33, 0, v9, s[34:35]
	v_or_b32_e32 v35, 0x1900, v0
	v_lshrrev_b32_e32 v9, 16, v9
	v_perm_b32 v17, v17, v15, s11
	v_add_u16_e32 v25, s10, v24
	v_cmp_gt_u32_e64 s[44:45], s33, v24
	v_add_u16_e32 v41, s10, v40
	v_add_u16_e32 v43, s10, v42
	v_cmp_gt_u32_e64 s[66:67], s33, v42
	v_cndmask_b32_e64 v11, v12, v14, s[70:71]
	v_cmp_gt_u32_e64 s[72:73], s33, v16
	v_cndmask_b32_e64 v14, v18, v20, s[74:75]
	v_cndmask_b32_e64 v16, v21, v23, s[76:77]
	;; [unrolled: 1-line block ×3, first 2 shown]
	v_lshrrev_b32_e32 v4, 16, v4
	v_cndmask_b32_e64 v23, v36, v38, s[86:87]
	v_add_u16_e32 v36, s10, v35
	v_cndmask_b32_e64 v9, 0, v9, s[68:69]
	v_cmp_gt_u32_e64 s[68:69], s33, v35
	v_or_b32_e32 v35, 0x1980, v0
	v_cndmask_b32_e64 v24, 0, v25, s[44:45]
	v_or_b32_e32 v25, 0xd80, v0
	v_or_b32_e32 v27, 0xe00, v0
	v_perm_b32 v41, v41, v39, s11
	v_cndmask_b32_e64 v42, 0, v43, s[66:67]
	v_or_b32_e32 v43, 0x1380, v0
	v_or_b32_e32 v45, 0x1400, v0
	v_cndmask_b32_e64 v13, v15, v17, s[72:73]
	v_cndmask_b32_e64 v15, 0, v3, s[8:9]
	v_lshrrev_b32_e32 v3, 16, v3
	v_cndmask_b32_e64 v4, 0, v4, s[14:15]
	v_cmp_gt_u32_e64 s[88:89], s33, v40
	v_add_u16_e32 v37, s10, v35
	v_cmp_gt_u32_e64 s[14:15], s33, v35
	v_or_b32_e32 v35, 0x1a00, v0
	v_add_u16_e32 v26, s10, v25
	v_add_u16_e32 v28, s10, v27
	v_cmp_gt_u32_e64 s[46:47], s33, v27
	v_add_u16_e32 v44, s10, v43
	v_add_u16_e32 v46, s10, v45
	v_cmp_gt_u32_e64 s[50:51], s33, v45
	v_cndmask_b32_e64 v3, 0, v3, s[78:79]
	v_cmp_gt_u32_e64 s[78:79], s33, v25
	v_cndmask_b32_e64 v21, 0, v5, s[16:17]
	v_lshrrev_b32_e32 v5, 16, v5
	v_cndmask_b32_e64 v25, v39, v41, s[88:89]
	v_add_u16_e32 v39, s10, v35
	v_cmp_gt_u32_e64 s[16:17], s33, v35
	v_or_b32_e32 v35, 0x1a80, v0
	v_perm_b32 v26, v26, v24, s11
	v_cndmask_b32_e64 v27, 0, v28, s[46:47]
	v_or_b32_e32 v28, 0xe80, v0
	v_or_b32_e32 v30, 0xf00, v0
	v_perm_b32 v44, v44, v42, s11
	v_cndmask_b32_e64 v45, 0, v46, s[50:51]
	v_or_b32_e32 v46, 0x1480, v0
	v_or_b32_e32 v48, 0x1500, v0
	v_cndmask_b32_e64 v5, 0, v5, s[18:19]
	v_cmp_gt_u32_e64 s[90:91], s33, v43
	v_add_u16_e32 v40, s10, v35
	v_cmp_gt_u32_e64 s[18:19], s33, v35
	v_or_b32_e32 v35, 0x1b00, v0
	v_add_u16_e32 v29, s10, v28
	v_add_u16_e32 v31, s10, v30
	v_cmp_gt_u32_e64 s[48:49], s33, v30
	v_add_u16_e32 v47, s10, v46
	v_add_u16_e32 v49, s10, v48
	v_cmp_gt_u32_e64 s[54:55], s33, v48
	v_cndmask_b32_e64 v17, v24, v26, s[78:79]
	v_cndmask_b32_e64 v24, 0, v6, s[20:21]
	v_lshrrev_b32_e32 v6, 16, v6
	v_cndmask_b32_e64 v26, v42, v44, s[90:91]
	v_add_u16_e32 v42, s10, v35
	v_cmp_gt_u32_e64 s[20:21], s33, v35
	v_or_b32_e32 v35, 0x1b80, v0
	v_perm_b32 v29, v29, v27, s11
	v_cndmask_b32_e64 v30, 0, v31, s[48:49]
	v_or_b32_e32 v31, 0xf80, v0
	v_perm_b32 v47, v47, v45, s11
	v_cndmask_b32_e64 v48, 0, v49, s[54:55]
	v_or_b32_e32 v49, 0x1580, v0
	v_or_b32_e32 v51, 0x1600, v0
	v_cmp_gt_u32_e64 s[80:81], s33, v28
	v_cndmask_b32_e64 v6, 0, v6, s[22:23]
	v_cmp_gt_u32_e64 s[12:13], s33, v46
	v_add_u16_e32 v43, s10, v35
	v_cmp_gt_u32_e64 s[22:23], s33, v35
	v_or_b32_e32 v35, 0x1c00, v0
	v_add_u16_e32 v32, s10, v31
	v_add_u16_e32 v50, s10, v49
	;; [unrolled: 1-line block ×3, first 2 shown]
	v_cmp_gt_u32_e64 s[58:59], s33, v51
	v_cndmask_b32_e64 v19, v27, v29, s[80:81]
	v_cndmask_b32_e64 v27, 0, v7, s[24:25]
	;; [unrolled: 1-line block ×3, first 2 shown]
	v_lshrrev_b32_e32 v7, 16, v7
	v_add_u16_e32 v45, s10, v35
	v_cmp_gt_u32_e64 s[24:25], s33, v35
	v_or_b32_e32 v35, 0x1c80, v0
	v_perm_b32 v32, v32, v30, s11
	v_perm_b32 v50, v50, v48, s11
	v_cndmask_b32_e64 v51, 0, v52, s[58:59]
	v_or_b32_e32 v52, 0x1680, v0
	v_or_b32_e32 v54, 0x1700, v0
	v_cmp_gt_u32_e64 s[82:83], s33, v31
	v_cndmask_b32_e64 v7, 0, v7, s[26:27]
	v_cmp_gt_u32_e64 s[8:9], s33, v49
	v_add_u16_e32 v46, s10, v35
	v_cmp_gt_u32_e64 s[26:27], s33, v35
	v_or_b32_e32 v35, 0x1d00, v0
	v_add_u16_e32 v53, s10, v52
	v_add_u16_e32 v55, s10, v54
	v_cmp_gt_u32_e64 s[60:61], s33, v54
	v_cndmask_b32_e64 v12, 0, v2, s[4:5]
	v_lshrrev_b32_e32 v2, 16, v2
	v_cndmask_b32_e64 v20, v30, v32, s[82:83]
	v_cndmask_b32_e64 v29, v48, v50, s[8:9]
	;; [unrolled: 1-line block ×3, first 2 shown]
	v_lshrrev_b32_e32 v8, 16, v8
	v_add_u16_e32 v48, s10, v35
	v_cmp_gt_u32_e64 s[28:29], s33, v35
	v_or_b32_e32 v35, 0x1d80, v0
	v_perm_b32 v53, v53, v51, s11
	v_cndmask_b32_e64 v54, 0, v55, s[60:61]
	v_or_b32_e32 v55, 0x1780, v0
	v_cndmask_b32_e64 v2, 0, v2, s[6:7]
	v_cmp_gt_u32_e64 s[6:7], s33, v52
	v_cndmask_b32_e64 v8, 0, v8, s[30:31]
	v_add_u16_e32 v49, s10, v35
	v_cmp_gt_u32_e64 s[30:31], s33, v35
	v_or_b32_e32 v35, 0x1e00, v0
	v_add_u16_e32 v56, s10, v55
	v_cndmask_b32_e64 v31, v51, v53, s[6:7]
	v_add_u16_e32 v51, s10, v35
	v_cmp_gt_u32_e64 s[34:35], s33, v35
	v_or_b32_e32 v35, 0x1e80, v0
	v_perm_b32 v56, v56, v54, s11
	v_cmp_gt_u32_e64 s[4:5], s33, v55
	v_cndmask_b32_e64 v38, 0, v11, s[36:37]
	v_add_u16_e32 v52, s10, v35
	v_cmp_gt_u32_e64 s[36:37], s33, v35
	v_or_b32_e32 v35, 0x1f00, v0
	v_cndmask_b32_e64 v32, v54, v56, s[4:5]
	v_cndmask_b32_e64 v41, 0, v13, s[38:39]
	v_add_u16_e32 v54, s10, v35
	v_cmp_gt_u32_e64 s[38:39], s33, v35
	v_or_b32_e32 v35, 0x1f80, v0
	v_cndmask_b32_e64 v44, 0, v14, s[40:41]
	v_add_u16_e32 v55, s10, v35
	v_cmp_gt_u32_e64 s[40:41], s33, v35
	v_cndmask_b32_e64 v54, 0, v54, s[38:39]
	v_cndmask_b32_e64 v51, 0, v51, s[34:35]
	;; [unrolled: 1-line block ×3, first 2 shown]
	v_add_u16_e32 v54, v55, v54
	v_add_u16_e32 v51, v54, v51
	v_cndmask_b32_e64 v52, 0, v52, s[36:37]
	v_add_u16_e32 v51, v51, v52
	v_cndmask_b32_e64 v48, 0, v48, s[28:29]
	v_add_u16_e32 v48, v51, v48
	v_cndmask_b32_e64 v49, 0, v49, s[30:31]
	v_add_u16_e32 v48, v48, v49
	v_cndmask_b32_e64 v45, 0, v45, s[24:25]
	v_cndmask_b32_e64 v46, 0, v46, s[26:27]
	v_add_u16_e32 v45, v48, v45
	v_cndmask_b32_e64 v42, 0, v42, s[20:21]
	v_add_u16_e32 v45, v45, v46
	v_cndmask_b32_e64 v43, 0, v43, s[22:23]
	v_add_u16_e32 v42, v45, v42
	v_lshrrev_b32_e32 v10, 16, v1
	v_add_u16_e32 v42, v42, v43
	v_cndmask_b32_e32 v10, 0, v10, vcc
	v_add_u16_e32 v1, v42, v1
	v_add_u16_e32 v1, v1, v10
	;; [unrolled: 1-line block ×17, first 2 shown]
	v_lshrrev_b32_e32 v11, 16, v11
	v_add_u16_e32 v1, v1, v9
	v_cndmask_b32_e64 v11, 0, v11, s[70:71]
	v_add_u16_e32 v1, v1, v38
	v_lshrrev_b32_e32 v13, 16, v13
	v_add_u16_e32 v1, v1, v11
	v_cndmask_b32_e64 v13, 0, v13, s[72:73]
	v_add_u16_e32 v1, v1, v41
	;; [unrolled: 4-line block ×3, first 2 shown]
	v_cndmask_b32_e64 v47, 0, v16, s[42:43]
	v_lshrrev_b32_e32 v16, 16, v16
	v_add_u16_e32 v1, v1, v14
	v_cndmask_b32_e64 v16, 0, v16, s[76:77]
	v_add_u16_e32 v1, v1, v47
	v_cndmask_b32_e64 v50, 0, v17, s[44:45]
	v_lshrrev_b32_e32 v17, 16, v17
	v_add_u16_e32 v1, v1, v16
	v_cndmask_b32_e64 v17, 0, v17, s[78:79]
	v_add_u16_e32 v1, v1, v50
	v_cndmask_b32_e64 v53, 0, v19, s[46:47]
	v_lshrrev_b32_e32 v19, 16, v19
	v_add_u16_e32 v1, v1, v17
	v_or_b32_e32 v57, 0x1800, v0
	v_cndmask_b32_e64 v19, 0, v19, s[80:81]
	v_add_u16_e32 v1, v1, v53
	v_add_u16_e32 v58, s10, v57
	v_cmp_gt_u32_e64 s[64:65], s33, v57
	v_cndmask_b32_e64 v56, 0, v20, s[48:49]
	v_lshrrev_b32_e32 v20, 16, v20
	v_add_u16_e32 v1, v1, v19
	v_cndmask_b32_e64 v57, 0, v58, s[64:65]
	v_or_b32_e32 v58, 0x1880, v0
	v_cndmask_b32_e64 v20, 0, v20, s[82:83]
	v_add_u16_e32 v1, v1, v56
	v_add_u16_e32 v59, s10, v58
	v_cndmask_b32_e64 v35, 0, v22, s[52:53]
	v_lshrrev_b32_e32 v22, 16, v22
	v_add_u16_e32 v1, v1, v20
	v_perm_b32 v59, v59, v57, s11
	v_cmp_gt_u32_e32 vcc, s33, v58
	v_cndmask_b32_e64 v22, 0, v22, s[84:85]
	v_add_u16_e32 v1, v1, v35
	v_cndmask_b32_e32 v34, v57, v59, vcc
	v_cndmask_b32_e64 v57, 0, v23, s[56:57]
	v_lshrrev_b32_e32 v23, 16, v23
	v_add_u16_e32 v1, v1, v22
	v_cndmask_b32_e64 v23, 0, v23, s[86:87]
	v_add_u16_e32 v1, v1, v57
	v_cndmask_b32_e64 v58, 0, v25, s[62:63]
	v_lshrrev_b32_e32 v25, 16, v25
	v_add_u16_e32 v1, v1, v23
	v_cndmask_b32_e64 v25, 0, v25, s[88:89]
	v_add_u16_e32 v1, v1, v58
	;; [unrolled: 5-line block ×7, first 2 shown]
	v_cndmask_b32_e64 v49, 0, v34, s[64:65]
	v_lshrrev_b32_e32 v34, 16, v34
	v_add_u16_e32 v1, v1, v32
	v_cndmask_b32_e32 v34, 0, v34, vcc
	v_add_u16_e32 v1, v1, v49
	v_mbcnt_lo_u32_b32 v2, -1, 0
	v_cndmask_b32_e64 v36, 0, v36, s[68:69]
	v_add_u16_e32 v1, v1, v34
	v_mbcnt_hi_u32_b32 v2, -1, v2
	v_cndmask_b32_e64 v37, 0, v37, s[14:15]
	v_add_u16_e32 v1, v1, v36
	v_and_b32_e32 v4, 63, v2
	v_cndmask_b32_e64 v39, 0, v39, s[16:17]
	v_add_u16_e32 v1, v1, v37
	v_cmp_ne_u32_e32 vcc, 63, v4
	v_cndmask_b32_e64 v40, 0, v40, s[18:19]
	v_add_u16_e32 v1, v1, v39
	v_addc_co_u32_e32 v3, vcc, 0, v2, vcc
	v_add_u16_e32 v1, v1, v40
	v_lshlrev_b32_e32 v3, 2, v3
	ds_bpermute_b32 v3, v3, v1
	s_min_u32 s6, s33, 0x80
	v_and_b32_e32 v5, 64, v0
	v_sub_u32_e64 v5, s6, v5 clamp
	v_add_u32_e32 v6, 1, v4
	v_cmp_gt_u32_e64 s[4:5], 62, v4
	s_waitcnt lgkmcnt(0)
	v_add_u16_e32 v3, v1, v3
	v_cmp_lt_u32_e32 vcc, v6, v5
	v_cndmask_b32_e64 v6, 0, 2, s[4:5]
	v_add_lshl_u32 v6, v6, v2, 2
	v_cndmask_b32_e32 v3, v1, v3, vcc
	ds_bpermute_b32 v6, v6, v3
	v_add_u32_e32 v7, 2, v4
	v_cmp_lt_u32_e64 s[4:5], v7, v5
	v_add_u32_e32 v7, 4, v4
	s_waitcnt lgkmcnt(0)
	v_add_u16_e32 v6, v3, v6
	v_cndmask_b32_e64 v3, v3, v6, s[4:5]
	v_cmp_gt_u32_e64 s[4:5], 60, v4
	s_nop 1
	v_cndmask_b32_e64 v6, 0, 4, s[4:5]
	v_add_lshl_u32 v6, v6, v2, 2
	ds_bpermute_b32 v6, v6, v3
	v_cmp_lt_u32_e64 s[4:5], v7, v5
	v_add_u32_e32 v7, 8, v4
	s_waitcnt lgkmcnt(0)
	v_add_u16_e32 v6, v3, v6
	v_cndmask_b32_e64 v3, v3, v6, s[4:5]
	v_cmp_gt_u32_e64 s[4:5], 56, v4
	s_nop 1
	v_cndmask_b32_e64 v6, 0, 8, s[4:5]
	v_add_lshl_u32 v6, v6, v2, 2
	ds_bpermute_b32 v6, v6, v3
	v_cmp_lt_u32_e64 s[4:5], v7, v5
	v_add_u32_e32 v7, 16, v4
	s_waitcnt lgkmcnt(0)
	v_add_u16_e32 v6, v3, v6
	v_cndmask_b32_e64 v3, v3, v6, s[4:5]
	v_cmp_gt_u32_e64 s[4:5], 48, v4
	v_add_u32_e32 v4, 32, v4
	s_nop 0
	v_cndmask_b32_e64 v6, 0, 16, s[4:5]
	v_add_lshl_u32 v6, v6, v2, 2
	ds_bpermute_b32 v6, v6, v3
	v_cmp_lt_u32_e64 s[4:5], v7, v5
	s_waitcnt lgkmcnt(0)
	v_add_u16_e32 v6, v3, v6
	v_cndmask_b32_e64 v6, v3, v6, s[4:5]
	v_lshlrev_b32_e32 v3, 2, v2
	v_or_b32_e32 v7, 0x80, v3
	ds_bpermute_b32 v7, v7, v6
	v_cmp_lt_u32_e64 s[4:5], v4, v5
	s_waitcnt lgkmcnt(0)
	s_nop 0
	v_cndmask_b32_e64 v4, 0, v7, s[4:5]
	v_add_u16_e32 v4, v6, v4
	v_cndmask_b32_e32 v1, v1, v4, vcc
	v_cmp_eq_u32_e32 vcc, 0, v2
	s_and_saveexec_b64 s[4:5], vcc
; %bb.36:
	v_lshrrev_b32_e32 v4, 5, v0
	v_and_b32_e32 v4, 2, v4
	ds_write_b16 v4, v1 offset:28
; %bb.37:
	s_or_b64 exec, exec, s[4:5]
	v_cmp_gt_u32_e32 vcc, 2, v0
	s_waitcnt lgkmcnt(0)
	s_barrier
	s_and_saveexec_b64 s[4:5], vcc
	s_cbranch_execz .LBB1064_39
; %bb.38:
	v_lshlrev_b32_e32 v1, 1, v2
	ds_read_u16 v1, v1 offset:28
	v_or_b32_e32 v3, 4, v3
	s_add_i32 s6, s6, 63
	v_and_b32_e32 v2, 1, v2
	s_lshr_b32 s6, s6, 6
	s_waitcnt lgkmcnt(0)
	v_and_b32_e32 v4, 0xffff, v1
	ds_bpermute_b32 v3, v3, v4
	v_add_u32_e32 v2, 1, v2
	v_cmp_gt_u32_e32 vcc, s6, v2
	s_waitcnt lgkmcnt(0)
	s_nop 0
	v_cndmask_b32_e32 v2, 0, v3, vcc
	v_add_u16_e32 v1, v2, v1
.LBB1064_39:
	s_or_b64 exec, exec, s[4:5]
	v_cmp_eq_u32_e64 s[4:5], 0, v0
	s_and_b64 vcc, exec, s[98:99]
	s_cbranch_vccnz .LBB1064_24
	s_branch .LBB1064_11
.LBB1064_40:
	s_mov_b64 s[4:5], -1
                                        ; implicit-def: $vgpr1
.LBB1064_41:
	s_and_b64 vcc, exec, s[4:5]
	s_cbranch_vccz .LBB1064_47
; %bb.42:
	s_sub_i32 s4, s92, s6
	s_add_i32 s5, s97, s6
	v_add_u16_e32 v1, s5, v0
	v_cmp_gt_u32_e32 vcc, s4, v0
	v_or_b32_e32 v2, 0x80, v0
	v_add_u16_e32 v3, s5, v2
	v_cndmask_b32_e32 v1, 0, v1, vcc
	s_mov_b32 s6, 0x5040100
	v_perm_b32 v3, v3, v1, s6
	v_cmp_gt_u32_e32 vcc, s4, v2
	v_or_b32_e32 v2, 0x100, v0
	v_or_b32_e32 v4, 0x180, v0
	v_cndmask_b32_e32 v1, v1, v3, vcc
	v_lshrrev_b32_e32 v30, 16, v1
	v_add_u16_e32 v3, s5, v2
	v_cndmask_b32_e32 v30, 0, v30, vcc
	v_cmp_gt_u32_e32 vcc, s4, v2
	v_add_u16_e32 v5, s5, v4
	v_or_b32_e32 v6, 0x200, v0
	v_cndmask_b32_e32 v2, 0, v3, vcc
	v_cmp_gt_u32_e32 vcc, s4, v4
	v_add_u16_e32 v7, s5, v6
	v_or_b32_e32 v8, 0x280, v0
	v_cndmask_b32_e32 v3, 0, v5, vcc
	v_cmp_gt_u32_e32 vcc, s4, v6
	v_add_u16_e32 v9, s5, v8
	v_or_b32_e32 v10, 0x300, v0
	v_cndmask_b32_e32 v4, 0, v7, vcc
	v_cmp_gt_u32_e32 vcc, s4, v8
	v_add_u16_e32 v11, s5, v10
	v_or_b32_e32 v12, 0x380, v0
	v_cndmask_b32_e32 v5, 0, v9, vcc
	v_cmp_gt_u32_e32 vcc, s4, v10
	v_add_u16_e32 v13, s5, v12
	v_or_b32_e32 v14, 0x400, v0
	v_cndmask_b32_e32 v6, 0, v11, vcc
	v_cmp_gt_u32_e32 vcc, s4, v12
	v_add_u16_e32 v15, s5, v14
	v_or_b32_e32 v16, 0x480, v0
	v_cndmask_b32_e32 v7, 0, v13, vcc
	v_cmp_gt_u32_e32 vcc, s4, v14
	v_add_u16_e32 v17, s5, v16
	v_or_b32_e32 v18, 0x500, v0
	v_cndmask_b32_e32 v8, 0, v15, vcc
	v_cmp_gt_u32_e32 vcc, s4, v16
	v_add_u16_e32 v19, s5, v18
	v_or_b32_e32 v20, 0x580, v0
	v_cndmask_b32_e32 v9, 0, v17, vcc
	v_cmp_gt_u32_e32 vcc, s4, v18
	v_add_u16_e32 v21, s5, v20
	v_or_b32_e32 v22, 0x600, v0
	v_cndmask_b32_e32 v10, 0, v19, vcc
	v_cmp_gt_u32_e32 vcc, s4, v20
	v_add_u16_e32 v23, s5, v22
	v_or_b32_e32 v24, 0x680, v0
	v_cndmask_b32_e32 v11, 0, v21, vcc
	v_cmp_gt_u32_e32 vcc, s4, v22
	v_add_u16_e32 v25, s5, v24
	v_or_b32_e32 v26, 0x700, v0
	v_cndmask_b32_e32 v12, 0, v23, vcc
	v_cmp_gt_u32_e32 vcc, s4, v24
	v_add_u16_e32 v27, s5, v26
	v_or_b32_e32 v28, 0x780, v0
	v_cndmask_b32_e32 v13, 0, v25, vcc
	v_cmp_gt_u32_e32 vcc, s4, v26
	v_add_u16_e32 v29, s5, v28
	s_min_u32 s6, s4, 0x80
	v_cndmask_b32_e32 v14, 0, v27, vcc
	v_cmp_gt_u32_e32 vcc, s4, v28
	s_nop 1
	v_cndmask_b32_e32 v15, 0, v29, vcc
	v_add_u16_e32 v14, v15, v14
	v_add_u16_e32 v12, v14, v12
	v_add_u16_e32 v12, v12, v13
	v_add_u16_e32 v10, v12, v10
	v_add_u16_e32 v10, v10, v11
	v_add_u16_e32 v8, v10, v8
	v_add_u16_e32 v8, v8, v9
	v_add_u16_e32 v6, v8, v6
	v_add_u16_e32 v6, v6, v7
	v_add_u16_e32 v1, v6, v1
	v_add_u16_e32 v1, v1, v30
	v_add_u16_e32 v1, v1, v2
	v_mbcnt_lo_u32_b32 v2, -1, 0
	v_add_u16_e32 v1, v1, v3
	v_mbcnt_hi_u32_b32 v2, -1, v2
	v_add_u16_e32 v1, v1, v4
	v_and_b32_e32 v4, 63, v2
	v_cmp_ne_u32_e32 vcc, 63, v4
	v_add_u16_e32 v1, v1, v5
	v_and_b32_e32 v5, 64, v0
	v_addc_co_u32_e32 v3, vcc, 0, v2, vcc
	v_lshlrev_b32_e32 v3, 2, v3
	ds_bpermute_b32 v3, v3, v1
	v_sub_u32_e64 v5, s6, v5 clamp
	v_add_u32_e32 v6, 1, v4
	v_cmp_gt_u32_e64 s[4:5], 62, v4
	v_cmp_lt_u32_e32 vcc, v6, v5
	s_waitcnt lgkmcnt(0)
	v_add_u16_e32 v3, v1, v3
	v_cndmask_b32_e64 v6, 0, 2, s[4:5]
	v_cndmask_b32_e32 v3, v1, v3, vcc
	v_add_lshl_u32 v6, v6, v2, 2
	ds_bpermute_b32 v6, v6, v3
	v_add_u32_e32 v7, 2, v4
	v_cmp_lt_u32_e64 s[4:5], v7, v5
	v_add_u32_e32 v7, 4, v4
	s_waitcnt lgkmcnt(0)
	v_add_u16_e32 v6, v3, v6
	v_cndmask_b32_e64 v3, v3, v6, s[4:5]
	v_cmp_gt_u32_e64 s[4:5], 60, v4
	s_nop 1
	v_cndmask_b32_e64 v6, 0, 4, s[4:5]
	v_add_lshl_u32 v6, v6, v2, 2
	ds_bpermute_b32 v6, v6, v3
	v_cmp_lt_u32_e64 s[4:5], v7, v5
	v_add_u32_e32 v7, 8, v4
	s_waitcnt lgkmcnt(0)
	v_add_u16_e32 v6, v3, v6
	v_cndmask_b32_e64 v3, v3, v6, s[4:5]
	v_cmp_gt_u32_e64 s[4:5], 56, v4
	s_nop 1
	v_cndmask_b32_e64 v6, 0, 8, s[4:5]
	v_add_lshl_u32 v6, v6, v2, 2
	ds_bpermute_b32 v6, v6, v3
	v_cmp_lt_u32_e64 s[4:5], v7, v5
	v_add_u32_e32 v7, 16, v4
	s_waitcnt lgkmcnt(0)
	v_add_u16_e32 v6, v3, v6
	v_cndmask_b32_e64 v3, v3, v6, s[4:5]
	v_cmp_gt_u32_e64 s[4:5], 48, v4
	v_add_u32_e32 v4, 32, v4
	s_nop 0
	v_cndmask_b32_e64 v6, 0, 16, s[4:5]
	v_add_lshl_u32 v6, v6, v2, 2
	ds_bpermute_b32 v6, v6, v3
	v_cmp_lt_u32_e64 s[4:5], v7, v5
	s_waitcnt lgkmcnt(0)
	v_add_u16_e32 v6, v3, v6
	v_cndmask_b32_e64 v6, v3, v6, s[4:5]
	v_lshlrev_b32_e32 v3, 2, v2
	v_or_b32_e32 v7, 0x80, v3
	ds_bpermute_b32 v7, v7, v6
	v_cmp_lt_u32_e64 s[4:5], v4, v5
	s_waitcnt lgkmcnt(0)
	s_nop 0
	v_cndmask_b32_e64 v4, 0, v7, s[4:5]
	v_add_u16_e32 v4, v6, v4
	v_cndmask_b32_e32 v1, v1, v4, vcc
	v_cmp_eq_u32_e32 vcc, 0, v2
	s_and_saveexec_b64 s[4:5], vcc
; %bb.43:
	v_lshrrev_b32_e32 v4, 5, v0
	v_and_b32_e32 v4, 2, v4
	ds_write_b16 v4, v1 offset:28
; %bb.44:
	s_or_b64 exec, exec, s[4:5]
	v_cmp_gt_u32_e32 vcc, 2, v0
	s_waitcnt lgkmcnt(0)
	s_barrier
	s_and_saveexec_b64 s[4:5], vcc
	s_cbranch_execz .LBB1064_46
; %bb.45:
	v_lshlrev_b32_e32 v1, 1, v2
	ds_read_u16 v1, v1 offset:28
	v_or_b32_e32 v3, 4, v3
	s_add_i32 s6, s6, 63
	v_and_b32_e32 v2, 1, v2
	s_lshr_b32 s6, s6, 6
	s_waitcnt lgkmcnt(0)
	v_and_b32_e32 v4, 0xffff, v1
	ds_bpermute_b32 v3, v3, v4
	v_add_u32_e32 v2, 1, v2
	v_cmp_gt_u32_e32 vcc, s6, v2
	s_waitcnt lgkmcnt(0)
	s_nop 0
	v_cndmask_b32_e32 v2, 0, v3, vcc
	v_add_u16_e32 v1, v2, v1
.LBB1064_46:
	s_or_b64 exec, exec, s[4:5]
.LBB1064_47:
	v_cmp_eq_u32_e64 s[4:5], 0, v0
	s_branch .LBB1064_64
.LBB1064_48:
	s_cmp_eq_u32 s96, 8
	s_cbranch_scc0 .LBB1064_55
; %bb.49:
	s_mov_b32 s3, 0
	s_lshl_b32 s6, s2, 10
	s_lshr_b64 s[4:5], s[92:93], 10
	s_cmp_lg_u64 s[4:5], s[2:3]
	s_cbranch_scc0 .LBB1064_85
; %bb.50:
	v_or_b32_e32 v1, s6, v0
	v_add_u16_e32 v1, s97, v1
	v_lshlrev_b16_e32 v1, 3, v1
	v_add_u16_e32 v1, 0xe00, v1
	v_mbcnt_lo_u32_b32 v2, -1, 0
	v_mbcnt_hi_u32_b32 v2, -1, v2
	v_add_u16_dpp v1, v1, v1 quad_perm:[1,0,3,2] row_mask:0xf bank_mask:0xf bound_ctrl:1
	v_lshlrev_b32_e32 v3, 2, v2
	v_or_b32_e32 v4, 0xfc, v3
	v_add_u16_dpp v1, v1, v1 quad_perm:[2,3,0,1] row_mask:0xf bank_mask:0xf bound_ctrl:1
	v_cmp_eq_u32_e32 vcc, 0, v2
	s_nop 0
	v_add_u16_dpp v1, v1, v1 row_ror:4 row_mask:0xf bank_mask:0xf bound_ctrl:1
	s_nop 1
	v_add_u16_dpp v1, v1, v1 row_ror:8 row_mask:0xf bank_mask:0xf bound_ctrl:1
	s_nop 1
	v_add_u16_dpp v1, v1, v1 row_bcast:15 row_mask:0xf bank_mask:0xf bound_ctrl:1
	s_nop 1
	v_add_u16_dpp v1, v1, v1 row_bcast:31 row_mask:0xf bank_mask:0xf bound_ctrl:1
	ds_bpermute_b32 v1, v4, v1
	s_and_saveexec_b64 s[4:5], vcc
	s_cbranch_execz .LBB1064_52
; %bb.51:
	v_lshrrev_b32_e32 v4, 5, v0
	v_and_b32_e32 v4, 2, v4
	s_waitcnt lgkmcnt(0)
	ds_write_b16 v4, v1 offset:24
.LBB1064_52:
	s_or_b64 exec, exec, s[4:5]
	v_cmp_gt_u32_e32 vcc, 64, v0
	s_waitcnt lgkmcnt(0)
	s_barrier
	s_and_saveexec_b64 s[4:5], vcc
	s_cbranch_execz .LBB1064_54
; %bb.53:
	v_and_b32_e32 v1, 1, v2
	v_lshlrev_b32_e32 v1, 1, v1
	ds_read_u16 v1, v1 offset:24
	v_or_b32_e32 v2, 4, v3
	s_waitcnt lgkmcnt(0)
	v_and_b32_e32 v3, 0xffff, v1
	ds_bpermute_b32 v2, v2, v3
	s_waitcnt lgkmcnt(0)
	v_add_u16_e32 v1, v1, v2
.LBB1064_54:
	s_or_b64 exec, exec, s[4:5]
	s_mov_b64 s[4:5], 0
	s_branch .LBB1064_86
.LBB1064_55:
                                        ; implicit-def: $vgpr1
	s_branch .LBB1064_119
.LBB1064_56:
	s_mov_b64 s[4:5], -1
                                        ; implicit-def: $vgpr1
.LBB1064_57:
	s_and_b64 vcc, exec, s[4:5]
	s_cbranch_vccz .LBB1064_63
; %bb.58:
	s_lshl_b32 s4, s2, 12
	s_sub_i32 s33, s92, s4
	s_add_i32 s38, s97, s4
	v_add_u16_e32 v1, s38, v0
	v_cmp_gt_u32_e32 vcc, s33, v0
	v_or_b32_e32 v2, 0x80, v0
	v_add_u16_e32 v3, s38, v2
	v_cndmask_b32_e32 v1, 0, v1, vcc
	s_mov_b32 s36, 0x5040100
	v_perm_b32 v3, v3, v1, s36
	v_cmp_gt_u32_e32 vcc, s33, v2
	v_or_b32_e32 v2, 0x100, v0
	v_cmp_gt_u32_e64 s[4:5], s33, v2
	v_cndmask_b32_e32 v1, v1, v3, vcc
	v_add_u16_e32 v3, s38, v2
	v_cndmask_b32_e64 v2, 0, v3, s[4:5]
	v_or_b32_e32 v3, 0x180, v0
	v_add_u16_e32 v4, s38, v3
	v_perm_b32 v4, v4, v2, s36
	v_cmp_gt_u32_e64 s[6:7], s33, v3
	v_or_b32_e32 v3, 0x200, v0
	v_cmp_gt_u32_e64 s[8:9], s33, v3
	v_cndmask_b32_e64 v2, v2, v4, s[6:7]
	v_add_u16_e32 v4, s38, v3
	v_cndmask_b32_e64 v3, 0, v4, s[8:9]
	v_or_b32_e32 v4, 0x280, v0
	v_add_u16_e32 v5, s38, v4
	v_perm_b32 v5, v5, v3, s36
	v_cmp_gt_u32_e64 s[10:11], s33, v4
	v_or_b32_e32 v4, 0x300, v0
	v_cmp_gt_u32_e64 s[12:13], s33, v4
	v_cndmask_b32_e64 v3, v3, v5, s[10:11]
	;; [unrolled: 9-line block ×7, first 2 shown]
	v_add_u16_e32 v10, s38, v9
	v_cndmask_b32_e64 v9, 0, v10, s[34:35]
	v_or_b32_e32 v10, 0x880, v0
	v_add_u16_e32 v11, s38, v10
	v_perm_b32 v11, v11, v9, s36
	v_cmp_gt_u32_e64 s[36:37], s33, v10
	v_or_b32_e32 v10, 0x900, v0
	v_lshrrev_b32_e32 v38, 16, v1
	v_cndmask_b32_e64 v9, v9, v11, s[36:37]
	v_add_u16_e32 v11, s38, v10
	v_or_b32_e32 v12, 0x980, v0
	v_cndmask_b32_e32 v38, 0, v38, vcc
	v_cmp_gt_u32_e32 vcc, s33, v10
	v_add_u16_e32 v13, s38, v12
	v_or_b32_e32 v14, 0xa00, v0
	v_cndmask_b32_e32 v10, 0, v11, vcc
	v_cmp_gt_u32_e32 vcc, s33, v12
	;; [unrolled: 4-line block ×13, first 2 shown]
	v_add_u16_e32 v37, s38, v36
	v_cndmask_b32_e64 v39, 0, v2, s[4:5]
	v_cndmask_b32_e32 v22, 0, v35, vcc
	v_cmp_gt_u32_e32 vcc, s33, v36
	v_lshrrev_b32_e32 v2, 16, v2
	v_cndmask_b32_e64 v2, 0, v2, s[6:7]
	v_cndmask_b32_e32 v23, 0, v37, vcc
	v_add_u16_e32 v22, v23, v22
	v_add_u16_e32 v20, v22, v20
	v_add_u16_e32 v20, v20, v21
	v_add_u16_e32 v18, v20, v18
	v_add_u16_e32 v18, v18, v19
	v_add_u16_e32 v16, v18, v16
	v_add_u16_e32 v16, v16, v17
	v_add_u16_e32 v14, v16, v14
	v_add_u16_e32 v14, v14, v15
	v_add_u16_e32 v1, v14, v1
	v_add_u16_e32 v1, v1, v38
	v_add_u16_e32 v1, v1, v39
	v_cndmask_b32_e64 v40, 0, v3, s[8:9]
	v_lshrrev_b32_e32 v3, 16, v3
	v_add_u16_e32 v1, v1, v2
	v_cndmask_b32_e64 v3, 0, v3, s[10:11]
	v_add_u16_e32 v1, v1, v40
	v_cndmask_b32_e64 v41, 0, v4, s[12:13]
	v_lshrrev_b32_e32 v4, 16, v4
	v_add_u16_e32 v1, v1, v3
	v_cndmask_b32_e64 v4, 0, v4, s[14:15]
	v_add_u16_e32 v1, v1, v41
	;; [unrolled: 5-line block ×7, first 2 shown]
	v_mbcnt_lo_u32_b32 v2, -1, 0
	v_add_u16_e32 v1, v1, v9
	v_mbcnt_hi_u32_b32 v2, -1, v2
	v_add_u16_e32 v1, v1, v10
	v_and_b32_e32 v4, 63, v2
	v_add_u16_e32 v1, v1, v11
	v_cmp_ne_u32_e32 vcc, 63, v4
	v_add_u16_e32 v1, v1, v12
	v_add_u16_e32 v1, v1, v13
	v_addc_co_u32_e32 v3, vcc, 0, v2, vcc
	v_lshlrev_b32_e32 v3, 2, v3
	ds_bpermute_b32 v3, v3, v1
	s_min_u32 s6, s33, 0x80
	v_and_b32_e32 v5, 64, v0
	v_sub_u32_e64 v5, s6, v5 clamp
	v_add_u32_e32 v6, 1, v4
	v_cmp_gt_u32_e64 s[4:5], 62, v4
	s_waitcnt lgkmcnt(0)
	v_add_u16_e32 v3, v1, v3
	v_cmp_lt_u32_e32 vcc, v6, v5
	v_cndmask_b32_e64 v6, 0, 2, s[4:5]
	v_add_lshl_u32 v6, v6, v2, 2
	v_cndmask_b32_e32 v3, v1, v3, vcc
	ds_bpermute_b32 v6, v6, v3
	v_add_u32_e32 v7, 2, v4
	v_cmp_lt_u32_e64 s[4:5], v7, v5
	v_add_u32_e32 v7, 4, v4
	s_waitcnt lgkmcnt(0)
	v_add_u16_e32 v6, v3, v6
	v_cndmask_b32_e64 v3, v3, v6, s[4:5]
	v_cmp_gt_u32_e64 s[4:5], 60, v4
	s_nop 1
	v_cndmask_b32_e64 v6, 0, 4, s[4:5]
	v_add_lshl_u32 v6, v6, v2, 2
	ds_bpermute_b32 v6, v6, v3
	v_cmp_lt_u32_e64 s[4:5], v7, v5
	v_add_u32_e32 v7, 8, v4
	s_waitcnt lgkmcnt(0)
	v_add_u16_e32 v6, v3, v6
	v_cndmask_b32_e64 v3, v3, v6, s[4:5]
	v_cmp_gt_u32_e64 s[4:5], 56, v4
	s_nop 1
	v_cndmask_b32_e64 v6, 0, 8, s[4:5]
	v_add_lshl_u32 v6, v6, v2, 2
	ds_bpermute_b32 v6, v6, v3
	v_cmp_lt_u32_e64 s[4:5], v7, v5
	v_add_u32_e32 v7, 16, v4
	s_waitcnt lgkmcnt(0)
	v_add_u16_e32 v6, v3, v6
	v_cndmask_b32_e64 v3, v3, v6, s[4:5]
	v_cmp_gt_u32_e64 s[4:5], 48, v4
	v_add_u32_e32 v4, 32, v4
	s_nop 0
	v_cndmask_b32_e64 v6, 0, 16, s[4:5]
	v_add_lshl_u32 v6, v6, v2, 2
	ds_bpermute_b32 v6, v6, v3
	v_cmp_lt_u32_e64 s[4:5], v7, v5
	s_waitcnt lgkmcnt(0)
	v_add_u16_e32 v6, v3, v6
	v_cndmask_b32_e64 v6, v3, v6, s[4:5]
	v_lshlrev_b32_e32 v3, 2, v2
	v_or_b32_e32 v7, 0x80, v3
	ds_bpermute_b32 v7, v7, v6
	v_cmp_lt_u32_e64 s[4:5], v4, v5
	s_waitcnt lgkmcnt(0)
	s_nop 0
	v_cndmask_b32_e64 v4, 0, v7, s[4:5]
	v_add_u16_e32 v4, v6, v4
	v_cndmask_b32_e32 v1, v1, v4, vcc
	v_cmp_eq_u32_e32 vcc, 0, v2
	s_and_saveexec_b64 s[4:5], vcc
; %bb.59:
	v_lshrrev_b32_e32 v4, 5, v0
	v_and_b32_e32 v4, 2, v4
	ds_write_b16 v4, v1 offset:28
; %bb.60:
	s_or_b64 exec, exec, s[4:5]
	v_cmp_gt_u32_e32 vcc, 2, v0
	s_waitcnt lgkmcnt(0)
	s_barrier
	s_and_saveexec_b64 s[4:5], vcc
	s_cbranch_execz .LBB1064_62
; %bb.61:
	v_lshlrev_b32_e32 v1, 1, v2
	ds_read_u16 v1, v1 offset:28
	v_or_b32_e32 v3, 4, v3
	s_add_i32 s6, s6, 63
	v_and_b32_e32 v2, 1, v2
	s_lshr_b32 s6, s6, 6
	s_waitcnt lgkmcnt(0)
	v_and_b32_e32 v4, 0xffff, v1
	ds_bpermute_b32 v3, v3, v4
	v_add_u32_e32 v2, 1, v2
	v_cmp_gt_u32_e32 vcc, s6, v2
	s_waitcnt lgkmcnt(0)
	s_nop 0
	v_cndmask_b32_e32 v2, 0, v3, vcc
	v_add_u16_e32 v1, v2, v1
.LBB1064_62:
	s_or_b64 exec, exec, s[4:5]
.LBB1064_63:
	v_cmp_eq_u32_e64 s[4:5], 0, v0
.LBB1064_64:
	s_branch .LBB1064_119
.LBB1064_65:
	s_cmp_gt_i32 s96, 1
	s_cbranch_scc0 .LBB1064_74
; %bb.66:
	s_cmp_gt_i32 s96, 3
	s_cbranch_scc0 .LBB1064_75
; %bb.67:
	s_cmp_eq_u32 s96, 4
	s_cbranch_scc0 .LBB1064_83
; %bb.68:
	s_mov_b32 s3, 0
	s_lshl_b32 s6, s2, 9
	s_lshr_b64 s[4:5], s[92:93], 9
	s_cmp_lg_u64 s[4:5], s[2:3]
	s_cbranch_scc0 .LBB1064_93
; %bb.69:
	v_add_u16_e32 v1, s6, v0
	v_add_u16_e32 v1, s97, v1
	v_lshlrev_b16_e32 v1, 2, v1
	v_add_u16_e32 v1, 0x300, v1
	v_mbcnt_lo_u32_b32 v2, -1, 0
	v_mbcnt_hi_u32_b32 v2, -1, v2
	v_add_u16_dpp v1, v1, v1 quad_perm:[1,0,3,2] row_mask:0xf bank_mask:0xf bound_ctrl:1
	v_lshlrev_b32_e32 v3, 2, v2
	v_or_b32_e32 v4, 0xfc, v3
	v_add_u16_dpp v1, v1, v1 quad_perm:[2,3,0,1] row_mask:0xf bank_mask:0xf bound_ctrl:1
	v_cmp_eq_u32_e32 vcc, 0, v2
	s_nop 0
	v_add_u16_dpp v1, v1, v1 row_ror:4 row_mask:0xf bank_mask:0xf bound_ctrl:1
	s_nop 1
	v_add_u16_dpp v1, v1, v1 row_ror:8 row_mask:0xf bank_mask:0xf bound_ctrl:1
	s_nop 1
	v_add_u16_dpp v1, v1, v1 row_bcast:15 row_mask:0xf bank_mask:0xf bound_ctrl:1
	s_nop 1
	v_add_u16_dpp v1, v1, v1 row_bcast:31 row_mask:0xf bank_mask:0xf bound_ctrl:1
	ds_bpermute_b32 v1, v4, v1
	s_and_saveexec_b64 s[4:5], vcc
	s_cbranch_execz .LBB1064_71
; %bb.70:
	v_lshrrev_b32_e32 v4, 5, v0
	v_and_b32_e32 v4, 2, v4
	s_waitcnt lgkmcnt(0)
	ds_write_b16 v4, v1 offset:16
.LBB1064_71:
	s_or_b64 exec, exec, s[4:5]
	v_cmp_gt_u32_e32 vcc, 64, v0
	s_waitcnt lgkmcnt(0)
	s_barrier
	s_and_saveexec_b64 s[4:5], vcc
	s_cbranch_execz .LBB1064_73
; %bb.72:
	v_and_b32_e32 v1, 1, v2
	v_lshlrev_b32_e32 v1, 1, v1
	ds_read_u16 v1, v1 offset:16
	v_or_b32_e32 v2, 4, v3
	s_waitcnt lgkmcnt(0)
	v_and_b32_e32 v3, 0xffff, v1
	ds_bpermute_b32 v2, v2, v3
	s_waitcnt lgkmcnt(0)
	v_add_u16_e32 v1, v1, v2
.LBB1064_73:
	s_or_b64 exec, exec, s[4:5]
	s_mov_b64 s[4:5], 0
	s_branch .LBB1064_94
.LBB1064_74:
                                        ; implicit-def: $vgpr1
	s_cbranch_execnz .LBB1064_110
	s_branch .LBB1064_119
.LBB1064_75:
                                        ; implicit-def: $vgpr1
	s_cbranch_execz .LBB1064_101
; %bb.76:
	s_cmp_eq_u32 s96, 2
	s_cbranch_scc0 .LBB1064_84
; %bb.77:
	s_mov_b32 s3, 0
	s_lshl_b32 s6, s2, 8
	s_lshr_b64 s[4:5], s[92:93], 8
	s_cmp_lg_u64 s[4:5], s[2:3]
	s_cbranch_scc0 .LBB1064_102
; %bb.78:
	v_add_u16_e32 v1, s6, v0
	v_add_u16_e32 v1, s97, v1
	v_lshlrev_b16_e32 v1, 1, v1
	v_add_u16_e32 v1, 0x80, v1
	v_mbcnt_lo_u32_b32 v2, -1, 0
	v_mbcnt_hi_u32_b32 v2, -1, v2
	v_add_u16_dpp v1, v1, v1 quad_perm:[1,0,3,2] row_mask:0xf bank_mask:0xf bound_ctrl:1
	v_lshlrev_b32_e32 v3, 2, v2
	v_or_b32_e32 v4, 0xfc, v3
	v_add_u16_dpp v1, v1, v1 quad_perm:[2,3,0,1] row_mask:0xf bank_mask:0xf bound_ctrl:1
	v_cmp_eq_u32_e32 vcc, 0, v2
	s_nop 0
	v_add_u16_dpp v1, v1, v1 row_ror:4 row_mask:0xf bank_mask:0xf bound_ctrl:1
	s_nop 1
	v_add_u16_dpp v1, v1, v1 row_ror:8 row_mask:0xf bank_mask:0xf bound_ctrl:1
	s_nop 1
	v_add_u16_dpp v1, v1, v1 row_bcast:15 row_mask:0xf bank_mask:0xf bound_ctrl:1
	s_nop 1
	v_add_u16_dpp v1, v1, v1 row_bcast:31 row_mask:0xf bank_mask:0xf bound_ctrl:1
	ds_bpermute_b32 v1, v4, v1
	s_and_saveexec_b64 s[4:5], vcc
	s_cbranch_execz .LBB1064_80
; %bb.79:
	v_lshrrev_b32_e32 v4, 5, v0
	v_and_b32_e32 v4, 2, v4
	s_waitcnt lgkmcnt(0)
	ds_write_b16 v4, v1 offset:8
.LBB1064_80:
	s_or_b64 exec, exec, s[4:5]
	v_cmp_gt_u32_e32 vcc, 64, v0
	s_waitcnt lgkmcnt(0)
	s_barrier
	s_and_saveexec_b64 s[4:5], vcc
	s_cbranch_execz .LBB1064_82
; %bb.81:
	v_and_b32_e32 v1, 1, v2
	v_lshlrev_b32_e32 v1, 1, v1
	ds_read_u16 v1, v1 offset:8
	v_or_b32_e32 v2, 4, v3
	s_waitcnt lgkmcnt(0)
	v_and_b32_e32 v3, 0xffff, v1
	ds_bpermute_b32 v2, v2, v3
	s_waitcnt lgkmcnt(0)
	v_add_u16_e32 v1, v1, v2
.LBB1064_82:
	s_or_b64 exec, exec, s[4:5]
	s_mov_b64 s[4:5], 0
	s_branch .LBB1064_103
.LBB1064_83:
                                        ; implicit-def: $vgpr1
	s_branch .LBB1064_101
.LBB1064_84:
                                        ; implicit-def: $vgpr1
	s_branch .LBB1064_119
.LBB1064_85:
	s_mov_b64 s[4:5], -1
                                        ; implicit-def: $vgpr1
.LBB1064_86:
	s_and_b64 vcc, exec, s[4:5]
	s_cbranch_vccz .LBB1064_92
; %bb.87:
	s_sub_i32 s4, s92, s6
	s_add_i32 s5, s97, s6
	v_add_u16_e32 v1, s5, v0
	v_or_b32_e32 v2, 0x80, v0
	v_cmp_gt_u32_e32 vcc, s4, v0
	v_add_u16_e32 v3, s5, v2
	v_or_b32_e32 v4, 0x100, v0
	v_cndmask_b32_e32 v1, 0, v1, vcc
	v_cmp_gt_u32_e32 vcc, s4, v2
	v_add_u16_e32 v5, s5, v4
	v_or_b32_e32 v6, 0x180, v0
	v_cndmask_b32_e32 v2, 0, v3, vcc
	;; [unrolled: 4-line block ×6, first 2 shown]
	v_cmp_gt_u32_e32 vcc, s4, v12
	v_add_u16_e32 v15, s5, v14
	s_min_u32 s6, s4, 0x80
	v_cndmask_b32_e32 v7, 0, v13, vcc
	v_cmp_gt_u32_e32 vcc, s4, v14
	s_nop 1
	v_cndmask_b32_e32 v8, 0, v15, vcc
	v_add_u16_e32 v7, v8, v7
	v_add_u16_e32 v5, v7, v5
	;; [unrolled: 1-line block ×7, first 2 shown]
	v_mbcnt_lo_u32_b32 v2, -1, 0
	v_mbcnt_hi_u32_b32 v2, -1, v2
	v_and_b32_e32 v4, 63, v2
	v_cmp_ne_u32_e32 vcc, 63, v4
	v_and_b32_e32 v5, 64, v0
	v_sub_u32_e64 v5, s6, v5 clamp
	v_addc_co_u32_e32 v3, vcc, 0, v2, vcc
	v_lshlrev_b32_e32 v3, 2, v3
	ds_bpermute_b32 v3, v3, v1
	v_add_u32_e32 v6, 1, v4
	v_cmp_gt_u32_e64 s[4:5], 62, v4
	v_cmp_lt_u32_e32 vcc, v6, v5
	v_add_u32_e32 v7, 2, v4
	s_waitcnt lgkmcnt(0)
	v_add_u16_e32 v3, v1, v3
	v_cndmask_b32_e64 v6, 0, 2, s[4:5]
	v_cndmask_b32_e32 v3, v1, v3, vcc
	v_add_lshl_u32 v6, v6, v2, 2
	ds_bpermute_b32 v6, v6, v3
	v_cmp_lt_u32_e64 s[4:5], v7, v5
	v_add_u32_e32 v7, 4, v4
	s_waitcnt lgkmcnt(0)
	v_add_u16_e32 v6, v3, v6
	v_cndmask_b32_e64 v3, v3, v6, s[4:5]
	v_cmp_gt_u32_e64 s[4:5], 60, v4
	s_nop 1
	v_cndmask_b32_e64 v6, 0, 4, s[4:5]
	v_add_lshl_u32 v6, v6, v2, 2
	ds_bpermute_b32 v6, v6, v3
	v_cmp_lt_u32_e64 s[4:5], v7, v5
	v_add_u32_e32 v7, 8, v4
	s_waitcnt lgkmcnt(0)
	v_add_u16_e32 v6, v3, v6
	v_cndmask_b32_e64 v3, v3, v6, s[4:5]
	v_cmp_gt_u32_e64 s[4:5], 56, v4
	s_nop 1
	v_cndmask_b32_e64 v6, 0, 8, s[4:5]
	v_add_lshl_u32 v6, v6, v2, 2
	ds_bpermute_b32 v6, v6, v3
	v_cmp_lt_u32_e64 s[4:5], v7, v5
	v_add_u32_e32 v7, 16, v4
	s_waitcnt lgkmcnt(0)
	v_add_u16_e32 v6, v3, v6
	v_cndmask_b32_e64 v3, v3, v6, s[4:5]
	v_cmp_gt_u32_e64 s[4:5], 48, v4
	v_add_u32_e32 v4, 32, v4
	s_nop 0
	v_cndmask_b32_e64 v6, 0, 16, s[4:5]
	v_add_lshl_u32 v6, v6, v2, 2
	ds_bpermute_b32 v6, v6, v3
	v_cmp_lt_u32_e64 s[4:5], v7, v5
	s_waitcnt lgkmcnt(0)
	v_add_u16_e32 v6, v3, v6
	v_cndmask_b32_e64 v6, v3, v6, s[4:5]
	v_lshlrev_b32_e32 v3, 2, v2
	v_or_b32_e32 v7, 0x80, v3
	ds_bpermute_b32 v7, v7, v6
	v_cmp_lt_u32_e64 s[4:5], v4, v5
	s_waitcnt lgkmcnt(0)
	s_nop 0
	v_cndmask_b32_e64 v4, 0, v7, s[4:5]
	v_add_u16_e32 v4, v6, v4
	v_cndmask_b32_e32 v1, v1, v4, vcc
	v_cmp_eq_u32_e32 vcc, 0, v2
	s_and_saveexec_b64 s[4:5], vcc
; %bb.88:
	v_lshrrev_b32_e32 v4, 5, v0
	v_and_b32_e32 v4, 2, v4
	ds_write_b16 v4, v1 offset:28
; %bb.89:
	s_or_b64 exec, exec, s[4:5]
	v_cmp_gt_u32_e32 vcc, 2, v0
	s_waitcnt lgkmcnt(0)
	s_barrier
	s_and_saveexec_b64 s[4:5], vcc
	s_cbranch_execz .LBB1064_91
; %bb.90:
	v_lshlrev_b32_e32 v1, 1, v2
	ds_read_u16 v1, v1 offset:28
	v_or_b32_e32 v3, 4, v3
	s_add_i32 s6, s6, 63
	v_and_b32_e32 v2, 1, v2
	s_lshr_b32 s6, s6, 6
	s_waitcnt lgkmcnt(0)
	v_and_b32_e32 v4, 0xffff, v1
	ds_bpermute_b32 v3, v3, v4
	v_add_u32_e32 v2, 1, v2
	v_cmp_gt_u32_e32 vcc, s6, v2
	s_waitcnt lgkmcnt(0)
	s_nop 0
	v_cndmask_b32_e32 v2, 0, v3, vcc
	v_add_u16_e32 v1, v2, v1
.LBB1064_91:
	s_or_b64 exec, exec, s[4:5]
.LBB1064_92:
	v_cmp_eq_u32_e64 s[4:5], 0, v0
	s_branch .LBB1064_119
.LBB1064_93:
	s_mov_b64 s[4:5], -1
                                        ; implicit-def: $vgpr1
.LBB1064_94:
	s_and_b64 vcc, exec, s[4:5]
	s_cbranch_vccz .LBB1064_100
; %bb.95:
	s_sub_i32 s4, s92, s6
	s_add_i32 s5, s97, s6
	v_add_u16_e32 v1, s5, v0
	v_or_b32_e32 v2, 0x80, v0
	v_cmp_gt_u32_e32 vcc, s4, v0
	v_add_u16_e32 v3, s5, v2
	v_or_b32_e32 v4, 0x100, v0
	v_cndmask_b32_e32 v1, 0, v1, vcc
	v_cmp_gt_u32_e32 vcc, s4, v2
	v_add_u16_e32 v5, s5, v4
	v_or_b32_e32 v6, 0x180, v0
	v_cndmask_b32_e32 v2, 0, v3, vcc
	v_cmp_gt_u32_e32 vcc, s4, v4
	v_add_u16_e32 v7, s5, v6
	s_min_u32 s6, s4, 0x80
	v_cndmask_b32_e32 v3, 0, v5, vcc
	v_cmp_gt_u32_e32 vcc, s4, v6
	v_and_b32_e32 v5, 64, v0
	v_sub_u32_e64 v5, s6, v5 clamp
	v_cndmask_b32_e32 v4, 0, v7, vcc
	v_add_u16_e32 v3, v4, v3
	v_add_u16_e32 v1, v3, v1
	;; [unrolled: 1-line block ×3, first 2 shown]
	v_mbcnt_lo_u32_b32 v2, -1, 0
	v_mbcnt_hi_u32_b32 v2, -1, v2
	v_and_b32_e32 v4, 63, v2
	v_cmp_ne_u32_e32 vcc, 63, v4
	v_add_u32_e32 v6, 1, v4
	v_cmp_gt_u32_e64 s[4:5], 62, v4
	v_addc_co_u32_e32 v3, vcc, 0, v2, vcc
	v_lshlrev_b32_e32 v3, 2, v3
	ds_bpermute_b32 v3, v3, v1
	v_cmp_lt_u32_e32 vcc, v6, v5
	v_cndmask_b32_e64 v6, 0, 2, s[4:5]
	v_add_lshl_u32 v6, v6, v2, 2
	v_add_u32_e32 v7, 2, v4
	s_waitcnt lgkmcnt(0)
	v_add_u16_e32 v3, v1, v3
	v_cndmask_b32_e32 v3, v1, v3, vcc
	ds_bpermute_b32 v6, v6, v3
	v_cmp_lt_u32_e64 s[4:5], v7, v5
	v_add_u32_e32 v7, 4, v4
	s_waitcnt lgkmcnt(0)
	v_add_u16_e32 v6, v3, v6
	v_cndmask_b32_e64 v3, v3, v6, s[4:5]
	v_cmp_gt_u32_e64 s[4:5], 60, v4
	s_nop 1
	v_cndmask_b32_e64 v6, 0, 4, s[4:5]
	v_add_lshl_u32 v6, v6, v2, 2
	ds_bpermute_b32 v6, v6, v3
	v_cmp_lt_u32_e64 s[4:5], v7, v5
	v_add_u32_e32 v7, 8, v4
	s_waitcnt lgkmcnt(0)
	v_add_u16_e32 v6, v3, v6
	v_cndmask_b32_e64 v3, v3, v6, s[4:5]
	v_cmp_gt_u32_e64 s[4:5], 56, v4
	s_nop 1
	v_cndmask_b32_e64 v6, 0, 8, s[4:5]
	v_add_lshl_u32 v6, v6, v2, 2
	ds_bpermute_b32 v6, v6, v3
	v_cmp_lt_u32_e64 s[4:5], v7, v5
	v_add_u32_e32 v7, 16, v4
	s_waitcnt lgkmcnt(0)
	v_add_u16_e32 v6, v3, v6
	v_cndmask_b32_e64 v3, v3, v6, s[4:5]
	v_cmp_gt_u32_e64 s[4:5], 48, v4
	v_add_u32_e32 v4, 32, v4
	s_nop 0
	v_cndmask_b32_e64 v6, 0, 16, s[4:5]
	v_add_lshl_u32 v6, v6, v2, 2
	ds_bpermute_b32 v6, v6, v3
	v_cmp_lt_u32_e64 s[4:5], v7, v5
	s_waitcnt lgkmcnt(0)
	v_add_u16_e32 v6, v3, v6
	v_cndmask_b32_e64 v6, v3, v6, s[4:5]
	v_lshlrev_b32_e32 v3, 2, v2
	v_or_b32_e32 v7, 0x80, v3
	ds_bpermute_b32 v7, v7, v6
	v_cmp_lt_u32_e64 s[4:5], v4, v5
	s_waitcnt lgkmcnt(0)
	s_nop 0
	v_cndmask_b32_e64 v4, 0, v7, s[4:5]
	v_add_u16_e32 v4, v6, v4
	v_cndmask_b32_e32 v1, v1, v4, vcc
	v_cmp_eq_u32_e32 vcc, 0, v2
	s_and_saveexec_b64 s[4:5], vcc
; %bb.96:
	v_lshrrev_b32_e32 v4, 5, v0
	v_and_b32_e32 v4, 2, v4
	ds_write_b16 v4, v1 offset:28
; %bb.97:
	s_or_b64 exec, exec, s[4:5]
	v_cmp_gt_u32_e32 vcc, 2, v0
	s_waitcnt lgkmcnt(0)
	s_barrier
	s_and_saveexec_b64 s[4:5], vcc
	s_cbranch_execz .LBB1064_99
; %bb.98:
	v_lshlrev_b32_e32 v1, 1, v2
	ds_read_u16 v1, v1 offset:28
	v_or_b32_e32 v3, 4, v3
	s_add_i32 s6, s6, 63
	v_and_b32_e32 v2, 1, v2
	s_lshr_b32 s6, s6, 6
	s_waitcnt lgkmcnt(0)
	v_and_b32_e32 v4, 0xffff, v1
	ds_bpermute_b32 v3, v3, v4
	v_add_u32_e32 v2, 1, v2
	v_cmp_gt_u32_e32 vcc, s6, v2
	s_waitcnt lgkmcnt(0)
	s_nop 0
	v_cndmask_b32_e32 v2, 0, v3, vcc
	v_add_u16_e32 v1, v2, v1
.LBB1064_99:
	s_or_b64 exec, exec, s[4:5]
.LBB1064_100:
	v_cmp_eq_u32_e64 s[4:5], 0, v0
.LBB1064_101:
	s_branch .LBB1064_119
.LBB1064_102:
	s_mov_b64 s[4:5], -1
                                        ; implicit-def: $vgpr1
.LBB1064_103:
	s_and_b64 vcc, exec, s[4:5]
	s_cbranch_vccz .LBB1064_109
; %bb.104:
	s_sub_i32 s4, s92, s6
	s_add_i32 s5, s97, s6
	v_add_u16_e32 v1, s5, v0
	v_or_b32_e32 v2, 0x80, v0
	v_cmp_gt_u32_e32 vcc, s4, v0
	v_add_u16_e32 v3, s5, v2
	s_min_u32 s6, s4, 0x80
	v_cndmask_b32_e32 v1, 0, v1, vcc
	v_cmp_gt_u32_e32 vcc, s4, v2
	v_and_b32_e32 v5, 64, v0
	v_sub_u32_e64 v5, s6, v5 clamp
	v_cndmask_b32_e32 v2, 0, v3, vcc
	v_add_u16_e32 v1, v1, v2
	v_mbcnt_lo_u32_b32 v2, -1, 0
	v_mbcnt_hi_u32_b32 v2, -1, v2
	v_and_b32_e32 v4, 63, v2
	v_cmp_ne_u32_e32 vcc, 63, v4
	v_add_u32_e32 v6, 1, v4
	v_cmp_gt_u32_e64 s[4:5], 62, v4
	v_addc_co_u32_e32 v3, vcc, 0, v2, vcc
	v_lshlrev_b32_e32 v3, 2, v3
	ds_bpermute_b32 v3, v3, v1
	v_cmp_lt_u32_e32 vcc, v6, v5
	v_cndmask_b32_e64 v6, 0, 2, s[4:5]
	v_add_lshl_u32 v6, v6, v2, 2
	v_add_u32_e32 v7, 2, v4
	s_waitcnt lgkmcnt(0)
	v_add_u16_e32 v3, v1, v3
	v_cndmask_b32_e32 v3, v1, v3, vcc
	ds_bpermute_b32 v6, v6, v3
	v_cmp_lt_u32_e64 s[4:5], v7, v5
	v_add_u32_e32 v7, 4, v4
	s_waitcnt lgkmcnt(0)
	v_add_u16_e32 v6, v3, v6
	v_cndmask_b32_e64 v3, v3, v6, s[4:5]
	v_cmp_gt_u32_e64 s[4:5], 60, v4
	s_nop 1
	v_cndmask_b32_e64 v6, 0, 4, s[4:5]
	v_add_lshl_u32 v6, v6, v2, 2
	ds_bpermute_b32 v6, v6, v3
	v_cmp_lt_u32_e64 s[4:5], v7, v5
	v_add_u32_e32 v7, 8, v4
	s_waitcnt lgkmcnt(0)
	v_add_u16_e32 v6, v3, v6
	v_cndmask_b32_e64 v3, v3, v6, s[4:5]
	v_cmp_gt_u32_e64 s[4:5], 56, v4
	s_nop 1
	v_cndmask_b32_e64 v6, 0, 8, s[4:5]
	v_add_lshl_u32 v6, v6, v2, 2
	ds_bpermute_b32 v6, v6, v3
	v_cmp_lt_u32_e64 s[4:5], v7, v5
	v_add_u32_e32 v7, 16, v4
	s_waitcnt lgkmcnt(0)
	v_add_u16_e32 v6, v3, v6
	v_cndmask_b32_e64 v3, v3, v6, s[4:5]
	v_cmp_gt_u32_e64 s[4:5], 48, v4
	v_add_u32_e32 v4, 32, v4
	s_nop 0
	v_cndmask_b32_e64 v6, 0, 16, s[4:5]
	v_add_lshl_u32 v6, v6, v2, 2
	ds_bpermute_b32 v6, v6, v3
	v_cmp_lt_u32_e64 s[4:5], v7, v5
	s_waitcnt lgkmcnt(0)
	v_add_u16_e32 v6, v3, v6
	v_cndmask_b32_e64 v6, v3, v6, s[4:5]
	v_lshlrev_b32_e32 v3, 2, v2
	v_or_b32_e32 v7, 0x80, v3
	ds_bpermute_b32 v7, v7, v6
	v_cmp_lt_u32_e64 s[4:5], v4, v5
	s_waitcnt lgkmcnt(0)
	s_nop 0
	v_cndmask_b32_e64 v4, 0, v7, s[4:5]
	v_add_u16_e32 v4, v6, v4
	v_cndmask_b32_e32 v1, v1, v4, vcc
	v_cmp_eq_u32_e32 vcc, 0, v2
	s_and_saveexec_b64 s[4:5], vcc
; %bb.105:
	v_lshrrev_b32_e32 v4, 5, v0
	v_and_b32_e32 v4, 2, v4
	ds_write_b16 v4, v1 offset:28
; %bb.106:
	s_or_b64 exec, exec, s[4:5]
	v_cmp_gt_u32_e32 vcc, 2, v0
	s_waitcnt lgkmcnt(0)
	s_barrier
	s_and_saveexec_b64 s[4:5], vcc
	s_cbranch_execz .LBB1064_108
; %bb.107:
	v_lshlrev_b32_e32 v1, 1, v2
	ds_read_u16 v1, v1 offset:28
	v_or_b32_e32 v3, 4, v3
	s_add_i32 s6, s6, 63
	v_and_b32_e32 v2, 1, v2
	s_lshr_b32 s6, s6, 6
	s_waitcnt lgkmcnt(0)
	v_and_b32_e32 v4, 0xffff, v1
	ds_bpermute_b32 v3, v3, v4
	v_add_u32_e32 v2, 1, v2
	v_cmp_gt_u32_e32 vcc, s6, v2
	s_waitcnt lgkmcnt(0)
	s_nop 0
	v_cndmask_b32_e32 v2, 0, v3, vcc
	v_add_u16_e32 v1, v2, v1
.LBB1064_108:
	s_or_b64 exec, exec, s[4:5]
.LBB1064_109:
	v_cmp_eq_u32_e64 s[4:5], 0, v0
	s_branch .LBB1064_119
.LBB1064_110:
	s_cmp_eq_u32 s96, 1
	s_cbranch_scc0 .LBB1064_118
; %bb.111:
	s_lshl_b32 s6, s2, 7
	s_mov_b32 s3, 0
	s_lshr_b64 s[4:5], s[92:93], 7
	s_cmp_lg_u64 s[4:5], s[2:3]
	v_add_u16_e32 v3, s6, v0
	v_mbcnt_lo_u32_b32 v2, -1, 0
	s_cbranch_scc0 .LBB1064_122
; %bb.112:
	v_add_u16_e32 v1, s97, v3
	v_mbcnt_hi_u32_b32 v4, -1, v2
	v_lshlrev_b32_e32 v5, 2, v4
	v_add_u16_dpp v1, v1, v1 quad_perm:[1,0,3,2] row_mask:0xf bank_mask:0xf bound_ctrl:1
	v_or_b32_e32 v6, 0xfc, v5
	v_cmp_eq_u32_e32 vcc, 0, v4
	v_add_u16_dpp v1, v1, v1 quad_perm:[2,3,0,1] row_mask:0xf bank_mask:0xf bound_ctrl:1
	s_nop 1
	v_add_u16_dpp v1, v1, v1 row_ror:4 row_mask:0xf bank_mask:0xf bound_ctrl:1
	s_nop 1
	v_add_u16_dpp v1, v1, v1 row_ror:8 row_mask:0xf bank_mask:0xf bound_ctrl:1
	s_nop 1
	v_add_u16_dpp v1, v1, v1 row_bcast:15 row_mask:0xf bank_mask:0xf bound_ctrl:1
	s_nop 1
	v_add_u16_dpp v1, v1, v1 row_bcast:31 row_mask:0xf bank_mask:0xf bound_ctrl:1
	ds_bpermute_b32 v1, v6, v1
	s_and_saveexec_b64 s[4:5], vcc
	s_cbranch_execz .LBB1064_114
; %bb.113:
	v_lshrrev_b32_e32 v6, 5, v0
	v_and_b32_e32 v6, 2, v6
	s_waitcnt lgkmcnt(0)
	ds_write_b16 v6, v1 offset:4
.LBB1064_114:
	s_or_b64 exec, exec, s[4:5]
	v_cmp_gt_u32_e32 vcc, 64, v0
	s_waitcnt lgkmcnt(0)
	s_barrier
	s_and_saveexec_b64 s[4:5], vcc
	s_cbranch_execz .LBB1064_116
; %bb.115:
	v_and_b32_e32 v1, 1, v4
	v_lshlrev_b32_e32 v1, 1, v1
	ds_read_u16 v1, v1 offset:4
	v_or_b32_e32 v4, 4, v5
	s_waitcnt lgkmcnt(0)
	v_and_b32_e32 v5, 0xffff, v1
	ds_bpermute_b32 v4, v4, v5
	s_waitcnt lgkmcnt(0)
	v_add_u16_e32 v1, v1, v4
.LBB1064_116:
	s_or_b64 exec, exec, s[4:5]
.LBB1064_117:
	v_cmp_eq_u32_e64 s[4:5], 0, v0
	s_and_saveexec_b64 s[6:7], s[4:5]
	s_cbranch_execnz .LBB1064_120
	s_branch .LBB1064_121
.LBB1064_118:
                                        ; implicit-def: $vgpr1
                                        ; implicit-def: $sgpr2_sgpr3
.LBB1064_119:
	s_and_saveexec_b64 s[6:7], s[4:5]
	s_cbranch_execz .LBB1064_121
.LBB1064_120:
	s_load_dword s4, s[0:1], 0x20
	s_lshl_b64 s[0:1], s[2:3], 1
	s_add_u32 s0, s94, s0
	s_addc_u32 s1, s95, s1
	s_cmp_lg_u64 s[92:93], 0
	s_cselect_b64 vcc, -1, 0
	v_cndmask_b32_e32 v1, 0, v1, vcc
	v_mov_b32_e32 v0, 0
	s_waitcnt lgkmcnt(0)
	v_add_u16_e32 v1, s4, v1
	global_store_short v0, v1, s[0:1]
.LBB1064_121:
	s_endpgm
.LBB1064_122:
                                        ; implicit-def: $vgpr1
	s_cbranch_execz .LBB1064_117
; %bb.123:
	v_mbcnt_hi_u32_b32 v2, -1, v2
	v_and_b32_e32 v4, 63, v2
	v_cmp_ne_u32_e32 vcc, 63, v4
	v_add_u16_e32 v1, s97, v3
	s_sub_i32 s4, s92, s6
	v_addc_co_u32_e32 v3, vcc, 0, v2, vcc
	v_lshlrev_b32_e32 v3, 2, v3
	ds_bpermute_b32 v3, v3, v1
	s_min_u32 s6, s4, 0x80
	v_and_b32_e32 v5, 64, v0
	v_sub_u32_e64 v5, s6, v5 clamp
	v_add_u32_e32 v6, 1, v4
	v_cmp_gt_u32_e64 s[4:5], 62, v4
	s_waitcnt lgkmcnt(0)
	v_add_u16_e32 v3, v1, v3
	v_cmp_lt_u32_e32 vcc, v6, v5
	v_cndmask_b32_e64 v6, 0, 2, s[4:5]
	v_add_lshl_u32 v6, v6, v2, 2
	v_cndmask_b32_e32 v3, v1, v3, vcc
	ds_bpermute_b32 v6, v6, v3
	v_add_u32_e32 v7, 2, v4
	v_cmp_lt_u32_e64 s[4:5], v7, v5
	v_add_u32_e32 v7, 4, v4
	s_waitcnt lgkmcnt(0)
	v_add_u16_e32 v6, v3, v6
	v_cndmask_b32_e64 v3, v3, v6, s[4:5]
	v_cmp_gt_u32_e64 s[4:5], 60, v4
	s_nop 1
	v_cndmask_b32_e64 v6, 0, 4, s[4:5]
	v_add_lshl_u32 v6, v6, v2, 2
	ds_bpermute_b32 v6, v6, v3
	v_cmp_lt_u32_e64 s[4:5], v7, v5
	v_add_u32_e32 v7, 8, v4
	s_waitcnt lgkmcnt(0)
	v_add_u16_e32 v6, v3, v6
	v_cndmask_b32_e64 v3, v3, v6, s[4:5]
	v_cmp_gt_u32_e64 s[4:5], 56, v4
	s_nop 1
	v_cndmask_b32_e64 v6, 0, 8, s[4:5]
	v_add_lshl_u32 v6, v6, v2, 2
	ds_bpermute_b32 v6, v6, v3
	v_cmp_lt_u32_e64 s[4:5], v7, v5
	v_add_u32_e32 v7, 16, v4
	s_waitcnt lgkmcnt(0)
	v_add_u16_e32 v6, v3, v6
	v_cndmask_b32_e64 v3, v3, v6, s[4:5]
	v_cmp_gt_u32_e64 s[4:5], 48, v4
	v_add_u32_e32 v4, 32, v4
	s_nop 0
	v_cndmask_b32_e64 v6, 0, 16, s[4:5]
	v_add_lshl_u32 v6, v6, v2, 2
	ds_bpermute_b32 v6, v6, v3
	v_cmp_lt_u32_e64 s[4:5], v7, v5
	s_waitcnt lgkmcnt(0)
	v_add_u16_e32 v6, v3, v6
	v_cndmask_b32_e64 v6, v3, v6, s[4:5]
	v_lshlrev_b32_e32 v3, 2, v2
	v_or_b32_e32 v7, 0x80, v3
	ds_bpermute_b32 v7, v7, v6
	v_cmp_lt_u32_e64 s[4:5], v4, v5
	s_waitcnt lgkmcnt(0)
	s_nop 0
	v_cndmask_b32_e64 v4, 0, v7, s[4:5]
	v_add_u16_e32 v4, v6, v4
	v_cndmask_b32_e32 v1, v1, v4, vcc
	v_cmp_eq_u32_e32 vcc, 0, v2
	s_and_saveexec_b64 s[4:5], vcc
; %bb.124:
	v_lshrrev_b32_e32 v4, 5, v0
	v_and_b32_e32 v4, 2, v4
	ds_write_b16 v4, v1 offset:28
; %bb.125:
	s_or_b64 exec, exec, s[4:5]
	v_cmp_gt_u32_e32 vcc, 2, v0
	s_waitcnt lgkmcnt(0)
	s_barrier
	s_and_saveexec_b64 s[4:5], vcc
	s_cbranch_execz .LBB1064_127
; %bb.126:
	v_lshlrev_b32_e32 v1, 1, v2
	ds_read_u16 v1, v1 offset:28
	v_or_b32_e32 v3, 4, v3
	s_add_i32 s6, s6, 63
	v_and_b32_e32 v2, 1, v2
	s_lshr_b32 s6, s6, 6
	s_waitcnt lgkmcnt(0)
	v_and_b32_e32 v4, 0xffff, v1
	ds_bpermute_b32 v3, v3, v4
	v_add_u32_e32 v2, 1, v2
	v_cmp_gt_u32_e32 vcc, s6, v2
	s_waitcnt lgkmcnt(0)
	s_nop 0
	v_cndmask_b32_e32 v2, 0, v3, vcc
	v_add_u16_e32 v1, v2, v1
.LBB1064_127:
	s_or_b64 exec, exec, s[4:5]
	v_cmp_eq_u32_e64 s[4:5], 0, v0
	s_and_saveexec_b64 s[6:7], s[4:5]
	s_cbranch_execnz .LBB1064_120
	s_branch .LBB1064_121
	.section	.rodata,"a",@progbits
	.p2align	6, 0x0
	.amdhsa_kernel _ZN7rocprim17ROCPRIM_400000_NS6detail17trampoline_kernelINS0_14default_configENS1_22reduce_config_selectorItEEZNS1_11reduce_implILb1ES3_N6thrust23THRUST_200600_302600_NS17counting_iteratorItNS8_11hip_rocprim3tagENS8_11use_defaultESC_EEPttNS8_4plusItEEEE10hipError_tPvRmT1_T2_T3_mT4_P12ihipStream_tbEUlT_E1_NS1_11comp_targetILNS1_3genE0ELNS1_11target_archE4294967295ELNS1_3gpuE0ELNS1_3repE0EEENS1_30default_config_static_selectorELNS0_4arch9wavefront6targetE1EEEvSK_
		.amdhsa_group_segment_fixed_size 32
		.amdhsa_private_segment_fixed_size 0
		.amdhsa_kernarg_size 40
		.amdhsa_user_sgpr_count 2
		.amdhsa_user_sgpr_dispatch_ptr 0
		.amdhsa_user_sgpr_queue_ptr 0
		.amdhsa_user_sgpr_kernarg_segment_ptr 1
		.amdhsa_user_sgpr_dispatch_id 0
		.amdhsa_user_sgpr_kernarg_preload_length 0
		.amdhsa_user_sgpr_kernarg_preload_offset 0
		.amdhsa_user_sgpr_private_segment_size 0
		.amdhsa_uses_dynamic_stack 0
		.amdhsa_enable_private_segment 0
		.amdhsa_system_sgpr_workgroup_id_x 1
		.amdhsa_system_sgpr_workgroup_id_y 0
		.amdhsa_system_sgpr_workgroup_id_z 0
		.amdhsa_system_sgpr_workgroup_info 0
		.amdhsa_system_vgpr_workitem_id 0
		.amdhsa_next_free_vgpr 60
		.amdhsa_next_free_sgpr 100
		.amdhsa_accum_offset 60
		.amdhsa_reserve_vcc 1
		.amdhsa_float_round_mode_32 0
		.amdhsa_float_round_mode_16_64 0
		.amdhsa_float_denorm_mode_32 3
		.amdhsa_float_denorm_mode_16_64 3
		.amdhsa_dx10_clamp 1
		.amdhsa_ieee_mode 1
		.amdhsa_fp16_overflow 0
		.amdhsa_tg_split 0
		.amdhsa_exception_fp_ieee_invalid_op 0
		.amdhsa_exception_fp_denorm_src 0
		.amdhsa_exception_fp_ieee_div_zero 0
		.amdhsa_exception_fp_ieee_overflow 0
		.amdhsa_exception_fp_ieee_underflow 0
		.amdhsa_exception_fp_ieee_inexact 0
		.amdhsa_exception_int_div_zero 0
	.end_amdhsa_kernel
	.section	.text._ZN7rocprim17ROCPRIM_400000_NS6detail17trampoline_kernelINS0_14default_configENS1_22reduce_config_selectorItEEZNS1_11reduce_implILb1ES3_N6thrust23THRUST_200600_302600_NS17counting_iteratorItNS8_11hip_rocprim3tagENS8_11use_defaultESC_EEPttNS8_4plusItEEEE10hipError_tPvRmT1_T2_T3_mT4_P12ihipStream_tbEUlT_E1_NS1_11comp_targetILNS1_3genE0ELNS1_11target_archE4294967295ELNS1_3gpuE0ELNS1_3repE0EEENS1_30default_config_static_selectorELNS0_4arch9wavefront6targetE1EEEvSK_,"axG",@progbits,_ZN7rocprim17ROCPRIM_400000_NS6detail17trampoline_kernelINS0_14default_configENS1_22reduce_config_selectorItEEZNS1_11reduce_implILb1ES3_N6thrust23THRUST_200600_302600_NS17counting_iteratorItNS8_11hip_rocprim3tagENS8_11use_defaultESC_EEPttNS8_4plusItEEEE10hipError_tPvRmT1_T2_T3_mT4_P12ihipStream_tbEUlT_E1_NS1_11comp_targetILNS1_3genE0ELNS1_11target_archE4294967295ELNS1_3gpuE0ELNS1_3repE0EEENS1_30default_config_static_selectorELNS0_4arch9wavefront6targetE1EEEvSK_,comdat
.Lfunc_end1064:
	.size	_ZN7rocprim17ROCPRIM_400000_NS6detail17trampoline_kernelINS0_14default_configENS1_22reduce_config_selectorItEEZNS1_11reduce_implILb1ES3_N6thrust23THRUST_200600_302600_NS17counting_iteratorItNS8_11hip_rocprim3tagENS8_11use_defaultESC_EEPttNS8_4plusItEEEE10hipError_tPvRmT1_T2_T3_mT4_P12ihipStream_tbEUlT_E1_NS1_11comp_targetILNS1_3genE0ELNS1_11target_archE4294967295ELNS1_3gpuE0ELNS1_3repE0EEENS1_30default_config_static_selectorELNS0_4arch9wavefront6targetE1EEEvSK_, .Lfunc_end1064-_ZN7rocprim17ROCPRIM_400000_NS6detail17trampoline_kernelINS0_14default_configENS1_22reduce_config_selectorItEEZNS1_11reduce_implILb1ES3_N6thrust23THRUST_200600_302600_NS17counting_iteratorItNS8_11hip_rocprim3tagENS8_11use_defaultESC_EEPttNS8_4plusItEEEE10hipError_tPvRmT1_T2_T3_mT4_P12ihipStream_tbEUlT_E1_NS1_11comp_targetILNS1_3genE0ELNS1_11target_archE4294967295ELNS1_3gpuE0ELNS1_3repE0EEENS1_30default_config_static_selectorELNS0_4arch9wavefront6targetE1EEEvSK_
                                        ; -- End function
	.set _ZN7rocprim17ROCPRIM_400000_NS6detail17trampoline_kernelINS0_14default_configENS1_22reduce_config_selectorItEEZNS1_11reduce_implILb1ES3_N6thrust23THRUST_200600_302600_NS17counting_iteratorItNS8_11hip_rocprim3tagENS8_11use_defaultESC_EEPttNS8_4plusItEEEE10hipError_tPvRmT1_T2_T3_mT4_P12ihipStream_tbEUlT_E1_NS1_11comp_targetILNS1_3genE0ELNS1_11target_archE4294967295ELNS1_3gpuE0ELNS1_3repE0EEENS1_30default_config_static_selectorELNS0_4arch9wavefront6targetE1EEEvSK_.num_vgpr, 60
	.set _ZN7rocprim17ROCPRIM_400000_NS6detail17trampoline_kernelINS0_14default_configENS1_22reduce_config_selectorItEEZNS1_11reduce_implILb1ES3_N6thrust23THRUST_200600_302600_NS17counting_iteratorItNS8_11hip_rocprim3tagENS8_11use_defaultESC_EEPttNS8_4plusItEEEE10hipError_tPvRmT1_T2_T3_mT4_P12ihipStream_tbEUlT_E1_NS1_11comp_targetILNS1_3genE0ELNS1_11target_archE4294967295ELNS1_3gpuE0ELNS1_3repE0EEENS1_30default_config_static_selectorELNS0_4arch9wavefront6targetE1EEEvSK_.num_agpr, 0
	.set _ZN7rocprim17ROCPRIM_400000_NS6detail17trampoline_kernelINS0_14default_configENS1_22reduce_config_selectorItEEZNS1_11reduce_implILb1ES3_N6thrust23THRUST_200600_302600_NS17counting_iteratorItNS8_11hip_rocprim3tagENS8_11use_defaultESC_EEPttNS8_4plusItEEEE10hipError_tPvRmT1_T2_T3_mT4_P12ihipStream_tbEUlT_E1_NS1_11comp_targetILNS1_3genE0ELNS1_11target_archE4294967295ELNS1_3gpuE0ELNS1_3repE0EEENS1_30default_config_static_selectorELNS0_4arch9wavefront6targetE1EEEvSK_.numbered_sgpr, 100
	.set _ZN7rocprim17ROCPRIM_400000_NS6detail17trampoline_kernelINS0_14default_configENS1_22reduce_config_selectorItEEZNS1_11reduce_implILb1ES3_N6thrust23THRUST_200600_302600_NS17counting_iteratorItNS8_11hip_rocprim3tagENS8_11use_defaultESC_EEPttNS8_4plusItEEEE10hipError_tPvRmT1_T2_T3_mT4_P12ihipStream_tbEUlT_E1_NS1_11comp_targetILNS1_3genE0ELNS1_11target_archE4294967295ELNS1_3gpuE0ELNS1_3repE0EEENS1_30default_config_static_selectorELNS0_4arch9wavefront6targetE1EEEvSK_.num_named_barrier, 0
	.set _ZN7rocprim17ROCPRIM_400000_NS6detail17trampoline_kernelINS0_14default_configENS1_22reduce_config_selectorItEEZNS1_11reduce_implILb1ES3_N6thrust23THRUST_200600_302600_NS17counting_iteratorItNS8_11hip_rocprim3tagENS8_11use_defaultESC_EEPttNS8_4plusItEEEE10hipError_tPvRmT1_T2_T3_mT4_P12ihipStream_tbEUlT_E1_NS1_11comp_targetILNS1_3genE0ELNS1_11target_archE4294967295ELNS1_3gpuE0ELNS1_3repE0EEENS1_30default_config_static_selectorELNS0_4arch9wavefront6targetE1EEEvSK_.private_seg_size, 0
	.set _ZN7rocprim17ROCPRIM_400000_NS6detail17trampoline_kernelINS0_14default_configENS1_22reduce_config_selectorItEEZNS1_11reduce_implILb1ES3_N6thrust23THRUST_200600_302600_NS17counting_iteratorItNS8_11hip_rocprim3tagENS8_11use_defaultESC_EEPttNS8_4plusItEEEE10hipError_tPvRmT1_T2_T3_mT4_P12ihipStream_tbEUlT_E1_NS1_11comp_targetILNS1_3genE0ELNS1_11target_archE4294967295ELNS1_3gpuE0ELNS1_3repE0EEENS1_30default_config_static_selectorELNS0_4arch9wavefront6targetE1EEEvSK_.uses_vcc, 1
	.set _ZN7rocprim17ROCPRIM_400000_NS6detail17trampoline_kernelINS0_14default_configENS1_22reduce_config_selectorItEEZNS1_11reduce_implILb1ES3_N6thrust23THRUST_200600_302600_NS17counting_iteratorItNS8_11hip_rocprim3tagENS8_11use_defaultESC_EEPttNS8_4plusItEEEE10hipError_tPvRmT1_T2_T3_mT4_P12ihipStream_tbEUlT_E1_NS1_11comp_targetILNS1_3genE0ELNS1_11target_archE4294967295ELNS1_3gpuE0ELNS1_3repE0EEENS1_30default_config_static_selectorELNS0_4arch9wavefront6targetE1EEEvSK_.uses_flat_scratch, 0
	.set _ZN7rocprim17ROCPRIM_400000_NS6detail17trampoline_kernelINS0_14default_configENS1_22reduce_config_selectorItEEZNS1_11reduce_implILb1ES3_N6thrust23THRUST_200600_302600_NS17counting_iteratorItNS8_11hip_rocprim3tagENS8_11use_defaultESC_EEPttNS8_4plusItEEEE10hipError_tPvRmT1_T2_T3_mT4_P12ihipStream_tbEUlT_E1_NS1_11comp_targetILNS1_3genE0ELNS1_11target_archE4294967295ELNS1_3gpuE0ELNS1_3repE0EEENS1_30default_config_static_selectorELNS0_4arch9wavefront6targetE1EEEvSK_.has_dyn_sized_stack, 0
	.set _ZN7rocprim17ROCPRIM_400000_NS6detail17trampoline_kernelINS0_14default_configENS1_22reduce_config_selectorItEEZNS1_11reduce_implILb1ES3_N6thrust23THRUST_200600_302600_NS17counting_iteratorItNS8_11hip_rocprim3tagENS8_11use_defaultESC_EEPttNS8_4plusItEEEE10hipError_tPvRmT1_T2_T3_mT4_P12ihipStream_tbEUlT_E1_NS1_11comp_targetILNS1_3genE0ELNS1_11target_archE4294967295ELNS1_3gpuE0ELNS1_3repE0EEENS1_30default_config_static_selectorELNS0_4arch9wavefront6targetE1EEEvSK_.has_recursion, 0
	.set _ZN7rocprim17ROCPRIM_400000_NS6detail17trampoline_kernelINS0_14default_configENS1_22reduce_config_selectorItEEZNS1_11reduce_implILb1ES3_N6thrust23THRUST_200600_302600_NS17counting_iteratorItNS8_11hip_rocprim3tagENS8_11use_defaultESC_EEPttNS8_4plusItEEEE10hipError_tPvRmT1_T2_T3_mT4_P12ihipStream_tbEUlT_E1_NS1_11comp_targetILNS1_3genE0ELNS1_11target_archE4294967295ELNS1_3gpuE0ELNS1_3repE0EEENS1_30default_config_static_selectorELNS0_4arch9wavefront6targetE1EEEvSK_.has_indirect_call, 0
	.section	.AMDGPU.csdata,"",@progbits
; Kernel info:
; codeLenInByte = 10404
; TotalNumSgprs: 106
; NumVgprs: 60
; NumAgprs: 0
; TotalNumVgprs: 60
; ScratchSize: 0
; MemoryBound: 0
; FloatMode: 240
; IeeeMode: 1
; LDSByteSize: 32 bytes/workgroup (compile time only)
; SGPRBlocks: 13
; VGPRBlocks: 7
; NumSGPRsForWavesPerEU: 106
; NumVGPRsForWavesPerEU: 60
; AccumOffset: 60
; Occupancy: 7
; WaveLimiterHint : 0
; COMPUTE_PGM_RSRC2:SCRATCH_EN: 0
; COMPUTE_PGM_RSRC2:USER_SGPR: 2
; COMPUTE_PGM_RSRC2:TRAP_HANDLER: 0
; COMPUTE_PGM_RSRC2:TGID_X_EN: 1
; COMPUTE_PGM_RSRC2:TGID_Y_EN: 0
; COMPUTE_PGM_RSRC2:TGID_Z_EN: 0
; COMPUTE_PGM_RSRC2:TIDIG_COMP_CNT: 0
; COMPUTE_PGM_RSRC3_GFX90A:ACCUM_OFFSET: 14
; COMPUTE_PGM_RSRC3_GFX90A:TG_SPLIT: 0
	.section	.text._ZN7rocprim17ROCPRIM_400000_NS6detail17trampoline_kernelINS0_14default_configENS1_22reduce_config_selectorItEEZNS1_11reduce_implILb1ES3_N6thrust23THRUST_200600_302600_NS17counting_iteratorItNS8_11hip_rocprim3tagENS8_11use_defaultESC_EEPttNS8_4plusItEEEE10hipError_tPvRmT1_T2_T3_mT4_P12ihipStream_tbEUlT_E1_NS1_11comp_targetILNS1_3genE5ELNS1_11target_archE942ELNS1_3gpuE9ELNS1_3repE0EEENS1_30default_config_static_selectorELNS0_4arch9wavefront6targetE1EEEvSK_,"axG",@progbits,_ZN7rocprim17ROCPRIM_400000_NS6detail17trampoline_kernelINS0_14default_configENS1_22reduce_config_selectorItEEZNS1_11reduce_implILb1ES3_N6thrust23THRUST_200600_302600_NS17counting_iteratorItNS8_11hip_rocprim3tagENS8_11use_defaultESC_EEPttNS8_4plusItEEEE10hipError_tPvRmT1_T2_T3_mT4_P12ihipStream_tbEUlT_E1_NS1_11comp_targetILNS1_3genE5ELNS1_11target_archE942ELNS1_3gpuE9ELNS1_3repE0EEENS1_30default_config_static_selectorELNS0_4arch9wavefront6targetE1EEEvSK_,comdat
	.protected	_ZN7rocprim17ROCPRIM_400000_NS6detail17trampoline_kernelINS0_14default_configENS1_22reduce_config_selectorItEEZNS1_11reduce_implILb1ES3_N6thrust23THRUST_200600_302600_NS17counting_iteratorItNS8_11hip_rocprim3tagENS8_11use_defaultESC_EEPttNS8_4plusItEEEE10hipError_tPvRmT1_T2_T3_mT4_P12ihipStream_tbEUlT_E1_NS1_11comp_targetILNS1_3genE5ELNS1_11target_archE942ELNS1_3gpuE9ELNS1_3repE0EEENS1_30default_config_static_selectorELNS0_4arch9wavefront6targetE1EEEvSK_ ; -- Begin function _ZN7rocprim17ROCPRIM_400000_NS6detail17trampoline_kernelINS0_14default_configENS1_22reduce_config_selectorItEEZNS1_11reduce_implILb1ES3_N6thrust23THRUST_200600_302600_NS17counting_iteratorItNS8_11hip_rocprim3tagENS8_11use_defaultESC_EEPttNS8_4plusItEEEE10hipError_tPvRmT1_T2_T3_mT4_P12ihipStream_tbEUlT_E1_NS1_11comp_targetILNS1_3genE5ELNS1_11target_archE942ELNS1_3gpuE9ELNS1_3repE0EEENS1_30default_config_static_selectorELNS0_4arch9wavefront6targetE1EEEvSK_
	.globl	_ZN7rocprim17ROCPRIM_400000_NS6detail17trampoline_kernelINS0_14default_configENS1_22reduce_config_selectorItEEZNS1_11reduce_implILb1ES3_N6thrust23THRUST_200600_302600_NS17counting_iteratorItNS8_11hip_rocprim3tagENS8_11use_defaultESC_EEPttNS8_4plusItEEEE10hipError_tPvRmT1_T2_T3_mT4_P12ihipStream_tbEUlT_E1_NS1_11comp_targetILNS1_3genE5ELNS1_11target_archE942ELNS1_3gpuE9ELNS1_3repE0EEENS1_30default_config_static_selectorELNS0_4arch9wavefront6targetE1EEEvSK_
	.p2align	8
	.type	_ZN7rocprim17ROCPRIM_400000_NS6detail17trampoline_kernelINS0_14default_configENS1_22reduce_config_selectorItEEZNS1_11reduce_implILb1ES3_N6thrust23THRUST_200600_302600_NS17counting_iteratorItNS8_11hip_rocprim3tagENS8_11use_defaultESC_EEPttNS8_4plusItEEEE10hipError_tPvRmT1_T2_T3_mT4_P12ihipStream_tbEUlT_E1_NS1_11comp_targetILNS1_3genE5ELNS1_11target_archE942ELNS1_3gpuE9ELNS1_3repE0EEENS1_30default_config_static_selectorELNS0_4arch9wavefront6targetE1EEEvSK_,@function
_ZN7rocprim17ROCPRIM_400000_NS6detail17trampoline_kernelINS0_14default_configENS1_22reduce_config_selectorItEEZNS1_11reduce_implILb1ES3_N6thrust23THRUST_200600_302600_NS17counting_iteratorItNS8_11hip_rocprim3tagENS8_11use_defaultESC_EEPttNS8_4plusItEEEE10hipError_tPvRmT1_T2_T3_mT4_P12ihipStream_tbEUlT_E1_NS1_11comp_targetILNS1_3genE5ELNS1_11target_archE942ELNS1_3gpuE9ELNS1_3repE0EEENS1_30default_config_static_selectorELNS0_4arch9wavefront6targetE1EEEvSK_: ; @_ZN7rocprim17ROCPRIM_400000_NS6detail17trampoline_kernelINS0_14default_configENS1_22reduce_config_selectorItEEZNS1_11reduce_implILb1ES3_N6thrust23THRUST_200600_302600_NS17counting_iteratorItNS8_11hip_rocprim3tagENS8_11use_defaultESC_EEPttNS8_4plusItEEEE10hipError_tPvRmT1_T2_T3_mT4_P12ihipStream_tbEUlT_E1_NS1_11comp_targetILNS1_3genE5ELNS1_11target_archE942ELNS1_3gpuE9ELNS1_3repE0EEENS1_30default_config_static_selectorELNS0_4arch9wavefront6targetE1EEEvSK_
; %bb.0:
	.section	.rodata,"a",@progbits
	.p2align	6, 0x0
	.amdhsa_kernel _ZN7rocprim17ROCPRIM_400000_NS6detail17trampoline_kernelINS0_14default_configENS1_22reduce_config_selectorItEEZNS1_11reduce_implILb1ES3_N6thrust23THRUST_200600_302600_NS17counting_iteratorItNS8_11hip_rocprim3tagENS8_11use_defaultESC_EEPttNS8_4plusItEEEE10hipError_tPvRmT1_T2_T3_mT4_P12ihipStream_tbEUlT_E1_NS1_11comp_targetILNS1_3genE5ELNS1_11target_archE942ELNS1_3gpuE9ELNS1_3repE0EEENS1_30default_config_static_selectorELNS0_4arch9wavefront6targetE1EEEvSK_
		.amdhsa_group_segment_fixed_size 0
		.amdhsa_private_segment_fixed_size 0
		.amdhsa_kernarg_size 40
		.amdhsa_user_sgpr_count 2
		.amdhsa_user_sgpr_dispatch_ptr 0
		.amdhsa_user_sgpr_queue_ptr 0
		.amdhsa_user_sgpr_kernarg_segment_ptr 1
		.amdhsa_user_sgpr_dispatch_id 0
		.amdhsa_user_sgpr_kernarg_preload_length 0
		.amdhsa_user_sgpr_kernarg_preload_offset 0
		.amdhsa_user_sgpr_private_segment_size 0
		.amdhsa_uses_dynamic_stack 0
		.amdhsa_enable_private_segment 0
		.amdhsa_system_sgpr_workgroup_id_x 1
		.amdhsa_system_sgpr_workgroup_id_y 0
		.amdhsa_system_sgpr_workgroup_id_z 0
		.amdhsa_system_sgpr_workgroup_info 0
		.amdhsa_system_vgpr_workitem_id 0
		.amdhsa_next_free_vgpr 1
		.amdhsa_next_free_sgpr 0
		.amdhsa_accum_offset 4
		.amdhsa_reserve_vcc 0
		.amdhsa_float_round_mode_32 0
		.amdhsa_float_round_mode_16_64 0
		.amdhsa_float_denorm_mode_32 3
		.amdhsa_float_denorm_mode_16_64 3
		.amdhsa_dx10_clamp 1
		.amdhsa_ieee_mode 1
		.amdhsa_fp16_overflow 0
		.amdhsa_tg_split 0
		.amdhsa_exception_fp_ieee_invalid_op 0
		.amdhsa_exception_fp_denorm_src 0
		.amdhsa_exception_fp_ieee_div_zero 0
		.amdhsa_exception_fp_ieee_overflow 0
		.amdhsa_exception_fp_ieee_underflow 0
		.amdhsa_exception_fp_ieee_inexact 0
		.amdhsa_exception_int_div_zero 0
	.end_amdhsa_kernel
	.section	.text._ZN7rocprim17ROCPRIM_400000_NS6detail17trampoline_kernelINS0_14default_configENS1_22reduce_config_selectorItEEZNS1_11reduce_implILb1ES3_N6thrust23THRUST_200600_302600_NS17counting_iteratorItNS8_11hip_rocprim3tagENS8_11use_defaultESC_EEPttNS8_4plusItEEEE10hipError_tPvRmT1_T2_T3_mT4_P12ihipStream_tbEUlT_E1_NS1_11comp_targetILNS1_3genE5ELNS1_11target_archE942ELNS1_3gpuE9ELNS1_3repE0EEENS1_30default_config_static_selectorELNS0_4arch9wavefront6targetE1EEEvSK_,"axG",@progbits,_ZN7rocprim17ROCPRIM_400000_NS6detail17trampoline_kernelINS0_14default_configENS1_22reduce_config_selectorItEEZNS1_11reduce_implILb1ES3_N6thrust23THRUST_200600_302600_NS17counting_iteratorItNS8_11hip_rocprim3tagENS8_11use_defaultESC_EEPttNS8_4plusItEEEE10hipError_tPvRmT1_T2_T3_mT4_P12ihipStream_tbEUlT_E1_NS1_11comp_targetILNS1_3genE5ELNS1_11target_archE942ELNS1_3gpuE9ELNS1_3repE0EEENS1_30default_config_static_selectorELNS0_4arch9wavefront6targetE1EEEvSK_,comdat
.Lfunc_end1065:
	.size	_ZN7rocprim17ROCPRIM_400000_NS6detail17trampoline_kernelINS0_14default_configENS1_22reduce_config_selectorItEEZNS1_11reduce_implILb1ES3_N6thrust23THRUST_200600_302600_NS17counting_iteratorItNS8_11hip_rocprim3tagENS8_11use_defaultESC_EEPttNS8_4plusItEEEE10hipError_tPvRmT1_T2_T3_mT4_P12ihipStream_tbEUlT_E1_NS1_11comp_targetILNS1_3genE5ELNS1_11target_archE942ELNS1_3gpuE9ELNS1_3repE0EEENS1_30default_config_static_selectorELNS0_4arch9wavefront6targetE1EEEvSK_, .Lfunc_end1065-_ZN7rocprim17ROCPRIM_400000_NS6detail17trampoline_kernelINS0_14default_configENS1_22reduce_config_selectorItEEZNS1_11reduce_implILb1ES3_N6thrust23THRUST_200600_302600_NS17counting_iteratorItNS8_11hip_rocprim3tagENS8_11use_defaultESC_EEPttNS8_4plusItEEEE10hipError_tPvRmT1_T2_T3_mT4_P12ihipStream_tbEUlT_E1_NS1_11comp_targetILNS1_3genE5ELNS1_11target_archE942ELNS1_3gpuE9ELNS1_3repE0EEENS1_30default_config_static_selectorELNS0_4arch9wavefront6targetE1EEEvSK_
                                        ; -- End function
	.set _ZN7rocprim17ROCPRIM_400000_NS6detail17trampoline_kernelINS0_14default_configENS1_22reduce_config_selectorItEEZNS1_11reduce_implILb1ES3_N6thrust23THRUST_200600_302600_NS17counting_iteratorItNS8_11hip_rocprim3tagENS8_11use_defaultESC_EEPttNS8_4plusItEEEE10hipError_tPvRmT1_T2_T3_mT4_P12ihipStream_tbEUlT_E1_NS1_11comp_targetILNS1_3genE5ELNS1_11target_archE942ELNS1_3gpuE9ELNS1_3repE0EEENS1_30default_config_static_selectorELNS0_4arch9wavefront6targetE1EEEvSK_.num_vgpr, 0
	.set _ZN7rocprim17ROCPRIM_400000_NS6detail17trampoline_kernelINS0_14default_configENS1_22reduce_config_selectorItEEZNS1_11reduce_implILb1ES3_N6thrust23THRUST_200600_302600_NS17counting_iteratorItNS8_11hip_rocprim3tagENS8_11use_defaultESC_EEPttNS8_4plusItEEEE10hipError_tPvRmT1_T2_T3_mT4_P12ihipStream_tbEUlT_E1_NS1_11comp_targetILNS1_3genE5ELNS1_11target_archE942ELNS1_3gpuE9ELNS1_3repE0EEENS1_30default_config_static_selectorELNS0_4arch9wavefront6targetE1EEEvSK_.num_agpr, 0
	.set _ZN7rocprim17ROCPRIM_400000_NS6detail17trampoline_kernelINS0_14default_configENS1_22reduce_config_selectorItEEZNS1_11reduce_implILb1ES3_N6thrust23THRUST_200600_302600_NS17counting_iteratorItNS8_11hip_rocprim3tagENS8_11use_defaultESC_EEPttNS8_4plusItEEEE10hipError_tPvRmT1_T2_T3_mT4_P12ihipStream_tbEUlT_E1_NS1_11comp_targetILNS1_3genE5ELNS1_11target_archE942ELNS1_3gpuE9ELNS1_3repE0EEENS1_30default_config_static_selectorELNS0_4arch9wavefront6targetE1EEEvSK_.numbered_sgpr, 0
	.set _ZN7rocprim17ROCPRIM_400000_NS6detail17trampoline_kernelINS0_14default_configENS1_22reduce_config_selectorItEEZNS1_11reduce_implILb1ES3_N6thrust23THRUST_200600_302600_NS17counting_iteratorItNS8_11hip_rocprim3tagENS8_11use_defaultESC_EEPttNS8_4plusItEEEE10hipError_tPvRmT1_T2_T3_mT4_P12ihipStream_tbEUlT_E1_NS1_11comp_targetILNS1_3genE5ELNS1_11target_archE942ELNS1_3gpuE9ELNS1_3repE0EEENS1_30default_config_static_selectorELNS0_4arch9wavefront6targetE1EEEvSK_.num_named_barrier, 0
	.set _ZN7rocprim17ROCPRIM_400000_NS6detail17trampoline_kernelINS0_14default_configENS1_22reduce_config_selectorItEEZNS1_11reduce_implILb1ES3_N6thrust23THRUST_200600_302600_NS17counting_iteratorItNS8_11hip_rocprim3tagENS8_11use_defaultESC_EEPttNS8_4plusItEEEE10hipError_tPvRmT1_T2_T3_mT4_P12ihipStream_tbEUlT_E1_NS1_11comp_targetILNS1_3genE5ELNS1_11target_archE942ELNS1_3gpuE9ELNS1_3repE0EEENS1_30default_config_static_selectorELNS0_4arch9wavefront6targetE1EEEvSK_.private_seg_size, 0
	.set _ZN7rocprim17ROCPRIM_400000_NS6detail17trampoline_kernelINS0_14default_configENS1_22reduce_config_selectorItEEZNS1_11reduce_implILb1ES3_N6thrust23THRUST_200600_302600_NS17counting_iteratorItNS8_11hip_rocprim3tagENS8_11use_defaultESC_EEPttNS8_4plusItEEEE10hipError_tPvRmT1_T2_T3_mT4_P12ihipStream_tbEUlT_E1_NS1_11comp_targetILNS1_3genE5ELNS1_11target_archE942ELNS1_3gpuE9ELNS1_3repE0EEENS1_30default_config_static_selectorELNS0_4arch9wavefront6targetE1EEEvSK_.uses_vcc, 0
	.set _ZN7rocprim17ROCPRIM_400000_NS6detail17trampoline_kernelINS0_14default_configENS1_22reduce_config_selectorItEEZNS1_11reduce_implILb1ES3_N6thrust23THRUST_200600_302600_NS17counting_iteratorItNS8_11hip_rocprim3tagENS8_11use_defaultESC_EEPttNS8_4plusItEEEE10hipError_tPvRmT1_T2_T3_mT4_P12ihipStream_tbEUlT_E1_NS1_11comp_targetILNS1_3genE5ELNS1_11target_archE942ELNS1_3gpuE9ELNS1_3repE0EEENS1_30default_config_static_selectorELNS0_4arch9wavefront6targetE1EEEvSK_.uses_flat_scratch, 0
	.set _ZN7rocprim17ROCPRIM_400000_NS6detail17trampoline_kernelINS0_14default_configENS1_22reduce_config_selectorItEEZNS1_11reduce_implILb1ES3_N6thrust23THRUST_200600_302600_NS17counting_iteratorItNS8_11hip_rocprim3tagENS8_11use_defaultESC_EEPttNS8_4plusItEEEE10hipError_tPvRmT1_T2_T3_mT4_P12ihipStream_tbEUlT_E1_NS1_11comp_targetILNS1_3genE5ELNS1_11target_archE942ELNS1_3gpuE9ELNS1_3repE0EEENS1_30default_config_static_selectorELNS0_4arch9wavefront6targetE1EEEvSK_.has_dyn_sized_stack, 0
	.set _ZN7rocprim17ROCPRIM_400000_NS6detail17trampoline_kernelINS0_14default_configENS1_22reduce_config_selectorItEEZNS1_11reduce_implILb1ES3_N6thrust23THRUST_200600_302600_NS17counting_iteratorItNS8_11hip_rocprim3tagENS8_11use_defaultESC_EEPttNS8_4plusItEEEE10hipError_tPvRmT1_T2_T3_mT4_P12ihipStream_tbEUlT_E1_NS1_11comp_targetILNS1_3genE5ELNS1_11target_archE942ELNS1_3gpuE9ELNS1_3repE0EEENS1_30default_config_static_selectorELNS0_4arch9wavefront6targetE1EEEvSK_.has_recursion, 0
	.set _ZN7rocprim17ROCPRIM_400000_NS6detail17trampoline_kernelINS0_14default_configENS1_22reduce_config_selectorItEEZNS1_11reduce_implILb1ES3_N6thrust23THRUST_200600_302600_NS17counting_iteratorItNS8_11hip_rocprim3tagENS8_11use_defaultESC_EEPttNS8_4plusItEEEE10hipError_tPvRmT1_T2_T3_mT4_P12ihipStream_tbEUlT_E1_NS1_11comp_targetILNS1_3genE5ELNS1_11target_archE942ELNS1_3gpuE9ELNS1_3repE0EEENS1_30default_config_static_selectorELNS0_4arch9wavefront6targetE1EEEvSK_.has_indirect_call, 0
	.section	.AMDGPU.csdata,"",@progbits
; Kernel info:
; codeLenInByte = 0
; TotalNumSgprs: 6
; NumVgprs: 0
; NumAgprs: 0
; TotalNumVgprs: 0
; ScratchSize: 0
; MemoryBound: 0
; FloatMode: 240
; IeeeMode: 1
; LDSByteSize: 0 bytes/workgroup (compile time only)
; SGPRBlocks: 0
; VGPRBlocks: 0
; NumSGPRsForWavesPerEU: 6
; NumVGPRsForWavesPerEU: 1
; AccumOffset: 4
; Occupancy: 8
; WaveLimiterHint : 0
; COMPUTE_PGM_RSRC2:SCRATCH_EN: 0
; COMPUTE_PGM_RSRC2:USER_SGPR: 2
; COMPUTE_PGM_RSRC2:TRAP_HANDLER: 0
; COMPUTE_PGM_RSRC2:TGID_X_EN: 1
; COMPUTE_PGM_RSRC2:TGID_Y_EN: 0
; COMPUTE_PGM_RSRC2:TGID_Z_EN: 0
; COMPUTE_PGM_RSRC2:TIDIG_COMP_CNT: 0
; COMPUTE_PGM_RSRC3_GFX90A:ACCUM_OFFSET: 0
; COMPUTE_PGM_RSRC3_GFX90A:TG_SPLIT: 0
	.section	.text._ZN7rocprim17ROCPRIM_400000_NS6detail17trampoline_kernelINS0_14default_configENS1_22reduce_config_selectorItEEZNS1_11reduce_implILb1ES3_N6thrust23THRUST_200600_302600_NS17counting_iteratorItNS8_11hip_rocprim3tagENS8_11use_defaultESC_EEPttNS8_4plusItEEEE10hipError_tPvRmT1_T2_T3_mT4_P12ihipStream_tbEUlT_E1_NS1_11comp_targetILNS1_3genE4ELNS1_11target_archE910ELNS1_3gpuE8ELNS1_3repE0EEENS1_30default_config_static_selectorELNS0_4arch9wavefront6targetE1EEEvSK_,"axG",@progbits,_ZN7rocprim17ROCPRIM_400000_NS6detail17trampoline_kernelINS0_14default_configENS1_22reduce_config_selectorItEEZNS1_11reduce_implILb1ES3_N6thrust23THRUST_200600_302600_NS17counting_iteratorItNS8_11hip_rocprim3tagENS8_11use_defaultESC_EEPttNS8_4plusItEEEE10hipError_tPvRmT1_T2_T3_mT4_P12ihipStream_tbEUlT_E1_NS1_11comp_targetILNS1_3genE4ELNS1_11target_archE910ELNS1_3gpuE8ELNS1_3repE0EEENS1_30default_config_static_selectorELNS0_4arch9wavefront6targetE1EEEvSK_,comdat
	.protected	_ZN7rocprim17ROCPRIM_400000_NS6detail17trampoline_kernelINS0_14default_configENS1_22reduce_config_selectorItEEZNS1_11reduce_implILb1ES3_N6thrust23THRUST_200600_302600_NS17counting_iteratorItNS8_11hip_rocprim3tagENS8_11use_defaultESC_EEPttNS8_4plusItEEEE10hipError_tPvRmT1_T2_T3_mT4_P12ihipStream_tbEUlT_E1_NS1_11comp_targetILNS1_3genE4ELNS1_11target_archE910ELNS1_3gpuE8ELNS1_3repE0EEENS1_30default_config_static_selectorELNS0_4arch9wavefront6targetE1EEEvSK_ ; -- Begin function _ZN7rocprim17ROCPRIM_400000_NS6detail17trampoline_kernelINS0_14default_configENS1_22reduce_config_selectorItEEZNS1_11reduce_implILb1ES3_N6thrust23THRUST_200600_302600_NS17counting_iteratorItNS8_11hip_rocprim3tagENS8_11use_defaultESC_EEPttNS8_4plusItEEEE10hipError_tPvRmT1_T2_T3_mT4_P12ihipStream_tbEUlT_E1_NS1_11comp_targetILNS1_3genE4ELNS1_11target_archE910ELNS1_3gpuE8ELNS1_3repE0EEENS1_30default_config_static_selectorELNS0_4arch9wavefront6targetE1EEEvSK_
	.globl	_ZN7rocprim17ROCPRIM_400000_NS6detail17trampoline_kernelINS0_14default_configENS1_22reduce_config_selectorItEEZNS1_11reduce_implILb1ES3_N6thrust23THRUST_200600_302600_NS17counting_iteratorItNS8_11hip_rocprim3tagENS8_11use_defaultESC_EEPttNS8_4plusItEEEE10hipError_tPvRmT1_T2_T3_mT4_P12ihipStream_tbEUlT_E1_NS1_11comp_targetILNS1_3genE4ELNS1_11target_archE910ELNS1_3gpuE8ELNS1_3repE0EEENS1_30default_config_static_selectorELNS0_4arch9wavefront6targetE1EEEvSK_
	.p2align	8
	.type	_ZN7rocprim17ROCPRIM_400000_NS6detail17trampoline_kernelINS0_14default_configENS1_22reduce_config_selectorItEEZNS1_11reduce_implILb1ES3_N6thrust23THRUST_200600_302600_NS17counting_iteratorItNS8_11hip_rocprim3tagENS8_11use_defaultESC_EEPttNS8_4plusItEEEE10hipError_tPvRmT1_T2_T3_mT4_P12ihipStream_tbEUlT_E1_NS1_11comp_targetILNS1_3genE4ELNS1_11target_archE910ELNS1_3gpuE8ELNS1_3repE0EEENS1_30default_config_static_selectorELNS0_4arch9wavefront6targetE1EEEvSK_,@function
_ZN7rocprim17ROCPRIM_400000_NS6detail17trampoline_kernelINS0_14default_configENS1_22reduce_config_selectorItEEZNS1_11reduce_implILb1ES3_N6thrust23THRUST_200600_302600_NS17counting_iteratorItNS8_11hip_rocprim3tagENS8_11use_defaultESC_EEPttNS8_4plusItEEEE10hipError_tPvRmT1_T2_T3_mT4_P12ihipStream_tbEUlT_E1_NS1_11comp_targetILNS1_3genE4ELNS1_11target_archE910ELNS1_3gpuE8ELNS1_3repE0EEENS1_30default_config_static_selectorELNS0_4arch9wavefront6targetE1EEEvSK_: ; @_ZN7rocprim17ROCPRIM_400000_NS6detail17trampoline_kernelINS0_14default_configENS1_22reduce_config_selectorItEEZNS1_11reduce_implILb1ES3_N6thrust23THRUST_200600_302600_NS17counting_iteratorItNS8_11hip_rocprim3tagENS8_11use_defaultESC_EEPttNS8_4plusItEEEE10hipError_tPvRmT1_T2_T3_mT4_P12ihipStream_tbEUlT_E1_NS1_11comp_targetILNS1_3genE4ELNS1_11target_archE910ELNS1_3gpuE8ELNS1_3repE0EEENS1_30default_config_static_selectorELNS0_4arch9wavefront6targetE1EEEvSK_
; %bb.0:
	.section	.rodata,"a",@progbits
	.p2align	6, 0x0
	.amdhsa_kernel _ZN7rocprim17ROCPRIM_400000_NS6detail17trampoline_kernelINS0_14default_configENS1_22reduce_config_selectorItEEZNS1_11reduce_implILb1ES3_N6thrust23THRUST_200600_302600_NS17counting_iteratorItNS8_11hip_rocprim3tagENS8_11use_defaultESC_EEPttNS8_4plusItEEEE10hipError_tPvRmT1_T2_T3_mT4_P12ihipStream_tbEUlT_E1_NS1_11comp_targetILNS1_3genE4ELNS1_11target_archE910ELNS1_3gpuE8ELNS1_3repE0EEENS1_30default_config_static_selectorELNS0_4arch9wavefront6targetE1EEEvSK_
		.amdhsa_group_segment_fixed_size 0
		.amdhsa_private_segment_fixed_size 0
		.amdhsa_kernarg_size 40
		.amdhsa_user_sgpr_count 2
		.amdhsa_user_sgpr_dispatch_ptr 0
		.amdhsa_user_sgpr_queue_ptr 0
		.amdhsa_user_sgpr_kernarg_segment_ptr 1
		.amdhsa_user_sgpr_dispatch_id 0
		.amdhsa_user_sgpr_kernarg_preload_length 0
		.amdhsa_user_sgpr_kernarg_preload_offset 0
		.amdhsa_user_sgpr_private_segment_size 0
		.amdhsa_uses_dynamic_stack 0
		.amdhsa_enable_private_segment 0
		.amdhsa_system_sgpr_workgroup_id_x 1
		.amdhsa_system_sgpr_workgroup_id_y 0
		.amdhsa_system_sgpr_workgroup_id_z 0
		.amdhsa_system_sgpr_workgroup_info 0
		.amdhsa_system_vgpr_workitem_id 0
		.amdhsa_next_free_vgpr 1
		.amdhsa_next_free_sgpr 0
		.amdhsa_accum_offset 4
		.amdhsa_reserve_vcc 0
		.amdhsa_float_round_mode_32 0
		.amdhsa_float_round_mode_16_64 0
		.amdhsa_float_denorm_mode_32 3
		.amdhsa_float_denorm_mode_16_64 3
		.amdhsa_dx10_clamp 1
		.amdhsa_ieee_mode 1
		.amdhsa_fp16_overflow 0
		.amdhsa_tg_split 0
		.amdhsa_exception_fp_ieee_invalid_op 0
		.amdhsa_exception_fp_denorm_src 0
		.amdhsa_exception_fp_ieee_div_zero 0
		.amdhsa_exception_fp_ieee_overflow 0
		.amdhsa_exception_fp_ieee_underflow 0
		.amdhsa_exception_fp_ieee_inexact 0
		.amdhsa_exception_int_div_zero 0
	.end_amdhsa_kernel
	.section	.text._ZN7rocprim17ROCPRIM_400000_NS6detail17trampoline_kernelINS0_14default_configENS1_22reduce_config_selectorItEEZNS1_11reduce_implILb1ES3_N6thrust23THRUST_200600_302600_NS17counting_iteratorItNS8_11hip_rocprim3tagENS8_11use_defaultESC_EEPttNS8_4plusItEEEE10hipError_tPvRmT1_T2_T3_mT4_P12ihipStream_tbEUlT_E1_NS1_11comp_targetILNS1_3genE4ELNS1_11target_archE910ELNS1_3gpuE8ELNS1_3repE0EEENS1_30default_config_static_selectorELNS0_4arch9wavefront6targetE1EEEvSK_,"axG",@progbits,_ZN7rocprim17ROCPRIM_400000_NS6detail17trampoline_kernelINS0_14default_configENS1_22reduce_config_selectorItEEZNS1_11reduce_implILb1ES3_N6thrust23THRUST_200600_302600_NS17counting_iteratorItNS8_11hip_rocprim3tagENS8_11use_defaultESC_EEPttNS8_4plusItEEEE10hipError_tPvRmT1_T2_T3_mT4_P12ihipStream_tbEUlT_E1_NS1_11comp_targetILNS1_3genE4ELNS1_11target_archE910ELNS1_3gpuE8ELNS1_3repE0EEENS1_30default_config_static_selectorELNS0_4arch9wavefront6targetE1EEEvSK_,comdat
.Lfunc_end1066:
	.size	_ZN7rocprim17ROCPRIM_400000_NS6detail17trampoline_kernelINS0_14default_configENS1_22reduce_config_selectorItEEZNS1_11reduce_implILb1ES3_N6thrust23THRUST_200600_302600_NS17counting_iteratorItNS8_11hip_rocprim3tagENS8_11use_defaultESC_EEPttNS8_4plusItEEEE10hipError_tPvRmT1_T2_T3_mT4_P12ihipStream_tbEUlT_E1_NS1_11comp_targetILNS1_3genE4ELNS1_11target_archE910ELNS1_3gpuE8ELNS1_3repE0EEENS1_30default_config_static_selectorELNS0_4arch9wavefront6targetE1EEEvSK_, .Lfunc_end1066-_ZN7rocprim17ROCPRIM_400000_NS6detail17trampoline_kernelINS0_14default_configENS1_22reduce_config_selectorItEEZNS1_11reduce_implILb1ES3_N6thrust23THRUST_200600_302600_NS17counting_iteratorItNS8_11hip_rocprim3tagENS8_11use_defaultESC_EEPttNS8_4plusItEEEE10hipError_tPvRmT1_T2_T3_mT4_P12ihipStream_tbEUlT_E1_NS1_11comp_targetILNS1_3genE4ELNS1_11target_archE910ELNS1_3gpuE8ELNS1_3repE0EEENS1_30default_config_static_selectorELNS0_4arch9wavefront6targetE1EEEvSK_
                                        ; -- End function
	.set _ZN7rocprim17ROCPRIM_400000_NS6detail17trampoline_kernelINS0_14default_configENS1_22reduce_config_selectorItEEZNS1_11reduce_implILb1ES3_N6thrust23THRUST_200600_302600_NS17counting_iteratorItNS8_11hip_rocprim3tagENS8_11use_defaultESC_EEPttNS8_4plusItEEEE10hipError_tPvRmT1_T2_T3_mT4_P12ihipStream_tbEUlT_E1_NS1_11comp_targetILNS1_3genE4ELNS1_11target_archE910ELNS1_3gpuE8ELNS1_3repE0EEENS1_30default_config_static_selectorELNS0_4arch9wavefront6targetE1EEEvSK_.num_vgpr, 0
	.set _ZN7rocprim17ROCPRIM_400000_NS6detail17trampoline_kernelINS0_14default_configENS1_22reduce_config_selectorItEEZNS1_11reduce_implILb1ES3_N6thrust23THRUST_200600_302600_NS17counting_iteratorItNS8_11hip_rocprim3tagENS8_11use_defaultESC_EEPttNS8_4plusItEEEE10hipError_tPvRmT1_T2_T3_mT4_P12ihipStream_tbEUlT_E1_NS1_11comp_targetILNS1_3genE4ELNS1_11target_archE910ELNS1_3gpuE8ELNS1_3repE0EEENS1_30default_config_static_selectorELNS0_4arch9wavefront6targetE1EEEvSK_.num_agpr, 0
	.set _ZN7rocprim17ROCPRIM_400000_NS6detail17trampoline_kernelINS0_14default_configENS1_22reduce_config_selectorItEEZNS1_11reduce_implILb1ES3_N6thrust23THRUST_200600_302600_NS17counting_iteratorItNS8_11hip_rocprim3tagENS8_11use_defaultESC_EEPttNS8_4plusItEEEE10hipError_tPvRmT1_T2_T3_mT4_P12ihipStream_tbEUlT_E1_NS1_11comp_targetILNS1_3genE4ELNS1_11target_archE910ELNS1_3gpuE8ELNS1_3repE0EEENS1_30default_config_static_selectorELNS0_4arch9wavefront6targetE1EEEvSK_.numbered_sgpr, 0
	.set _ZN7rocprim17ROCPRIM_400000_NS6detail17trampoline_kernelINS0_14default_configENS1_22reduce_config_selectorItEEZNS1_11reduce_implILb1ES3_N6thrust23THRUST_200600_302600_NS17counting_iteratorItNS8_11hip_rocprim3tagENS8_11use_defaultESC_EEPttNS8_4plusItEEEE10hipError_tPvRmT1_T2_T3_mT4_P12ihipStream_tbEUlT_E1_NS1_11comp_targetILNS1_3genE4ELNS1_11target_archE910ELNS1_3gpuE8ELNS1_3repE0EEENS1_30default_config_static_selectorELNS0_4arch9wavefront6targetE1EEEvSK_.num_named_barrier, 0
	.set _ZN7rocprim17ROCPRIM_400000_NS6detail17trampoline_kernelINS0_14default_configENS1_22reduce_config_selectorItEEZNS1_11reduce_implILb1ES3_N6thrust23THRUST_200600_302600_NS17counting_iteratorItNS8_11hip_rocprim3tagENS8_11use_defaultESC_EEPttNS8_4plusItEEEE10hipError_tPvRmT1_T2_T3_mT4_P12ihipStream_tbEUlT_E1_NS1_11comp_targetILNS1_3genE4ELNS1_11target_archE910ELNS1_3gpuE8ELNS1_3repE0EEENS1_30default_config_static_selectorELNS0_4arch9wavefront6targetE1EEEvSK_.private_seg_size, 0
	.set _ZN7rocprim17ROCPRIM_400000_NS6detail17trampoline_kernelINS0_14default_configENS1_22reduce_config_selectorItEEZNS1_11reduce_implILb1ES3_N6thrust23THRUST_200600_302600_NS17counting_iteratorItNS8_11hip_rocprim3tagENS8_11use_defaultESC_EEPttNS8_4plusItEEEE10hipError_tPvRmT1_T2_T3_mT4_P12ihipStream_tbEUlT_E1_NS1_11comp_targetILNS1_3genE4ELNS1_11target_archE910ELNS1_3gpuE8ELNS1_3repE0EEENS1_30default_config_static_selectorELNS0_4arch9wavefront6targetE1EEEvSK_.uses_vcc, 0
	.set _ZN7rocprim17ROCPRIM_400000_NS6detail17trampoline_kernelINS0_14default_configENS1_22reduce_config_selectorItEEZNS1_11reduce_implILb1ES3_N6thrust23THRUST_200600_302600_NS17counting_iteratorItNS8_11hip_rocprim3tagENS8_11use_defaultESC_EEPttNS8_4plusItEEEE10hipError_tPvRmT1_T2_T3_mT4_P12ihipStream_tbEUlT_E1_NS1_11comp_targetILNS1_3genE4ELNS1_11target_archE910ELNS1_3gpuE8ELNS1_3repE0EEENS1_30default_config_static_selectorELNS0_4arch9wavefront6targetE1EEEvSK_.uses_flat_scratch, 0
	.set _ZN7rocprim17ROCPRIM_400000_NS6detail17trampoline_kernelINS0_14default_configENS1_22reduce_config_selectorItEEZNS1_11reduce_implILb1ES3_N6thrust23THRUST_200600_302600_NS17counting_iteratorItNS8_11hip_rocprim3tagENS8_11use_defaultESC_EEPttNS8_4plusItEEEE10hipError_tPvRmT1_T2_T3_mT4_P12ihipStream_tbEUlT_E1_NS1_11comp_targetILNS1_3genE4ELNS1_11target_archE910ELNS1_3gpuE8ELNS1_3repE0EEENS1_30default_config_static_selectorELNS0_4arch9wavefront6targetE1EEEvSK_.has_dyn_sized_stack, 0
	.set _ZN7rocprim17ROCPRIM_400000_NS6detail17trampoline_kernelINS0_14default_configENS1_22reduce_config_selectorItEEZNS1_11reduce_implILb1ES3_N6thrust23THRUST_200600_302600_NS17counting_iteratorItNS8_11hip_rocprim3tagENS8_11use_defaultESC_EEPttNS8_4plusItEEEE10hipError_tPvRmT1_T2_T3_mT4_P12ihipStream_tbEUlT_E1_NS1_11comp_targetILNS1_3genE4ELNS1_11target_archE910ELNS1_3gpuE8ELNS1_3repE0EEENS1_30default_config_static_selectorELNS0_4arch9wavefront6targetE1EEEvSK_.has_recursion, 0
	.set _ZN7rocprim17ROCPRIM_400000_NS6detail17trampoline_kernelINS0_14default_configENS1_22reduce_config_selectorItEEZNS1_11reduce_implILb1ES3_N6thrust23THRUST_200600_302600_NS17counting_iteratorItNS8_11hip_rocprim3tagENS8_11use_defaultESC_EEPttNS8_4plusItEEEE10hipError_tPvRmT1_T2_T3_mT4_P12ihipStream_tbEUlT_E1_NS1_11comp_targetILNS1_3genE4ELNS1_11target_archE910ELNS1_3gpuE8ELNS1_3repE0EEENS1_30default_config_static_selectorELNS0_4arch9wavefront6targetE1EEEvSK_.has_indirect_call, 0
	.section	.AMDGPU.csdata,"",@progbits
; Kernel info:
; codeLenInByte = 0
; TotalNumSgprs: 6
; NumVgprs: 0
; NumAgprs: 0
; TotalNumVgprs: 0
; ScratchSize: 0
; MemoryBound: 0
; FloatMode: 240
; IeeeMode: 1
; LDSByteSize: 0 bytes/workgroup (compile time only)
; SGPRBlocks: 0
; VGPRBlocks: 0
; NumSGPRsForWavesPerEU: 6
; NumVGPRsForWavesPerEU: 1
; AccumOffset: 4
; Occupancy: 8
; WaveLimiterHint : 0
; COMPUTE_PGM_RSRC2:SCRATCH_EN: 0
; COMPUTE_PGM_RSRC2:USER_SGPR: 2
; COMPUTE_PGM_RSRC2:TRAP_HANDLER: 0
; COMPUTE_PGM_RSRC2:TGID_X_EN: 1
; COMPUTE_PGM_RSRC2:TGID_Y_EN: 0
; COMPUTE_PGM_RSRC2:TGID_Z_EN: 0
; COMPUTE_PGM_RSRC2:TIDIG_COMP_CNT: 0
; COMPUTE_PGM_RSRC3_GFX90A:ACCUM_OFFSET: 0
; COMPUTE_PGM_RSRC3_GFX90A:TG_SPLIT: 0
	.section	.text._ZN7rocprim17ROCPRIM_400000_NS6detail17trampoline_kernelINS0_14default_configENS1_22reduce_config_selectorItEEZNS1_11reduce_implILb1ES3_N6thrust23THRUST_200600_302600_NS17counting_iteratorItNS8_11hip_rocprim3tagENS8_11use_defaultESC_EEPttNS8_4plusItEEEE10hipError_tPvRmT1_T2_T3_mT4_P12ihipStream_tbEUlT_E1_NS1_11comp_targetILNS1_3genE3ELNS1_11target_archE908ELNS1_3gpuE7ELNS1_3repE0EEENS1_30default_config_static_selectorELNS0_4arch9wavefront6targetE1EEEvSK_,"axG",@progbits,_ZN7rocprim17ROCPRIM_400000_NS6detail17trampoline_kernelINS0_14default_configENS1_22reduce_config_selectorItEEZNS1_11reduce_implILb1ES3_N6thrust23THRUST_200600_302600_NS17counting_iteratorItNS8_11hip_rocprim3tagENS8_11use_defaultESC_EEPttNS8_4plusItEEEE10hipError_tPvRmT1_T2_T3_mT4_P12ihipStream_tbEUlT_E1_NS1_11comp_targetILNS1_3genE3ELNS1_11target_archE908ELNS1_3gpuE7ELNS1_3repE0EEENS1_30default_config_static_selectorELNS0_4arch9wavefront6targetE1EEEvSK_,comdat
	.protected	_ZN7rocprim17ROCPRIM_400000_NS6detail17trampoline_kernelINS0_14default_configENS1_22reduce_config_selectorItEEZNS1_11reduce_implILb1ES3_N6thrust23THRUST_200600_302600_NS17counting_iteratorItNS8_11hip_rocprim3tagENS8_11use_defaultESC_EEPttNS8_4plusItEEEE10hipError_tPvRmT1_T2_T3_mT4_P12ihipStream_tbEUlT_E1_NS1_11comp_targetILNS1_3genE3ELNS1_11target_archE908ELNS1_3gpuE7ELNS1_3repE0EEENS1_30default_config_static_selectorELNS0_4arch9wavefront6targetE1EEEvSK_ ; -- Begin function _ZN7rocprim17ROCPRIM_400000_NS6detail17trampoline_kernelINS0_14default_configENS1_22reduce_config_selectorItEEZNS1_11reduce_implILb1ES3_N6thrust23THRUST_200600_302600_NS17counting_iteratorItNS8_11hip_rocprim3tagENS8_11use_defaultESC_EEPttNS8_4plusItEEEE10hipError_tPvRmT1_T2_T3_mT4_P12ihipStream_tbEUlT_E1_NS1_11comp_targetILNS1_3genE3ELNS1_11target_archE908ELNS1_3gpuE7ELNS1_3repE0EEENS1_30default_config_static_selectorELNS0_4arch9wavefront6targetE1EEEvSK_
	.globl	_ZN7rocprim17ROCPRIM_400000_NS6detail17trampoline_kernelINS0_14default_configENS1_22reduce_config_selectorItEEZNS1_11reduce_implILb1ES3_N6thrust23THRUST_200600_302600_NS17counting_iteratorItNS8_11hip_rocprim3tagENS8_11use_defaultESC_EEPttNS8_4plusItEEEE10hipError_tPvRmT1_T2_T3_mT4_P12ihipStream_tbEUlT_E1_NS1_11comp_targetILNS1_3genE3ELNS1_11target_archE908ELNS1_3gpuE7ELNS1_3repE0EEENS1_30default_config_static_selectorELNS0_4arch9wavefront6targetE1EEEvSK_
	.p2align	8
	.type	_ZN7rocprim17ROCPRIM_400000_NS6detail17trampoline_kernelINS0_14default_configENS1_22reduce_config_selectorItEEZNS1_11reduce_implILb1ES3_N6thrust23THRUST_200600_302600_NS17counting_iteratorItNS8_11hip_rocprim3tagENS8_11use_defaultESC_EEPttNS8_4plusItEEEE10hipError_tPvRmT1_T2_T3_mT4_P12ihipStream_tbEUlT_E1_NS1_11comp_targetILNS1_3genE3ELNS1_11target_archE908ELNS1_3gpuE7ELNS1_3repE0EEENS1_30default_config_static_selectorELNS0_4arch9wavefront6targetE1EEEvSK_,@function
_ZN7rocprim17ROCPRIM_400000_NS6detail17trampoline_kernelINS0_14default_configENS1_22reduce_config_selectorItEEZNS1_11reduce_implILb1ES3_N6thrust23THRUST_200600_302600_NS17counting_iteratorItNS8_11hip_rocprim3tagENS8_11use_defaultESC_EEPttNS8_4plusItEEEE10hipError_tPvRmT1_T2_T3_mT4_P12ihipStream_tbEUlT_E1_NS1_11comp_targetILNS1_3genE3ELNS1_11target_archE908ELNS1_3gpuE7ELNS1_3repE0EEENS1_30default_config_static_selectorELNS0_4arch9wavefront6targetE1EEEvSK_: ; @_ZN7rocprim17ROCPRIM_400000_NS6detail17trampoline_kernelINS0_14default_configENS1_22reduce_config_selectorItEEZNS1_11reduce_implILb1ES3_N6thrust23THRUST_200600_302600_NS17counting_iteratorItNS8_11hip_rocprim3tagENS8_11use_defaultESC_EEPttNS8_4plusItEEEE10hipError_tPvRmT1_T2_T3_mT4_P12ihipStream_tbEUlT_E1_NS1_11comp_targetILNS1_3genE3ELNS1_11target_archE908ELNS1_3gpuE7ELNS1_3repE0EEENS1_30default_config_static_selectorELNS0_4arch9wavefront6targetE1EEEvSK_
; %bb.0:
	.section	.rodata,"a",@progbits
	.p2align	6, 0x0
	.amdhsa_kernel _ZN7rocprim17ROCPRIM_400000_NS6detail17trampoline_kernelINS0_14default_configENS1_22reduce_config_selectorItEEZNS1_11reduce_implILb1ES3_N6thrust23THRUST_200600_302600_NS17counting_iteratorItNS8_11hip_rocprim3tagENS8_11use_defaultESC_EEPttNS8_4plusItEEEE10hipError_tPvRmT1_T2_T3_mT4_P12ihipStream_tbEUlT_E1_NS1_11comp_targetILNS1_3genE3ELNS1_11target_archE908ELNS1_3gpuE7ELNS1_3repE0EEENS1_30default_config_static_selectorELNS0_4arch9wavefront6targetE1EEEvSK_
		.amdhsa_group_segment_fixed_size 0
		.amdhsa_private_segment_fixed_size 0
		.amdhsa_kernarg_size 40
		.amdhsa_user_sgpr_count 2
		.amdhsa_user_sgpr_dispatch_ptr 0
		.amdhsa_user_sgpr_queue_ptr 0
		.amdhsa_user_sgpr_kernarg_segment_ptr 1
		.amdhsa_user_sgpr_dispatch_id 0
		.amdhsa_user_sgpr_kernarg_preload_length 0
		.amdhsa_user_sgpr_kernarg_preload_offset 0
		.amdhsa_user_sgpr_private_segment_size 0
		.amdhsa_uses_dynamic_stack 0
		.amdhsa_enable_private_segment 0
		.amdhsa_system_sgpr_workgroup_id_x 1
		.amdhsa_system_sgpr_workgroup_id_y 0
		.amdhsa_system_sgpr_workgroup_id_z 0
		.amdhsa_system_sgpr_workgroup_info 0
		.amdhsa_system_vgpr_workitem_id 0
		.amdhsa_next_free_vgpr 1
		.amdhsa_next_free_sgpr 0
		.amdhsa_accum_offset 4
		.amdhsa_reserve_vcc 0
		.amdhsa_float_round_mode_32 0
		.amdhsa_float_round_mode_16_64 0
		.amdhsa_float_denorm_mode_32 3
		.amdhsa_float_denorm_mode_16_64 3
		.amdhsa_dx10_clamp 1
		.amdhsa_ieee_mode 1
		.amdhsa_fp16_overflow 0
		.amdhsa_tg_split 0
		.amdhsa_exception_fp_ieee_invalid_op 0
		.amdhsa_exception_fp_denorm_src 0
		.amdhsa_exception_fp_ieee_div_zero 0
		.amdhsa_exception_fp_ieee_overflow 0
		.amdhsa_exception_fp_ieee_underflow 0
		.amdhsa_exception_fp_ieee_inexact 0
		.amdhsa_exception_int_div_zero 0
	.end_amdhsa_kernel
	.section	.text._ZN7rocprim17ROCPRIM_400000_NS6detail17trampoline_kernelINS0_14default_configENS1_22reduce_config_selectorItEEZNS1_11reduce_implILb1ES3_N6thrust23THRUST_200600_302600_NS17counting_iteratorItNS8_11hip_rocprim3tagENS8_11use_defaultESC_EEPttNS8_4plusItEEEE10hipError_tPvRmT1_T2_T3_mT4_P12ihipStream_tbEUlT_E1_NS1_11comp_targetILNS1_3genE3ELNS1_11target_archE908ELNS1_3gpuE7ELNS1_3repE0EEENS1_30default_config_static_selectorELNS0_4arch9wavefront6targetE1EEEvSK_,"axG",@progbits,_ZN7rocprim17ROCPRIM_400000_NS6detail17trampoline_kernelINS0_14default_configENS1_22reduce_config_selectorItEEZNS1_11reduce_implILb1ES3_N6thrust23THRUST_200600_302600_NS17counting_iteratorItNS8_11hip_rocprim3tagENS8_11use_defaultESC_EEPttNS8_4plusItEEEE10hipError_tPvRmT1_T2_T3_mT4_P12ihipStream_tbEUlT_E1_NS1_11comp_targetILNS1_3genE3ELNS1_11target_archE908ELNS1_3gpuE7ELNS1_3repE0EEENS1_30default_config_static_selectorELNS0_4arch9wavefront6targetE1EEEvSK_,comdat
.Lfunc_end1067:
	.size	_ZN7rocprim17ROCPRIM_400000_NS6detail17trampoline_kernelINS0_14default_configENS1_22reduce_config_selectorItEEZNS1_11reduce_implILb1ES3_N6thrust23THRUST_200600_302600_NS17counting_iteratorItNS8_11hip_rocprim3tagENS8_11use_defaultESC_EEPttNS8_4plusItEEEE10hipError_tPvRmT1_T2_T3_mT4_P12ihipStream_tbEUlT_E1_NS1_11comp_targetILNS1_3genE3ELNS1_11target_archE908ELNS1_3gpuE7ELNS1_3repE0EEENS1_30default_config_static_selectorELNS0_4arch9wavefront6targetE1EEEvSK_, .Lfunc_end1067-_ZN7rocprim17ROCPRIM_400000_NS6detail17trampoline_kernelINS0_14default_configENS1_22reduce_config_selectorItEEZNS1_11reduce_implILb1ES3_N6thrust23THRUST_200600_302600_NS17counting_iteratorItNS8_11hip_rocprim3tagENS8_11use_defaultESC_EEPttNS8_4plusItEEEE10hipError_tPvRmT1_T2_T3_mT4_P12ihipStream_tbEUlT_E1_NS1_11comp_targetILNS1_3genE3ELNS1_11target_archE908ELNS1_3gpuE7ELNS1_3repE0EEENS1_30default_config_static_selectorELNS0_4arch9wavefront6targetE1EEEvSK_
                                        ; -- End function
	.set _ZN7rocprim17ROCPRIM_400000_NS6detail17trampoline_kernelINS0_14default_configENS1_22reduce_config_selectorItEEZNS1_11reduce_implILb1ES3_N6thrust23THRUST_200600_302600_NS17counting_iteratorItNS8_11hip_rocprim3tagENS8_11use_defaultESC_EEPttNS8_4plusItEEEE10hipError_tPvRmT1_T2_T3_mT4_P12ihipStream_tbEUlT_E1_NS1_11comp_targetILNS1_3genE3ELNS1_11target_archE908ELNS1_3gpuE7ELNS1_3repE0EEENS1_30default_config_static_selectorELNS0_4arch9wavefront6targetE1EEEvSK_.num_vgpr, 0
	.set _ZN7rocprim17ROCPRIM_400000_NS6detail17trampoline_kernelINS0_14default_configENS1_22reduce_config_selectorItEEZNS1_11reduce_implILb1ES3_N6thrust23THRUST_200600_302600_NS17counting_iteratorItNS8_11hip_rocprim3tagENS8_11use_defaultESC_EEPttNS8_4plusItEEEE10hipError_tPvRmT1_T2_T3_mT4_P12ihipStream_tbEUlT_E1_NS1_11comp_targetILNS1_3genE3ELNS1_11target_archE908ELNS1_3gpuE7ELNS1_3repE0EEENS1_30default_config_static_selectorELNS0_4arch9wavefront6targetE1EEEvSK_.num_agpr, 0
	.set _ZN7rocprim17ROCPRIM_400000_NS6detail17trampoline_kernelINS0_14default_configENS1_22reduce_config_selectorItEEZNS1_11reduce_implILb1ES3_N6thrust23THRUST_200600_302600_NS17counting_iteratorItNS8_11hip_rocprim3tagENS8_11use_defaultESC_EEPttNS8_4plusItEEEE10hipError_tPvRmT1_T2_T3_mT4_P12ihipStream_tbEUlT_E1_NS1_11comp_targetILNS1_3genE3ELNS1_11target_archE908ELNS1_3gpuE7ELNS1_3repE0EEENS1_30default_config_static_selectorELNS0_4arch9wavefront6targetE1EEEvSK_.numbered_sgpr, 0
	.set _ZN7rocprim17ROCPRIM_400000_NS6detail17trampoline_kernelINS0_14default_configENS1_22reduce_config_selectorItEEZNS1_11reduce_implILb1ES3_N6thrust23THRUST_200600_302600_NS17counting_iteratorItNS8_11hip_rocprim3tagENS8_11use_defaultESC_EEPttNS8_4plusItEEEE10hipError_tPvRmT1_T2_T3_mT4_P12ihipStream_tbEUlT_E1_NS1_11comp_targetILNS1_3genE3ELNS1_11target_archE908ELNS1_3gpuE7ELNS1_3repE0EEENS1_30default_config_static_selectorELNS0_4arch9wavefront6targetE1EEEvSK_.num_named_barrier, 0
	.set _ZN7rocprim17ROCPRIM_400000_NS6detail17trampoline_kernelINS0_14default_configENS1_22reduce_config_selectorItEEZNS1_11reduce_implILb1ES3_N6thrust23THRUST_200600_302600_NS17counting_iteratorItNS8_11hip_rocprim3tagENS8_11use_defaultESC_EEPttNS8_4plusItEEEE10hipError_tPvRmT1_T2_T3_mT4_P12ihipStream_tbEUlT_E1_NS1_11comp_targetILNS1_3genE3ELNS1_11target_archE908ELNS1_3gpuE7ELNS1_3repE0EEENS1_30default_config_static_selectorELNS0_4arch9wavefront6targetE1EEEvSK_.private_seg_size, 0
	.set _ZN7rocprim17ROCPRIM_400000_NS6detail17trampoline_kernelINS0_14default_configENS1_22reduce_config_selectorItEEZNS1_11reduce_implILb1ES3_N6thrust23THRUST_200600_302600_NS17counting_iteratorItNS8_11hip_rocprim3tagENS8_11use_defaultESC_EEPttNS8_4plusItEEEE10hipError_tPvRmT1_T2_T3_mT4_P12ihipStream_tbEUlT_E1_NS1_11comp_targetILNS1_3genE3ELNS1_11target_archE908ELNS1_3gpuE7ELNS1_3repE0EEENS1_30default_config_static_selectorELNS0_4arch9wavefront6targetE1EEEvSK_.uses_vcc, 0
	.set _ZN7rocprim17ROCPRIM_400000_NS6detail17trampoline_kernelINS0_14default_configENS1_22reduce_config_selectorItEEZNS1_11reduce_implILb1ES3_N6thrust23THRUST_200600_302600_NS17counting_iteratorItNS8_11hip_rocprim3tagENS8_11use_defaultESC_EEPttNS8_4plusItEEEE10hipError_tPvRmT1_T2_T3_mT4_P12ihipStream_tbEUlT_E1_NS1_11comp_targetILNS1_3genE3ELNS1_11target_archE908ELNS1_3gpuE7ELNS1_3repE0EEENS1_30default_config_static_selectorELNS0_4arch9wavefront6targetE1EEEvSK_.uses_flat_scratch, 0
	.set _ZN7rocprim17ROCPRIM_400000_NS6detail17trampoline_kernelINS0_14default_configENS1_22reduce_config_selectorItEEZNS1_11reduce_implILb1ES3_N6thrust23THRUST_200600_302600_NS17counting_iteratorItNS8_11hip_rocprim3tagENS8_11use_defaultESC_EEPttNS8_4plusItEEEE10hipError_tPvRmT1_T2_T3_mT4_P12ihipStream_tbEUlT_E1_NS1_11comp_targetILNS1_3genE3ELNS1_11target_archE908ELNS1_3gpuE7ELNS1_3repE0EEENS1_30default_config_static_selectorELNS0_4arch9wavefront6targetE1EEEvSK_.has_dyn_sized_stack, 0
	.set _ZN7rocprim17ROCPRIM_400000_NS6detail17trampoline_kernelINS0_14default_configENS1_22reduce_config_selectorItEEZNS1_11reduce_implILb1ES3_N6thrust23THRUST_200600_302600_NS17counting_iteratorItNS8_11hip_rocprim3tagENS8_11use_defaultESC_EEPttNS8_4plusItEEEE10hipError_tPvRmT1_T2_T3_mT4_P12ihipStream_tbEUlT_E1_NS1_11comp_targetILNS1_3genE3ELNS1_11target_archE908ELNS1_3gpuE7ELNS1_3repE0EEENS1_30default_config_static_selectorELNS0_4arch9wavefront6targetE1EEEvSK_.has_recursion, 0
	.set _ZN7rocprim17ROCPRIM_400000_NS6detail17trampoline_kernelINS0_14default_configENS1_22reduce_config_selectorItEEZNS1_11reduce_implILb1ES3_N6thrust23THRUST_200600_302600_NS17counting_iteratorItNS8_11hip_rocprim3tagENS8_11use_defaultESC_EEPttNS8_4plusItEEEE10hipError_tPvRmT1_T2_T3_mT4_P12ihipStream_tbEUlT_E1_NS1_11comp_targetILNS1_3genE3ELNS1_11target_archE908ELNS1_3gpuE7ELNS1_3repE0EEENS1_30default_config_static_selectorELNS0_4arch9wavefront6targetE1EEEvSK_.has_indirect_call, 0
	.section	.AMDGPU.csdata,"",@progbits
; Kernel info:
; codeLenInByte = 0
; TotalNumSgprs: 6
; NumVgprs: 0
; NumAgprs: 0
; TotalNumVgprs: 0
; ScratchSize: 0
; MemoryBound: 0
; FloatMode: 240
; IeeeMode: 1
; LDSByteSize: 0 bytes/workgroup (compile time only)
; SGPRBlocks: 0
; VGPRBlocks: 0
; NumSGPRsForWavesPerEU: 6
; NumVGPRsForWavesPerEU: 1
; AccumOffset: 4
; Occupancy: 8
; WaveLimiterHint : 0
; COMPUTE_PGM_RSRC2:SCRATCH_EN: 0
; COMPUTE_PGM_RSRC2:USER_SGPR: 2
; COMPUTE_PGM_RSRC2:TRAP_HANDLER: 0
; COMPUTE_PGM_RSRC2:TGID_X_EN: 1
; COMPUTE_PGM_RSRC2:TGID_Y_EN: 0
; COMPUTE_PGM_RSRC2:TGID_Z_EN: 0
; COMPUTE_PGM_RSRC2:TIDIG_COMP_CNT: 0
; COMPUTE_PGM_RSRC3_GFX90A:ACCUM_OFFSET: 0
; COMPUTE_PGM_RSRC3_GFX90A:TG_SPLIT: 0
	.section	.text._ZN7rocprim17ROCPRIM_400000_NS6detail17trampoline_kernelINS0_14default_configENS1_22reduce_config_selectorItEEZNS1_11reduce_implILb1ES3_N6thrust23THRUST_200600_302600_NS17counting_iteratorItNS8_11hip_rocprim3tagENS8_11use_defaultESC_EEPttNS8_4plusItEEEE10hipError_tPvRmT1_T2_T3_mT4_P12ihipStream_tbEUlT_E1_NS1_11comp_targetILNS1_3genE2ELNS1_11target_archE906ELNS1_3gpuE6ELNS1_3repE0EEENS1_30default_config_static_selectorELNS0_4arch9wavefront6targetE1EEEvSK_,"axG",@progbits,_ZN7rocprim17ROCPRIM_400000_NS6detail17trampoline_kernelINS0_14default_configENS1_22reduce_config_selectorItEEZNS1_11reduce_implILb1ES3_N6thrust23THRUST_200600_302600_NS17counting_iteratorItNS8_11hip_rocprim3tagENS8_11use_defaultESC_EEPttNS8_4plusItEEEE10hipError_tPvRmT1_T2_T3_mT4_P12ihipStream_tbEUlT_E1_NS1_11comp_targetILNS1_3genE2ELNS1_11target_archE906ELNS1_3gpuE6ELNS1_3repE0EEENS1_30default_config_static_selectorELNS0_4arch9wavefront6targetE1EEEvSK_,comdat
	.protected	_ZN7rocprim17ROCPRIM_400000_NS6detail17trampoline_kernelINS0_14default_configENS1_22reduce_config_selectorItEEZNS1_11reduce_implILb1ES3_N6thrust23THRUST_200600_302600_NS17counting_iteratorItNS8_11hip_rocprim3tagENS8_11use_defaultESC_EEPttNS8_4plusItEEEE10hipError_tPvRmT1_T2_T3_mT4_P12ihipStream_tbEUlT_E1_NS1_11comp_targetILNS1_3genE2ELNS1_11target_archE906ELNS1_3gpuE6ELNS1_3repE0EEENS1_30default_config_static_selectorELNS0_4arch9wavefront6targetE1EEEvSK_ ; -- Begin function _ZN7rocprim17ROCPRIM_400000_NS6detail17trampoline_kernelINS0_14default_configENS1_22reduce_config_selectorItEEZNS1_11reduce_implILb1ES3_N6thrust23THRUST_200600_302600_NS17counting_iteratorItNS8_11hip_rocprim3tagENS8_11use_defaultESC_EEPttNS8_4plusItEEEE10hipError_tPvRmT1_T2_T3_mT4_P12ihipStream_tbEUlT_E1_NS1_11comp_targetILNS1_3genE2ELNS1_11target_archE906ELNS1_3gpuE6ELNS1_3repE0EEENS1_30default_config_static_selectorELNS0_4arch9wavefront6targetE1EEEvSK_
	.globl	_ZN7rocprim17ROCPRIM_400000_NS6detail17trampoline_kernelINS0_14default_configENS1_22reduce_config_selectorItEEZNS1_11reduce_implILb1ES3_N6thrust23THRUST_200600_302600_NS17counting_iteratorItNS8_11hip_rocprim3tagENS8_11use_defaultESC_EEPttNS8_4plusItEEEE10hipError_tPvRmT1_T2_T3_mT4_P12ihipStream_tbEUlT_E1_NS1_11comp_targetILNS1_3genE2ELNS1_11target_archE906ELNS1_3gpuE6ELNS1_3repE0EEENS1_30default_config_static_selectorELNS0_4arch9wavefront6targetE1EEEvSK_
	.p2align	8
	.type	_ZN7rocprim17ROCPRIM_400000_NS6detail17trampoline_kernelINS0_14default_configENS1_22reduce_config_selectorItEEZNS1_11reduce_implILb1ES3_N6thrust23THRUST_200600_302600_NS17counting_iteratorItNS8_11hip_rocprim3tagENS8_11use_defaultESC_EEPttNS8_4plusItEEEE10hipError_tPvRmT1_T2_T3_mT4_P12ihipStream_tbEUlT_E1_NS1_11comp_targetILNS1_3genE2ELNS1_11target_archE906ELNS1_3gpuE6ELNS1_3repE0EEENS1_30default_config_static_selectorELNS0_4arch9wavefront6targetE1EEEvSK_,@function
_ZN7rocprim17ROCPRIM_400000_NS6detail17trampoline_kernelINS0_14default_configENS1_22reduce_config_selectorItEEZNS1_11reduce_implILb1ES3_N6thrust23THRUST_200600_302600_NS17counting_iteratorItNS8_11hip_rocprim3tagENS8_11use_defaultESC_EEPttNS8_4plusItEEEE10hipError_tPvRmT1_T2_T3_mT4_P12ihipStream_tbEUlT_E1_NS1_11comp_targetILNS1_3genE2ELNS1_11target_archE906ELNS1_3gpuE6ELNS1_3repE0EEENS1_30default_config_static_selectorELNS0_4arch9wavefront6targetE1EEEvSK_: ; @_ZN7rocprim17ROCPRIM_400000_NS6detail17trampoline_kernelINS0_14default_configENS1_22reduce_config_selectorItEEZNS1_11reduce_implILb1ES3_N6thrust23THRUST_200600_302600_NS17counting_iteratorItNS8_11hip_rocprim3tagENS8_11use_defaultESC_EEPttNS8_4plusItEEEE10hipError_tPvRmT1_T2_T3_mT4_P12ihipStream_tbEUlT_E1_NS1_11comp_targetILNS1_3genE2ELNS1_11target_archE906ELNS1_3gpuE6ELNS1_3repE0EEENS1_30default_config_static_selectorELNS0_4arch9wavefront6targetE1EEEvSK_
; %bb.0:
	.section	.rodata,"a",@progbits
	.p2align	6, 0x0
	.amdhsa_kernel _ZN7rocprim17ROCPRIM_400000_NS6detail17trampoline_kernelINS0_14default_configENS1_22reduce_config_selectorItEEZNS1_11reduce_implILb1ES3_N6thrust23THRUST_200600_302600_NS17counting_iteratorItNS8_11hip_rocprim3tagENS8_11use_defaultESC_EEPttNS8_4plusItEEEE10hipError_tPvRmT1_T2_T3_mT4_P12ihipStream_tbEUlT_E1_NS1_11comp_targetILNS1_3genE2ELNS1_11target_archE906ELNS1_3gpuE6ELNS1_3repE0EEENS1_30default_config_static_selectorELNS0_4arch9wavefront6targetE1EEEvSK_
		.amdhsa_group_segment_fixed_size 0
		.amdhsa_private_segment_fixed_size 0
		.amdhsa_kernarg_size 40
		.amdhsa_user_sgpr_count 2
		.amdhsa_user_sgpr_dispatch_ptr 0
		.amdhsa_user_sgpr_queue_ptr 0
		.amdhsa_user_sgpr_kernarg_segment_ptr 1
		.amdhsa_user_sgpr_dispatch_id 0
		.amdhsa_user_sgpr_kernarg_preload_length 0
		.amdhsa_user_sgpr_kernarg_preload_offset 0
		.amdhsa_user_sgpr_private_segment_size 0
		.amdhsa_uses_dynamic_stack 0
		.amdhsa_enable_private_segment 0
		.amdhsa_system_sgpr_workgroup_id_x 1
		.amdhsa_system_sgpr_workgroup_id_y 0
		.amdhsa_system_sgpr_workgroup_id_z 0
		.amdhsa_system_sgpr_workgroup_info 0
		.amdhsa_system_vgpr_workitem_id 0
		.amdhsa_next_free_vgpr 1
		.amdhsa_next_free_sgpr 0
		.amdhsa_accum_offset 4
		.amdhsa_reserve_vcc 0
		.amdhsa_float_round_mode_32 0
		.amdhsa_float_round_mode_16_64 0
		.amdhsa_float_denorm_mode_32 3
		.amdhsa_float_denorm_mode_16_64 3
		.amdhsa_dx10_clamp 1
		.amdhsa_ieee_mode 1
		.amdhsa_fp16_overflow 0
		.amdhsa_tg_split 0
		.amdhsa_exception_fp_ieee_invalid_op 0
		.amdhsa_exception_fp_denorm_src 0
		.amdhsa_exception_fp_ieee_div_zero 0
		.amdhsa_exception_fp_ieee_overflow 0
		.amdhsa_exception_fp_ieee_underflow 0
		.amdhsa_exception_fp_ieee_inexact 0
		.amdhsa_exception_int_div_zero 0
	.end_amdhsa_kernel
	.section	.text._ZN7rocprim17ROCPRIM_400000_NS6detail17trampoline_kernelINS0_14default_configENS1_22reduce_config_selectorItEEZNS1_11reduce_implILb1ES3_N6thrust23THRUST_200600_302600_NS17counting_iteratorItNS8_11hip_rocprim3tagENS8_11use_defaultESC_EEPttNS8_4plusItEEEE10hipError_tPvRmT1_T2_T3_mT4_P12ihipStream_tbEUlT_E1_NS1_11comp_targetILNS1_3genE2ELNS1_11target_archE906ELNS1_3gpuE6ELNS1_3repE0EEENS1_30default_config_static_selectorELNS0_4arch9wavefront6targetE1EEEvSK_,"axG",@progbits,_ZN7rocprim17ROCPRIM_400000_NS6detail17trampoline_kernelINS0_14default_configENS1_22reduce_config_selectorItEEZNS1_11reduce_implILb1ES3_N6thrust23THRUST_200600_302600_NS17counting_iteratorItNS8_11hip_rocprim3tagENS8_11use_defaultESC_EEPttNS8_4plusItEEEE10hipError_tPvRmT1_T2_T3_mT4_P12ihipStream_tbEUlT_E1_NS1_11comp_targetILNS1_3genE2ELNS1_11target_archE906ELNS1_3gpuE6ELNS1_3repE0EEENS1_30default_config_static_selectorELNS0_4arch9wavefront6targetE1EEEvSK_,comdat
.Lfunc_end1068:
	.size	_ZN7rocprim17ROCPRIM_400000_NS6detail17trampoline_kernelINS0_14default_configENS1_22reduce_config_selectorItEEZNS1_11reduce_implILb1ES3_N6thrust23THRUST_200600_302600_NS17counting_iteratorItNS8_11hip_rocprim3tagENS8_11use_defaultESC_EEPttNS8_4plusItEEEE10hipError_tPvRmT1_T2_T3_mT4_P12ihipStream_tbEUlT_E1_NS1_11comp_targetILNS1_3genE2ELNS1_11target_archE906ELNS1_3gpuE6ELNS1_3repE0EEENS1_30default_config_static_selectorELNS0_4arch9wavefront6targetE1EEEvSK_, .Lfunc_end1068-_ZN7rocprim17ROCPRIM_400000_NS6detail17trampoline_kernelINS0_14default_configENS1_22reduce_config_selectorItEEZNS1_11reduce_implILb1ES3_N6thrust23THRUST_200600_302600_NS17counting_iteratorItNS8_11hip_rocprim3tagENS8_11use_defaultESC_EEPttNS8_4plusItEEEE10hipError_tPvRmT1_T2_T3_mT4_P12ihipStream_tbEUlT_E1_NS1_11comp_targetILNS1_3genE2ELNS1_11target_archE906ELNS1_3gpuE6ELNS1_3repE0EEENS1_30default_config_static_selectorELNS0_4arch9wavefront6targetE1EEEvSK_
                                        ; -- End function
	.set _ZN7rocprim17ROCPRIM_400000_NS6detail17trampoline_kernelINS0_14default_configENS1_22reduce_config_selectorItEEZNS1_11reduce_implILb1ES3_N6thrust23THRUST_200600_302600_NS17counting_iteratorItNS8_11hip_rocprim3tagENS8_11use_defaultESC_EEPttNS8_4plusItEEEE10hipError_tPvRmT1_T2_T3_mT4_P12ihipStream_tbEUlT_E1_NS1_11comp_targetILNS1_3genE2ELNS1_11target_archE906ELNS1_3gpuE6ELNS1_3repE0EEENS1_30default_config_static_selectorELNS0_4arch9wavefront6targetE1EEEvSK_.num_vgpr, 0
	.set _ZN7rocprim17ROCPRIM_400000_NS6detail17trampoline_kernelINS0_14default_configENS1_22reduce_config_selectorItEEZNS1_11reduce_implILb1ES3_N6thrust23THRUST_200600_302600_NS17counting_iteratorItNS8_11hip_rocprim3tagENS8_11use_defaultESC_EEPttNS8_4plusItEEEE10hipError_tPvRmT1_T2_T3_mT4_P12ihipStream_tbEUlT_E1_NS1_11comp_targetILNS1_3genE2ELNS1_11target_archE906ELNS1_3gpuE6ELNS1_3repE0EEENS1_30default_config_static_selectorELNS0_4arch9wavefront6targetE1EEEvSK_.num_agpr, 0
	.set _ZN7rocprim17ROCPRIM_400000_NS6detail17trampoline_kernelINS0_14default_configENS1_22reduce_config_selectorItEEZNS1_11reduce_implILb1ES3_N6thrust23THRUST_200600_302600_NS17counting_iteratorItNS8_11hip_rocprim3tagENS8_11use_defaultESC_EEPttNS8_4plusItEEEE10hipError_tPvRmT1_T2_T3_mT4_P12ihipStream_tbEUlT_E1_NS1_11comp_targetILNS1_3genE2ELNS1_11target_archE906ELNS1_3gpuE6ELNS1_3repE0EEENS1_30default_config_static_selectorELNS0_4arch9wavefront6targetE1EEEvSK_.numbered_sgpr, 0
	.set _ZN7rocprim17ROCPRIM_400000_NS6detail17trampoline_kernelINS0_14default_configENS1_22reduce_config_selectorItEEZNS1_11reduce_implILb1ES3_N6thrust23THRUST_200600_302600_NS17counting_iteratorItNS8_11hip_rocprim3tagENS8_11use_defaultESC_EEPttNS8_4plusItEEEE10hipError_tPvRmT1_T2_T3_mT4_P12ihipStream_tbEUlT_E1_NS1_11comp_targetILNS1_3genE2ELNS1_11target_archE906ELNS1_3gpuE6ELNS1_3repE0EEENS1_30default_config_static_selectorELNS0_4arch9wavefront6targetE1EEEvSK_.num_named_barrier, 0
	.set _ZN7rocprim17ROCPRIM_400000_NS6detail17trampoline_kernelINS0_14default_configENS1_22reduce_config_selectorItEEZNS1_11reduce_implILb1ES3_N6thrust23THRUST_200600_302600_NS17counting_iteratorItNS8_11hip_rocprim3tagENS8_11use_defaultESC_EEPttNS8_4plusItEEEE10hipError_tPvRmT1_T2_T3_mT4_P12ihipStream_tbEUlT_E1_NS1_11comp_targetILNS1_3genE2ELNS1_11target_archE906ELNS1_3gpuE6ELNS1_3repE0EEENS1_30default_config_static_selectorELNS0_4arch9wavefront6targetE1EEEvSK_.private_seg_size, 0
	.set _ZN7rocprim17ROCPRIM_400000_NS6detail17trampoline_kernelINS0_14default_configENS1_22reduce_config_selectorItEEZNS1_11reduce_implILb1ES3_N6thrust23THRUST_200600_302600_NS17counting_iteratorItNS8_11hip_rocprim3tagENS8_11use_defaultESC_EEPttNS8_4plusItEEEE10hipError_tPvRmT1_T2_T3_mT4_P12ihipStream_tbEUlT_E1_NS1_11comp_targetILNS1_3genE2ELNS1_11target_archE906ELNS1_3gpuE6ELNS1_3repE0EEENS1_30default_config_static_selectorELNS0_4arch9wavefront6targetE1EEEvSK_.uses_vcc, 0
	.set _ZN7rocprim17ROCPRIM_400000_NS6detail17trampoline_kernelINS0_14default_configENS1_22reduce_config_selectorItEEZNS1_11reduce_implILb1ES3_N6thrust23THRUST_200600_302600_NS17counting_iteratorItNS8_11hip_rocprim3tagENS8_11use_defaultESC_EEPttNS8_4plusItEEEE10hipError_tPvRmT1_T2_T3_mT4_P12ihipStream_tbEUlT_E1_NS1_11comp_targetILNS1_3genE2ELNS1_11target_archE906ELNS1_3gpuE6ELNS1_3repE0EEENS1_30default_config_static_selectorELNS0_4arch9wavefront6targetE1EEEvSK_.uses_flat_scratch, 0
	.set _ZN7rocprim17ROCPRIM_400000_NS6detail17trampoline_kernelINS0_14default_configENS1_22reduce_config_selectorItEEZNS1_11reduce_implILb1ES3_N6thrust23THRUST_200600_302600_NS17counting_iteratorItNS8_11hip_rocprim3tagENS8_11use_defaultESC_EEPttNS8_4plusItEEEE10hipError_tPvRmT1_T2_T3_mT4_P12ihipStream_tbEUlT_E1_NS1_11comp_targetILNS1_3genE2ELNS1_11target_archE906ELNS1_3gpuE6ELNS1_3repE0EEENS1_30default_config_static_selectorELNS0_4arch9wavefront6targetE1EEEvSK_.has_dyn_sized_stack, 0
	.set _ZN7rocprim17ROCPRIM_400000_NS6detail17trampoline_kernelINS0_14default_configENS1_22reduce_config_selectorItEEZNS1_11reduce_implILb1ES3_N6thrust23THRUST_200600_302600_NS17counting_iteratorItNS8_11hip_rocprim3tagENS8_11use_defaultESC_EEPttNS8_4plusItEEEE10hipError_tPvRmT1_T2_T3_mT4_P12ihipStream_tbEUlT_E1_NS1_11comp_targetILNS1_3genE2ELNS1_11target_archE906ELNS1_3gpuE6ELNS1_3repE0EEENS1_30default_config_static_selectorELNS0_4arch9wavefront6targetE1EEEvSK_.has_recursion, 0
	.set _ZN7rocprim17ROCPRIM_400000_NS6detail17trampoline_kernelINS0_14default_configENS1_22reduce_config_selectorItEEZNS1_11reduce_implILb1ES3_N6thrust23THRUST_200600_302600_NS17counting_iteratorItNS8_11hip_rocprim3tagENS8_11use_defaultESC_EEPttNS8_4plusItEEEE10hipError_tPvRmT1_T2_T3_mT4_P12ihipStream_tbEUlT_E1_NS1_11comp_targetILNS1_3genE2ELNS1_11target_archE906ELNS1_3gpuE6ELNS1_3repE0EEENS1_30default_config_static_selectorELNS0_4arch9wavefront6targetE1EEEvSK_.has_indirect_call, 0
	.section	.AMDGPU.csdata,"",@progbits
; Kernel info:
; codeLenInByte = 0
; TotalNumSgprs: 6
; NumVgprs: 0
; NumAgprs: 0
; TotalNumVgprs: 0
; ScratchSize: 0
; MemoryBound: 0
; FloatMode: 240
; IeeeMode: 1
; LDSByteSize: 0 bytes/workgroup (compile time only)
; SGPRBlocks: 0
; VGPRBlocks: 0
; NumSGPRsForWavesPerEU: 6
; NumVGPRsForWavesPerEU: 1
; AccumOffset: 4
; Occupancy: 8
; WaveLimiterHint : 0
; COMPUTE_PGM_RSRC2:SCRATCH_EN: 0
; COMPUTE_PGM_RSRC2:USER_SGPR: 2
; COMPUTE_PGM_RSRC2:TRAP_HANDLER: 0
; COMPUTE_PGM_RSRC2:TGID_X_EN: 1
; COMPUTE_PGM_RSRC2:TGID_Y_EN: 0
; COMPUTE_PGM_RSRC2:TGID_Z_EN: 0
; COMPUTE_PGM_RSRC2:TIDIG_COMP_CNT: 0
; COMPUTE_PGM_RSRC3_GFX90A:ACCUM_OFFSET: 0
; COMPUTE_PGM_RSRC3_GFX90A:TG_SPLIT: 0
	.section	.text._ZN7rocprim17ROCPRIM_400000_NS6detail17trampoline_kernelINS0_14default_configENS1_22reduce_config_selectorItEEZNS1_11reduce_implILb1ES3_N6thrust23THRUST_200600_302600_NS17counting_iteratorItNS8_11hip_rocprim3tagENS8_11use_defaultESC_EEPttNS8_4plusItEEEE10hipError_tPvRmT1_T2_T3_mT4_P12ihipStream_tbEUlT_E1_NS1_11comp_targetILNS1_3genE10ELNS1_11target_archE1201ELNS1_3gpuE5ELNS1_3repE0EEENS1_30default_config_static_selectorELNS0_4arch9wavefront6targetE1EEEvSK_,"axG",@progbits,_ZN7rocprim17ROCPRIM_400000_NS6detail17trampoline_kernelINS0_14default_configENS1_22reduce_config_selectorItEEZNS1_11reduce_implILb1ES3_N6thrust23THRUST_200600_302600_NS17counting_iteratorItNS8_11hip_rocprim3tagENS8_11use_defaultESC_EEPttNS8_4plusItEEEE10hipError_tPvRmT1_T2_T3_mT4_P12ihipStream_tbEUlT_E1_NS1_11comp_targetILNS1_3genE10ELNS1_11target_archE1201ELNS1_3gpuE5ELNS1_3repE0EEENS1_30default_config_static_selectorELNS0_4arch9wavefront6targetE1EEEvSK_,comdat
	.protected	_ZN7rocprim17ROCPRIM_400000_NS6detail17trampoline_kernelINS0_14default_configENS1_22reduce_config_selectorItEEZNS1_11reduce_implILb1ES3_N6thrust23THRUST_200600_302600_NS17counting_iteratorItNS8_11hip_rocprim3tagENS8_11use_defaultESC_EEPttNS8_4plusItEEEE10hipError_tPvRmT1_T2_T3_mT4_P12ihipStream_tbEUlT_E1_NS1_11comp_targetILNS1_3genE10ELNS1_11target_archE1201ELNS1_3gpuE5ELNS1_3repE0EEENS1_30default_config_static_selectorELNS0_4arch9wavefront6targetE1EEEvSK_ ; -- Begin function _ZN7rocprim17ROCPRIM_400000_NS6detail17trampoline_kernelINS0_14default_configENS1_22reduce_config_selectorItEEZNS1_11reduce_implILb1ES3_N6thrust23THRUST_200600_302600_NS17counting_iteratorItNS8_11hip_rocprim3tagENS8_11use_defaultESC_EEPttNS8_4plusItEEEE10hipError_tPvRmT1_T2_T3_mT4_P12ihipStream_tbEUlT_E1_NS1_11comp_targetILNS1_3genE10ELNS1_11target_archE1201ELNS1_3gpuE5ELNS1_3repE0EEENS1_30default_config_static_selectorELNS0_4arch9wavefront6targetE1EEEvSK_
	.globl	_ZN7rocprim17ROCPRIM_400000_NS6detail17trampoline_kernelINS0_14default_configENS1_22reduce_config_selectorItEEZNS1_11reduce_implILb1ES3_N6thrust23THRUST_200600_302600_NS17counting_iteratorItNS8_11hip_rocprim3tagENS8_11use_defaultESC_EEPttNS8_4plusItEEEE10hipError_tPvRmT1_T2_T3_mT4_P12ihipStream_tbEUlT_E1_NS1_11comp_targetILNS1_3genE10ELNS1_11target_archE1201ELNS1_3gpuE5ELNS1_3repE0EEENS1_30default_config_static_selectorELNS0_4arch9wavefront6targetE1EEEvSK_
	.p2align	8
	.type	_ZN7rocprim17ROCPRIM_400000_NS6detail17trampoline_kernelINS0_14default_configENS1_22reduce_config_selectorItEEZNS1_11reduce_implILb1ES3_N6thrust23THRUST_200600_302600_NS17counting_iteratorItNS8_11hip_rocprim3tagENS8_11use_defaultESC_EEPttNS8_4plusItEEEE10hipError_tPvRmT1_T2_T3_mT4_P12ihipStream_tbEUlT_E1_NS1_11comp_targetILNS1_3genE10ELNS1_11target_archE1201ELNS1_3gpuE5ELNS1_3repE0EEENS1_30default_config_static_selectorELNS0_4arch9wavefront6targetE1EEEvSK_,@function
_ZN7rocprim17ROCPRIM_400000_NS6detail17trampoline_kernelINS0_14default_configENS1_22reduce_config_selectorItEEZNS1_11reduce_implILb1ES3_N6thrust23THRUST_200600_302600_NS17counting_iteratorItNS8_11hip_rocprim3tagENS8_11use_defaultESC_EEPttNS8_4plusItEEEE10hipError_tPvRmT1_T2_T3_mT4_P12ihipStream_tbEUlT_E1_NS1_11comp_targetILNS1_3genE10ELNS1_11target_archE1201ELNS1_3gpuE5ELNS1_3repE0EEENS1_30default_config_static_selectorELNS0_4arch9wavefront6targetE1EEEvSK_: ; @_ZN7rocprim17ROCPRIM_400000_NS6detail17trampoline_kernelINS0_14default_configENS1_22reduce_config_selectorItEEZNS1_11reduce_implILb1ES3_N6thrust23THRUST_200600_302600_NS17counting_iteratorItNS8_11hip_rocprim3tagENS8_11use_defaultESC_EEPttNS8_4plusItEEEE10hipError_tPvRmT1_T2_T3_mT4_P12ihipStream_tbEUlT_E1_NS1_11comp_targetILNS1_3genE10ELNS1_11target_archE1201ELNS1_3gpuE5ELNS1_3repE0EEENS1_30default_config_static_selectorELNS0_4arch9wavefront6targetE1EEEvSK_
; %bb.0:
	.section	.rodata,"a",@progbits
	.p2align	6, 0x0
	.amdhsa_kernel _ZN7rocprim17ROCPRIM_400000_NS6detail17trampoline_kernelINS0_14default_configENS1_22reduce_config_selectorItEEZNS1_11reduce_implILb1ES3_N6thrust23THRUST_200600_302600_NS17counting_iteratorItNS8_11hip_rocprim3tagENS8_11use_defaultESC_EEPttNS8_4plusItEEEE10hipError_tPvRmT1_T2_T3_mT4_P12ihipStream_tbEUlT_E1_NS1_11comp_targetILNS1_3genE10ELNS1_11target_archE1201ELNS1_3gpuE5ELNS1_3repE0EEENS1_30default_config_static_selectorELNS0_4arch9wavefront6targetE1EEEvSK_
		.amdhsa_group_segment_fixed_size 0
		.amdhsa_private_segment_fixed_size 0
		.amdhsa_kernarg_size 40
		.amdhsa_user_sgpr_count 2
		.amdhsa_user_sgpr_dispatch_ptr 0
		.amdhsa_user_sgpr_queue_ptr 0
		.amdhsa_user_sgpr_kernarg_segment_ptr 1
		.amdhsa_user_sgpr_dispatch_id 0
		.amdhsa_user_sgpr_kernarg_preload_length 0
		.amdhsa_user_sgpr_kernarg_preload_offset 0
		.amdhsa_user_sgpr_private_segment_size 0
		.amdhsa_uses_dynamic_stack 0
		.amdhsa_enable_private_segment 0
		.amdhsa_system_sgpr_workgroup_id_x 1
		.amdhsa_system_sgpr_workgroup_id_y 0
		.amdhsa_system_sgpr_workgroup_id_z 0
		.amdhsa_system_sgpr_workgroup_info 0
		.amdhsa_system_vgpr_workitem_id 0
		.amdhsa_next_free_vgpr 1
		.amdhsa_next_free_sgpr 0
		.amdhsa_accum_offset 4
		.amdhsa_reserve_vcc 0
		.amdhsa_float_round_mode_32 0
		.amdhsa_float_round_mode_16_64 0
		.amdhsa_float_denorm_mode_32 3
		.amdhsa_float_denorm_mode_16_64 3
		.amdhsa_dx10_clamp 1
		.amdhsa_ieee_mode 1
		.amdhsa_fp16_overflow 0
		.amdhsa_tg_split 0
		.amdhsa_exception_fp_ieee_invalid_op 0
		.amdhsa_exception_fp_denorm_src 0
		.amdhsa_exception_fp_ieee_div_zero 0
		.amdhsa_exception_fp_ieee_overflow 0
		.amdhsa_exception_fp_ieee_underflow 0
		.amdhsa_exception_fp_ieee_inexact 0
		.amdhsa_exception_int_div_zero 0
	.end_amdhsa_kernel
	.section	.text._ZN7rocprim17ROCPRIM_400000_NS6detail17trampoline_kernelINS0_14default_configENS1_22reduce_config_selectorItEEZNS1_11reduce_implILb1ES3_N6thrust23THRUST_200600_302600_NS17counting_iteratorItNS8_11hip_rocprim3tagENS8_11use_defaultESC_EEPttNS8_4plusItEEEE10hipError_tPvRmT1_T2_T3_mT4_P12ihipStream_tbEUlT_E1_NS1_11comp_targetILNS1_3genE10ELNS1_11target_archE1201ELNS1_3gpuE5ELNS1_3repE0EEENS1_30default_config_static_selectorELNS0_4arch9wavefront6targetE1EEEvSK_,"axG",@progbits,_ZN7rocprim17ROCPRIM_400000_NS6detail17trampoline_kernelINS0_14default_configENS1_22reduce_config_selectorItEEZNS1_11reduce_implILb1ES3_N6thrust23THRUST_200600_302600_NS17counting_iteratorItNS8_11hip_rocprim3tagENS8_11use_defaultESC_EEPttNS8_4plusItEEEE10hipError_tPvRmT1_T2_T3_mT4_P12ihipStream_tbEUlT_E1_NS1_11comp_targetILNS1_3genE10ELNS1_11target_archE1201ELNS1_3gpuE5ELNS1_3repE0EEENS1_30default_config_static_selectorELNS0_4arch9wavefront6targetE1EEEvSK_,comdat
.Lfunc_end1069:
	.size	_ZN7rocprim17ROCPRIM_400000_NS6detail17trampoline_kernelINS0_14default_configENS1_22reduce_config_selectorItEEZNS1_11reduce_implILb1ES3_N6thrust23THRUST_200600_302600_NS17counting_iteratorItNS8_11hip_rocprim3tagENS8_11use_defaultESC_EEPttNS8_4plusItEEEE10hipError_tPvRmT1_T2_T3_mT4_P12ihipStream_tbEUlT_E1_NS1_11comp_targetILNS1_3genE10ELNS1_11target_archE1201ELNS1_3gpuE5ELNS1_3repE0EEENS1_30default_config_static_selectorELNS0_4arch9wavefront6targetE1EEEvSK_, .Lfunc_end1069-_ZN7rocprim17ROCPRIM_400000_NS6detail17trampoline_kernelINS0_14default_configENS1_22reduce_config_selectorItEEZNS1_11reduce_implILb1ES3_N6thrust23THRUST_200600_302600_NS17counting_iteratorItNS8_11hip_rocprim3tagENS8_11use_defaultESC_EEPttNS8_4plusItEEEE10hipError_tPvRmT1_T2_T3_mT4_P12ihipStream_tbEUlT_E1_NS1_11comp_targetILNS1_3genE10ELNS1_11target_archE1201ELNS1_3gpuE5ELNS1_3repE0EEENS1_30default_config_static_selectorELNS0_4arch9wavefront6targetE1EEEvSK_
                                        ; -- End function
	.set _ZN7rocprim17ROCPRIM_400000_NS6detail17trampoline_kernelINS0_14default_configENS1_22reduce_config_selectorItEEZNS1_11reduce_implILb1ES3_N6thrust23THRUST_200600_302600_NS17counting_iteratorItNS8_11hip_rocprim3tagENS8_11use_defaultESC_EEPttNS8_4plusItEEEE10hipError_tPvRmT1_T2_T3_mT4_P12ihipStream_tbEUlT_E1_NS1_11comp_targetILNS1_3genE10ELNS1_11target_archE1201ELNS1_3gpuE5ELNS1_3repE0EEENS1_30default_config_static_selectorELNS0_4arch9wavefront6targetE1EEEvSK_.num_vgpr, 0
	.set _ZN7rocprim17ROCPRIM_400000_NS6detail17trampoline_kernelINS0_14default_configENS1_22reduce_config_selectorItEEZNS1_11reduce_implILb1ES3_N6thrust23THRUST_200600_302600_NS17counting_iteratorItNS8_11hip_rocprim3tagENS8_11use_defaultESC_EEPttNS8_4plusItEEEE10hipError_tPvRmT1_T2_T3_mT4_P12ihipStream_tbEUlT_E1_NS1_11comp_targetILNS1_3genE10ELNS1_11target_archE1201ELNS1_3gpuE5ELNS1_3repE0EEENS1_30default_config_static_selectorELNS0_4arch9wavefront6targetE1EEEvSK_.num_agpr, 0
	.set _ZN7rocprim17ROCPRIM_400000_NS6detail17trampoline_kernelINS0_14default_configENS1_22reduce_config_selectorItEEZNS1_11reduce_implILb1ES3_N6thrust23THRUST_200600_302600_NS17counting_iteratorItNS8_11hip_rocprim3tagENS8_11use_defaultESC_EEPttNS8_4plusItEEEE10hipError_tPvRmT1_T2_T3_mT4_P12ihipStream_tbEUlT_E1_NS1_11comp_targetILNS1_3genE10ELNS1_11target_archE1201ELNS1_3gpuE5ELNS1_3repE0EEENS1_30default_config_static_selectorELNS0_4arch9wavefront6targetE1EEEvSK_.numbered_sgpr, 0
	.set _ZN7rocprim17ROCPRIM_400000_NS6detail17trampoline_kernelINS0_14default_configENS1_22reduce_config_selectorItEEZNS1_11reduce_implILb1ES3_N6thrust23THRUST_200600_302600_NS17counting_iteratorItNS8_11hip_rocprim3tagENS8_11use_defaultESC_EEPttNS8_4plusItEEEE10hipError_tPvRmT1_T2_T3_mT4_P12ihipStream_tbEUlT_E1_NS1_11comp_targetILNS1_3genE10ELNS1_11target_archE1201ELNS1_3gpuE5ELNS1_3repE0EEENS1_30default_config_static_selectorELNS0_4arch9wavefront6targetE1EEEvSK_.num_named_barrier, 0
	.set _ZN7rocprim17ROCPRIM_400000_NS6detail17trampoline_kernelINS0_14default_configENS1_22reduce_config_selectorItEEZNS1_11reduce_implILb1ES3_N6thrust23THRUST_200600_302600_NS17counting_iteratorItNS8_11hip_rocprim3tagENS8_11use_defaultESC_EEPttNS8_4plusItEEEE10hipError_tPvRmT1_T2_T3_mT4_P12ihipStream_tbEUlT_E1_NS1_11comp_targetILNS1_3genE10ELNS1_11target_archE1201ELNS1_3gpuE5ELNS1_3repE0EEENS1_30default_config_static_selectorELNS0_4arch9wavefront6targetE1EEEvSK_.private_seg_size, 0
	.set _ZN7rocprim17ROCPRIM_400000_NS6detail17trampoline_kernelINS0_14default_configENS1_22reduce_config_selectorItEEZNS1_11reduce_implILb1ES3_N6thrust23THRUST_200600_302600_NS17counting_iteratorItNS8_11hip_rocprim3tagENS8_11use_defaultESC_EEPttNS8_4plusItEEEE10hipError_tPvRmT1_T2_T3_mT4_P12ihipStream_tbEUlT_E1_NS1_11comp_targetILNS1_3genE10ELNS1_11target_archE1201ELNS1_3gpuE5ELNS1_3repE0EEENS1_30default_config_static_selectorELNS0_4arch9wavefront6targetE1EEEvSK_.uses_vcc, 0
	.set _ZN7rocprim17ROCPRIM_400000_NS6detail17trampoline_kernelINS0_14default_configENS1_22reduce_config_selectorItEEZNS1_11reduce_implILb1ES3_N6thrust23THRUST_200600_302600_NS17counting_iteratorItNS8_11hip_rocprim3tagENS8_11use_defaultESC_EEPttNS8_4plusItEEEE10hipError_tPvRmT1_T2_T3_mT4_P12ihipStream_tbEUlT_E1_NS1_11comp_targetILNS1_3genE10ELNS1_11target_archE1201ELNS1_3gpuE5ELNS1_3repE0EEENS1_30default_config_static_selectorELNS0_4arch9wavefront6targetE1EEEvSK_.uses_flat_scratch, 0
	.set _ZN7rocprim17ROCPRIM_400000_NS6detail17trampoline_kernelINS0_14default_configENS1_22reduce_config_selectorItEEZNS1_11reduce_implILb1ES3_N6thrust23THRUST_200600_302600_NS17counting_iteratorItNS8_11hip_rocprim3tagENS8_11use_defaultESC_EEPttNS8_4plusItEEEE10hipError_tPvRmT1_T2_T3_mT4_P12ihipStream_tbEUlT_E1_NS1_11comp_targetILNS1_3genE10ELNS1_11target_archE1201ELNS1_3gpuE5ELNS1_3repE0EEENS1_30default_config_static_selectorELNS0_4arch9wavefront6targetE1EEEvSK_.has_dyn_sized_stack, 0
	.set _ZN7rocprim17ROCPRIM_400000_NS6detail17trampoline_kernelINS0_14default_configENS1_22reduce_config_selectorItEEZNS1_11reduce_implILb1ES3_N6thrust23THRUST_200600_302600_NS17counting_iteratorItNS8_11hip_rocprim3tagENS8_11use_defaultESC_EEPttNS8_4plusItEEEE10hipError_tPvRmT1_T2_T3_mT4_P12ihipStream_tbEUlT_E1_NS1_11comp_targetILNS1_3genE10ELNS1_11target_archE1201ELNS1_3gpuE5ELNS1_3repE0EEENS1_30default_config_static_selectorELNS0_4arch9wavefront6targetE1EEEvSK_.has_recursion, 0
	.set _ZN7rocprim17ROCPRIM_400000_NS6detail17trampoline_kernelINS0_14default_configENS1_22reduce_config_selectorItEEZNS1_11reduce_implILb1ES3_N6thrust23THRUST_200600_302600_NS17counting_iteratorItNS8_11hip_rocprim3tagENS8_11use_defaultESC_EEPttNS8_4plusItEEEE10hipError_tPvRmT1_T2_T3_mT4_P12ihipStream_tbEUlT_E1_NS1_11comp_targetILNS1_3genE10ELNS1_11target_archE1201ELNS1_3gpuE5ELNS1_3repE0EEENS1_30default_config_static_selectorELNS0_4arch9wavefront6targetE1EEEvSK_.has_indirect_call, 0
	.section	.AMDGPU.csdata,"",@progbits
; Kernel info:
; codeLenInByte = 0
; TotalNumSgprs: 6
; NumVgprs: 0
; NumAgprs: 0
; TotalNumVgprs: 0
; ScratchSize: 0
; MemoryBound: 0
; FloatMode: 240
; IeeeMode: 1
; LDSByteSize: 0 bytes/workgroup (compile time only)
; SGPRBlocks: 0
; VGPRBlocks: 0
; NumSGPRsForWavesPerEU: 6
; NumVGPRsForWavesPerEU: 1
; AccumOffset: 4
; Occupancy: 8
; WaveLimiterHint : 0
; COMPUTE_PGM_RSRC2:SCRATCH_EN: 0
; COMPUTE_PGM_RSRC2:USER_SGPR: 2
; COMPUTE_PGM_RSRC2:TRAP_HANDLER: 0
; COMPUTE_PGM_RSRC2:TGID_X_EN: 1
; COMPUTE_PGM_RSRC2:TGID_Y_EN: 0
; COMPUTE_PGM_RSRC2:TGID_Z_EN: 0
; COMPUTE_PGM_RSRC2:TIDIG_COMP_CNT: 0
; COMPUTE_PGM_RSRC3_GFX90A:ACCUM_OFFSET: 0
; COMPUTE_PGM_RSRC3_GFX90A:TG_SPLIT: 0
	.section	.text._ZN7rocprim17ROCPRIM_400000_NS6detail17trampoline_kernelINS0_14default_configENS1_22reduce_config_selectorItEEZNS1_11reduce_implILb1ES3_N6thrust23THRUST_200600_302600_NS17counting_iteratorItNS8_11hip_rocprim3tagENS8_11use_defaultESC_EEPttNS8_4plusItEEEE10hipError_tPvRmT1_T2_T3_mT4_P12ihipStream_tbEUlT_E1_NS1_11comp_targetILNS1_3genE10ELNS1_11target_archE1200ELNS1_3gpuE4ELNS1_3repE0EEENS1_30default_config_static_selectorELNS0_4arch9wavefront6targetE1EEEvSK_,"axG",@progbits,_ZN7rocprim17ROCPRIM_400000_NS6detail17trampoline_kernelINS0_14default_configENS1_22reduce_config_selectorItEEZNS1_11reduce_implILb1ES3_N6thrust23THRUST_200600_302600_NS17counting_iteratorItNS8_11hip_rocprim3tagENS8_11use_defaultESC_EEPttNS8_4plusItEEEE10hipError_tPvRmT1_T2_T3_mT4_P12ihipStream_tbEUlT_E1_NS1_11comp_targetILNS1_3genE10ELNS1_11target_archE1200ELNS1_3gpuE4ELNS1_3repE0EEENS1_30default_config_static_selectorELNS0_4arch9wavefront6targetE1EEEvSK_,comdat
	.protected	_ZN7rocprim17ROCPRIM_400000_NS6detail17trampoline_kernelINS0_14default_configENS1_22reduce_config_selectorItEEZNS1_11reduce_implILb1ES3_N6thrust23THRUST_200600_302600_NS17counting_iteratorItNS8_11hip_rocprim3tagENS8_11use_defaultESC_EEPttNS8_4plusItEEEE10hipError_tPvRmT1_T2_T3_mT4_P12ihipStream_tbEUlT_E1_NS1_11comp_targetILNS1_3genE10ELNS1_11target_archE1200ELNS1_3gpuE4ELNS1_3repE0EEENS1_30default_config_static_selectorELNS0_4arch9wavefront6targetE1EEEvSK_ ; -- Begin function _ZN7rocprim17ROCPRIM_400000_NS6detail17trampoline_kernelINS0_14default_configENS1_22reduce_config_selectorItEEZNS1_11reduce_implILb1ES3_N6thrust23THRUST_200600_302600_NS17counting_iteratorItNS8_11hip_rocprim3tagENS8_11use_defaultESC_EEPttNS8_4plusItEEEE10hipError_tPvRmT1_T2_T3_mT4_P12ihipStream_tbEUlT_E1_NS1_11comp_targetILNS1_3genE10ELNS1_11target_archE1200ELNS1_3gpuE4ELNS1_3repE0EEENS1_30default_config_static_selectorELNS0_4arch9wavefront6targetE1EEEvSK_
	.globl	_ZN7rocprim17ROCPRIM_400000_NS6detail17trampoline_kernelINS0_14default_configENS1_22reduce_config_selectorItEEZNS1_11reduce_implILb1ES3_N6thrust23THRUST_200600_302600_NS17counting_iteratorItNS8_11hip_rocprim3tagENS8_11use_defaultESC_EEPttNS8_4plusItEEEE10hipError_tPvRmT1_T2_T3_mT4_P12ihipStream_tbEUlT_E1_NS1_11comp_targetILNS1_3genE10ELNS1_11target_archE1200ELNS1_3gpuE4ELNS1_3repE0EEENS1_30default_config_static_selectorELNS0_4arch9wavefront6targetE1EEEvSK_
	.p2align	8
	.type	_ZN7rocprim17ROCPRIM_400000_NS6detail17trampoline_kernelINS0_14default_configENS1_22reduce_config_selectorItEEZNS1_11reduce_implILb1ES3_N6thrust23THRUST_200600_302600_NS17counting_iteratorItNS8_11hip_rocprim3tagENS8_11use_defaultESC_EEPttNS8_4plusItEEEE10hipError_tPvRmT1_T2_T3_mT4_P12ihipStream_tbEUlT_E1_NS1_11comp_targetILNS1_3genE10ELNS1_11target_archE1200ELNS1_3gpuE4ELNS1_3repE0EEENS1_30default_config_static_selectorELNS0_4arch9wavefront6targetE1EEEvSK_,@function
_ZN7rocprim17ROCPRIM_400000_NS6detail17trampoline_kernelINS0_14default_configENS1_22reduce_config_selectorItEEZNS1_11reduce_implILb1ES3_N6thrust23THRUST_200600_302600_NS17counting_iteratorItNS8_11hip_rocprim3tagENS8_11use_defaultESC_EEPttNS8_4plusItEEEE10hipError_tPvRmT1_T2_T3_mT4_P12ihipStream_tbEUlT_E1_NS1_11comp_targetILNS1_3genE10ELNS1_11target_archE1200ELNS1_3gpuE4ELNS1_3repE0EEENS1_30default_config_static_selectorELNS0_4arch9wavefront6targetE1EEEvSK_: ; @_ZN7rocprim17ROCPRIM_400000_NS6detail17trampoline_kernelINS0_14default_configENS1_22reduce_config_selectorItEEZNS1_11reduce_implILb1ES3_N6thrust23THRUST_200600_302600_NS17counting_iteratorItNS8_11hip_rocprim3tagENS8_11use_defaultESC_EEPttNS8_4plusItEEEE10hipError_tPvRmT1_T2_T3_mT4_P12ihipStream_tbEUlT_E1_NS1_11comp_targetILNS1_3genE10ELNS1_11target_archE1200ELNS1_3gpuE4ELNS1_3repE0EEENS1_30default_config_static_selectorELNS0_4arch9wavefront6targetE1EEEvSK_
; %bb.0:
	.section	.rodata,"a",@progbits
	.p2align	6, 0x0
	.amdhsa_kernel _ZN7rocprim17ROCPRIM_400000_NS6detail17trampoline_kernelINS0_14default_configENS1_22reduce_config_selectorItEEZNS1_11reduce_implILb1ES3_N6thrust23THRUST_200600_302600_NS17counting_iteratorItNS8_11hip_rocprim3tagENS8_11use_defaultESC_EEPttNS8_4plusItEEEE10hipError_tPvRmT1_T2_T3_mT4_P12ihipStream_tbEUlT_E1_NS1_11comp_targetILNS1_3genE10ELNS1_11target_archE1200ELNS1_3gpuE4ELNS1_3repE0EEENS1_30default_config_static_selectorELNS0_4arch9wavefront6targetE1EEEvSK_
		.amdhsa_group_segment_fixed_size 0
		.amdhsa_private_segment_fixed_size 0
		.amdhsa_kernarg_size 40
		.amdhsa_user_sgpr_count 2
		.amdhsa_user_sgpr_dispatch_ptr 0
		.amdhsa_user_sgpr_queue_ptr 0
		.amdhsa_user_sgpr_kernarg_segment_ptr 1
		.amdhsa_user_sgpr_dispatch_id 0
		.amdhsa_user_sgpr_kernarg_preload_length 0
		.amdhsa_user_sgpr_kernarg_preload_offset 0
		.amdhsa_user_sgpr_private_segment_size 0
		.amdhsa_uses_dynamic_stack 0
		.amdhsa_enable_private_segment 0
		.amdhsa_system_sgpr_workgroup_id_x 1
		.amdhsa_system_sgpr_workgroup_id_y 0
		.amdhsa_system_sgpr_workgroup_id_z 0
		.amdhsa_system_sgpr_workgroup_info 0
		.amdhsa_system_vgpr_workitem_id 0
		.amdhsa_next_free_vgpr 1
		.amdhsa_next_free_sgpr 0
		.amdhsa_accum_offset 4
		.amdhsa_reserve_vcc 0
		.amdhsa_float_round_mode_32 0
		.amdhsa_float_round_mode_16_64 0
		.amdhsa_float_denorm_mode_32 3
		.amdhsa_float_denorm_mode_16_64 3
		.amdhsa_dx10_clamp 1
		.amdhsa_ieee_mode 1
		.amdhsa_fp16_overflow 0
		.amdhsa_tg_split 0
		.amdhsa_exception_fp_ieee_invalid_op 0
		.amdhsa_exception_fp_denorm_src 0
		.amdhsa_exception_fp_ieee_div_zero 0
		.amdhsa_exception_fp_ieee_overflow 0
		.amdhsa_exception_fp_ieee_underflow 0
		.amdhsa_exception_fp_ieee_inexact 0
		.amdhsa_exception_int_div_zero 0
	.end_amdhsa_kernel
	.section	.text._ZN7rocprim17ROCPRIM_400000_NS6detail17trampoline_kernelINS0_14default_configENS1_22reduce_config_selectorItEEZNS1_11reduce_implILb1ES3_N6thrust23THRUST_200600_302600_NS17counting_iteratorItNS8_11hip_rocprim3tagENS8_11use_defaultESC_EEPttNS8_4plusItEEEE10hipError_tPvRmT1_T2_T3_mT4_P12ihipStream_tbEUlT_E1_NS1_11comp_targetILNS1_3genE10ELNS1_11target_archE1200ELNS1_3gpuE4ELNS1_3repE0EEENS1_30default_config_static_selectorELNS0_4arch9wavefront6targetE1EEEvSK_,"axG",@progbits,_ZN7rocprim17ROCPRIM_400000_NS6detail17trampoline_kernelINS0_14default_configENS1_22reduce_config_selectorItEEZNS1_11reduce_implILb1ES3_N6thrust23THRUST_200600_302600_NS17counting_iteratorItNS8_11hip_rocprim3tagENS8_11use_defaultESC_EEPttNS8_4plusItEEEE10hipError_tPvRmT1_T2_T3_mT4_P12ihipStream_tbEUlT_E1_NS1_11comp_targetILNS1_3genE10ELNS1_11target_archE1200ELNS1_3gpuE4ELNS1_3repE0EEENS1_30default_config_static_selectorELNS0_4arch9wavefront6targetE1EEEvSK_,comdat
.Lfunc_end1070:
	.size	_ZN7rocprim17ROCPRIM_400000_NS6detail17trampoline_kernelINS0_14default_configENS1_22reduce_config_selectorItEEZNS1_11reduce_implILb1ES3_N6thrust23THRUST_200600_302600_NS17counting_iteratorItNS8_11hip_rocprim3tagENS8_11use_defaultESC_EEPttNS8_4plusItEEEE10hipError_tPvRmT1_T2_T3_mT4_P12ihipStream_tbEUlT_E1_NS1_11comp_targetILNS1_3genE10ELNS1_11target_archE1200ELNS1_3gpuE4ELNS1_3repE0EEENS1_30default_config_static_selectorELNS0_4arch9wavefront6targetE1EEEvSK_, .Lfunc_end1070-_ZN7rocprim17ROCPRIM_400000_NS6detail17trampoline_kernelINS0_14default_configENS1_22reduce_config_selectorItEEZNS1_11reduce_implILb1ES3_N6thrust23THRUST_200600_302600_NS17counting_iteratorItNS8_11hip_rocprim3tagENS8_11use_defaultESC_EEPttNS8_4plusItEEEE10hipError_tPvRmT1_T2_T3_mT4_P12ihipStream_tbEUlT_E1_NS1_11comp_targetILNS1_3genE10ELNS1_11target_archE1200ELNS1_3gpuE4ELNS1_3repE0EEENS1_30default_config_static_selectorELNS0_4arch9wavefront6targetE1EEEvSK_
                                        ; -- End function
	.set _ZN7rocprim17ROCPRIM_400000_NS6detail17trampoline_kernelINS0_14default_configENS1_22reduce_config_selectorItEEZNS1_11reduce_implILb1ES3_N6thrust23THRUST_200600_302600_NS17counting_iteratorItNS8_11hip_rocprim3tagENS8_11use_defaultESC_EEPttNS8_4plusItEEEE10hipError_tPvRmT1_T2_T3_mT4_P12ihipStream_tbEUlT_E1_NS1_11comp_targetILNS1_3genE10ELNS1_11target_archE1200ELNS1_3gpuE4ELNS1_3repE0EEENS1_30default_config_static_selectorELNS0_4arch9wavefront6targetE1EEEvSK_.num_vgpr, 0
	.set _ZN7rocprim17ROCPRIM_400000_NS6detail17trampoline_kernelINS0_14default_configENS1_22reduce_config_selectorItEEZNS1_11reduce_implILb1ES3_N6thrust23THRUST_200600_302600_NS17counting_iteratorItNS8_11hip_rocprim3tagENS8_11use_defaultESC_EEPttNS8_4plusItEEEE10hipError_tPvRmT1_T2_T3_mT4_P12ihipStream_tbEUlT_E1_NS1_11comp_targetILNS1_3genE10ELNS1_11target_archE1200ELNS1_3gpuE4ELNS1_3repE0EEENS1_30default_config_static_selectorELNS0_4arch9wavefront6targetE1EEEvSK_.num_agpr, 0
	.set _ZN7rocprim17ROCPRIM_400000_NS6detail17trampoline_kernelINS0_14default_configENS1_22reduce_config_selectorItEEZNS1_11reduce_implILb1ES3_N6thrust23THRUST_200600_302600_NS17counting_iteratorItNS8_11hip_rocprim3tagENS8_11use_defaultESC_EEPttNS8_4plusItEEEE10hipError_tPvRmT1_T2_T3_mT4_P12ihipStream_tbEUlT_E1_NS1_11comp_targetILNS1_3genE10ELNS1_11target_archE1200ELNS1_3gpuE4ELNS1_3repE0EEENS1_30default_config_static_selectorELNS0_4arch9wavefront6targetE1EEEvSK_.numbered_sgpr, 0
	.set _ZN7rocprim17ROCPRIM_400000_NS6detail17trampoline_kernelINS0_14default_configENS1_22reduce_config_selectorItEEZNS1_11reduce_implILb1ES3_N6thrust23THRUST_200600_302600_NS17counting_iteratorItNS8_11hip_rocprim3tagENS8_11use_defaultESC_EEPttNS8_4plusItEEEE10hipError_tPvRmT1_T2_T3_mT4_P12ihipStream_tbEUlT_E1_NS1_11comp_targetILNS1_3genE10ELNS1_11target_archE1200ELNS1_3gpuE4ELNS1_3repE0EEENS1_30default_config_static_selectorELNS0_4arch9wavefront6targetE1EEEvSK_.num_named_barrier, 0
	.set _ZN7rocprim17ROCPRIM_400000_NS6detail17trampoline_kernelINS0_14default_configENS1_22reduce_config_selectorItEEZNS1_11reduce_implILb1ES3_N6thrust23THRUST_200600_302600_NS17counting_iteratorItNS8_11hip_rocprim3tagENS8_11use_defaultESC_EEPttNS8_4plusItEEEE10hipError_tPvRmT1_T2_T3_mT4_P12ihipStream_tbEUlT_E1_NS1_11comp_targetILNS1_3genE10ELNS1_11target_archE1200ELNS1_3gpuE4ELNS1_3repE0EEENS1_30default_config_static_selectorELNS0_4arch9wavefront6targetE1EEEvSK_.private_seg_size, 0
	.set _ZN7rocprim17ROCPRIM_400000_NS6detail17trampoline_kernelINS0_14default_configENS1_22reduce_config_selectorItEEZNS1_11reduce_implILb1ES3_N6thrust23THRUST_200600_302600_NS17counting_iteratorItNS8_11hip_rocprim3tagENS8_11use_defaultESC_EEPttNS8_4plusItEEEE10hipError_tPvRmT1_T2_T3_mT4_P12ihipStream_tbEUlT_E1_NS1_11comp_targetILNS1_3genE10ELNS1_11target_archE1200ELNS1_3gpuE4ELNS1_3repE0EEENS1_30default_config_static_selectorELNS0_4arch9wavefront6targetE1EEEvSK_.uses_vcc, 0
	.set _ZN7rocprim17ROCPRIM_400000_NS6detail17trampoline_kernelINS0_14default_configENS1_22reduce_config_selectorItEEZNS1_11reduce_implILb1ES3_N6thrust23THRUST_200600_302600_NS17counting_iteratorItNS8_11hip_rocprim3tagENS8_11use_defaultESC_EEPttNS8_4plusItEEEE10hipError_tPvRmT1_T2_T3_mT4_P12ihipStream_tbEUlT_E1_NS1_11comp_targetILNS1_3genE10ELNS1_11target_archE1200ELNS1_3gpuE4ELNS1_3repE0EEENS1_30default_config_static_selectorELNS0_4arch9wavefront6targetE1EEEvSK_.uses_flat_scratch, 0
	.set _ZN7rocprim17ROCPRIM_400000_NS6detail17trampoline_kernelINS0_14default_configENS1_22reduce_config_selectorItEEZNS1_11reduce_implILb1ES3_N6thrust23THRUST_200600_302600_NS17counting_iteratorItNS8_11hip_rocprim3tagENS8_11use_defaultESC_EEPttNS8_4plusItEEEE10hipError_tPvRmT1_T2_T3_mT4_P12ihipStream_tbEUlT_E1_NS1_11comp_targetILNS1_3genE10ELNS1_11target_archE1200ELNS1_3gpuE4ELNS1_3repE0EEENS1_30default_config_static_selectorELNS0_4arch9wavefront6targetE1EEEvSK_.has_dyn_sized_stack, 0
	.set _ZN7rocprim17ROCPRIM_400000_NS6detail17trampoline_kernelINS0_14default_configENS1_22reduce_config_selectorItEEZNS1_11reduce_implILb1ES3_N6thrust23THRUST_200600_302600_NS17counting_iteratorItNS8_11hip_rocprim3tagENS8_11use_defaultESC_EEPttNS8_4plusItEEEE10hipError_tPvRmT1_T2_T3_mT4_P12ihipStream_tbEUlT_E1_NS1_11comp_targetILNS1_3genE10ELNS1_11target_archE1200ELNS1_3gpuE4ELNS1_3repE0EEENS1_30default_config_static_selectorELNS0_4arch9wavefront6targetE1EEEvSK_.has_recursion, 0
	.set _ZN7rocprim17ROCPRIM_400000_NS6detail17trampoline_kernelINS0_14default_configENS1_22reduce_config_selectorItEEZNS1_11reduce_implILb1ES3_N6thrust23THRUST_200600_302600_NS17counting_iteratorItNS8_11hip_rocprim3tagENS8_11use_defaultESC_EEPttNS8_4plusItEEEE10hipError_tPvRmT1_T2_T3_mT4_P12ihipStream_tbEUlT_E1_NS1_11comp_targetILNS1_3genE10ELNS1_11target_archE1200ELNS1_3gpuE4ELNS1_3repE0EEENS1_30default_config_static_selectorELNS0_4arch9wavefront6targetE1EEEvSK_.has_indirect_call, 0
	.section	.AMDGPU.csdata,"",@progbits
; Kernel info:
; codeLenInByte = 0
; TotalNumSgprs: 6
; NumVgprs: 0
; NumAgprs: 0
; TotalNumVgprs: 0
; ScratchSize: 0
; MemoryBound: 0
; FloatMode: 240
; IeeeMode: 1
; LDSByteSize: 0 bytes/workgroup (compile time only)
; SGPRBlocks: 0
; VGPRBlocks: 0
; NumSGPRsForWavesPerEU: 6
; NumVGPRsForWavesPerEU: 1
; AccumOffset: 4
; Occupancy: 8
; WaveLimiterHint : 0
; COMPUTE_PGM_RSRC2:SCRATCH_EN: 0
; COMPUTE_PGM_RSRC2:USER_SGPR: 2
; COMPUTE_PGM_RSRC2:TRAP_HANDLER: 0
; COMPUTE_PGM_RSRC2:TGID_X_EN: 1
; COMPUTE_PGM_RSRC2:TGID_Y_EN: 0
; COMPUTE_PGM_RSRC2:TGID_Z_EN: 0
; COMPUTE_PGM_RSRC2:TIDIG_COMP_CNT: 0
; COMPUTE_PGM_RSRC3_GFX90A:ACCUM_OFFSET: 0
; COMPUTE_PGM_RSRC3_GFX90A:TG_SPLIT: 0
	.section	.text._ZN7rocprim17ROCPRIM_400000_NS6detail17trampoline_kernelINS0_14default_configENS1_22reduce_config_selectorItEEZNS1_11reduce_implILb1ES3_N6thrust23THRUST_200600_302600_NS17counting_iteratorItNS8_11hip_rocprim3tagENS8_11use_defaultESC_EEPttNS8_4plusItEEEE10hipError_tPvRmT1_T2_T3_mT4_P12ihipStream_tbEUlT_E1_NS1_11comp_targetILNS1_3genE9ELNS1_11target_archE1100ELNS1_3gpuE3ELNS1_3repE0EEENS1_30default_config_static_selectorELNS0_4arch9wavefront6targetE1EEEvSK_,"axG",@progbits,_ZN7rocprim17ROCPRIM_400000_NS6detail17trampoline_kernelINS0_14default_configENS1_22reduce_config_selectorItEEZNS1_11reduce_implILb1ES3_N6thrust23THRUST_200600_302600_NS17counting_iteratorItNS8_11hip_rocprim3tagENS8_11use_defaultESC_EEPttNS8_4plusItEEEE10hipError_tPvRmT1_T2_T3_mT4_P12ihipStream_tbEUlT_E1_NS1_11comp_targetILNS1_3genE9ELNS1_11target_archE1100ELNS1_3gpuE3ELNS1_3repE0EEENS1_30default_config_static_selectorELNS0_4arch9wavefront6targetE1EEEvSK_,comdat
	.protected	_ZN7rocprim17ROCPRIM_400000_NS6detail17trampoline_kernelINS0_14default_configENS1_22reduce_config_selectorItEEZNS1_11reduce_implILb1ES3_N6thrust23THRUST_200600_302600_NS17counting_iteratorItNS8_11hip_rocprim3tagENS8_11use_defaultESC_EEPttNS8_4plusItEEEE10hipError_tPvRmT1_T2_T3_mT4_P12ihipStream_tbEUlT_E1_NS1_11comp_targetILNS1_3genE9ELNS1_11target_archE1100ELNS1_3gpuE3ELNS1_3repE0EEENS1_30default_config_static_selectorELNS0_4arch9wavefront6targetE1EEEvSK_ ; -- Begin function _ZN7rocprim17ROCPRIM_400000_NS6detail17trampoline_kernelINS0_14default_configENS1_22reduce_config_selectorItEEZNS1_11reduce_implILb1ES3_N6thrust23THRUST_200600_302600_NS17counting_iteratorItNS8_11hip_rocprim3tagENS8_11use_defaultESC_EEPttNS8_4plusItEEEE10hipError_tPvRmT1_T2_T3_mT4_P12ihipStream_tbEUlT_E1_NS1_11comp_targetILNS1_3genE9ELNS1_11target_archE1100ELNS1_3gpuE3ELNS1_3repE0EEENS1_30default_config_static_selectorELNS0_4arch9wavefront6targetE1EEEvSK_
	.globl	_ZN7rocprim17ROCPRIM_400000_NS6detail17trampoline_kernelINS0_14default_configENS1_22reduce_config_selectorItEEZNS1_11reduce_implILb1ES3_N6thrust23THRUST_200600_302600_NS17counting_iteratorItNS8_11hip_rocprim3tagENS8_11use_defaultESC_EEPttNS8_4plusItEEEE10hipError_tPvRmT1_T2_T3_mT4_P12ihipStream_tbEUlT_E1_NS1_11comp_targetILNS1_3genE9ELNS1_11target_archE1100ELNS1_3gpuE3ELNS1_3repE0EEENS1_30default_config_static_selectorELNS0_4arch9wavefront6targetE1EEEvSK_
	.p2align	8
	.type	_ZN7rocprim17ROCPRIM_400000_NS6detail17trampoline_kernelINS0_14default_configENS1_22reduce_config_selectorItEEZNS1_11reduce_implILb1ES3_N6thrust23THRUST_200600_302600_NS17counting_iteratorItNS8_11hip_rocprim3tagENS8_11use_defaultESC_EEPttNS8_4plusItEEEE10hipError_tPvRmT1_T2_T3_mT4_P12ihipStream_tbEUlT_E1_NS1_11comp_targetILNS1_3genE9ELNS1_11target_archE1100ELNS1_3gpuE3ELNS1_3repE0EEENS1_30default_config_static_selectorELNS0_4arch9wavefront6targetE1EEEvSK_,@function
_ZN7rocprim17ROCPRIM_400000_NS6detail17trampoline_kernelINS0_14default_configENS1_22reduce_config_selectorItEEZNS1_11reduce_implILb1ES3_N6thrust23THRUST_200600_302600_NS17counting_iteratorItNS8_11hip_rocprim3tagENS8_11use_defaultESC_EEPttNS8_4plusItEEEE10hipError_tPvRmT1_T2_T3_mT4_P12ihipStream_tbEUlT_E1_NS1_11comp_targetILNS1_3genE9ELNS1_11target_archE1100ELNS1_3gpuE3ELNS1_3repE0EEENS1_30default_config_static_selectorELNS0_4arch9wavefront6targetE1EEEvSK_: ; @_ZN7rocprim17ROCPRIM_400000_NS6detail17trampoline_kernelINS0_14default_configENS1_22reduce_config_selectorItEEZNS1_11reduce_implILb1ES3_N6thrust23THRUST_200600_302600_NS17counting_iteratorItNS8_11hip_rocprim3tagENS8_11use_defaultESC_EEPttNS8_4plusItEEEE10hipError_tPvRmT1_T2_T3_mT4_P12ihipStream_tbEUlT_E1_NS1_11comp_targetILNS1_3genE9ELNS1_11target_archE1100ELNS1_3gpuE3ELNS1_3repE0EEENS1_30default_config_static_selectorELNS0_4arch9wavefront6targetE1EEEvSK_
; %bb.0:
	.section	.rodata,"a",@progbits
	.p2align	6, 0x0
	.amdhsa_kernel _ZN7rocprim17ROCPRIM_400000_NS6detail17trampoline_kernelINS0_14default_configENS1_22reduce_config_selectorItEEZNS1_11reduce_implILb1ES3_N6thrust23THRUST_200600_302600_NS17counting_iteratorItNS8_11hip_rocprim3tagENS8_11use_defaultESC_EEPttNS8_4plusItEEEE10hipError_tPvRmT1_T2_T3_mT4_P12ihipStream_tbEUlT_E1_NS1_11comp_targetILNS1_3genE9ELNS1_11target_archE1100ELNS1_3gpuE3ELNS1_3repE0EEENS1_30default_config_static_selectorELNS0_4arch9wavefront6targetE1EEEvSK_
		.amdhsa_group_segment_fixed_size 0
		.amdhsa_private_segment_fixed_size 0
		.amdhsa_kernarg_size 40
		.amdhsa_user_sgpr_count 2
		.amdhsa_user_sgpr_dispatch_ptr 0
		.amdhsa_user_sgpr_queue_ptr 0
		.amdhsa_user_sgpr_kernarg_segment_ptr 1
		.amdhsa_user_sgpr_dispatch_id 0
		.amdhsa_user_sgpr_kernarg_preload_length 0
		.amdhsa_user_sgpr_kernarg_preload_offset 0
		.amdhsa_user_sgpr_private_segment_size 0
		.amdhsa_uses_dynamic_stack 0
		.amdhsa_enable_private_segment 0
		.amdhsa_system_sgpr_workgroup_id_x 1
		.amdhsa_system_sgpr_workgroup_id_y 0
		.amdhsa_system_sgpr_workgroup_id_z 0
		.amdhsa_system_sgpr_workgroup_info 0
		.amdhsa_system_vgpr_workitem_id 0
		.amdhsa_next_free_vgpr 1
		.amdhsa_next_free_sgpr 0
		.amdhsa_accum_offset 4
		.amdhsa_reserve_vcc 0
		.amdhsa_float_round_mode_32 0
		.amdhsa_float_round_mode_16_64 0
		.amdhsa_float_denorm_mode_32 3
		.amdhsa_float_denorm_mode_16_64 3
		.amdhsa_dx10_clamp 1
		.amdhsa_ieee_mode 1
		.amdhsa_fp16_overflow 0
		.amdhsa_tg_split 0
		.amdhsa_exception_fp_ieee_invalid_op 0
		.amdhsa_exception_fp_denorm_src 0
		.amdhsa_exception_fp_ieee_div_zero 0
		.amdhsa_exception_fp_ieee_overflow 0
		.amdhsa_exception_fp_ieee_underflow 0
		.amdhsa_exception_fp_ieee_inexact 0
		.amdhsa_exception_int_div_zero 0
	.end_amdhsa_kernel
	.section	.text._ZN7rocprim17ROCPRIM_400000_NS6detail17trampoline_kernelINS0_14default_configENS1_22reduce_config_selectorItEEZNS1_11reduce_implILb1ES3_N6thrust23THRUST_200600_302600_NS17counting_iteratorItNS8_11hip_rocprim3tagENS8_11use_defaultESC_EEPttNS8_4plusItEEEE10hipError_tPvRmT1_T2_T3_mT4_P12ihipStream_tbEUlT_E1_NS1_11comp_targetILNS1_3genE9ELNS1_11target_archE1100ELNS1_3gpuE3ELNS1_3repE0EEENS1_30default_config_static_selectorELNS0_4arch9wavefront6targetE1EEEvSK_,"axG",@progbits,_ZN7rocprim17ROCPRIM_400000_NS6detail17trampoline_kernelINS0_14default_configENS1_22reduce_config_selectorItEEZNS1_11reduce_implILb1ES3_N6thrust23THRUST_200600_302600_NS17counting_iteratorItNS8_11hip_rocprim3tagENS8_11use_defaultESC_EEPttNS8_4plusItEEEE10hipError_tPvRmT1_T2_T3_mT4_P12ihipStream_tbEUlT_E1_NS1_11comp_targetILNS1_3genE9ELNS1_11target_archE1100ELNS1_3gpuE3ELNS1_3repE0EEENS1_30default_config_static_selectorELNS0_4arch9wavefront6targetE1EEEvSK_,comdat
.Lfunc_end1071:
	.size	_ZN7rocprim17ROCPRIM_400000_NS6detail17trampoline_kernelINS0_14default_configENS1_22reduce_config_selectorItEEZNS1_11reduce_implILb1ES3_N6thrust23THRUST_200600_302600_NS17counting_iteratorItNS8_11hip_rocprim3tagENS8_11use_defaultESC_EEPttNS8_4plusItEEEE10hipError_tPvRmT1_T2_T3_mT4_P12ihipStream_tbEUlT_E1_NS1_11comp_targetILNS1_3genE9ELNS1_11target_archE1100ELNS1_3gpuE3ELNS1_3repE0EEENS1_30default_config_static_selectorELNS0_4arch9wavefront6targetE1EEEvSK_, .Lfunc_end1071-_ZN7rocprim17ROCPRIM_400000_NS6detail17trampoline_kernelINS0_14default_configENS1_22reduce_config_selectorItEEZNS1_11reduce_implILb1ES3_N6thrust23THRUST_200600_302600_NS17counting_iteratorItNS8_11hip_rocprim3tagENS8_11use_defaultESC_EEPttNS8_4plusItEEEE10hipError_tPvRmT1_T2_T3_mT4_P12ihipStream_tbEUlT_E1_NS1_11comp_targetILNS1_3genE9ELNS1_11target_archE1100ELNS1_3gpuE3ELNS1_3repE0EEENS1_30default_config_static_selectorELNS0_4arch9wavefront6targetE1EEEvSK_
                                        ; -- End function
	.set _ZN7rocprim17ROCPRIM_400000_NS6detail17trampoline_kernelINS0_14default_configENS1_22reduce_config_selectorItEEZNS1_11reduce_implILb1ES3_N6thrust23THRUST_200600_302600_NS17counting_iteratorItNS8_11hip_rocprim3tagENS8_11use_defaultESC_EEPttNS8_4plusItEEEE10hipError_tPvRmT1_T2_T3_mT4_P12ihipStream_tbEUlT_E1_NS1_11comp_targetILNS1_3genE9ELNS1_11target_archE1100ELNS1_3gpuE3ELNS1_3repE0EEENS1_30default_config_static_selectorELNS0_4arch9wavefront6targetE1EEEvSK_.num_vgpr, 0
	.set _ZN7rocprim17ROCPRIM_400000_NS6detail17trampoline_kernelINS0_14default_configENS1_22reduce_config_selectorItEEZNS1_11reduce_implILb1ES3_N6thrust23THRUST_200600_302600_NS17counting_iteratorItNS8_11hip_rocprim3tagENS8_11use_defaultESC_EEPttNS8_4plusItEEEE10hipError_tPvRmT1_T2_T3_mT4_P12ihipStream_tbEUlT_E1_NS1_11comp_targetILNS1_3genE9ELNS1_11target_archE1100ELNS1_3gpuE3ELNS1_3repE0EEENS1_30default_config_static_selectorELNS0_4arch9wavefront6targetE1EEEvSK_.num_agpr, 0
	.set _ZN7rocprim17ROCPRIM_400000_NS6detail17trampoline_kernelINS0_14default_configENS1_22reduce_config_selectorItEEZNS1_11reduce_implILb1ES3_N6thrust23THRUST_200600_302600_NS17counting_iteratorItNS8_11hip_rocprim3tagENS8_11use_defaultESC_EEPttNS8_4plusItEEEE10hipError_tPvRmT1_T2_T3_mT4_P12ihipStream_tbEUlT_E1_NS1_11comp_targetILNS1_3genE9ELNS1_11target_archE1100ELNS1_3gpuE3ELNS1_3repE0EEENS1_30default_config_static_selectorELNS0_4arch9wavefront6targetE1EEEvSK_.numbered_sgpr, 0
	.set _ZN7rocprim17ROCPRIM_400000_NS6detail17trampoline_kernelINS0_14default_configENS1_22reduce_config_selectorItEEZNS1_11reduce_implILb1ES3_N6thrust23THRUST_200600_302600_NS17counting_iteratorItNS8_11hip_rocprim3tagENS8_11use_defaultESC_EEPttNS8_4plusItEEEE10hipError_tPvRmT1_T2_T3_mT4_P12ihipStream_tbEUlT_E1_NS1_11comp_targetILNS1_3genE9ELNS1_11target_archE1100ELNS1_3gpuE3ELNS1_3repE0EEENS1_30default_config_static_selectorELNS0_4arch9wavefront6targetE1EEEvSK_.num_named_barrier, 0
	.set _ZN7rocprim17ROCPRIM_400000_NS6detail17trampoline_kernelINS0_14default_configENS1_22reduce_config_selectorItEEZNS1_11reduce_implILb1ES3_N6thrust23THRUST_200600_302600_NS17counting_iteratorItNS8_11hip_rocprim3tagENS8_11use_defaultESC_EEPttNS8_4plusItEEEE10hipError_tPvRmT1_T2_T3_mT4_P12ihipStream_tbEUlT_E1_NS1_11comp_targetILNS1_3genE9ELNS1_11target_archE1100ELNS1_3gpuE3ELNS1_3repE0EEENS1_30default_config_static_selectorELNS0_4arch9wavefront6targetE1EEEvSK_.private_seg_size, 0
	.set _ZN7rocprim17ROCPRIM_400000_NS6detail17trampoline_kernelINS0_14default_configENS1_22reduce_config_selectorItEEZNS1_11reduce_implILb1ES3_N6thrust23THRUST_200600_302600_NS17counting_iteratorItNS8_11hip_rocprim3tagENS8_11use_defaultESC_EEPttNS8_4plusItEEEE10hipError_tPvRmT1_T2_T3_mT4_P12ihipStream_tbEUlT_E1_NS1_11comp_targetILNS1_3genE9ELNS1_11target_archE1100ELNS1_3gpuE3ELNS1_3repE0EEENS1_30default_config_static_selectorELNS0_4arch9wavefront6targetE1EEEvSK_.uses_vcc, 0
	.set _ZN7rocprim17ROCPRIM_400000_NS6detail17trampoline_kernelINS0_14default_configENS1_22reduce_config_selectorItEEZNS1_11reduce_implILb1ES3_N6thrust23THRUST_200600_302600_NS17counting_iteratorItNS8_11hip_rocprim3tagENS8_11use_defaultESC_EEPttNS8_4plusItEEEE10hipError_tPvRmT1_T2_T3_mT4_P12ihipStream_tbEUlT_E1_NS1_11comp_targetILNS1_3genE9ELNS1_11target_archE1100ELNS1_3gpuE3ELNS1_3repE0EEENS1_30default_config_static_selectorELNS0_4arch9wavefront6targetE1EEEvSK_.uses_flat_scratch, 0
	.set _ZN7rocprim17ROCPRIM_400000_NS6detail17trampoline_kernelINS0_14default_configENS1_22reduce_config_selectorItEEZNS1_11reduce_implILb1ES3_N6thrust23THRUST_200600_302600_NS17counting_iteratorItNS8_11hip_rocprim3tagENS8_11use_defaultESC_EEPttNS8_4plusItEEEE10hipError_tPvRmT1_T2_T3_mT4_P12ihipStream_tbEUlT_E1_NS1_11comp_targetILNS1_3genE9ELNS1_11target_archE1100ELNS1_3gpuE3ELNS1_3repE0EEENS1_30default_config_static_selectorELNS0_4arch9wavefront6targetE1EEEvSK_.has_dyn_sized_stack, 0
	.set _ZN7rocprim17ROCPRIM_400000_NS6detail17trampoline_kernelINS0_14default_configENS1_22reduce_config_selectorItEEZNS1_11reduce_implILb1ES3_N6thrust23THRUST_200600_302600_NS17counting_iteratorItNS8_11hip_rocprim3tagENS8_11use_defaultESC_EEPttNS8_4plusItEEEE10hipError_tPvRmT1_T2_T3_mT4_P12ihipStream_tbEUlT_E1_NS1_11comp_targetILNS1_3genE9ELNS1_11target_archE1100ELNS1_3gpuE3ELNS1_3repE0EEENS1_30default_config_static_selectorELNS0_4arch9wavefront6targetE1EEEvSK_.has_recursion, 0
	.set _ZN7rocprim17ROCPRIM_400000_NS6detail17trampoline_kernelINS0_14default_configENS1_22reduce_config_selectorItEEZNS1_11reduce_implILb1ES3_N6thrust23THRUST_200600_302600_NS17counting_iteratorItNS8_11hip_rocprim3tagENS8_11use_defaultESC_EEPttNS8_4plusItEEEE10hipError_tPvRmT1_T2_T3_mT4_P12ihipStream_tbEUlT_E1_NS1_11comp_targetILNS1_3genE9ELNS1_11target_archE1100ELNS1_3gpuE3ELNS1_3repE0EEENS1_30default_config_static_selectorELNS0_4arch9wavefront6targetE1EEEvSK_.has_indirect_call, 0
	.section	.AMDGPU.csdata,"",@progbits
; Kernel info:
; codeLenInByte = 0
; TotalNumSgprs: 6
; NumVgprs: 0
; NumAgprs: 0
; TotalNumVgprs: 0
; ScratchSize: 0
; MemoryBound: 0
; FloatMode: 240
; IeeeMode: 1
; LDSByteSize: 0 bytes/workgroup (compile time only)
; SGPRBlocks: 0
; VGPRBlocks: 0
; NumSGPRsForWavesPerEU: 6
; NumVGPRsForWavesPerEU: 1
; AccumOffset: 4
; Occupancy: 8
; WaveLimiterHint : 0
; COMPUTE_PGM_RSRC2:SCRATCH_EN: 0
; COMPUTE_PGM_RSRC2:USER_SGPR: 2
; COMPUTE_PGM_RSRC2:TRAP_HANDLER: 0
; COMPUTE_PGM_RSRC2:TGID_X_EN: 1
; COMPUTE_PGM_RSRC2:TGID_Y_EN: 0
; COMPUTE_PGM_RSRC2:TGID_Z_EN: 0
; COMPUTE_PGM_RSRC2:TIDIG_COMP_CNT: 0
; COMPUTE_PGM_RSRC3_GFX90A:ACCUM_OFFSET: 0
; COMPUTE_PGM_RSRC3_GFX90A:TG_SPLIT: 0
	.section	.text._ZN7rocprim17ROCPRIM_400000_NS6detail17trampoline_kernelINS0_14default_configENS1_22reduce_config_selectorItEEZNS1_11reduce_implILb1ES3_N6thrust23THRUST_200600_302600_NS17counting_iteratorItNS8_11hip_rocprim3tagENS8_11use_defaultESC_EEPttNS8_4plusItEEEE10hipError_tPvRmT1_T2_T3_mT4_P12ihipStream_tbEUlT_E1_NS1_11comp_targetILNS1_3genE8ELNS1_11target_archE1030ELNS1_3gpuE2ELNS1_3repE0EEENS1_30default_config_static_selectorELNS0_4arch9wavefront6targetE1EEEvSK_,"axG",@progbits,_ZN7rocprim17ROCPRIM_400000_NS6detail17trampoline_kernelINS0_14default_configENS1_22reduce_config_selectorItEEZNS1_11reduce_implILb1ES3_N6thrust23THRUST_200600_302600_NS17counting_iteratorItNS8_11hip_rocprim3tagENS8_11use_defaultESC_EEPttNS8_4plusItEEEE10hipError_tPvRmT1_T2_T3_mT4_P12ihipStream_tbEUlT_E1_NS1_11comp_targetILNS1_3genE8ELNS1_11target_archE1030ELNS1_3gpuE2ELNS1_3repE0EEENS1_30default_config_static_selectorELNS0_4arch9wavefront6targetE1EEEvSK_,comdat
	.protected	_ZN7rocprim17ROCPRIM_400000_NS6detail17trampoline_kernelINS0_14default_configENS1_22reduce_config_selectorItEEZNS1_11reduce_implILb1ES3_N6thrust23THRUST_200600_302600_NS17counting_iteratorItNS8_11hip_rocprim3tagENS8_11use_defaultESC_EEPttNS8_4plusItEEEE10hipError_tPvRmT1_T2_T3_mT4_P12ihipStream_tbEUlT_E1_NS1_11comp_targetILNS1_3genE8ELNS1_11target_archE1030ELNS1_3gpuE2ELNS1_3repE0EEENS1_30default_config_static_selectorELNS0_4arch9wavefront6targetE1EEEvSK_ ; -- Begin function _ZN7rocprim17ROCPRIM_400000_NS6detail17trampoline_kernelINS0_14default_configENS1_22reduce_config_selectorItEEZNS1_11reduce_implILb1ES3_N6thrust23THRUST_200600_302600_NS17counting_iteratorItNS8_11hip_rocprim3tagENS8_11use_defaultESC_EEPttNS8_4plusItEEEE10hipError_tPvRmT1_T2_T3_mT4_P12ihipStream_tbEUlT_E1_NS1_11comp_targetILNS1_3genE8ELNS1_11target_archE1030ELNS1_3gpuE2ELNS1_3repE0EEENS1_30default_config_static_selectorELNS0_4arch9wavefront6targetE1EEEvSK_
	.globl	_ZN7rocprim17ROCPRIM_400000_NS6detail17trampoline_kernelINS0_14default_configENS1_22reduce_config_selectorItEEZNS1_11reduce_implILb1ES3_N6thrust23THRUST_200600_302600_NS17counting_iteratorItNS8_11hip_rocprim3tagENS8_11use_defaultESC_EEPttNS8_4plusItEEEE10hipError_tPvRmT1_T2_T3_mT4_P12ihipStream_tbEUlT_E1_NS1_11comp_targetILNS1_3genE8ELNS1_11target_archE1030ELNS1_3gpuE2ELNS1_3repE0EEENS1_30default_config_static_selectorELNS0_4arch9wavefront6targetE1EEEvSK_
	.p2align	8
	.type	_ZN7rocprim17ROCPRIM_400000_NS6detail17trampoline_kernelINS0_14default_configENS1_22reduce_config_selectorItEEZNS1_11reduce_implILb1ES3_N6thrust23THRUST_200600_302600_NS17counting_iteratorItNS8_11hip_rocprim3tagENS8_11use_defaultESC_EEPttNS8_4plusItEEEE10hipError_tPvRmT1_T2_T3_mT4_P12ihipStream_tbEUlT_E1_NS1_11comp_targetILNS1_3genE8ELNS1_11target_archE1030ELNS1_3gpuE2ELNS1_3repE0EEENS1_30default_config_static_selectorELNS0_4arch9wavefront6targetE1EEEvSK_,@function
_ZN7rocprim17ROCPRIM_400000_NS6detail17trampoline_kernelINS0_14default_configENS1_22reduce_config_selectorItEEZNS1_11reduce_implILb1ES3_N6thrust23THRUST_200600_302600_NS17counting_iteratorItNS8_11hip_rocprim3tagENS8_11use_defaultESC_EEPttNS8_4plusItEEEE10hipError_tPvRmT1_T2_T3_mT4_P12ihipStream_tbEUlT_E1_NS1_11comp_targetILNS1_3genE8ELNS1_11target_archE1030ELNS1_3gpuE2ELNS1_3repE0EEENS1_30default_config_static_selectorELNS0_4arch9wavefront6targetE1EEEvSK_: ; @_ZN7rocprim17ROCPRIM_400000_NS6detail17trampoline_kernelINS0_14default_configENS1_22reduce_config_selectorItEEZNS1_11reduce_implILb1ES3_N6thrust23THRUST_200600_302600_NS17counting_iteratorItNS8_11hip_rocprim3tagENS8_11use_defaultESC_EEPttNS8_4plusItEEEE10hipError_tPvRmT1_T2_T3_mT4_P12ihipStream_tbEUlT_E1_NS1_11comp_targetILNS1_3genE8ELNS1_11target_archE1030ELNS1_3gpuE2ELNS1_3repE0EEENS1_30default_config_static_selectorELNS0_4arch9wavefront6targetE1EEEvSK_
; %bb.0:
	.section	.rodata,"a",@progbits
	.p2align	6, 0x0
	.amdhsa_kernel _ZN7rocprim17ROCPRIM_400000_NS6detail17trampoline_kernelINS0_14default_configENS1_22reduce_config_selectorItEEZNS1_11reduce_implILb1ES3_N6thrust23THRUST_200600_302600_NS17counting_iteratorItNS8_11hip_rocprim3tagENS8_11use_defaultESC_EEPttNS8_4plusItEEEE10hipError_tPvRmT1_T2_T3_mT4_P12ihipStream_tbEUlT_E1_NS1_11comp_targetILNS1_3genE8ELNS1_11target_archE1030ELNS1_3gpuE2ELNS1_3repE0EEENS1_30default_config_static_selectorELNS0_4arch9wavefront6targetE1EEEvSK_
		.amdhsa_group_segment_fixed_size 0
		.amdhsa_private_segment_fixed_size 0
		.amdhsa_kernarg_size 40
		.amdhsa_user_sgpr_count 2
		.amdhsa_user_sgpr_dispatch_ptr 0
		.amdhsa_user_sgpr_queue_ptr 0
		.amdhsa_user_sgpr_kernarg_segment_ptr 1
		.amdhsa_user_sgpr_dispatch_id 0
		.amdhsa_user_sgpr_kernarg_preload_length 0
		.amdhsa_user_sgpr_kernarg_preload_offset 0
		.amdhsa_user_sgpr_private_segment_size 0
		.amdhsa_uses_dynamic_stack 0
		.amdhsa_enable_private_segment 0
		.amdhsa_system_sgpr_workgroup_id_x 1
		.amdhsa_system_sgpr_workgroup_id_y 0
		.amdhsa_system_sgpr_workgroup_id_z 0
		.amdhsa_system_sgpr_workgroup_info 0
		.amdhsa_system_vgpr_workitem_id 0
		.amdhsa_next_free_vgpr 1
		.amdhsa_next_free_sgpr 0
		.amdhsa_accum_offset 4
		.amdhsa_reserve_vcc 0
		.amdhsa_float_round_mode_32 0
		.amdhsa_float_round_mode_16_64 0
		.amdhsa_float_denorm_mode_32 3
		.amdhsa_float_denorm_mode_16_64 3
		.amdhsa_dx10_clamp 1
		.amdhsa_ieee_mode 1
		.amdhsa_fp16_overflow 0
		.amdhsa_tg_split 0
		.amdhsa_exception_fp_ieee_invalid_op 0
		.amdhsa_exception_fp_denorm_src 0
		.amdhsa_exception_fp_ieee_div_zero 0
		.amdhsa_exception_fp_ieee_overflow 0
		.amdhsa_exception_fp_ieee_underflow 0
		.amdhsa_exception_fp_ieee_inexact 0
		.amdhsa_exception_int_div_zero 0
	.end_amdhsa_kernel
	.section	.text._ZN7rocprim17ROCPRIM_400000_NS6detail17trampoline_kernelINS0_14default_configENS1_22reduce_config_selectorItEEZNS1_11reduce_implILb1ES3_N6thrust23THRUST_200600_302600_NS17counting_iteratorItNS8_11hip_rocprim3tagENS8_11use_defaultESC_EEPttNS8_4plusItEEEE10hipError_tPvRmT1_T2_T3_mT4_P12ihipStream_tbEUlT_E1_NS1_11comp_targetILNS1_3genE8ELNS1_11target_archE1030ELNS1_3gpuE2ELNS1_3repE0EEENS1_30default_config_static_selectorELNS0_4arch9wavefront6targetE1EEEvSK_,"axG",@progbits,_ZN7rocprim17ROCPRIM_400000_NS6detail17trampoline_kernelINS0_14default_configENS1_22reduce_config_selectorItEEZNS1_11reduce_implILb1ES3_N6thrust23THRUST_200600_302600_NS17counting_iteratorItNS8_11hip_rocprim3tagENS8_11use_defaultESC_EEPttNS8_4plusItEEEE10hipError_tPvRmT1_T2_T3_mT4_P12ihipStream_tbEUlT_E1_NS1_11comp_targetILNS1_3genE8ELNS1_11target_archE1030ELNS1_3gpuE2ELNS1_3repE0EEENS1_30default_config_static_selectorELNS0_4arch9wavefront6targetE1EEEvSK_,comdat
.Lfunc_end1072:
	.size	_ZN7rocprim17ROCPRIM_400000_NS6detail17trampoline_kernelINS0_14default_configENS1_22reduce_config_selectorItEEZNS1_11reduce_implILb1ES3_N6thrust23THRUST_200600_302600_NS17counting_iteratorItNS8_11hip_rocprim3tagENS8_11use_defaultESC_EEPttNS8_4plusItEEEE10hipError_tPvRmT1_T2_T3_mT4_P12ihipStream_tbEUlT_E1_NS1_11comp_targetILNS1_3genE8ELNS1_11target_archE1030ELNS1_3gpuE2ELNS1_3repE0EEENS1_30default_config_static_selectorELNS0_4arch9wavefront6targetE1EEEvSK_, .Lfunc_end1072-_ZN7rocprim17ROCPRIM_400000_NS6detail17trampoline_kernelINS0_14default_configENS1_22reduce_config_selectorItEEZNS1_11reduce_implILb1ES3_N6thrust23THRUST_200600_302600_NS17counting_iteratorItNS8_11hip_rocprim3tagENS8_11use_defaultESC_EEPttNS8_4plusItEEEE10hipError_tPvRmT1_T2_T3_mT4_P12ihipStream_tbEUlT_E1_NS1_11comp_targetILNS1_3genE8ELNS1_11target_archE1030ELNS1_3gpuE2ELNS1_3repE0EEENS1_30default_config_static_selectorELNS0_4arch9wavefront6targetE1EEEvSK_
                                        ; -- End function
	.set _ZN7rocprim17ROCPRIM_400000_NS6detail17trampoline_kernelINS0_14default_configENS1_22reduce_config_selectorItEEZNS1_11reduce_implILb1ES3_N6thrust23THRUST_200600_302600_NS17counting_iteratorItNS8_11hip_rocprim3tagENS8_11use_defaultESC_EEPttNS8_4plusItEEEE10hipError_tPvRmT1_T2_T3_mT4_P12ihipStream_tbEUlT_E1_NS1_11comp_targetILNS1_3genE8ELNS1_11target_archE1030ELNS1_3gpuE2ELNS1_3repE0EEENS1_30default_config_static_selectorELNS0_4arch9wavefront6targetE1EEEvSK_.num_vgpr, 0
	.set _ZN7rocprim17ROCPRIM_400000_NS6detail17trampoline_kernelINS0_14default_configENS1_22reduce_config_selectorItEEZNS1_11reduce_implILb1ES3_N6thrust23THRUST_200600_302600_NS17counting_iteratorItNS8_11hip_rocprim3tagENS8_11use_defaultESC_EEPttNS8_4plusItEEEE10hipError_tPvRmT1_T2_T3_mT4_P12ihipStream_tbEUlT_E1_NS1_11comp_targetILNS1_3genE8ELNS1_11target_archE1030ELNS1_3gpuE2ELNS1_3repE0EEENS1_30default_config_static_selectorELNS0_4arch9wavefront6targetE1EEEvSK_.num_agpr, 0
	.set _ZN7rocprim17ROCPRIM_400000_NS6detail17trampoline_kernelINS0_14default_configENS1_22reduce_config_selectorItEEZNS1_11reduce_implILb1ES3_N6thrust23THRUST_200600_302600_NS17counting_iteratorItNS8_11hip_rocprim3tagENS8_11use_defaultESC_EEPttNS8_4plusItEEEE10hipError_tPvRmT1_T2_T3_mT4_P12ihipStream_tbEUlT_E1_NS1_11comp_targetILNS1_3genE8ELNS1_11target_archE1030ELNS1_3gpuE2ELNS1_3repE0EEENS1_30default_config_static_selectorELNS0_4arch9wavefront6targetE1EEEvSK_.numbered_sgpr, 0
	.set _ZN7rocprim17ROCPRIM_400000_NS6detail17trampoline_kernelINS0_14default_configENS1_22reduce_config_selectorItEEZNS1_11reduce_implILb1ES3_N6thrust23THRUST_200600_302600_NS17counting_iteratorItNS8_11hip_rocprim3tagENS8_11use_defaultESC_EEPttNS8_4plusItEEEE10hipError_tPvRmT1_T2_T3_mT4_P12ihipStream_tbEUlT_E1_NS1_11comp_targetILNS1_3genE8ELNS1_11target_archE1030ELNS1_3gpuE2ELNS1_3repE0EEENS1_30default_config_static_selectorELNS0_4arch9wavefront6targetE1EEEvSK_.num_named_barrier, 0
	.set _ZN7rocprim17ROCPRIM_400000_NS6detail17trampoline_kernelINS0_14default_configENS1_22reduce_config_selectorItEEZNS1_11reduce_implILb1ES3_N6thrust23THRUST_200600_302600_NS17counting_iteratorItNS8_11hip_rocprim3tagENS8_11use_defaultESC_EEPttNS8_4plusItEEEE10hipError_tPvRmT1_T2_T3_mT4_P12ihipStream_tbEUlT_E1_NS1_11comp_targetILNS1_3genE8ELNS1_11target_archE1030ELNS1_3gpuE2ELNS1_3repE0EEENS1_30default_config_static_selectorELNS0_4arch9wavefront6targetE1EEEvSK_.private_seg_size, 0
	.set _ZN7rocprim17ROCPRIM_400000_NS6detail17trampoline_kernelINS0_14default_configENS1_22reduce_config_selectorItEEZNS1_11reduce_implILb1ES3_N6thrust23THRUST_200600_302600_NS17counting_iteratorItNS8_11hip_rocprim3tagENS8_11use_defaultESC_EEPttNS8_4plusItEEEE10hipError_tPvRmT1_T2_T3_mT4_P12ihipStream_tbEUlT_E1_NS1_11comp_targetILNS1_3genE8ELNS1_11target_archE1030ELNS1_3gpuE2ELNS1_3repE0EEENS1_30default_config_static_selectorELNS0_4arch9wavefront6targetE1EEEvSK_.uses_vcc, 0
	.set _ZN7rocprim17ROCPRIM_400000_NS6detail17trampoline_kernelINS0_14default_configENS1_22reduce_config_selectorItEEZNS1_11reduce_implILb1ES3_N6thrust23THRUST_200600_302600_NS17counting_iteratorItNS8_11hip_rocprim3tagENS8_11use_defaultESC_EEPttNS8_4plusItEEEE10hipError_tPvRmT1_T2_T3_mT4_P12ihipStream_tbEUlT_E1_NS1_11comp_targetILNS1_3genE8ELNS1_11target_archE1030ELNS1_3gpuE2ELNS1_3repE0EEENS1_30default_config_static_selectorELNS0_4arch9wavefront6targetE1EEEvSK_.uses_flat_scratch, 0
	.set _ZN7rocprim17ROCPRIM_400000_NS6detail17trampoline_kernelINS0_14default_configENS1_22reduce_config_selectorItEEZNS1_11reduce_implILb1ES3_N6thrust23THRUST_200600_302600_NS17counting_iteratorItNS8_11hip_rocprim3tagENS8_11use_defaultESC_EEPttNS8_4plusItEEEE10hipError_tPvRmT1_T2_T3_mT4_P12ihipStream_tbEUlT_E1_NS1_11comp_targetILNS1_3genE8ELNS1_11target_archE1030ELNS1_3gpuE2ELNS1_3repE0EEENS1_30default_config_static_selectorELNS0_4arch9wavefront6targetE1EEEvSK_.has_dyn_sized_stack, 0
	.set _ZN7rocprim17ROCPRIM_400000_NS6detail17trampoline_kernelINS0_14default_configENS1_22reduce_config_selectorItEEZNS1_11reduce_implILb1ES3_N6thrust23THRUST_200600_302600_NS17counting_iteratorItNS8_11hip_rocprim3tagENS8_11use_defaultESC_EEPttNS8_4plusItEEEE10hipError_tPvRmT1_T2_T3_mT4_P12ihipStream_tbEUlT_E1_NS1_11comp_targetILNS1_3genE8ELNS1_11target_archE1030ELNS1_3gpuE2ELNS1_3repE0EEENS1_30default_config_static_selectorELNS0_4arch9wavefront6targetE1EEEvSK_.has_recursion, 0
	.set _ZN7rocprim17ROCPRIM_400000_NS6detail17trampoline_kernelINS0_14default_configENS1_22reduce_config_selectorItEEZNS1_11reduce_implILb1ES3_N6thrust23THRUST_200600_302600_NS17counting_iteratorItNS8_11hip_rocprim3tagENS8_11use_defaultESC_EEPttNS8_4plusItEEEE10hipError_tPvRmT1_T2_T3_mT4_P12ihipStream_tbEUlT_E1_NS1_11comp_targetILNS1_3genE8ELNS1_11target_archE1030ELNS1_3gpuE2ELNS1_3repE0EEENS1_30default_config_static_selectorELNS0_4arch9wavefront6targetE1EEEvSK_.has_indirect_call, 0
	.section	.AMDGPU.csdata,"",@progbits
; Kernel info:
; codeLenInByte = 0
; TotalNumSgprs: 6
; NumVgprs: 0
; NumAgprs: 0
; TotalNumVgprs: 0
; ScratchSize: 0
; MemoryBound: 0
; FloatMode: 240
; IeeeMode: 1
; LDSByteSize: 0 bytes/workgroup (compile time only)
; SGPRBlocks: 0
; VGPRBlocks: 0
; NumSGPRsForWavesPerEU: 6
; NumVGPRsForWavesPerEU: 1
; AccumOffset: 4
; Occupancy: 8
; WaveLimiterHint : 0
; COMPUTE_PGM_RSRC2:SCRATCH_EN: 0
; COMPUTE_PGM_RSRC2:USER_SGPR: 2
; COMPUTE_PGM_RSRC2:TRAP_HANDLER: 0
; COMPUTE_PGM_RSRC2:TGID_X_EN: 1
; COMPUTE_PGM_RSRC2:TGID_Y_EN: 0
; COMPUTE_PGM_RSRC2:TGID_Z_EN: 0
; COMPUTE_PGM_RSRC2:TIDIG_COMP_CNT: 0
; COMPUTE_PGM_RSRC3_GFX90A:ACCUM_OFFSET: 0
; COMPUTE_PGM_RSRC3_GFX90A:TG_SPLIT: 0
	.section	.text._ZN7rocprim17ROCPRIM_400000_NS6detail17trampoline_kernelINS0_14default_configENS1_22reduce_config_selectorIxEEZNS1_11reduce_implILb1ES3_N6thrust23THRUST_200600_302600_NS17counting_iteratorIxNS8_11hip_rocprim3tagENS8_11use_defaultESC_EEPxxNS8_4plusIxEEEE10hipError_tPvRmT1_T2_T3_mT4_P12ihipStream_tbEUlT_E0_NS1_11comp_targetILNS1_3genE0ELNS1_11target_archE4294967295ELNS1_3gpuE0ELNS1_3repE0EEENS1_30default_config_static_selectorELNS0_4arch9wavefront6targetE1EEEvSK_,"axG",@progbits,_ZN7rocprim17ROCPRIM_400000_NS6detail17trampoline_kernelINS0_14default_configENS1_22reduce_config_selectorIxEEZNS1_11reduce_implILb1ES3_N6thrust23THRUST_200600_302600_NS17counting_iteratorIxNS8_11hip_rocprim3tagENS8_11use_defaultESC_EEPxxNS8_4plusIxEEEE10hipError_tPvRmT1_T2_T3_mT4_P12ihipStream_tbEUlT_E0_NS1_11comp_targetILNS1_3genE0ELNS1_11target_archE4294967295ELNS1_3gpuE0ELNS1_3repE0EEENS1_30default_config_static_selectorELNS0_4arch9wavefront6targetE1EEEvSK_,comdat
	.protected	_ZN7rocprim17ROCPRIM_400000_NS6detail17trampoline_kernelINS0_14default_configENS1_22reduce_config_selectorIxEEZNS1_11reduce_implILb1ES3_N6thrust23THRUST_200600_302600_NS17counting_iteratorIxNS8_11hip_rocprim3tagENS8_11use_defaultESC_EEPxxNS8_4plusIxEEEE10hipError_tPvRmT1_T2_T3_mT4_P12ihipStream_tbEUlT_E0_NS1_11comp_targetILNS1_3genE0ELNS1_11target_archE4294967295ELNS1_3gpuE0ELNS1_3repE0EEENS1_30default_config_static_selectorELNS0_4arch9wavefront6targetE1EEEvSK_ ; -- Begin function _ZN7rocprim17ROCPRIM_400000_NS6detail17trampoline_kernelINS0_14default_configENS1_22reduce_config_selectorIxEEZNS1_11reduce_implILb1ES3_N6thrust23THRUST_200600_302600_NS17counting_iteratorIxNS8_11hip_rocprim3tagENS8_11use_defaultESC_EEPxxNS8_4plusIxEEEE10hipError_tPvRmT1_T2_T3_mT4_P12ihipStream_tbEUlT_E0_NS1_11comp_targetILNS1_3genE0ELNS1_11target_archE4294967295ELNS1_3gpuE0ELNS1_3repE0EEENS1_30default_config_static_selectorELNS0_4arch9wavefront6targetE1EEEvSK_
	.globl	_ZN7rocprim17ROCPRIM_400000_NS6detail17trampoline_kernelINS0_14default_configENS1_22reduce_config_selectorIxEEZNS1_11reduce_implILb1ES3_N6thrust23THRUST_200600_302600_NS17counting_iteratorIxNS8_11hip_rocprim3tagENS8_11use_defaultESC_EEPxxNS8_4plusIxEEEE10hipError_tPvRmT1_T2_T3_mT4_P12ihipStream_tbEUlT_E0_NS1_11comp_targetILNS1_3genE0ELNS1_11target_archE4294967295ELNS1_3gpuE0ELNS1_3repE0EEENS1_30default_config_static_selectorELNS0_4arch9wavefront6targetE1EEEvSK_
	.p2align	8
	.type	_ZN7rocprim17ROCPRIM_400000_NS6detail17trampoline_kernelINS0_14default_configENS1_22reduce_config_selectorIxEEZNS1_11reduce_implILb1ES3_N6thrust23THRUST_200600_302600_NS17counting_iteratorIxNS8_11hip_rocprim3tagENS8_11use_defaultESC_EEPxxNS8_4plusIxEEEE10hipError_tPvRmT1_T2_T3_mT4_P12ihipStream_tbEUlT_E0_NS1_11comp_targetILNS1_3genE0ELNS1_11target_archE4294967295ELNS1_3gpuE0ELNS1_3repE0EEENS1_30default_config_static_selectorELNS0_4arch9wavefront6targetE1EEEvSK_,@function
_ZN7rocprim17ROCPRIM_400000_NS6detail17trampoline_kernelINS0_14default_configENS1_22reduce_config_selectorIxEEZNS1_11reduce_implILb1ES3_N6thrust23THRUST_200600_302600_NS17counting_iteratorIxNS8_11hip_rocprim3tagENS8_11use_defaultESC_EEPxxNS8_4plusIxEEEE10hipError_tPvRmT1_T2_T3_mT4_P12ihipStream_tbEUlT_E0_NS1_11comp_targetILNS1_3genE0ELNS1_11target_archE4294967295ELNS1_3gpuE0ELNS1_3repE0EEENS1_30default_config_static_selectorELNS0_4arch9wavefront6targetE1EEEvSK_: ; @_ZN7rocprim17ROCPRIM_400000_NS6detail17trampoline_kernelINS0_14default_configENS1_22reduce_config_selectorIxEEZNS1_11reduce_implILb1ES3_N6thrust23THRUST_200600_302600_NS17counting_iteratorIxNS8_11hip_rocprim3tagENS8_11use_defaultESC_EEPxxNS8_4plusIxEEEE10hipError_tPvRmT1_T2_T3_mT4_P12ihipStream_tbEUlT_E0_NS1_11comp_targetILNS1_3genE0ELNS1_11target_archE4294967295ELNS1_3gpuE0ELNS1_3repE0EEENS1_30default_config_static_selectorELNS0_4arch9wavefront6targetE1EEEvSK_
; %bb.0:
	s_load_dwordx8 s[4:11], s[0:1], 0x0
	s_load_dwordx4 s[12:15], s[0:1], 0x20
	s_load_dwordx2 s[16:17], s[0:1], 0x30
	s_mov_b32 s3, 0
	v_mbcnt_lo_u32_b32 v4, -1, 0
	s_waitcnt lgkmcnt(0)
	s_add_u32 s4, s6, s4
	s_addc_u32 s5, s7, s5
	s_lshl_b32 s6, s2, 12
	s_lshr_b64 s[0:1], s[8:9], 12
	s_cmp_lg_u64 s[0:1], s[2:3]
	s_cbranch_scc0 .LBB1073_6
; %bb.1:
	s_add_u32 s0, s4, s6
	s_addc_u32 s1, s5, 0
	v_mov_b32_e32 v1, 0
	v_lshl_add_u64 v[2:3], s[0:1], 0, v[0:1]
	v_mov_b64_e32 v[6:7], 0x7800
	v_lshl_add_u64 v[2:3], v[2:3], 4, v[6:7]
	v_mov_b32_e32 v7, v1
	v_mov_b32_e32 v8, v1
	v_mov_b32_dpp v6, v2 quad_perm:[1,0,3,2] row_mask:0xf bank_mask:0xf bound_ctrl:1
	v_mov_b32_dpp v9, v3 quad_perm:[1,0,3,2] row_mask:0xf bank_mask:0xf bound_ctrl:1
	v_lshl_add_u64 v[2:3], v[2:3], 0, v[6:7]
	v_lshl_add_u64 v[6:7], v[8:9], 0, v[2:3]
	v_mov_b32_e32 v3, v1
	v_mov_b32_dpp v2, v2 quad_perm:[2,3,0,1] row_mask:0xf bank_mask:0xf bound_ctrl:1
	v_mov_b32_dpp v9, v7 quad_perm:[2,3,0,1] row_mask:0xf bank_mask:0xf bound_ctrl:1
	v_lshl_add_u64 v[2:3], v[6:7], 0, v[2:3]
	v_lshl_add_u64 v[6:7], v[2:3], 0, v[8:9]
	v_mov_b32_e32 v3, v1
	v_mov_b32_dpp v2, v2 row_ror:4 row_mask:0xf bank_mask:0xf bound_ctrl:1
	v_mov_b32_dpp v9, v7 row_ror:4 row_mask:0xf bank_mask:0xf bound_ctrl:1
	v_lshl_add_u64 v[2:3], v[6:7], 0, v[2:3]
	v_lshl_add_u64 v[6:7], v[2:3], 0, v[8:9]
	v_mov_b32_e32 v3, v1
	v_mov_b32_dpp v2, v2 row_ror:8 row_mask:0xf bank_mask:0xf bound_ctrl:1
	v_mov_b32_dpp v9, v7 row_ror:8 row_mask:0xf bank_mask:0xf bound_ctrl:1
	v_lshl_add_u64 v[2:3], v[6:7], 0, v[2:3]
	v_lshl_add_u64 v[6:7], v[2:3], 0, v[8:9]
	v_mov_b32_e32 v3, v1
	v_mov_b32_dpp v2, v2 row_bcast:15 row_mask:0xf bank_mask:0xf bound_ctrl:1
	v_mov_b32_dpp v9, v7 row_bcast:15 row_mask:0xf bank_mask:0xf bound_ctrl:1
	v_lshl_add_u64 v[2:3], v[6:7], 0, v[2:3]
	v_mbcnt_hi_u32_b32 v5, -1, v4
	v_lshl_add_u64 v[6:7], v[2:3], 0, v[8:9]
	v_mov_b32_dpp v2, v2 row_bcast:31 row_mask:0xf bank_mask:0xf bound_ctrl:1
	v_mov_b32_e32 v3, v1
	v_lshl_add_u64 v[2:3], v[6:7], 0, v[2:3]
	v_lshlrev_b32_e32 v1, 2, v5
	v_or_b32_e32 v6, 0xfc, v1
	v_add_u32_dpp v3, v7, v3 row_bcast:31 row_mask:0xf bank_mask:0xf bound_ctrl:1
	ds_bpermute_b32 v2, v6, v2
	ds_bpermute_b32 v3, v6, v3
	v_cmp_eq_u32_e32 vcc, 0, v5
	s_and_saveexec_b64 s[0:1], vcc
	s_cbranch_execz .LBB1073_3
; %bb.2:
	v_lshrrev_b32_e32 v6, 3, v0
	v_and_b32_e32 v6, 24, v6
	s_waitcnt lgkmcnt(0)
	ds_write_b64 v6, v[2:3]
.LBB1073_3:
	s_or_b64 exec, exec, s[0:1]
	v_cmp_gt_u32_e32 vcc, 64, v0
	s_waitcnt lgkmcnt(0)
	s_barrier
	s_and_saveexec_b64 s[0:1], vcc
	s_cbranch_execz .LBB1073_5
; %bb.4:
	v_and_b32_e32 v6, 3, v5
	v_lshlrev_b32_e32 v2, 3, v6
	ds_read_b64 v[2:3], v2
	v_cmp_ne_u32_e32 vcc, 3, v6
	v_mov_b32_e32 v8, 0
	v_mov_b32_e32 v7, v8
	v_addc_co_u32_e32 v5, vcc, 0, v5, vcc
	v_lshlrev_b32_e32 v5, 2, v5
	s_waitcnt lgkmcnt(0)
	ds_bpermute_b32 v6, v5, v2
	ds_bpermute_b32 v9, v5, v3
	v_or_b32_e32 v1, 8, v1
	s_waitcnt lgkmcnt(1)
	v_lshl_add_u64 v[2:3], v[2:3], 0, v[6:7]
	s_waitcnt lgkmcnt(0)
	v_lshl_add_u64 v[6:7], v[8:9], 0, v[2:3]
	ds_bpermute_b32 v2, v1, v2
	ds_bpermute_b32 v9, v1, v7
	v_mov_b32_e32 v3, v8
	s_waitcnt lgkmcnt(1)
	v_lshl_add_u64 v[2:3], v[6:7], 0, v[2:3]
	s_waitcnt lgkmcnt(0)
	v_lshl_add_u64 v[2:3], v[2:3], 0, v[8:9]
.LBB1073_5:
	s_or_b64 exec, exec, s[0:1]
	s_branch .LBB1073_16
.LBB1073_6:
                                        ; implicit-def: $vgpr2_vgpr3
	s_cbranch_execz .LBB1073_16
; %bb.7:
	s_sub_i32 s7, s8, s6
	s_add_u32 s0, s4, s6
	s_addc_u32 s1, s5, 0
	v_mov_b32_e32 v1, 0
	v_lshl_add_u64 v[2:3], s[0:1], 0, v[0:1]
	v_cmp_gt_u32_e32 vcc, s7, v0
	v_or_b32_e32 v6, 0x100, v0
	v_mov_b32_e32 v7, v1
	v_cndmask_b32_e32 v3, 0, v3, vcc
	v_cndmask_b32_e32 v2, 0, v2, vcc
	v_lshl_add_u64 v[8:9], s[0:1], 0, v[6:7]
	v_or_b32_e32 v10, 0x200, v0
	v_mov_b32_e32 v11, v1
	v_cmp_gt_u32_e32 vcc, s7, v6
	v_lshl_add_u64 v[12:13], s[0:1], 0, v[10:11]
	v_or_b32_e32 v14, 0x300, v0
	v_mov_b32_e32 v15, v1
	v_cndmask_b32_e32 v7, 0, v9, vcc
	v_cndmask_b32_e32 v6, 0, v8, vcc
	v_cmp_gt_u32_e32 vcc, s7, v10
	v_lshl_add_u64 v[16:17], s[0:1], 0, v[14:15]
	v_or_b32_e32 v18, 0x400, v0
	v_mov_b32_e32 v19, v1
	v_cndmask_b32_e32 v11, 0, v13, vcc
	v_cndmask_b32_e32 v10, 0, v12, vcc
	;; [unrolled: 6-line block ×13, first 2 shown]
	v_cmp_gt_u32_e32 vcc, s7, v58
	v_lshl_add_u64 v[16:17], s[0:1], 0, v[12:13]
	s_min_u32 s6, s7, 0x100
	v_cndmask_b32_e32 v9, 0, v9, vcc
	v_cndmask_b32_e32 v8, 0, v8, vcc
	v_cmp_gt_u32_e32 vcc, s7, v12
	s_nop 1
	v_cndmask_b32_e32 v13, 0, v17, vcc
	v_cndmask_b32_e32 v12, 0, v16, vcc
	v_lshl_add_u64 v[8:9], v[12:13], 0, v[8:9]
	v_lshl_add_u64 v[8:9], v[8:9], 0, v[34:35]
	;; [unrolled: 1-line block ×11, first 2 shown]
	v_mbcnt_hi_u32_b32 v8, -1, v4
	v_lshl_add_u64 v[2:3], v[2:3], 0, v[26:27]
	v_and_b32_e32 v10, 63, v8
	v_lshl_add_u64 v[2:3], v[2:3], 0, v[28:29]
	v_and_b32_e32 v4, 0xc0, v0
	v_cmp_ne_u32_e32 vcc, 63, v10
	v_lshl_add_u64 v[2:3], v[2:3], 0, v[30:31]
	v_sub_u32_e64 v9, s6, v4 clamp
	v_addc_co_u32_e32 v4, vcc, 0, v8, vcc
	v_lshl_add_u64 v[2:3], v[2:3], 0, v[32:33]
	v_lshlrev_b32_e32 v5, 2, v4
	ds_bpermute_b32 v4, v5, v2
	ds_bpermute_b32 v7, v5, v3
	v_add_u32_e32 v11, 1, v10
	v_mov_b32_e32 v5, v1
	v_mov_b32_e32 v6, v1
	s_waitcnt lgkmcnt(1)
	v_lshl_add_u64 v[4:5], v[2:3], 0, v[4:5]
	v_cmp_lt_u32_e64 s[0:1], v11, v9
	v_cmp_gt_u32_e32 vcc, 62, v10
	s_waitcnt lgkmcnt(0)
	v_lshl_add_u64 v[6:7], v[6:7], 0, v[4:5]
	v_cndmask_b32_e64 v1, v2, v4, s[0:1]
	v_cndmask_b32_e64 v4, 0, 2, vcc
	v_cndmask_b32_e64 v5, v3, v7, s[0:1]
	v_add_lshl_u32 v4, v4, v8, 2
	ds_bpermute_b32 v12, v4, v1
	ds_bpermute_b32 v13, v4, v5
	v_cndmask_b32_e64 v4, v2, v6, s[0:1]
	v_add_u32_e32 v11, 2, v10
	v_cmp_lt_u32_e32 vcc, v11, v9
	v_cmp_gt_u32_e64 s[4:5], 60, v10
	s_waitcnt lgkmcnt(0)
	v_lshl_add_u64 v[6:7], v[12:13], 0, v[4:5]
	v_cndmask_b32_e32 v5, v5, v7, vcc
	v_cndmask_b32_e64 v7, 0, 4, s[4:5]
	v_cndmask_b32_e32 v1, v1, v6, vcc
	v_add_lshl_u32 v7, v7, v8, 2
	ds_bpermute_b32 v12, v7, v1
	ds_bpermute_b32 v13, v7, v5
	v_cndmask_b32_e32 v4, v4, v6, vcc
	v_add_u32_e32 v11, 4, v10
	v_cmp_lt_u32_e32 vcc, v11, v9
	v_cmp_gt_u32_e64 s[4:5], 56, v10
	s_waitcnt lgkmcnt(0)
	v_lshl_add_u64 v[6:7], v[12:13], 0, v[4:5]
	v_cndmask_b32_e32 v5, v5, v7, vcc
	v_cndmask_b32_e64 v7, 0, 8, s[4:5]
	v_cndmask_b32_e32 v1, v1, v6, vcc
	v_add_lshl_u32 v7, v7, v8, 2
	ds_bpermute_b32 v12, v7, v1
	ds_bpermute_b32 v13, v7, v5
	v_cndmask_b32_e32 v4, v4, v6, vcc
	;; [unrolled: 12-line block ×3, first 2 shown]
	v_add_u32_e32 v11, 16, v10
	v_cmp_lt_u32_e32 vcc, v11, v9
	s_waitcnt lgkmcnt(0)
	v_lshl_add_u64 v[6:7], v[12:13], 0, v[4:5]
	v_cndmask_b32_e32 v11, v1, v6, vcc
	v_lshlrev_b32_e32 v1, 2, v8
	v_cndmask_b32_e32 v12, v5, v7, vcc
	v_or_b32_e32 v13, 0x80, v1
	ds_bpermute_b32 v11, v13, v11
	ds_bpermute_b32 v12, v13, v12
	s_and_saveexec_b64 s[4:5], s[0:1]
	s_cbranch_execz .LBB1073_9
; %bb.8:
	v_add_u32_e32 v10, 32, v10
	v_cndmask_b32_e32 v3, v5, v7, vcc
	v_cndmask_b32_e32 v2, v4, v6, vcc
	v_cmp_lt_u32_e32 vcc, v10, v9
	s_waitcnt lgkmcnt(0)
	s_nop 0
	v_cndmask_b32_e32 v5, 0, v12, vcc
	v_cndmask_b32_e32 v4, 0, v11, vcc
	v_lshl_add_u64 v[2:3], v[4:5], 0, v[2:3]
.LBB1073_9:
	s_or_b64 exec, exec, s[4:5]
	v_cmp_eq_u32_e32 vcc, 0, v8
	s_and_saveexec_b64 s[0:1], vcc
; %bb.10:
	v_lshrrev_b32_e32 v4, 3, v0
	v_and_b32_e32 v4, 24, v4
	ds_write_b64 v4, v[2:3] offset:32
; %bb.11:
	s_or_b64 exec, exec, s[0:1]
	v_cmp_gt_u32_e32 vcc, 4, v0
	s_waitcnt lgkmcnt(0)
	s_barrier
	s_and_saveexec_b64 s[0:1], vcc
	s_cbranch_execz .LBB1073_15
; %bb.12:
	v_lshlrev_b32_e32 v2, 3, v8
	ds_read_b64 v[2:3], v2 offset:32
	v_and_b32_e32 v6, 3, v8
	v_cmp_ne_u32_e32 vcc, 3, v6
	s_add_i32 s6, s6, 63
	s_lshr_b32 s6, s6, 6
	v_addc_co_u32_e32 v4, vcc, 0, v8, vcc
	v_lshlrev_b32_e32 v5, 2, v4
	s_waitcnt lgkmcnt(0)
	ds_bpermute_b32 v4, v5, v2
	ds_bpermute_b32 v9, v5, v3
	v_mov_b32_e32 v8, 0
	v_mov_b32_e32 v5, v8
	v_add_u32_e32 v7, 1, v6
	s_waitcnt lgkmcnt(1)
	v_lshl_add_u64 v[10:11], v[2:3], 0, v[4:5]
	s_waitcnt lgkmcnt(0)
	v_lshl_add_u64 v[4:5], v[8:9], 0, v[10:11]
	v_cmp_gt_u32_e32 vcc, s6, v7
	v_or_b32_e32 v9, 8, v1
	s_nop 0
	v_cndmask_b32_e32 v7, v3, v5, vcc
	v_cndmask_b32_e32 v8, v2, v10, vcc
	ds_bpermute_b32 v1, v9, v8
	ds_bpermute_b32 v7, v9, v7
	s_and_saveexec_b64 s[4:5], vcc
	s_cbranch_execz .LBB1073_14
; %bb.13:
	v_add_u32_e32 v2, 2, v6
	v_cmp_gt_u32_e32 vcc, s6, v2
	s_waitcnt lgkmcnt(0)
	s_nop 0
	v_cndmask_b32_e32 v3, 0, v7, vcc
	v_cndmask_b32_e32 v2, 0, v1, vcc
	v_lshl_add_u64 v[2:3], v[2:3], 0, v[4:5]
.LBB1073_14:
	s_or_b64 exec, exec, s[4:5]
.LBB1073_15:
	s_or_b64 exec, exec, s[0:1]
.LBB1073_16:
	v_cmp_eq_u32_e32 vcc, 0, v0
	s_and_saveexec_b64 s[0:1], vcc
	s_cbranch_execnz .LBB1073_18
; %bb.17:
	s_endpgm
.LBB1073_18:
	s_mul_i32 s0, s14, s13
	s_mul_hi_u32 s1, s14, s12
	s_add_i32 s0, s1, s0
	s_mul_i32 s1, s15, s12
	s_add_i32 s1, s0, s1
	s_mul_i32 s0, s14, s12
	s_lshl_b64 s[0:1], s[0:1], 3
	s_add_u32 s4, s10, s0
	s_addc_u32 s5, s11, s1
	s_cmp_eq_u64 s[8:9], 0
	v_mov_b32_e32 v0, s17
	s_cselect_b64 vcc, -1, 0
	s_lshl_b64 s[0:1], s[2:3], 3
	s_waitcnt lgkmcnt(1)
	v_cndmask_b32_e32 v1, v3, v0, vcc
	v_mov_b32_e32 v0, s16
	s_add_u32 s0, s4, s0
	v_cndmask_b32_e32 v0, v2, v0, vcc
	s_addc_u32 s1, s5, s1
	v_mov_b32_e32 v2, 0
	global_store_dwordx2 v2, v[0:1], s[0:1]
	s_endpgm
	.section	.rodata,"a",@progbits
	.p2align	6, 0x0
	.amdhsa_kernel _ZN7rocprim17ROCPRIM_400000_NS6detail17trampoline_kernelINS0_14default_configENS1_22reduce_config_selectorIxEEZNS1_11reduce_implILb1ES3_N6thrust23THRUST_200600_302600_NS17counting_iteratorIxNS8_11hip_rocprim3tagENS8_11use_defaultESC_EEPxxNS8_4plusIxEEEE10hipError_tPvRmT1_T2_T3_mT4_P12ihipStream_tbEUlT_E0_NS1_11comp_targetILNS1_3genE0ELNS1_11target_archE4294967295ELNS1_3gpuE0ELNS1_3repE0EEENS1_30default_config_static_selectorELNS0_4arch9wavefront6targetE1EEEvSK_
		.amdhsa_group_segment_fixed_size 64
		.amdhsa_private_segment_fixed_size 0
		.amdhsa_kernarg_size 64
		.amdhsa_user_sgpr_count 2
		.amdhsa_user_sgpr_dispatch_ptr 0
		.amdhsa_user_sgpr_queue_ptr 0
		.amdhsa_user_sgpr_kernarg_segment_ptr 1
		.amdhsa_user_sgpr_dispatch_id 0
		.amdhsa_user_sgpr_kernarg_preload_length 0
		.amdhsa_user_sgpr_kernarg_preload_offset 0
		.amdhsa_user_sgpr_private_segment_size 0
		.amdhsa_uses_dynamic_stack 0
		.amdhsa_enable_private_segment 0
		.amdhsa_system_sgpr_workgroup_id_x 1
		.amdhsa_system_sgpr_workgroup_id_y 0
		.amdhsa_system_sgpr_workgroup_id_z 0
		.amdhsa_system_sgpr_workgroup_info 0
		.amdhsa_system_vgpr_workitem_id 0
		.amdhsa_next_free_vgpr 60
		.amdhsa_next_free_sgpr 18
		.amdhsa_accum_offset 60
		.amdhsa_reserve_vcc 1
		.amdhsa_float_round_mode_32 0
		.amdhsa_float_round_mode_16_64 0
		.amdhsa_float_denorm_mode_32 3
		.amdhsa_float_denorm_mode_16_64 3
		.amdhsa_dx10_clamp 1
		.amdhsa_ieee_mode 1
		.amdhsa_fp16_overflow 0
		.amdhsa_tg_split 0
		.amdhsa_exception_fp_ieee_invalid_op 0
		.amdhsa_exception_fp_denorm_src 0
		.amdhsa_exception_fp_ieee_div_zero 0
		.amdhsa_exception_fp_ieee_overflow 0
		.amdhsa_exception_fp_ieee_underflow 0
		.amdhsa_exception_fp_ieee_inexact 0
		.amdhsa_exception_int_div_zero 0
	.end_amdhsa_kernel
	.section	.text._ZN7rocprim17ROCPRIM_400000_NS6detail17trampoline_kernelINS0_14default_configENS1_22reduce_config_selectorIxEEZNS1_11reduce_implILb1ES3_N6thrust23THRUST_200600_302600_NS17counting_iteratorIxNS8_11hip_rocprim3tagENS8_11use_defaultESC_EEPxxNS8_4plusIxEEEE10hipError_tPvRmT1_T2_T3_mT4_P12ihipStream_tbEUlT_E0_NS1_11comp_targetILNS1_3genE0ELNS1_11target_archE4294967295ELNS1_3gpuE0ELNS1_3repE0EEENS1_30default_config_static_selectorELNS0_4arch9wavefront6targetE1EEEvSK_,"axG",@progbits,_ZN7rocprim17ROCPRIM_400000_NS6detail17trampoline_kernelINS0_14default_configENS1_22reduce_config_selectorIxEEZNS1_11reduce_implILb1ES3_N6thrust23THRUST_200600_302600_NS17counting_iteratorIxNS8_11hip_rocprim3tagENS8_11use_defaultESC_EEPxxNS8_4plusIxEEEE10hipError_tPvRmT1_T2_T3_mT4_P12ihipStream_tbEUlT_E0_NS1_11comp_targetILNS1_3genE0ELNS1_11target_archE4294967295ELNS1_3gpuE0ELNS1_3repE0EEENS1_30default_config_static_selectorELNS0_4arch9wavefront6targetE1EEEvSK_,comdat
.Lfunc_end1073:
	.size	_ZN7rocprim17ROCPRIM_400000_NS6detail17trampoline_kernelINS0_14default_configENS1_22reduce_config_selectorIxEEZNS1_11reduce_implILb1ES3_N6thrust23THRUST_200600_302600_NS17counting_iteratorIxNS8_11hip_rocprim3tagENS8_11use_defaultESC_EEPxxNS8_4plusIxEEEE10hipError_tPvRmT1_T2_T3_mT4_P12ihipStream_tbEUlT_E0_NS1_11comp_targetILNS1_3genE0ELNS1_11target_archE4294967295ELNS1_3gpuE0ELNS1_3repE0EEENS1_30default_config_static_selectorELNS0_4arch9wavefront6targetE1EEEvSK_, .Lfunc_end1073-_ZN7rocprim17ROCPRIM_400000_NS6detail17trampoline_kernelINS0_14default_configENS1_22reduce_config_selectorIxEEZNS1_11reduce_implILb1ES3_N6thrust23THRUST_200600_302600_NS17counting_iteratorIxNS8_11hip_rocprim3tagENS8_11use_defaultESC_EEPxxNS8_4plusIxEEEE10hipError_tPvRmT1_T2_T3_mT4_P12ihipStream_tbEUlT_E0_NS1_11comp_targetILNS1_3genE0ELNS1_11target_archE4294967295ELNS1_3gpuE0ELNS1_3repE0EEENS1_30default_config_static_selectorELNS0_4arch9wavefront6targetE1EEEvSK_
                                        ; -- End function
	.set _ZN7rocprim17ROCPRIM_400000_NS6detail17trampoline_kernelINS0_14default_configENS1_22reduce_config_selectorIxEEZNS1_11reduce_implILb1ES3_N6thrust23THRUST_200600_302600_NS17counting_iteratorIxNS8_11hip_rocprim3tagENS8_11use_defaultESC_EEPxxNS8_4plusIxEEEE10hipError_tPvRmT1_T2_T3_mT4_P12ihipStream_tbEUlT_E0_NS1_11comp_targetILNS1_3genE0ELNS1_11target_archE4294967295ELNS1_3gpuE0ELNS1_3repE0EEENS1_30default_config_static_selectorELNS0_4arch9wavefront6targetE1EEEvSK_.num_vgpr, 60
	.set _ZN7rocprim17ROCPRIM_400000_NS6detail17trampoline_kernelINS0_14default_configENS1_22reduce_config_selectorIxEEZNS1_11reduce_implILb1ES3_N6thrust23THRUST_200600_302600_NS17counting_iteratorIxNS8_11hip_rocprim3tagENS8_11use_defaultESC_EEPxxNS8_4plusIxEEEE10hipError_tPvRmT1_T2_T3_mT4_P12ihipStream_tbEUlT_E0_NS1_11comp_targetILNS1_3genE0ELNS1_11target_archE4294967295ELNS1_3gpuE0ELNS1_3repE0EEENS1_30default_config_static_selectorELNS0_4arch9wavefront6targetE1EEEvSK_.num_agpr, 0
	.set _ZN7rocprim17ROCPRIM_400000_NS6detail17trampoline_kernelINS0_14default_configENS1_22reduce_config_selectorIxEEZNS1_11reduce_implILb1ES3_N6thrust23THRUST_200600_302600_NS17counting_iteratorIxNS8_11hip_rocprim3tagENS8_11use_defaultESC_EEPxxNS8_4plusIxEEEE10hipError_tPvRmT1_T2_T3_mT4_P12ihipStream_tbEUlT_E0_NS1_11comp_targetILNS1_3genE0ELNS1_11target_archE4294967295ELNS1_3gpuE0ELNS1_3repE0EEENS1_30default_config_static_selectorELNS0_4arch9wavefront6targetE1EEEvSK_.numbered_sgpr, 18
	.set _ZN7rocprim17ROCPRIM_400000_NS6detail17trampoline_kernelINS0_14default_configENS1_22reduce_config_selectorIxEEZNS1_11reduce_implILb1ES3_N6thrust23THRUST_200600_302600_NS17counting_iteratorIxNS8_11hip_rocprim3tagENS8_11use_defaultESC_EEPxxNS8_4plusIxEEEE10hipError_tPvRmT1_T2_T3_mT4_P12ihipStream_tbEUlT_E0_NS1_11comp_targetILNS1_3genE0ELNS1_11target_archE4294967295ELNS1_3gpuE0ELNS1_3repE0EEENS1_30default_config_static_selectorELNS0_4arch9wavefront6targetE1EEEvSK_.num_named_barrier, 0
	.set _ZN7rocprim17ROCPRIM_400000_NS6detail17trampoline_kernelINS0_14default_configENS1_22reduce_config_selectorIxEEZNS1_11reduce_implILb1ES3_N6thrust23THRUST_200600_302600_NS17counting_iteratorIxNS8_11hip_rocprim3tagENS8_11use_defaultESC_EEPxxNS8_4plusIxEEEE10hipError_tPvRmT1_T2_T3_mT4_P12ihipStream_tbEUlT_E0_NS1_11comp_targetILNS1_3genE0ELNS1_11target_archE4294967295ELNS1_3gpuE0ELNS1_3repE0EEENS1_30default_config_static_selectorELNS0_4arch9wavefront6targetE1EEEvSK_.private_seg_size, 0
	.set _ZN7rocprim17ROCPRIM_400000_NS6detail17trampoline_kernelINS0_14default_configENS1_22reduce_config_selectorIxEEZNS1_11reduce_implILb1ES3_N6thrust23THRUST_200600_302600_NS17counting_iteratorIxNS8_11hip_rocprim3tagENS8_11use_defaultESC_EEPxxNS8_4plusIxEEEE10hipError_tPvRmT1_T2_T3_mT4_P12ihipStream_tbEUlT_E0_NS1_11comp_targetILNS1_3genE0ELNS1_11target_archE4294967295ELNS1_3gpuE0ELNS1_3repE0EEENS1_30default_config_static_selectorELNS0_4arch9wavefront6targetE1EEEvSK_.uses_vcc, 1
	.set _ZN7rocprim17ROCPRIM_400000_NS6detail17trampoline_kernelINS0_14default_configENS1_22reduce_config_selectorIxEEZNS1_11reduce_implILb1ES3_N6thrust23THRUST_200600_302600_NS17counting_iteratorIxNS8_11hip_rocprim3tagENS8_11use_defaultESC_EEPxxNS8_4plusIxEEEE10hipError_tPvRmT1_T2_T3_mT4_P12ihipStream_tbEUlT_E0_NS1_11comp_targetILNS1_3genE0ELNS1_11target_archE4294967295ELNS1_3gpuE0ELNS1_3repE0EEENS1_30default_config_static_selectorELNS0_4arch9wavefront6targetE1EEEvSK_.uses_flat_scratch, 0
	.set _ZN7rocprim17ROCPRIM_400000_NS6detail17trampoline_kernelINS0_14default_configENS1_22reduce_config_selectorIxEEZNS1_11reduce_implILb1ES3_N6thrust23THRUST_200600_302600_NS17counting_iteratorIxNS8_11hip_rocprim3tagENS8_11use_defaultESC_EEPxxNS8_4plusIxEEEE10hipError_tPvRmT1_T2_T3_mT4_P12ihipStream_tbEUlT_E0_NS1_11comp_targetILNS1_3genE0ELNS1_11target_archE4294967295ELNS1_3gpuE0ELNS1_3repE0EEENS1_30default_config_static_selectorELNS0_4arch9wavefront6targetE1EEEvSK_.has_dyn_sized_stack, 0
	.set _ZN7rocprim17ROCPRIM_400000_NS6detail17trampoline_kernelINS0_14default_configENS1_22reduce_config_selectorIxEEZNS1_11reduce_implILb1ES3_N6thrust23THRUST_200600_302600_NS17counting_iteratorIxNS8_11hip_rocprim3tagENS8_11use_defaultESC_EEPxxNS8_4plusIxEEEE10hipError_tPvRmT1_T2_T3_mT4_P12ihipStream_tbEUlT_E0_NS1_11comp_targetILNS1_3genE0ELNS1_11target_archE4294967295ELNS1_3gpuE0ELNS1_3repE0EEENS1_30default_config_static_selectorELNS0_4arch9wavefront6targetE1EEEvSK_.has_recursion, 0
	.set _ZN7rocprim17ROCPRIM_400000_NS6detail17trampoline_kernelINS0_14default_configENS1_22reduce_config_selectorIxEEZNS1_11reduce_implILb1ES3_N6thrust23THRUST_200600_302600_NS17counting_iteratorIxNS8_11hip_rocprim3tagENS8_11use_defaultESC_EEPxxNS8_4plusIxEEEE10hipError_tPvRmT1_T2_T3_mT4_P12ihipStream_tbEUlT_E0_NS1_11comp_targetILNS1_3genE0ELNS1_11target_archE4294967295ELNS1_3gpuE0ELNS1_3repE0EEENS1_30default_config_static_selectorELNS0_4arch9wavefront6targetE1EEEvSK_.has_indirect_call, 0
	.section	.AMDGPU.csdata,"",@progbits
; Kernel info:
; codeLenInByte = 2008
; TotalNumSgprs: 24
; NumVgprs: 60
; NumAgprs: 0
; TotalNumVgprs: 60
; ScratchSize: 0
; MemoryBound: 0
; FloatMode: 240
; IeeeMode: 1
; LDSByteSize: 64 bytes/workgroup (compile time only)
; SGPRBlocks: 2
; VGPRBlocks: 7
; NumSGPRsForWavesPerEU: 24
; NumVGPRsForWavesPerEU: 60
; AccumOffset: 60
; Occupancy: 8
; WaveLimiterHint : 0
; COMPUTE_PGM_RSRC2:SCRATCH_EN: 0
; COMPUTE_PGM_RSRC2:USER_SGPR: 2
; COMPUTE_PGM_RSRC2:TRAP_HANDLER: 0
; COMPUTE_PGM_RSRC2:TGID_X_EN: 1
; COMPUTE_PGM_RSRC2:TGID_Y_EN: 0
; COMPUTE_PGM_RSRC2:TGID_Z_EN: 0
; COMPUTE_PGM_RSRC2:TIDIG_COMP_CNT: 0
; COMPUTE_PGM_RSRC3_GFX90A:ACCUM_OFFSET: 14
; COMPUTE_PGM_RSRC3_GFX90A:TG_SPLIT: 0
	.section	.text._ZN7rocprim17ROCPRIM_400000_NS6detail17trampoline_kernelINS0_14default_configENS1_22reduce_config_selectorIxEEZNS1_11reduce_implILb1ES3_N6thrust23THRUST_200600_302600_NS17counting_iteratorIxNS8_11hip_rocprim3tagENS8_11use_defaultESC_EEPxxNS8_4plusIxEEEE10hipError_tPvRmT1_T2_T3_mT4_P12ihipStream_tbEUlT_E0_NS1_11comp_targetILNS1_3genE5ELNS1_11target_archE942ELNS1_3gpuE9ELNS1_3repE0EEENS1_30default_config_static_selectorELNS0_4arch9wavefront6targetE1EEEvSK_,"axG",@progbits,_ZN7rocprim17ROCPRIM_400000_NS6detail17trampoline_kernelINS0_14default_configENS1_22reduce_config_selectorIxEEZNS1_11reduce_implILb1ES3_N6thrust23THRUST_200600_302600_NS17counting_iteratorIxNS8_11hip_rocprim3tagENS8_11use_defaultESC_EEPxxNS8_4plusIxEEEE10hipError_tPvRmT1_T2_T3_mT4_P12ihipStream_tbEUlT_E0_NS1_11comp_targetILNS1_3genE5ELNS1_11target_archE942ELNS1_3gpuE9ELNS1_3repE0EEENS1_30default_config_static_selectorELNS0_4arch9wavefront6targetE1EEEvSK_,comdat
	.protected	_ZN7rocprim17ROCPRIM_400000_NS6detail17trampoline_kernelINS0_14default_configENS1_22reduce_config_selectorIxEEZNS1_11reduce_implILb1ES3_N6thrust23THRUST_200600_302600_NS17counting_iteratorIxNS8_11hip_rocprim3tagENS8_11use_defaultESC_EEPxxNS8_4plusIxEEEE10hipError_tPvRmT1_T2_T3_mT4_P12ihipStream_tbEUlT_E0_NS1_11comp_targetILNS1_3genE5ELNS1_11target_archE942ELNS1_3gpuE9ELNS1_3repE0EEENS1_30default_config_static_selectorELNS0_4arch9wavefront6targetE1EEEvSK_ ; -- Begin function _ZN7rocprim17ROCPRIM_400000_NS6detail17trampoline_kernelINS0_14default_configENS1_22reduce_config_selectorIxEEZNS1_11reduce_implILb1ES3_N6thrust23THRUST_200600_302600_NS17counting_iteratorIxNS8_11hip_rocprim3tagENS8_11use_defaultESC_EEPxxNS8_4plusIxEEEE10hipError_tPvRmT1_T2_T3_mT4_P12ihipStream_tbEUlT_E0_NS1_11comp_targetILNS1_3genE5ELNS1_11target_archE942ELNS1_3gpuE9ELNS1_3repE0EEENS1_30default_config_static_selectorELNS0_4arch9wavefront6targetE1EEEvSK_
	.globl	_ZN7rocprim17ROCPRIM_400000_NS6detail17trampoline_kernelINS0_14default_configENS1_22reduce_config_selectorIxEEZNS1_11reduce_implILb1ES3_N6thrust23THRUST_200600_302600_NS17counting_iteratorIxNS8_11hip_rocprim3tagENS8_11use_defaultESC_EEPxxNS8_4plusIxEEEE10hipError_tPvRmT1_T2_T3_mT4_P12ihipStream_tbEUlT_E0_NS1_11comp_targetILNS1_3genE5ELNS1_11target_archE942ELNS1_3gpuE9ELNS1_3repE0EEENS1_30default_config_static_selectorELNS0_4arch9wavefront6targetE1EEEvSK_
	.p2align	8
	.type	_ZN7rocprim17ROCPRIM_400000_NS6detail17trampoline_kernelINS0_14default_configENS1_22reduce_config_selectorIxEEZNS1_11reduce_implILb1ES3_N6thrust23THRUST_200600_302600_NS17counting_iteratorIxNS8_11hip_rocprim3tagENS8_11use_defaultESC_EEPxxNS8_4plusIxEEEE10hipError_tPvRmT1_T2_T3_mT4_P12ihipStream_tbEUlT_E0_NS1_11comp_targetILNS1_3genE5ELNS1_11target_archE942ELNS1_3gpuE9ELNS1_3repE0EEENS1_30default_config_static_selectorELNS0_4arch9wavefront6targetE1EEEvSK_,@function
_ZN7rocprim17ROCPRIM_400000_NS6detail17trampoline_kernelINS0_14default_configENS1_22reduce_config_selectorIxEEZNS1_11reduce_implILb1ES3_N6thrust23THRUST_200600_302600_NS17counting_iteratorIxNS8_11hip_rocprim3tagENS8_11use_defaultESC_EEPxxNS8_4plusIxEEEE10hipError_tPvRmT1_T2_T3_mT4_P12ihipStream_tbEUlT_E0_NS1_11comp_targetILNS1_3genE5ELNS1_11target_archE942ELNS1_3gpuE9ELNS1_3repE0EEENS1_30default_config_static_selectorELNS0_4arch9wavefront6targetE1EEEvSK_: ; @_ZN7rocprim17ROCPRIM_400000_NS6detail17trampoline_kernelINS0_14default_configENS1_22reduce_config_selectorIxEEZNS1_11reduce_implILb1ES3_N6thrust23THRUST_200600_302600_NS17counting_iteratorIxNS8_11hip_rocprim3tagENS8_11use_defaultESC_EEPxxNS8_4plusIxEEEE10hipError_tPvRmT1_T2_T3_mT4_P12ihipStream_tbEUlT_E0_NS1_11comp_targetILNS1_3genE5ELNS1_11target_archE942ELNS1_3gpuE9ELNS1_3repE0EEENS1_30default_config_static_selectorELNS0_4arch9wavefront6targetE1EEEvSK_
; %bb.0:
	.section	.rodata,"a",@progbits
	.p2align	6, 0x0
	.amdhsa_kernel _ZN7rocprim17ROCPRIM_400000_NS6detail17trampoline_kernelINS0_14default_configENS1_22reduce_config_selectorIxEEZNS1_11reduce_implILb1ES3_N6thrust23THRUST_200600_302600_NS17counting_iteratorIxNS8_11hip_rocprim3tagENS8_11use_defaultESC_EEPxxNS8_4plusIxEEEE10hipError_tPvRmT1_T2_T3_mT4_P12ihipStream_tbEUlT_E0_NS1_11comp_targetILNS1_3genE5ELNS1_11target_archE942ELNS1_3gpuE9ELNS1_3repE0EEENS1_30default_config_static_selectorELNS0_4arch9wavefront6targetE1EEEvSK_
		.amdhsa_group_segment_fixed_size 0
		.amdhsa_private_segment_fixed_size 0
		.amdhsa_kernarg_size 64
		.amdhsa_user_sgpr_count 2
		.amdhsa_user_sgpr_dispatch_ptr 0
		.amdhsa_user_sgpr_queue_ptr 0
		.amdhsa_user_sgpr_kernarg_segment_ptr 1
		.amdhsa_user_sgpr_dispatch_id 0
		.amdhsa_user_sgpr_kernarg_preload_length 0
		.amdhsa_user_sgpr_kernarg_preload_offset 0
		.amdhsa_user_sgpr_private_segment_size 0
		.amdhsa_uses_dynamic_stack 0
		.amdhsa_enable_private_segment 0
		.amdhsa_system_sgpr_workgroup_id_x 1
		.amdhsa_system_sgpr_workgroup_id_y 0
		.amdhsa_system_sgpr_workgroup_id_z 0
		.amdhsa_system_sgpr_workgroup_info 0
		.amdhsa_system_vgpr_workitem_id 0
		.amdhsa_next_free_vgpr 1
		.amdhsa_next_free_sgpr 0
		.amdhsa_accum_offset 4
		.amdhsa_reserve_vcc 0
		.amdhsa_float_round_mode_32 0
		.amdhsa_float_round_mode_16_64 0
		.amdhsa_float_denorm_mode_32 3
		.amdhsa_float_denorm_mode_16_64 3
		.amdhsa_dx10_clamp 1
		.amdhsa_ieee_mode 1
		.amdhsa_fp16_overflow 0
		.amdhsa_tg_split 0
		.amdhsa_exception_fp_ieee_invalid_op 0
		.amdhsa_exception_fp_denorm_src 0
		.amdhsa_exception_fp_ieee_div_zero 0
		.amdhsa_exception_fp_ieee_overflow 0
		.amdhsa_exception_fp_ieee_underflow 0
		.amdhsa_exception_fp_ieee_inexact 0
		.amdhsa_exception_int_div_zero 0
	.end_amdhsa_kernel
	.section	.text._ZN7rocprim17ROCPRIM_400000_NS6detail17trampoline_kernelINS0_14default_configENS1_22reduce_config_selectorIxEEZNS1_11reduce_implILb1ES3_N6thrust23THRUST_200600_302600_NS17counting_iteratorIxNS8_11hip_rocprim3tagENS8_11use_defaultESC_EEPxxNS8_4plusIxEEEE10hipError_tPvRmT1_T2_T3_mT4_P12ihipStream_tbEUlT_E0_NS1_11comp_targetILNS1_3genE5ELNS1_11target_archE942ELNS1_3gpuE9ELNS1_3repE0EEENS1_30default_config_static_selectorELNS0_4arch9wavefront6targetE1EEEvSK_,"axG",@progbits,_ZN7rocprim17ROCPRIM_400000_NS6detail17trampoline_kernelINS0_14default_configENS1_22reduce_config_selectorIxEEZNS1_11reduce_implILb1ES3_N6thrust23THRUST_200600_302600_NS17counting_iteratorIxNS8_11hip_rocprim3tagENS8_11use_defaultESC_EEPxxNS8_4plusIxEEEE10hipError_tPvRmT1_T2_T3_mT4_P12ihipStream_tbEUlT_E0_NS1_11comp_targetILNS1_3genE5ELNS1_11target_archE942ELNS1_3gpuE9ELNS1_3repE0EEENS1_30default_config_static_selectorELNS0_4arch9wavefront6targetE1EEEvSK_,comdat
.Lfunc_end1074:
	.size	_ZN7rocprim17ROCPRIM_400000_NS6detail17trampoline_kernelINS0_14default_configENS1_22reduce_config_selectorIxEEZNS1_11reduce_implILb1ES3_N6thrust23THRUST_200600_302600_NS17counting_iteratorIxNS8_11hip_rocprim3tagENS8_11use_defaultESC_EEPxxNS8_4plusIxEEEE10hipError_tPvRmT1_T2_T3_mT4_P12ihipStream_tbEUlT_E0_NS1_11comp_targetILNS1_3genE5ELNS1_11target_archE942ELNS1_3gpuE9ELNS1_3repE0EEENS1_30default_config_static_selectorELNS0_4arch9wavefront6targetE1EEEvSK_, .Lfunc_end1074-_ZN7rocprim17ROCPRIM_400000_NS6detail17trampoline_kernelINS0_14default_configENS1_22reduce_config_selectorIxEEZNS1_11reduce_implILb1ES3_N6thrust23THRUST_200600_302600_NS17counting_iteratorIxNS8_11hip_rocprim3tagENS8_11use_defaultESC_EEPxxNS8_4plusIxEEEE10hipError_tPvRmT1_T2_T3_mT4_P12ihipStream_tbEUlT_E0_NS1_11comp_targetILNS1_3genE5ELNS1_11target_archE942ELNS1_3gpuE9ELNS1_3repE0EEENS1_30default_config_static_selectorELNS0_4arch9wavefront6targetE1EEEvSK_
                                        ; -- End function
	.set _ZN7rocprim17ROCPRIM_400000_NS6detail17trampoline_kernelINS0_14default_configENS1_22reduce_config_selectorIxEEZNS1_11reduce_implILb1ES3_N6thrust23THRUST_200600_302600_NS17counting_iteratorIxNS8_11hip_rocprim3tagENS8_11use_defaultESC_EEPxxNS8_4plusIxEEEE10hipError_tPvRmT1_T2_T3_mT4_P12ihipStream_tbEUlT_E0_NS1_11comp_targetILNS1_3genE5ELNS1_11target_archE942ELNS1_3gpuE9ELNS1_3repE0EEENS1_30default_config_static_selectorELNS0_4arch9wavefront6targetE1EEEvSK_.num_vgpr, 0
	.set _ZN7rocprim17ROCPRIM_400000_NS6detail17trampoline_kernelINS0_14default_configENS1_22reduce_config_selectorIxEEZNS1_11reduce_implILb1ES3_N6thrust23THRUST_200600_302600_NS17counting_iteratorIxNS8_11hip_rocprim3tagENS8_11use_defaultESC_EEPxxNS8_4plusIxEEEE10hipError_tPvRmT1_T2_T3_mT4_P12ihipStream_tbEUlT_E0_NS1_11comp_targetILNS1_3genE5ELNS1_11target_archE942ELNS1_3gpuE9ELNS1_3repE0EEENS1_30default_config_static_selectorELNS0_4arch9wavefront6targetE1EEEvSK_.num_agpr, 0
	.set _ZN7rocprim17ROCPRIM_400000_NS6detail17trampoline_kernelINS0_14default_configENS1_22reduce_config_selectorIxEEZNS1_11reduce_implILb1ES3_N6thrust23THRUST_200600_302600_NS17counting_iteratorIxNS8_11hip_rocprim3tagENS8_11use_defaultESC_EEPxxNS8_4plusIxEEEE10hipError_tPvRmT1_T2_T3_mT4_P12ihipStream_tbEUlT_E0_NS1_11comp_targetILNS1_3genE5ELNS1_11target_archE942ELNS1_3gpuE9ELNS1_3repE0EEENS1_30default_config_static_selectorELNS0_4arch9wavefront6targetE1EEEvSK_.numbered_sgpr, 0
	.set _ZN7rocprim17ROCPRIM_400000_NS6detail17trampoline_kernelINS0_14default_configENS1_22reduce_config_selectorIxEEZNS1_11reduce_implILb1ES3_N6thrust23THRUST_200600_302600_NS17counting_iteratorIxNS8_11hip_rocprim3tagENS8_11use_defaultESC_EEPxxNS8_4plusIxEEEE10hipError_tPvRmT1_T2_T3_mT4_P12ihipStream_tbEUlT_E0_NS1_11comp_targetILNS1_3genE5ELNS1_11target_archE942ELNS1_3gpuE9ELNS1_3repE0EEENS1_30default_config_static_selectorELNS0_4arch9wavefront6targetE1EEEvSK_.num_named_barrier, 0
	.set _ZN7rocprim17ROCPRIM_400000_NS6detail17trampoline_kernelINS0_14default_configENS1_22reduce_config_selectorIxEEZNS1_11reduce_implILb1ES3_N6thrust23THRUST_200600_302600_NS17counting_iteratorIxNS8_11hip_rocprim3tagENS8_11use_defaultESC_EEPxxNS8_4plusIxEEEE10hipError_tPvRmT1_T2_T3_mT4_P12ihipStream_tbEUlT_E0_NS1_11comp_targetILNS1_3genE5ELNS1_11target_archE942ELNS1_3gpuE9ELNS1_3repE0EEENS1_30default_config_static_selectorELNS0_4arch9wavefront6targetE1EEEvSK_.private_seg_size, 0
	.set _ZN7rocprim17ROCPRIM_400000_NS6detail17trampoline_kernelINS0_14default_configENS1_22reduce_config_selectorIxEEZNS1_11reduce_implILb1ES3_N6thrust23THRUST_200600_302600_NS17counting_iteratorIxNS8_11hip_rocprim3tagENS8_11use_defaultESC_EEPxxNS8_4plusIxEEEE10hipError_tPvRmT1_T2_T3_mT4_P12ihipStream_tbEUlT_E0_NS1_11comp_targetILNS1_3genE5ELNS1_11target_archE942ELNS1_3gpuE9ELNS1_3repE0EEENS1_30default_config_static_selectorELNS0_4arch9wavefront6targetE1EEEvSK_.uses_vcc, 0
	.set _ZN7rocprim17ROCPRIM_400000_NS6detail17trampoline_kernelINS0_14default_configENS1_22reduce_config_selectorIxEEZNS1_11reduce_implILb1ES3_N6thrust23THRUST_200600_302600_NS17counting_iteratorIxNS8_11hip_rocprim3tagENS8_11use_defaultESC_EEPxxNS8_4plusIxEEEE10hipError_tPvRmT1_T2_T3_mT4_P12ihipStream_tbEUlT_E0_NS1_11comp_targetILNS1_3genE5ELNS1_11target_archE942ELNS1_3gpuE9ELNS1_3repE0EEENS1_30default_config_static_selectorELNS0_4arch9wavefront6targetE1EEEvSK_.uses_flat_scratch, 0
	.set _ZN7rocprim17ROCPRIM_400000_NS6detail17trampoline_kernelINS0_14default_configENS1_22reduce_config_selectorIxEEZNS1_11reduce_implILb1ES3_N6thrust23THRUST_200600_302600_NS17counting_iteratorIxNS8_11hip_rocprim3tagENS8_11use_defaultESC_EEPxxNS8_4plusIxEEEE10hipError_tPvRmT1_T2_T3_mT4_P12ihipStream_tbEUlT_E0_NS1_11comp_targetILNS1_3genE5ELNS1_11target_archE942ELNS1_3gpuE9ELNS1_3repE0EEENS1_30default_config_static_selectorELNS0_4arch9wavefront6targetE1EEEvSK_.has_dyn_sized_stack, 0
	.set _ZN7rocprim17ROCPRIM_400000_NS6detail17trampoline_kernelINS0_14default_configENS1_22reduce_config_selectorIxEEZNS1_11reduce_implILb1ES3_N6thrust23THRUST_200600_302600_NS17counting_iteratorIxNS8_11hip_rocprim3tagENS8_11use_defaultESC_EEPxxNS8_4plusIxEEEE10hipError_tPvRmT1_T2_T3_mT4_P12ihipStream_tbEUlT_E0_NS1_11comp_targetILNS1_3genE5ELNS1_11target_archE942ELNS1_3gpuE9ELNS1_3repE0EEENS1_30default_config_static_selectorELNS0_4arch9wavefront6targetE1EEEvSK_.has_recursion, 0
	.set _ZN7rocprim17ROCPRIM_400000_NS6detail17trampoline_kernelINS0_14default_configENS1_22reduce_config_selectorIxEEZNS1_11reduce_implILb1ES3_N6thrust23THRUST_200600_302600_NS17counting_iteratorIxNS8_11hip_rocprim3tagENS8_11use_defaultESC_EEPxxNS8_4plusIxEEEE10hipError_tPvRmT1_T2_T3_mT4_P12ihipStream_tbEUlT_E0_NS1_11comp_targetILNS1_3genE5ELNS1_11target_archE942ELNS1_3gpuE9ELNS1_3repE0EEENS1_30default_config_static_selectorELNS0_4arch9wavefront6targetE1EEEvSK_.has_indirect_call, 0
	.section	.AMDGPU.csdata,"",@progbits
; Kernel info:
; codeLenInByte = 0
; TotalNumSgprs: 6
; NumVgprs: 0
; NumAgprs: 0
; TotalNumVgprs: 0
; ScratchSize: 0
; MemoryBound: 0
; FloatMode: 240
; IeeeMode: 1
; LDSByteSize: 0 bytes/workgroup (compile time only)
; SGPRBlocks: 0
; VGPRBlocks: 0
; NumSGPRsForWavesPerEU: 6
; NumVGPRsForWavesPerEU: 1
; AccumOffset: 4
; Occupancy: 8
; WaveLimiterHint : 0
; COMPUTE_PGM_RSRC2:SCRATCH_EN: 0
; COMPUTE_PGM_RSRC2:USER_SGPR: 2
; COMPUTE_PGM_RSRC2:TRAP_HANDLER: 0
; COMPUTE_PGM_RSRC2:TGID_X_EN: 1
; COMPUTE_PGM_RSRC2:TGID_Y_EN: 0
; COMPUTE_PGM_RSRC2:TGID_Z_EN: 0
; COMPUTE_PGM_RSRC2:TIDIG_COMP_CNT: 0
; COMPUTE_PGM_RSRC3_GFX90A:ACCUM_OFFSET: 0
; COMPUTE_PGM_RSRC3_GFX90A:TG_SPLIT: 0
	.section	.text._ZN7rocprim17ROCPRIM_400000_NS6detail17trampoline_kernelINS0_14default_configENS1_22reduce_config_selectorIxEEZNS1_11reduce_implILb1ES3_N6thrust23THRUST_200600_302600_NS17counting_iteratorIxNS8_11hip_rocprim3tagENS8_11use_defaultESC_EEPxxNS8_4plusIxEEEE10hipError_tPvRmT1_T2_T3_mT4_P12ihipStream_tbEUlT_E0_NS1_11comp_targetILNS1_3genE4ELNS1_11target_archE910ELNS1_3gpuE8ELNS1_3repE0EEENS1_30default_config_static_selectorELNS0_4arch9wavefront6targetE1EEEvSK_,"axG",@progbits,_ZN7rocprim17ROCPRIM_400000_NS6detail17trampoline_kernelINS0_14default_configENS1_22reduce_config_selectorIxEEZNS1_11reduce_implILb1ES3_N6thrust23THRUST_200600_302600_NS17counting_iteratorIxNS8_11hip_rocprim3tagENS8_11use_defaultESC_EEPxxNS8_4plusIxEEEE10hipError_tPvRmT1_T2_T3_mT4_P12ihipStream_tbEUlT_E0_NS1_11comp_targetILNS1_3genE4ELNS1_11target_archE910ELNS1_3gpuE8ELNS1_3repE0EEENS1_30default_config_static_selectorELNS0_4arch9wavefront6targetE1EEEvSK_,comdat
	.protected	_ZN7rocprim17ROCPRIM_400000_NS6detail17trampoline_kernelINS0_14default_configENS1_22reduce_config_selectorIxEEZNS1_11reduce_implILb1ES3_N6thrust23THRUST_200600_302600_NS17counting_iteratorIxNS8_11hip_rocprim3tagENS8_11use_defaultESC_EEPxxNS8_4plusIxEEEE10hipError_tPvRmT1_T2_T3_mT4_P12ihipStream_tbEUlT_E0_NS1_11comp_targetILNS1_3genE4ELNS1_11target_archE910ELNS1_3gpuE8ELNS1_3repE0EEENS1_30default_config_static_selectorELNS0_4arch9wavefront6targetE1EEEvSK_ ; -- Begin function _ZN7rocprim17ROCPRIM_400000_NS6detail17trampoline_kernelINS0_14default_configENS1_22reduce_config_selectorIxEEZNS1_11reduce_implILb1ES3_N6thrust23THRUST_200600_302600_NS17counting_iteratorIxNS8_11hip_rocprim3tagENS8_11use_defaultESC_EEPxxNS8_4plusIxEEEE10hipError_tPvRmT1_T2_T3_mT4_P12ihipStream_tbEUlT_E0_NS1_11comp_targetILNS1_3genE4ELNS1_11target_archE910ELNS1_3gpuE8ELNS1_3repE0EEENS1_30default_config_static_selectorELNS0_4arch9wavefront6targetE1EEEvSK_
	.globl	_ZN7rocprim17ROCPRIM_400000_NS6detail17trampoline_kernelINS0_14default_configENS1_22reduce_config_selectorIxEEZNS1_11reduce_implILb1ES3_N6thrust23THRUST_200600_302600_NS17counting_iteratorIxNS8_11hip_rocprim3tagENS8_11use_defaultESC_EEPxxNS8_4plusIxEEEE10hipError_tPvRmT1_T2_T3_mT4_P12ihipStream_tbEUlT_E0_NS1_11comp_targetILNS1_3genE4ELNS1_11target_archE910ELNS1_3gpuE8ELNS1_3repE0EEENS1_30default_config_static_selectorELNS0_4arch9wavefront6targetE1EEEvSK_
	.p2align	8
	.type	_ZN7rocprim17ROCPRIM_400000_NS6detail17trampoline_kernelINS0_14default_configENS1_22reduce_config_selectorIxEEZNS1_11reduce_implILb1ES3_N6thrust23THRUST_200600_302600_NS17counting_iteratorIxNS8_11hip_rocprim3tagENS8_11use_defaultESC_EEPxxNS8_4plusIxEEEE10hipError_tPvRmT1_T2_T3_mT4_P12ihipStream_tbEUlT_E0_NS1_11comp_targetILNS1_3genE4ELNS1_11target_archE910ELNS1_3gpuE8ELNS1_3repE0EEENS1_30default_config_static_selectorELNS0_4arch9wavefront6targetE1EEEvSK_,@function
_ZN7rocprim17ROCPRIM_400000_NS6detail17trampoline_kernelINS0_14default_configENS1_22reduce_config_selectorIxEEZNS1_11reduce_implILb1ES3_N6thrust23THRUST_200600_302600_NS17counting_iteratorIxNS8_11hip_rocprim3tagENS8_11use_defaultESC_EEPxxNS8_4plusIxEEEE10hipError_tPvRmT1_T2_T3_mT4_P12ihipStream_tbEUlT_E0_NS1_11comp_targetILNS1_3genE4ELNS1_11target_archE910ELNS1_3gpuE8ELNS1_3repE0EEENS1_30default_config_static_selectorELNS0_4arch9wavefront6targetE1EEEvSK_: ; @_ZN7rocprim17ROCPRIM_400000_NS6detail17trampoline_kernelINS0_14default_configENS1_22reduce_config_selectorIxEEZNS1_11reduce_implILb1ES3_N6thrust23THRUST_200600_302600_NS17counting_iteratorIxNS8_11hip_rocprim3tagENS8_11use_defaultESC_EEPxxNS8_4plusIxEEEE10hipError_tPvRmT1_T2_T3_mT4_P12ihipStream_tbEUlT_E0_NS1_11comp_targetILNS1_3genE4ELNS1_11target_archE910ELNS1_3gpuE8ELNS1_3repE0EEENS1_30default_config_static_selectorELNS0_4arch9wavefront6targetE1EEEvSK_
; %bb.0:
	.section	.rodata,"a",@progbits
	.p2align	6, 0x0
	.amdhsa_kernel _ZN7rocprim17ROCPRIM_400000_NS6detail17trampoline_kernelINS0_14default_configENS1_22reduce_config_selectorIxEEZNS1_11reduce_implILb1ES3_N6thrust23THRUST_200600_302600_NS17counting_iteratorIxNS8_11hip_rocprim3tagENS8_11use_defaultESC_EEPxxNS8_4plusIxEEEE10hipError_tPvRmT1_T2_T3_mT4_P12ihipStream_tbEUlT_E0_NS1_11comp_targetILNS1_3genE4ELNS1_11target_archE910ELNS1_3gpuE8ELNS1_3repE0EEENS1_30default_config_static_selectorELNS0_4arch9wavefront6targetE1EEEvSK_
		.amdhsa_group_segment_fixed_size 0
		.amdhsa_private_segment_fixed_size 0
		.amdhsa_kernarg_size 64
		.amdhsa_user_sgpr_count 2
		.amdhsa_user_sgpr_dispatch_ptr 0
		.amdhsa_user_sgpr_queue_ptr 0
		.amdhsa_user_sgpr_kernarg_segment_ptr 1
		.amdhsa_user_sgpr_dispatch_id 0
		.amdhsa_user_sgpr_kernarg_preload_length 0
		.amdhsa_user_sgpr_kernarg_preload_offset 0
		.amdhsa_user_sgpr_private_segment_size 0
		.amdhsa_uses_dynamic_stack 0
		.amdhsa_enable_private_segment 0
		.amdhsa_system_sgpr_workgroup_id_x 1
		.amdhsa_system_sgpr_workgroup_id_y 0
		.amdhsa_system_sgpr_workgroup_id_z 0
		.amdhsa_system_sgpr_workgroup_info 0
		.amdhsa_system_vgpr_workitem_id 0
		.amdhsa_next_free_vgpr 1
		.amdhsa_next_free_sgpr 0
		.amdhsa_accum_offset 4
		.amdhsa_reserve_vcc 0
		.amdhsa_float_round_mode_32 0
		.amdhsa_float_round_mode_16_64 0
		.amdhsa_float_denorm_mode_32 3
		.amdhsa_float_denorm_mode_16_64 3
		.amdhsa_dx10_clamp 1
		.amdhsa_ieee_mode 1
		.amdhsa_fp16_overflow 0
		.amdhsa_tg_split 0
		.amdhsa_exception_fp_ieee_invalid_op 0
		.amdhsa_exception_fp_denorm_src 0
		.amdhsa_exception_fp_ieee_div_zero 0
		.amdhsa_exception_fp_ieee_overflow 0
		.amdhsa_exception_fp_ieee_underflow 0
		.amdhsa_exception_fp_ieee_inexact 0
		.amdhsa_exception_int_div_zero 0
	.end_amdhsa_kernel
	.section	.text._ZN7rocprim17ROCPRIM_400000_NS6detail17trampoline_kernelINS0_14default_configENS1_22reduce_config_selectorIxEEZNS1_11reduce_implILb1ES3_N6thrust23THRUST_200600_302600_NS17counting_iteratorIxNS8_11hip_rocprim3tagENS8_11use_defaultESC_EEPxxNS8_4plusIxEEEE10hipError_tPvRmT1_T2_T3_mT4_P12ihipStream_tbEUlT_E0_NS1_11comp_targetILNS1_3genE4ELNS1_11target_archE910ELNS1_3gpuE8ELNS1_3repE0EEENS1_30default_config_static_selectorELNS0_4arch9wavefront6targetE1EEEvSK_,"axG",@progbits,_ZN7rocprim17ROCPRIM_400000_NS6detail17trampoline_kernelINS0_14default_configENS1_22reduce_config_selectorIxEEZNS1_11reduce_implILb1ES3_N6thrust23THRUST_200600_302600_NS17counting_iteratorIxNS8_11hip_rocprim3tagENS8_11use_defaultESC_EEPxxNS8_4plusIxEEEE10hipError_tPvRmT1_T2_T3_mT4_P12ihipStream_tbEUlT_E0_NS1_11comp_targetILNS1_3genE4ELNS1_11target_archE910ELNS1_3gpuE8ELNS1_3repE0EEENS1_30default_config_static_selectorELNS0_4arch9wavefront6targetE1EEEvSK_,comdat
.Lfunc_end1075:
	.size	_ZN7rocprim17ROCPRIM_400000_NS6detail17trampoline_kernelINS0_14default_configENS1_22reduce_config_selectorIxEEZNS1_11reduce_implILb1ES3_N6thrust23THRUST_200600_302600_NS17counting_iteratorIxNS8_11hip_rocprim3tagENS8_11use_defaultESC_EEPxxNS8_4plusIxEEEE10hipError_tPvRmT1_T2_T3_mT4_P12ihipStream_tbEUlT_E0_NS1_11comp_targetILNS1_3genE4ELNS1_11target_archE910ELNS1_3gpuE8ELNS1_3repE0EEENS1_30default_config_static_selectorELNS0_4arch9wavefront6targetE1EEEvSK_, .Lfunc_end1075-_ZN7rocprim17ROCPRIM_400000_NS6detail17trampoline_kernelINS0_14default_configENS1_22reduce_config_selectorIxEEZNS1_11reduce_implILb1ES3_N6thrust23THRUST_200600_302600_NS17counting_iteratorIxNS8_11hip_rocprim3tagENS8_11use_defaultESC_EEPxxNS8_4plusIxEEEE10hipError_tPvRmT1_T2_T3_mT4_P12ihipStream_tbEUlT_E0_NS1_11comp_targetILNS1_3genE4ELNS1_11target_archE910ELNS1_3gpuE8ELNS1_3repE0EEENS1_30default_config_static_selectorELNS0_4arch9wavefront6targetE1EEEvSK_
                                        ; -- End function
	.set _ZN7rocprim17ROCPRIM_400000_NS6detail17trampoline_kernelINS0_14default_configENS1_22reduce_config_selectorIxEEZNS1_11reduce_implILb1ES3_N6thrust23THRUST_200600_302600_NS17counting_iteratorIxNS8_11hip_rocprim3tagENS8_11use_defaultESC_EEPxxNS8_4plusIxEEEE10hipError_tPvRmT1_T2_T3_mT4_P12ihipStream_tbEUlT_E0_NS1_11comp_targetILNS1_3genE4ELNS1_11target_archE910ELNS1_3gpuE8ELNS1_3repE0EEENS1_30default_config_static_selectorELNS0_4arch9wavefront6targetE1EEEvSK_.num_vgpr, 0
	.set _ZN7rocprim17ROCPRIM_400000_NS6detail17trampoline_kernelINS0_14default_configENS1_22reduce_config_selectorIxEEZNS1_11reduce_implILb1ES3_N6thrust23THRUST_200600_302600_NS17counting_iteratorIxNS8_11hip_rocprim3tagENS8_11use_defaultESC_EEPxxNS8_4plusIxEEEE10hipError_tPvRmT1_T2_T3_mT4_P12ihipStream_tbEUlT_E0_NS1_11comp_targetILNS1_3genE4ELNS1_11target_archE910ELNS1_3gpuE8ELNS1_3repE0EEENS1_30default_config_static_selectorELNS0_4arch9wavefront6targetE1EEEvSK_.num_agpr, 0
	.set _ZN7rocprim17ROCPRIM_400000_NS6detail17trampoline_kernelINS0_14default_configENS1_22reduce_config_selectorIxEEZNS1_11reduce_implILb1ES3_N6thrust23THRUST_200600_302600_NS17counting_iteratorIxNS8_11hip_rocprim3tagENS8_11use_defaultESC_EEPxxNS8_4plusIxEEEE10hipError_tPvRmT1_T2_T3_mT4_P12ihipStream_tbEUlT_E0_NS1_11comp_targetILNS1_3genE4ELNS1_11target_archE910ELNS1_3gpuE8ELNS1_3repE0EEENS1_30default_config_static_selectorELNS0_4arch9wavefront6targetE1EEEvSK_.numbered_sgpr, 0
	.set _ZN7rocprim17ROCPRIM_400000_NS6detail17trampoline_kernelINS0_14default_configENS1_22reduce_config_selectorIxEEZNS1_11reduce_implILb1ES3_N6thrust23THRUST_200600_302600_NS17counting_iteratorIxNS8_11hip_rocprim3tagENS8_11use_defaultESC_EEPxxNS8_4plusIxEEEE10hipError_tPvRmT1_T2_T3_mT4_P12ihipStream_tbEUlT_E0_NS1_11comp_targetILNS1_3genE4ELNS1_11target_archE910ELNS1_3gpuE8ELNS1_3repE0EEENS1_30default_config_static_selectorELNS0_4arch9wavefront6targetE1EEEvSK_.num_named_barrier, 0
	.set _ZN7rocprim17ROCPRIM_400000_NS6detail17trampoline_kernelINS0_14default_configENS1_22reduce_config_selectorIxEEZNS1_11reduce_implILb1ES3_N6thrust23THRUST_200600_302600_NS17counting_iteratorIxNS8_11hip_rocprim3tagENS8_11use_defaultESC_EEPxxNS8_4plusIxEEEE10hipError_tPvRmT1_T2_T3_mT4_P12ihipStream_tbEUlT_E0_NS1_11comp_targetILNS1_3genE4ELNS1_11target_archE910ELNS1_3gpuE8ELNS1_3repE0EEENS1_30default_config_static_selectorELNS0_4arch9wavefront6targetE1EEEvSK_.private_seg_size, 0
	.set _ZN7rocprim17ROCPRIM_400000_NS6detail17trampoline_kernelINS0_14default_configENS1_22reduce_config_selectorIxEEZNS1_11reduce_implILb1ES3_N6thrust23THRUST_200600_302600_NS17counting_iteratorIxNS8_11hip_rocprim3tagENS8_11use_defaultESC_EEPxxNS8_4plusIxEEEE10hipError_tPvRmT1_T2_T3_mT4_P12ihipStream_tbEUlT_E0_NS1_11comp_targetILNS1_3genE4ELNS1_11target_archE910ELNS1_3gpuE8ELNS1_3repE0EEENS1_30default_config_static_selectorELNS0_4arch9wavefront6targetE1EEEvSK_.uses_vcc, 0
	.set _ZN7rocprim17ROCPRIM_400000_NS6detail17trampoline_kernelINS0_14default_configENS1_22reduce_config_selectorIxEEZNS1_11reduce_implILb1ES3_N6thrust23THRUST_200600_302600_NS17counting_iteratorIxNS8_11hip_rocprim3tagENS8_11use_defaultESC_EEPxxNS8_4plusIxEEEE10hipError_tPvRmT1_T2_T3_mT4_P12ihipStream_tbEUlT_E0_NS1_11comp_targetILNS1_3genE4ELNS1_11target_archE910ELNS1_3gpuE8ELNS1_3repE0EEENS1_30default_config_static_selectorELNS0_4arch9wavefront6targetE1EEEvSK_.uses_flat_scratch, 0
	.set _ZN7rocprim17ROCPRIM_400000_NS6detail17trampoline_kernelINS0_14default_configENS1_22reduce_config_selectorIxEEZNS1_11reduce_implILb1ES3_N6thrust23THRUST_200600_302600_NS17counting_iteratorIxNS8_11hip_rocprim3tagENS8_11use_defaultESC_EEPxxNS8_4plusIxEEEE10hipError_tPvRmT1_T2_T3_mT4_P12ihipStream_tbEUlT_E0_NS1_11comp_targetILNS1_3genE4ELNS1_11target_archE910ELNS1_3gpuE8ELNS1_3repE0EEENS1_30default_config_static_selectorELNS0_4arch9wavefront6targetE1EEEvSK_.has_dyn_sized_stack, 0
	.set _ZN7rocprim17ROCPRIM_400000_NS6detail17trampoline_kernelINS0_14default_configENS1_22reduce_config_selectorIxEEZNS1_11reduce_implILb1ES3_N6thrust23THRUST_200600_302600_NS17counting_iteratorIxNS8_11hip_rocprim3tagENS8_11use_defaultESC_EEPxxNS8_4plusIxEEEE10hipError_tPvRmT1_T2_T3_mT4_P12ihipStream_tbEUlT_E0_NS1_11comp_targetILNS1_3genE4ELNS1_11target_archE910ELNS1_3gpuE8ELNS1_3repE0EEENS1_30default_config_static_selectorELNS0_4arch9wavefront6targetE1EEEvSK_.has_recursion, 0
	.set _ZN7rocprim17ROCPRIM_400000_NS6detail17trampoline_kernelINS0_14default_configENS1_22reduce_config_selectorIxEEZNS1_11reduce_implILb1ES3_N6thrust23THRUST_200600_302600_NS17counting_iteratorIxNS8_11hip_rocprim3tagENS8_11use_defaultESC_EEPxxNS8_4plusIxEEEE10hipError_tPvRmT1_T2_T3_mT4_P12ihipStream_tbEUlT_E0_NS1_11comp_targetILNS1_3genE4ELNS1_11target_archE910ELNS1_3gpuE8ELNS1_3repE0EEENS1_30default_config_static_selectorELNS0_4arch9wavefront6targetE1EEEvSK_.has_indirect_call, 0
	.section	.AMDGPU.csdata,"",@progbits
; Kernel info:
; codeLenInByte = 0
; TotalNumSgprs: 6
; NumVgprs: 0
; NumAgprs: 0
; TotalNumVgprs: 0
; ScratchSize: 0
; MemoryBound: 0
; FloatMode: 240
; IeeeMode: 1
; LDSByteSize: 0 bytes/workgroup (compile time only)
; SGPRBlocks: 0
; VGPRBlocks: 0
; NumSGPRsForWavesPerEU: 6
; NumVGPRsForWavesPerEU: 1
; AccumOffset: 4
; Occupancy: 8
; WaveLimiterHint : 0
; COMPUTE_PGM_RSRC2:SCRATCH_EN: 0
; COMPUTE_PGM_RSRC2:USER_SGPR: 2
; COMPUTE_PGM_RSRC2:TRAP_HANDLER: 0
; COMPUTE_PGM_RSRC2:TGID_X_EN: 1
; COMPUTE_PGM_RSRC2:TGID_Y_EN: 0
; COMPUTE_PGM_RSRC2:TGID_Z_EN: 0
; COMPUTE_PGM_RSRC2:TIDIG_COMP_CNT: 0
; COMPUTE_PGM_RSRC3_GFX90A:ACCUM_OFFSET: 0
; COMPUTE_PGM_RSRC3_GFX90A:TG_SPLIT: 0
	.section	.text._ZN7rocprim17ROCPRIM_400000_NS6detail17trampoline_kernelINS0_14default_configENS1_22reduce_config_selectorIxEEZNS1_11reduce_implILb1ES3_N6thrust23THRUST_200600_302600_NS17counting_iteratorIxNS8_11hip_rocprim3tagENS8_11use_defaultESC_EEPxxNS8_4plusIxEEEE10hipError_tPvRmT1_T2_T3_mT4_P12ihipStream_tbEUlT_E0_NS1_11comp_targetILNS1_3genE3ELNS1_11target_archE908ELNS1_3gpuE7ELNS1_3repE0EEENS1_30default_config_static_selectorELNS0_4arch9wavefront6targetE1EEEvSK_,"axG",@progbits,_ZN7rocprim17ROCPRIM_400000_NS6detail17trampoline_kernelINS0_14default_configENS1_22reduce_config_selectorIxEEZNS1_11reduce_implILb1ES3_N6thrust23THRUST_200600_302600_NS17counting_iteratorIxNS8_11hip_rocprim3tagENS8_11use_defaultESC_EEPxxNS8_4plusIxEEEE10hipError_tPvRmT1_T2_T3_mT4_P12ihipStream_tbEUlT_E0_NS1_11comp_targetILNS1_3genE3ELNS1_11target_archE908ELNS1_3gpuE7ELNS1_3repE0EEENS1_30default_config_static_selectorELNS0_4arch9wavefront6targetE1EEEvSK_,comdat
	.protected	_ZN7rocprim17ROCPRIM_400000_NS6detail17trampoline_kernelINS0_14default_configENS1_22reduce_config_selectorIxEEZNS1_11reduce_implILb1ES3_N6thrust23THRUST_200600_302600_NS17counting_iteratorIxNS8_11hip_rocprim3tagENS8_11use_defaultESC_EEPxxNS8_4plusIxEEEE10hipError_tPvRmT1_T2_T3_mT4_P12ihipStream_tbEUlT_E0_NS1_11comp_targetILNS1_3genE3ELNS1_11target_archE908ELNS1_3gpuE7ELNS1_3repE0EEENS1_30default_config_static_selectorELNS0_4arch9wavefront6targetE1EEEvSK_ ; -- Begin function _ZN7rocprim17ROCPRIM_400000_NS6detail17trampoline_kernelINS0_14default_configENS1_22reduce_config_selectorIxEEZNS1_11reduce_implILb1ES3_N6thrust23THRUST_200600_302600_NS17counting_iteratorIxNS8_11hip_rocprim3tagENS8_11use_defaultESC_EEPxxNS8_4plusIxEEEE10hipError_tPvRmT1_T2_T3_mT4_P12ihipStream_tbEUlT_E0_NS1_11comp_targetILNS1_3genE3ELNS1_11target_archE908ELNS1_3gpuE7ELNS1_3repE0EEENS1_30default_config_static_selectorELNS0_4arch9wavefront6targetE1EEEvSK_
	.globl	_ZN7rocprim17ROCPRIM_400000_NS6detail17trampoline_kernelINS0_14default_configENS1_22reduce_config_selectorIxEEZNS1_11reduce_implILb1ES3_N6thrust23THRUST_200600_302600_NS17counting_iteratorIxNS8_11hip_rocprim3tagENS8_11use_defaultESC_EEPxxNS8_4plusIxEEEE10hipError_tPvRmT1_T2_T3_mT4_P12ihipStream_tbEUlT_E0_NS1_11comp_targetILNS1_3genE3ELNS1_11target_archE908ELNS1_3gpuE7ELNS1_3repE0EEENS1_30default_config_static_selectorELNS0_4arch9wavefront6targetE1EEEvSK_
	.p2align	8
	.type	_ZN7rocprim17ROCPRIM_400000_NS6detail17trampoline_kernelINS0_14default_configENS1_22reduce_config_selectorIxEEZNS1_11reduce_implILb1ES3_N6thrust23THRUST_200600_302600_NS17counting_iteratorIxNS8_11hip_rocprim3tagENS8_11use_defaultESC_EEPxxNS8_4plusIxEEEE10hipError_tPvRmT1_T2_T3_mT4_P12ihipStream_tbEUlT_E0_NS1_11comp_targetILNS1_3genE3ELNS1_11target_archE908ELNS1_3gpuE7ELNS1_3repE0EEENS1_30default_config_static_selectorELNS0_4arch9wavefront6targetE1EEEvSK_,@function
_ZN7rocprim17ROCPRIM_400000_NS6detail17trampoline_kernelINS0_14default_configENS1_22reduce_config_selectorIxEEZNS1_11reduce_implILb1ES3_N6thrust23THRUST_200600_302600_NS17counting_iteratorIxNS8_11hip_rocprim3tagENS8_11use_defaultESC_EEPxxNS8_4plusIxEEEE10hipError_tPvRmT1_T2_T3_mT4_P12ihipStream_tbEUlT_E0_NS1_11comp_targetILNS1_3genE3ELNS1_11target_archE908ELNS1_3gpuE7ELNS1_3repE0EEENS1_30default_config_static_selectorELNS0_4arch9wavefront6targetE1EEEvSK_: ; @_ZN7rocprim17ROCPRIM_400000_NS6detail17trampoline_kernelINS0_14default_configENS1_22reduce_config_selectorIxEEZNS1_11reduce_implILb1ES3_N6thrust23THRUST_200600_302600_NS17counting_iteratorIxNS8_11hip_rocprim3tagENS8_11use_defaultESC_EEPxxNS8_4plusIxEEEE10hipError_tPvRmT1_T2_T3_mT4_P12ihipStream_tbEUlT_E0_NS1_11comp_targetILNS1_3genE3ELNS1_11target_archE908ELNS1_3gpuE7ELNS1_3repE0EEENS1_30default_config_static_selectorELNS0_4arch9wavefront6targetE1EEEvSK_
; %bb.0:
	.section	.rodata,"a",@progbits
	.p2align	6, 0x0
	.amdhsa_kernel _ZN7rocprim17ROCPRIM_400000_NS6detail17trampoline_kernelINS0_14default_configENS1_22reduce_config_selectorIxEEZNS1_11reduce_implILb1ES3_N6thrust23THRUST_200600_302600_NS17counting_iteratorIxNS8_11hip_rocprim3tagENS8_11use_defaultESC_EEPxxNS8_4plusIxEEEE10hipError_tPvRmT1_T2_T3_mT4_P12ihipStream_tbEUlT_E0_NS1_11comp_targetILNS1_3genE3ELNS1_11target_archE908ELNS1_3gpuE7ELNS1_3repE0EEENS1_30default_config_static_selectorELNS0_4arch9wavefront6targetE1EEEvSK_
		.amdhsa_group_segment_fixed_size 0
		.amdhsa_private_segment_fixed_size 0
		.amdhsa_kernarg_size 64
		.amdhsa_user_sgpr_count 2
		.amdhsa_user_sgpr_dispatch_ptr 0
		.amdhsa_user_sgpr_queue_ptr 0
		.amdhsa_user_sgpr_kernarg_segment_ptr 1
		.amdhsa_user_sgpr_dispatch_id 0
		.amdhsa_user_sgpr_kernarg_preload_length 0
		.amdhsa_user_sgpr_kernarg_preload_offset 0
		.amdhsa_user_sgpr_private_segment_size 0
		.amdhsa_uses_dynamic_stack 0
		.amdhsa_enable_private_segment 0
		.amdhsa_system_sgpr_workgroup_id_x 1
		.amdhsa_system_sgpr_workgroup_id_y 0
		.amdhsa_system_sgpr_workgroup_id_z 0
		.amdhsa_system_sgpr_workgroup_info 0
		.amdhsa_system_vgpr_workitem_id 0
		.amdhsa_next_free_vgpr 1
		.amdhsa_next_free_sgpr 0
		.amdhsa_accum_offset 4
		.amdhsa_reserve_vcc 0
		.amdhsa_float_round_mode_32 0
		.amdhsa_float_round_mode_16_64 0
		.amdhsa_float_denorm_mode_32 3
		.amdhsa_float_denorm_mode_16_64 3
		.amdhsa_dx10_clamp 1
		.amdhsa_ieee_mode 1
		.amdhsa_fp16_overflow 0
		.amdhsa_tg_split 0
		.amdhsa_exception_fp_ieee_invalid_op 0
		.amdhsa_exception_fp_denorm_src 0
		.amdhsa_exception_fp_ieee_div_zero 0
		.amdhsa_exception_fp_ieee_overflow 0
		.amdhsa_exception_fp_ieee_underflow 0
		.amdhsa_exception_fp_ieee_inexact 0
		.amdhsa_exception_int_div_zero 0
	.end_amdhsa_kernel
	.section	.text._ZN7rocprim17ROCPRIM_400000_NS6detail17trampoline_kernelINS0_14default_configENS1_22reduce_config_selectorIxEEZNS1_11reduce_implILb1ES3_N6thrust23THRUST_200600_302600_NS17counting_iteratorIxNS8_11hip_rocprim3tagENS8_11use_defaultESC_EEPxxNS8_4plusIxEEEE10hipError_tPvRmT1_T2_T3_mT4_P12ihipStream_tbEUlT_E0_NS1_11comp_targetILNS1_3genE3ELNS1_11target_archE908ELNS1_3gpuE7ELNS1_3repE0EEENS1_30default_config_static_selectorELNS0_4arch9wavefront6targetE1EEEvSK_,"axG",@progbits,_ZN7rocprim17ROCPRIM_400000_NS6detail17trampoline_kernelINS0_14default_configENS1_22reduce_config_selectorIxEEZNS1_11reduce_implILb1ES3_N6thrust23THRUST_200600_302600_NS17counting_iteratorIxNS8_11hip_rocprim3tagENS8_11use_defaultESC_EEPxxNS8_4plusIxEEEE10hipError_tPvRmT1_T2_T3_mT4_P12ihipStream_tbEUlT_E0_NS1_11comp_targetILNS1_3genE3ELNS1_11target_archE908ELNS1_3gpuE7ELNS1_3repE0EEENS1_30default_config_static_selectorELNS0_4arch9wavefront6targetE1EEEvSK_,comdat
.Lfunc_end1076:
	.size	_ZN7rocprim17ROCPRIM_400000_NS6detail17trampoline_kernelINS0_14default_configENS1_22reduce_config_selectorIxEEZNS1_11reduce_implILb1ES3_N6thrust23THRUST_200600_302600_NS17counting_iteratorIxNS8_11hip_rocprim3tagENS8_11use_defaultESC_EEPxxNS8_4plusIxEEEE10hipError_tPvRmT1_T2_T3_mT4_P12ihipStream_tbEUlT_E0_NS1_11comp_targetILNS1_3genE3ELNS1_11target_archE908ELNS1_3gpuE7ELNS1_3repE0EEENS1_30default_config_static_selectorELNS0_4arch9wavefront6targetE1EEEvSK_, .Lfunc_end1076-_ZN7rocprim17ROCPRIM_400000_NS6detail17trampoline_kernelINS0_14default_configENS1_22reduce_config_selectorIxEEZNS1_11reduce_implILb1ES3_N6thrust23THRUST_200600_302600_NS17counting_iteratorIxNS8_11hip_rocprim3tagENS8_11use_defaultESC_EEPxxNS8_4plusIxEEEE10hipError_tPvRmT1_T2_T3_mT4_P12ihipStream_tbEUlT_E0_NS1_11comp_targetILNS1_3genE3ELNS1_11target_archE908ELNS1_3gpuE7ELNS1_3repE0EEENS1_30default_config_static_selectorELNS0_4arch9wavefront6targetE1EEEvSK_
                                        ; -- End function
	.set _ZN7rocprim17ROCPRIM_400000_NS6detail17trampoline_kernelINS0_14default_configENS1_22reduce_config_selectorIxEEZNS1_11reduce_implILb1ES3_N6thrust23THRUST_200600_302600_NS17counting_iteratorIxNS8_11hip_rocprim3tagENS8_11use_defaultESC_EEPxxNS8_4plusIxEEEE10hipError_tPvRmT1_T2_T3_mT4_P12ihipStream_tbEUlT_E0_NS1_11comp_targetILNS1_3genE3ELNS1_11target_archE908ELNS1_3gpuE7ELNS1_3repE0EEENS1_30default_config_static_selectorELNS0_4arch9wavefront6targetE1EEEvSK_.num_vgpr, 0
	.set _ZN7rocprim17ROCPRIM_400000_NS6detail17trampoline_kernelINS0_14default_configENS1_22reduce_config_selectorIxEEZNS1_11reduce_implILb1ES3_N6thrust23THRUST_200600_302600_NS17counting_iteratorIxNS8_11hip_rocprim3tagENS8_11use_defaultESC_EEPxxNS8_4plusIxEEEE10hipError_tPvRmT1_T2_T3_mT4_P12ihipStream_tbEUlT_E0_NS1_11comp_targetILNS1_3genE3ELNS1_11target_archE908ELNS1_3gpuE7ELNS1_3repE0EEENS1_30default_config_static_selectorELNS0_4arch9wavefront6targetE1EEEvSK_.num_agpr, 0
	.set _ZN7rocprim17ROCPRIM_400000_NS6detail17trampoline_kernelINS0_14default_configENS1_22reduce_config_selectorIxEEZNS1_11reduce_implILb1ES3_N6thrust23THRUST_200600_302600_NS17counting_iteratorIxNS8_11hip_rocprim3tagENS8_11use_defaultESC_EEPxxNS8_4plusIxEEEE10hipError_tPvRmT1_T2_T3_mT4_P12ihipStream_tbEUlT_E0_NS1_11comp_targetILNS1_3genE3ELNS1_11target_archE908ELNS1_3gpuE7ELNS1_3repE0EEENS1_30default_config_static_selectorELNS0_4arch9wavefront6targetE1EEEvSK_.numbered_sgpr, 0
	.set _ZN7rocprim17ROCPRIM_400000_NS6detail17trampoline_kernelINS0_14default_configENS1_22reduce_config_selectorIxEEZNS1_11reduce_implILb1ES3_N6thrust23THRUST_200600_302600_NS17counting_iteratorIxNS8_11hip_rocprim3tagENS8_11use_defaultESC_EEPxxNS8_4plusIxEEEE10hipError_tPvRmT1_T2_T3_mT4_P12ihipStream_tbEUlT_E0_NS1_11comp_targetILNS1_3genE3ELNS1_11target_archE908ELNS1_3gpuE7ELNS1_3repE0EEENS1_30default_config_static_selectorELNS0_4arch9wavefront6targetE1EEEvSK_.num_named_barrier, 0
	.set _ZN7rocprim17ROCPRIM_400000_NS6detail17trampoline_kernelINS0_14default_configENS1_22reduce_config_selectorIxEEZNS1_11reduce_implILb1ES3_N6thrust23THRUST_200600_302600_NS17counting_iteratorIxNS8_11hip_rocprim3tagENS8_11use_defaultESC_EEPxxNS8_4plusIxEEEE10hipError_tPvRmT1_T2_T3_mT4_P12ihipStream_tbEUlT_E0_NS1_11comp_targetILNS1_3genE3ELNS1_11target_archE908ELNS1_3gpuE7ELNS1_3repE0EEENS1_30default_config_static_selectorELNS0_4arch9wavefront6targetE1EEEvSK_.private_seg_size, 0
	.set _ZN7rocprim17ROCPRIM_400000_NS6detail17trampoline_kernelINS0_14default_configENS1_22reduce_config_selectorIxEEZNS1_11reduce_implILb1ES3_N6thrust23THRUST_200600_302600_NS17counting_iteratorIxNS8_11hip_rocprim3tagENS8_11use_defaultESC_EEPxxNS8_4plusIxEEEE10hipError_tPvRmT1_T2_T3_mT4_P12ihipStream_tbEUlT_E0_NS1_11comp_targetILNS1_3genE3ELNS1_11target_archE908ELNS1_3gpuE7ELNS1_3repE0EEENS1_30default_config_static_selectorELNS0_4arch9wavefront6targetE1EEEvSK_.uses_vcc, 0
	.set _ZN7rocprim17ROCPRIM_400000_NS6detail17trampoline_kernelINS0_14default_configENS1_22reduce_config_selectorIxEEZNS1_11reduce_implILb1ES3_N6thrust23THRUST_200600_302600_NS17counting_iteratorIxNS8_11hip_rocprim3tagENS8_11use_defaultESC_EEPxxNS8_4plusIxEEEE10hipError_tPvRmT1_T2_T3_mT4_P12ihipStream_tbEUlT_E0_NS1_11comp_targetILNS1_3genE3ELNS1_11target_archE908ELNS1_3gpuE7ELNS1_3repE0EEENS1_30default_config_static_selectorELNS0_4arch9wavefront6targetE1EEEvSK_.uses_flat_scratch, 0
	.set _ZN7rocprim17ROCPRIM_400000_NS6detail17trampoline_kernelINS0_14default_configENS1_22reduce_config_selectorIxEEZNS1_11reduce_implILb1ES3_N6thrust23THRUST_200600_302600_NS17counting_iteratorIxNS8_11hip_rocprim3tagENS8_11use_defaultESC_EEPxxNS8_4plusIxEEEE10hipError_tPvRmT1_T2_T3_mT4_P12ihipStream_tbEUlT_E0_NS1_11comp_targetILNS1_3genE3ELNS1_11target_archE908ELNS1_3gpuE7ELNS1_3repE0EEENS1_30default_config_static_selectorELNS0_4arch9wavefront6targetE1EEEvSK_.has_dyn_sized_stack, 0
	.set _ZN7rocprim17ROCPRIM_400000_NS6detail17trampoline_kernelINS0_14default_configENS1_22reduce_config_selectorIxEEZNS1_11reduce_implILb1ES3_N6thrust23THRUST_200600_302600_NS17counting_iteratorIxNS8_11hip_rocprim3tagENS8_11use_defaultESC_EEPxxNS8_4plusIxEEEE10hipError_tPvRmT1_T2_T3_mT4_P12ihipStream_tbEUlT_E0_NS1_11comp_targetILNS1_3genE3ELNS1_11target_archE908ELNS1_3gpuE7ELNS1_3repE0EEENS1_30default_config_static_selectorELNS0_4arch9wavefront6targetE1EEEvSK_.has_recursion, 0
	.set _ZN7rocprim17ROCPRIM_400000_NS6detail17trampoline_kernelINS0_14default_configENS1_22reduce_config_selectorIxEEZNS1_11reduce_implILb1ES3_N6thrust23THRUST_200600_302600_NS17counting_iteratorIxNS8_11hip_rocprim3tagENS8_11use_defaultESC_EEPxxNS8_4plusIxEEEE10hipError_tPvRmT1_T2_T3_mT4_P12ihipStream_tbEUlT_E0_NS1_11comp_targetILNS1_3genE3ELNS1_11target_archE908ELNS1_3gpuE7ELNS1_3repE0EEENS1_30default_config_static_selectorELNS0_4arch9wavefront6targetE1EEEvSK_.has_indirect_call, 0
	.section	.AMDGPU.csdata,"",@progbits
; Kernel info:
; codeLenInByte = 0
; TotalNumSgprs: 6
; NumVgprs: 0
; NumAgprs: 0
; TotalNumVgprs: 0
; ScratchSize: 0
; MemoryBound: 0
; FloatMode: 240
; IeeeMode: 1
; LDSByteSize: 0 bytes/workgroup (compile time only)
; SGPRBlocks: 0
; VGPRBlocks: 0
; NumSGPRsForWavesPerEU: 6
; NumVGPRsForWavesPerEU: 1
; AccumOffset: 4
; Occupancy: 8
; WaveLimiterHint : 0
; COMPUTE_PGM_RSRC2:SCRATCH_EN: 0
; COMPUTE_PGM_RSRC2:USER_SGPR: 2
; COMPUTE_PGM_RSRC2:TRAP_HANDLER: 0
; COMPUTE_PGM_RSRC2:TGID_X_EN: 1
; COMPUTE_PGM_RSRC2:TGID_Y_EN: 0
; COMPUTE_PGM_RSRC2:TGID_Z_EN: 0
; COMPUTE_PGM_RSRC2:TIDIG_COMP_CNT: 0
; COMPUTE_PGM_RSRC3_GFX90A:ACCUM_OFFSET: 0
; COMPUTE_PGM_RSRC3_GFX90A:TG_SPLIT: 0
	.section	.text._ZN7rocprim17ROCPRIM_400000_NS6detail17trampoline_kernelINS0_14default_configENS1_22reduce_config_selectorIxEEZNS1_11reduce_implILb1ES3_N6thrust23THRUST_200600_302600_NS17counting_iteratorIxNS8_11hip_rocprim3tagENS8_11use_defaultESC_EEPxxNS8_4plusIxEEEE10hipError_tPvRmT1_T2_T3_mT4_P12ihipStream_tbEUlT_E0_NS1_11comp_targetILNS1_3genE2ELNS1_11target_archE906ELNS1_3gpuE6ELNS1_3repE0EEENS1_30default_config_static_selectorELNS0_4arch9wavefront6targetE1EEEvSK_,"axG",@progbits,_ZN7rocprim17ROCPRIM_400000_NS6detail17trampoline_kernelINS0_14default_configENS1_22reduce_config_selectorIxEEZNS1_11reduce_implILb1ES3_N6thrust23THRUST_200600_302600_NS17counting_iteratorIxNS8_11hip_rocprim3tagENS8_11use_defaultESC_EEPxxNS8_4plusIxEEEE10hipError_tPvRmT1_T2_T3_mT4_P12ihipStream_tbEUlT_E0_NS1_11comp_targetILNS1_3genE2ELNS1_11target_archE906ELNS1_3gpuE6ELNS1_3repE0EEENS1_30default_config_static_selectorELNS0_4arch9wavefront6targetE1EEEvSK_,comdat
	.protected	_ZN7rocprim17ROCPRIM_400000_NS6detail17trampoline_kernelINS0_14default_configENS1_22reduce_config_selectorIxEEZNS1_11reduce_implILb1ES3_N6thrust23THRUST_200600_302600_NS17counting_iteratorIxNS8_11hip_rocprim3tagENS8_11use_defaultESC_EEPxxNS8_4plusIxEEEE10hipError_tPvRmT1_T2_T3_mT4_P12ihipStream_tbEUlT_E0_NS1_11comp_targetILNS1_3genE2ELNS1_11target_archE906ELNS1_3gpuE6ELNS1_3repE0EEENS1_30default_config_static_selectorELNS0_4arch9wavefront6targetE1EEEvSK_ ; -- Begin function _ZN7rocprim17ROCPRIM_400000_NS6detail17trampoline_kernelINS0_14default_configENS1_22reduce_config_selectorIxEEZNS1_11reduce_implILb1ES3_N6thrust23THRUST_200600_302600_NS17counting_iteratorIxNS8_11hip_rocprim3tagENS8_11use_defaultESC_EEPxxNS8_4plusIxEEEE10hipError_tPvRmT1_T2_T3_mT4_P12ihipStream_tbEUlT_E0_NS1_11comp_targetILNS1_3genE2ELNS1_11target_archE906ELNS1_3gpuE6ELNS1_3repE0EEENS1_30default_config_static_selectorELNS0_4arch9wavefront6targetE1EEEvSK_
	.globl	_ZN7rocprim17ROCPRIM_400000_NS6detail17trampoline_kernelINS0_14default_configENS1_22reduce_config_selectorIxEEZNS1_11reduce_implILb1ES3_N6thrust23THRUST_200600_302600_NS17counting_iteratorIxNS8_11hip_rocprim3tagENS8_11use_defaultESC_EEPxxNS8_4plusIxEEEE10hipError_tPvRmT1_T2_T3_mT4_P12ihipStream_tbEUlT_E0_NS1_11comp_targetILNS1_3genE2ELNS1_11target_archE906ELNS1_3gpuE6ELNS1_3repE0EEENS1_30default_config_static_selectorELNS0_4arch9wavefront6targetE1EEEvSK_
	.p2align	8
	.type	_ZN7rocprim17ROCPRIM_400000_NS6detail17trampoline_kernelINS0_14default_configENS1_22reduce_config_selectorIxEEZNS1_11reduce_implILb1ES3_N6thrust23THRUST_200600_302600_NS17counting_iteratorIxNS8_11hip_rocprim3tagENS8_11use_defaultESC_EEPxxNS8_4plusIxEEEE10hipError_tPvRmT1_T2_T3_mT4_P12ihipStream_tbEUlT_E0_NS1_11comp_targetILNS1_3genE2ELNS1_11target_archE906ELNS1_3gpuE6ELNS1_3repE0EEENS1_30default_config_static_selectorELNS0_4arch9wavefront6targetE1EEEvSK_,@function
_ZN7rocprim17ROCPRIM_400000_NS6detail17trampoline_kernelINS0_14default_configENS1_22reduce_config_selectorIxEEZNS1_11reduce_implILb1ES3_N6thrust23THRUST_200600_302600_NS17counting_iteratorIxNS8_11hip_rocprim3tagENS8_11use_defaultESC_EEPxxNS8_4plusIxEEEE10hipError_tPvRmT1_T2_T3_mT4_P12ihipStream_tbEUlT_E0_NS1_11comp_targetILNS1_3genE2ELNS1_11target_archE906ELNS1_3gpuE6ELNS1_3repE0EEENS1_30default_config_static_selectorELNS0_4arch9wavefront6targetE1EEEvSK_: ; @_ZN7rocprim17ROCPRIM_400000_NS6detail17trampoline_kernelINS0_14default_configENS1_22reduce_config_selectorIxEEZNS1_11reduce_implILb1ES3_N6thrust23THRUST_200600_302600_NS17counting_iteratorIxNS8_11hip_rocprim3tagENS8_11use_defaultESC_EEPxxNS8_4plusIxEEEE10hipError_tPvRmT1_T2_T3_mT4_P12ihipStream_tbEUlT_E0_NS1_11comp_targetILNS1_3genE2ELNS1_11target_archE906ELNS1_3gpuE6ELNS1_3repE0EEENS1_30default_config_static_selectorELNS0_4arch9wavefront6targetE1EEEvSK_
; %bb.0:
	.section	.rodata,"a",@progbits
	.p2align	6, 0x0
	.amdhsa_kernel _ZN7rocprim17ROCPRIM_400000_NS6detail17trampoline_kernelINS0_14default_configENS1_22reduce_config_selectorIxEEZNS1_11reduce_implILb1ES3_N6thrust23THRUST_200600_302600_NS17counting_iteratorIxNS8_11hip_rocprim3tagENS8_11use_defaultESC_EEPxxNS8_4plusIxEEEE10hipError_tPvRmT1_T2_T3_mT4_P12ihipStream_tbEUlT_E0_NS1_11comp_targetILNS1_3genE2ELNS1_11target_archE906ELNS1_3gpuE6ELNS1_3repE0EEENS1_30default_config_static_selectorELNS0_4arch9wavefront6targetE1EEEvSK_
		.amdhsa_group_segment_fixed_size 0
		.amdhsa_private_segment_fixed_size 0
		.amdhsa_kernarg_size 64
		.amdhsa_user_sgpr_count 2
		.amdhsa_user_sgpr_dispatch_ptr 0
		.amdhsa_user_sgpr_queue_ptr 0
		.amdhsa_user_sgpr_kernarg_segment_ptr 1
		.amdhsa_user_sgpr_dispatch_id 0
		.amdhsa_user_sgpr_kernarg_preload_length 0
		.amdhsa_user_sgpr_kernarg_preload_offset 0
		.amdhsa_user_sgpr_private_segment_size 0
		.amdhsa_uses_dynamic_stack 0
		.amdhsa_enable_private_segment 0
		.amdhsa_system_sgpr_workgroup_id_x 1
		.amdhsa_system_sgpr_workgroup_id_y 0
		.amdhsa_system_sgpr_workgroup_id_z 0
		.amdhsa_system_sgpr_workgroup_info 0
		.amdhsa_system_vgpr_workitem_id 0
		.amdhsa_next_free_vgpr 1
		.amdhsa_next_free_sgpr 0
		.amdhsa_accum_offset 4
		.amdhsa_reserve_vcc 0
		.amdhsa_float_round_mode_32 0
		.amdhsa_float_round_mode_16_64 0
		.amdhsa_float_denorm_mode_32 3
		.amdhsa_float_denorm_mode_16_64 3
		.amdhsa_dx10_clamp 1
		.amdhsa_ieee_mode 1
		.amdhsa_fp16_overflow 0
		.amdhsa_tg_split 0
		.amdhsa_exception_fp_ieee_invalid_op 0
		.amdhsa_exception_fp_denorm_src 0
		.amdhsa_exception_fp_ieee_div_zero 0
		.amdhsa_exception_fp_ieee_overflow 0
		.amdhsa_exception_fp_ieee_underflow 0
		.amdhsa_exception_fp_ieee_inexact 0
		.amdhsa_exception_int_div_zero 0
	.end_amdhsa_kernel
	.section	.text._ZN7rocprim17ROCPRIM_400000_NS6detail17trampoline_kernelINS0_14default_configENS1_22reduce_config_selectorIxEEZNS1_11reduce_implILb1ES3_N6thrust23THRUST_200600_302600_NS17counting_iteratorIxNS8_11hip_rocprim3tagENS8_11use_defaultESC_EEPxxNS8_4plusIxEEEE10hipError_tPvRmT1_T2_T3_mT4_P12ihipStream_tbEUlT_E0_NS1_11comp_targetILNS1_3genE2ELNS1_11target_archE906ELNS1_3gpuE6ELNS1_3repE0EEENS1_30default_config_static_selectorELNS0_4arch9wavefront6targetE1EEEvSK_,"axG",@progbits,_ZN7rocprim17ROCPRIM_400000_NS6detail17trampoline_kernelINS0_14default_configENS1_22reduce_config_selectorIxEEZNS1_11reduce_implILb1ES3_N6thrust23THRUST_200600_302600_NS17counting_iteratorIxNS8_11hip_rocprim3tagENS8_11use_defaultESC_EEPxxNS8_4plusIxEEEE10hipError_tPvRmT1_T2_T3_mT4_P12ihipStream_tbEUlT_E0_NS1_11comp_targetILNS1_3genE2ELNS1_11target_archE906ELNS1_3gpuE6ELNS1_3repE0EEENS1_30default_config_static_selectorELNS0_4arch9wavefront6targetE1EEEvSK_,comdat
.Lfunc_end1077:
	.size	_ZN7rocprim17ROCPRIM_400000_NS6detail17trampoline_kernelINS0_14default_configENS1_22reduce_config_selectorIxEEZNS1_11reduce_implILb1ES3_N6thrust23THRUST_200600_302600_NS17counting_iteratorIxNS8_11hip_rocprim3tagENS8_11use_defaultESC_EEPxxNS8_4plusIxEEEE10hipError_tPvRmT1_T2_T3_mT4_P12ihipStream_tbEUlT_E0_NS1_11comp_targetILNS1_3genE2ELNS1_11target_archE906ELNS1_3gpuE6ELNS1_3repE0EEENS1_30default_config_static_selectorELNS0_4arch9wavefront6targetE1EEEvSK_, .Lfunc_end1077-_ZN7rocprim17ROCPRIM_400000_NS6detail17trampoline_kernelINS0_14default_configENS1_22reduce_config_selectorIxEEZNS1_11reduce_implILb1ES3_N6thrust23THRUST_200600_302600_NS17counting_iteratorIxNS8_11hip_rocprim3tagENS8_11use_defaultESC_EEPxxNS8_4plusIxEEEE10hipError_tPvRmT1_T2_T3_mT4_P12ihipStream_tbEUlT_E0_NS1_11comp_targetILNS1_3genE2ELNS1_11target_archE906ELNS1_3gpuE6ELNS1_3repE0EEENS1_30default_config_static_selectorELNS0_4arch9wavefront6targetE1EEEvSK_
                                        ; -- End function
	.set _ZN7rocprim17ROCPRIM_400000_NS6detail17trampoline_kernelINS0_14default_configENS1_22reduce_config_selectorIxEEZNS1_11reduce_implILb1ES3_N6thrust23THRUST_200600_302600_NS17counting_iteratorIxNS8_11hip_rocprim3tagENS8_11use_defaultESC_EEPxxNS8_4plusIxEEEE10hipError_tPvRmT1_T2_T3_mT4_P12ihipStream_tbEUlT_E0_NS1_11comp_targetILNS1_3genE2ELNS1_11target_archE906ELNS1_3gpuE6ELNS1_3repE0EEENS1_30default_config_static_selectorELNS0_4arch9wavefront6targetE1EEEvSK_.num_vgpr, 0
	.set _ZN7rocprim17ROCPRIM_400000_NS6detail17trampoline_kernelINS0_14default_configENS1_22reduce_config_selectorIxEEZNS1_11reduce_implILb1ES3_N6thrust23THRUST_200600_302600_NS17counting_iteratorIxNS8_11hip_rocprim3tagENS8_11use_defaultESC_EEPxxNS8_4plusIxEEEE10hipError_tPvRmT1_T2_T3_mT4_P12ihipStream_tbEUlT_E0_NS1_11comp_targetILNS1_3genE2ELNS1_11target_archE906ELNS1_3gpuE6ELNS1_3repE0EEENS1_30default_config_static_selectorELNS0_4arch9wavefront6targetE1EEEvSK_.num_agpr, 0
	.set _ZN7rocprim17ROCPRIM_400000_NS6detail17trampoline_kernelINS0_14default_configENS1_22reduce_config_selectorIxEEZNS1_11reduce_implILb1ES3_N6thrust23THRUST_200600_302600_NS17counting_iteratorIxNS8_11hip_rocprim3tagENS8_11use_defaultESC_EEPxxNS8_4plusIxEEEE10hipError_tPvRmT1_T2_T3_mT4_P12ihipStream_tbEUlT_E0_NS1_11comp_targetILNS1_3genE2ELNS1_11target_archE906ELNS1_3gpuE6ELNS1_3repE0EEENS1_30default_config_static_selectorELNS0_4arch9wavefront6targetE1EEEvSK_.numbered_sgpr, 0
	.set _ZN7rocprim17ROCPRIM_400000_NS6detail17trampoline_kernelINS0_14default_configENS1_22reduce_config_selectorIxEEZNS1_11reduce_implILb1ES3_N6thrust23THRUST_200600_302600_NS17counting_iteratorIxNS8_11hip_rocprim3tagENS8_11use_defaultESC_EEPxxNS8_4plusIxEEEE10hipError_tPvRmT1_T2_T3_mT4_P12ihipStream_tbEUlT_E0_NS1_11comp_targetILNS1_3genE2ELNS1_11target_archE906ELNS1_3gpuE6ELNS1_3repE0EEENS1_30default_config_static_selectorELNS0_4arch9wavefront6targetE1EEEvSK_.num_named_barrier, 0
	.set _ZN7rocprim17ROCPRIM_400000_NS6detail17trampoline_kernelINS0_14default_configENS1_22reduce_config_selectorIxEEZNS1_11reduce_implILb1ES3_N6thrust23THRUST_200600_302600_NS17counting_iteratorIxNS8_11hip_rocprim3tagENS8_11use_defaultESC_EEPxxNS8_4plusIxEEEE10hipError_tPvRmT1_T2_T3_mT4_P12ihipStream_tbEUlT_E0_NS1_11comp_targetILNS1_3genE2ELNS1_11target_archE906ELNS1_3gpuE6ELNS1_3repE0EEENS1_30default_config_static_selectorELNS0_4arch9wavefront6targetE1EEEvSK_.private_seg_size, 0
	.set _ZN7rocprim17ROCPRIM_400000_NS6detail17trampoline_kernelINS0_14default_configENS1_22reduce_config_selectorIxEEZNS1_11reduce_implILb1ES3_N6thrust23THRUST_200600_302600_NS17counting_iteratorIxNS8_11hip_rocprim3tagENS8_11use_defaultESC_EEPxxNS8_4plusIxEEEE10hipError_tPvRmT1_T2_T3_mT4_P12ihipStream_tbEUlT_E0_NS1_11comp_targetILNS1_3genE2ELNS1_11target_archE906ELNS1_3gpuE6ELNS1_3repE0EEENS1_30default_config_static_selectorELNS0_4arch9wavefront6targetE1EEEvSK_.uses_vcc, 0
	.set _ZN7rocprim17ROCPRIM_400000_NS6detail17trampoline_kernelINS0_14default_configENS1_22reduce_config_selectorIxEEZNS1_11reduce_implILb1ES3_N6thrust23THRUST_200600_302600_NS17counting_iteratorIxNS8_11hip_rocprim3tagENS8_11use_defaultESC_EEPxxNS8_4plusIxEEEE10hipError_tPvRmT1_T2_T3_mT4_P12ihipStream_tbEUlT_E0_NS1_11comp_targetILNS1_3genE2ELNS1_11target_archE906ELNS1_3gpuE6ELNS1_3repE0EEENS1_30default_config_static_selectorELNS0_4arch9wavefront6targetE1EEEvSK_.uses_flat_scratch, 0
	.set _ZN7rocprim17ROCPRIM_400000_NS6detail17trampoline_kernelINS0_14default_configENS1_22reduce_config_selectorIxEEZNS1_11reduce_implILb1ES3_N6thrust23THRUST_200600_302600_NS17counting_iteratorIxNS8_11hip_rocprim3tagENS8_11use_defaultESC_EEPxxNS8_4plusIxEEEE10hipError_tPvRmT1_T2_T3_mT4_P12ihipStream_tbEUlT_E0_NS1_11comp_targetILNS1_3genE2ELNS1_11target_archE906ELNS1_3gpuE6ELNS1_3repE0EEENS1_30default_config_static_selectorELNS0_4arch9wavefront6targetE1EEEvSK_.has_dyn_sized_stack, 0
	.set _ZN7rocprim17ROCPRIM_400000_NS6detail17trampoline_kernelINS0_14default_configENS1_22reduce_config_selectorIxEEZNS1_11reduce_implILb1ES3_N6thrust23THRUST_200600_302600_NS17counting_iteratorIxNS8_11hip_rocprim3tagENS8_11use_defaultESC_EEPxxNS8_4plusIxEEEE10hipError_tPvRmT1_T2_T3_mT4_P12ihipStream_tbEUlT_E0_NS1_11comp_targetILNS1_3genE2ELNS1_11target_archE906ELNS1_3gpuE6ELNS1_3repE0EEENS1_30default_config_static_selectorELNS0_4arch9wavefront6targetE1EEEvSK_.has_recursion, 0
	.set _ZN7rocprim17ROCPRIM_400000_NS6detail17trampoline_kernelINS0_14default_configENS1_22reduce_config_selectorIxEEZNS1_11reduce_implILb1ES3_N6thrust23THRUST_200600_302600_NS17counting_iteratorIxNS8_11hip_rocprim3tagENS8_11use_defaultESC_EEPxxNS8_4plusIxEEEE10hipError_tPvRmT1_T2_T3_mT4_P12ihipStream_tbEUlT_E0_NS1_11comp_targetILNS1_3genE2ELNS1_11target_archE906ELNS1_3gpuE6ELNS1_3repE0EEENS1_30default_config_static_selectorELNS0_4arch9wavefront6targetE1EEEvSK_.has_indirect_call, 0
	.section	.AMDGPU.csdata,"",@progbits
; Kernel info:
; codeLenInByte = 0
; TotalNumSgprs: 6
; NumVgprs: 0
; NumAgprs: 0
; TotalNumVgprs: 0
; ScratchSize: 0
; MemoryBound: 0
; FloatMode: 240
; IeeeMode: 1
; LDSByteSize: 0 bytes/workgroup (compile time only)
; SGPRBlocks: 0
; VGPRBlocks: 0
; NumSGPRsForWavesPerEU: 6
; NumVGPRsForWavesPerEU: 1
; AccumOffset: 4
; Occupancy: 8
; WaveLimiterHint : 0
; COMPUTE_PGM_RSRC2:SCRATCH_EN: 0
; COMPUTE_PGM_RSRC2:USER_SGPR: 2
; COMPUTE_PGM_RSRC2:TRAP_HANDLER: 0
; COMPUTE_PGM_RSRC2:TGID_X_EN: 1
; COMPUTE_PGM_RSRC2:TGID_Y_EN: 0
; COMPUTE_PGM_RSRC2:TGID_Z_EN: 0
; COMPUTE_PGM_RSRC2:TIDIG_COMP_CNT: 0
; COMPUTE_PGM_RSRC3_GFX90A:ACCUM_OFFSET: 0
; COMPUTE_PGM_RSRC3_GFX90A:TG_SPLIT: 0
	.section	.text._ZN7rocprim17ROCPRIM_400000_NS6detail17trampoline_kernelINS0_14default_configENS1_22reduce_config_selectorIxEEZNS1_11reduce_implILb1ES3_N6thrust23THRUST_200600_302600_NS17counting_iteratorIxNS8_11hip_rocprim3tagENS8_11use_defaultESC_EEPxxNS8_4plusIxEEEE10hipError_tPvRmT1_T2_T3_mT4_P12ihipStream_tbEUlT_E0_NS1_11comp_targetILNS1_3genE10ELNS1_11target_archE1201ELNS1_3gpuE5ELNS1_3repE0EEENS1_30default_config_static_selectorELNS0_4arch9wavefront6targetE1EEEvSK_,"axG",@progbits,_ZN7rocprim17ROCPRIM_400000_NS6detail17trampoline_kernelINS0_14default_configENS1_22reduce_config_selectorIxEEZNS1_11reduce_implILb1ES3_N6thrust23THRUST_200600_302600_NS17counting_iteratorIxNS8_11hip_rocprim3tagENS8_11use_defaultESC_EEPxxNS8_4plusIxEEEE10hipError_tPvRmT1_T2_T3_mT4_P12ihipStream_tbEUlT_E0_NS1_11comp_targetILNS1_3genE10ELNS1_11target_archE1201ELNS1_3gpuE5ELNS1_3repE0EEENS1_30default_config_static_selectorELNS0_4arch9wavefront6targetE1EEEvSK_,comdat
	.protected	_ZN7rocprim17ROCPRIM_400000_NS6detail17trampoline_kernelINS0_14default_configENS1_22reduce_config_selectorIxEEZNS1_11reduce_implILb1ES3_N6thrust23THRUST_200600_302600_NS17counting_iteratorIxNS8_11hip_rocprim3tagENS8_11use_defaultESC_EEPxxNS8_4plusIxEEEE10hipError_tPvRmT1_T2_T3_mT4_P12ihipStream_tbEUlT_E0_NS1_11comp_targetILNS1_3genE10ELNS1_11target_archE1201ELNS1_3gpuE5ELNS1_3repE0EEENS1_30default_config_static_selectorELNS0_4arch9wavefront6targetE1EEEvSK_ ; -- Begin function _ZN7rocprim17ROCPRIM_400000_NS6detail17trampoline_kernelINS0_14default_configENS1_22reduce_config_selectorIxEEZNS1_11reduce_implILb1ES3_N6thrust23THRUST_200600_302600_NS17counting_iteratorIxNS8_11hip_rocprim3tagENS8_11use_defaultESC_EEPxxNS8_4plusIxEEEE10hipError_tPvRmT1_T2_T3_mT4_P12ihipStream_tbEUlT_E0_NS1_11comp_targetILNS1_3genE10ELNS1_11target_archE1201ELNS1_3gpuE5ELNS1_3repE0EEENS1_30default_config_static_selectorELNS0_4arch9wavefront6targetE1EEEvSK_
	.globl	_ZN7rocprim17ROCPRIM_400000_NS6detail17trampoline_kernelINS0_14default_configENS1_22reduce_config_selectorIxEEZNS1_11reduce_implILb1ES3_N6thrust23THRUST_200600_302600_NS17counting_iteratorIxNS8_11hip_rocprim3tagENS8_11use_defaultESC_EEPxxNS8_4plusIxEEEE10hipError_tPvRmT1_T2_T3_mT4_P12ihipStream_tbEUlT_E0_NS1_11comp_targetILNS1_3genE10ELNS1_11target_archE1201ELNS1_3gpuE5ELNS1_3repE0EEENS1_30default_config_static_selectorELNS0_4arch9wavefront6targetE1EEEvSK_
	.p2align	8
	.type	_ZN7rocprim17ROCPRIM_400000_NS6detail17trampoline_kernelINS0_14default_configENS1_22reduce_config_selectorIxEEZNS1_11reduce_implILb1ES3_N6thrust23THRUST_200600_302600_NS17counting_iteratorIxNS8_11hip_rocprim3tagENS8_11use_defaultESC_EEPxxNS8_4plusIxEEEE10hipError_tPvRmT1_T2_T3_mT4_P12ihipStream_tbEUlT_E0_NS1_11comp_targetILNS1_3genE10ELNS1_11target_archE1201ELNS1_3gpuE5ELNS1_3repE0EEENS1_30default_config_static_selectorELNS0_4arch9wavefront6targetE1EEEvSK_,@function
_ZN7rocprim17ROCPRIM_400000_NS6detail17trampoline_kernelINS0_14default_configENS1_22reduce_config_selectorIxEEZNS1_11reduce_implILb1ES3_N6thrust23THRUST_200600_302600_NS17counting_iteratorIxNS8_11hip_rocprim3tagENS8_11use_defaultESC_EEPxxNS8_4plusIxEEEE10hipError_tPvRmT1_T2_T3_mT4_P12ihipStream_tbEUlT_E0_NS1_11comp_targetILNS1_3genE10ELNS1_11target_archE1201ELNS1_3gpuE5ELNS1_3repE0EEENS1_30default_config_static_selectorELNS0_4arch9wavefront6targetE1EEEvSK_: ; @_ZN7rocprim17ROCPRIM_400000_NS6detail17trampoline_kernelINS0_14default_configENS1_22reduce_config_selectorIxEEZNS1_11reduce_implILb1ES3_N6thrust23THRUST_200600_302600_NS17counting_iteratorIxNS8_11hip_rocprim3tagENS8_11use_defaultESC_EEPxxNS8_4plusIxEEEE10hipError_tPvRmT1_T2_T3_mT4_P12ihipStream_tbEUlT_E0_NS1_11comp_targetILNS1_3genE10ELNS1_11target_archE1201ELNS1_3gpuE5ELNS1_3repE0EEENS1_30default_config_static_selectorELNS0_4arch9wavefront6targetE1EEEvSK_
; %bb.0:
	.section	.rodata,"a",@progbits
	.p2align	6, 0x0
	.amdhsa_kernel _ZN7rocprim17ROCPRIM_400000_NS6detail17trampoline_kernelINS0_14default_configENS1_22reduce_config_selectorIxEEZNS1_11reduce_implILb1ES3_N6thrust23THRUST_200600_302600_NS17counting_iteratorIxNS8_11hip_rocprim3tagENS8_11use_defaultESC_EEPxxNS8_4plusIxEEEE10hipError_tPvRmT1_T2_T3_mT4_P12ihipStream_tbEUlT_E0_NS1_11comp_targetILNS1_3genE10ELNS1_11target_archE1201ELNS1_3gpuE5ELNS1_3repE0EEENS1_30default_config_static_selectorELNS0_4arch9wavefront6targetE1EEEvSK_
		.amdhsa_group_segment_fixed_size 0
		.amdhsa_private_segment_fixed_size 0
		.amdhsa_kernarg_size 64
		.amdhsa_user_sgpr_count 2
		.amdhsa_user_sgpr_dispatch_ptr 0
		.amdhsa_user_sgpr_queue_ptr 0
		.amdhsa_user_sgpr_kernarg_segment_ptr 1
		.amdhsa_user_sgpr_dispatch_id 0
		.amdhsa_user_sgpr_kernarg_preload_length 0
		.amdhsa_user_sgpr_kernarg_preload_offset 0
		.amdhsa_user_sgpr_private_segment_size 0
		.amdhsa_uses_dynamic_stack 0
		.amdhsa_enable_private_segment 0
		.amdhsa_system_sgpr_workgroup_id_x 1
		.amdhsa_system_sgpr_workgroup_id_y 0
		.amdhsa_system_sgpr_workgroup_id_z 0
		.amdhsa_system_sgpr_workgroup_info 0
		.amdhsa_system_vgpr_workitem_id 0
		.amdhsa_next_free_vgpr 1
		.amdhsa_next_free_sgpr 0
		.amdhsa_accum_offset 4
		.amdhsa_reserve_vcc 0
		.amdhsa_float_round_mode_32 0
		.amdhsa_float_round_mode_16_64 0
		.amdhsa_float_denorm_mode_32 3
		.amdhsa_float_denorm_mode_16_64 3
		.amdhsa_dx10_clamp 1
		.amdhsa_ieee_mode 1
		.amdhsa_fp16_overflow 0
		.amdhsa_tg_split 0
		.amdhsa_exception_fp_ieee_invalid_op 0
		.amdhsa_exception_fp_denorm_src 0
		.amdhsa_exception_fp_ieee_div_zero 0
		.amdhsa_exception_fp_ieee_overflow 0
		.amdhsa_exception_fp_ieee_underflow 0
		.amdhsa_exception_fp_ieee_inexact 0
		.amdhsa_exception_int_div_zero 0
	.end_amdhsa_kernel
	.section	.text._ZN7rocprim17ROCPRIM_400000_NS6detail17trampoline_kernelINS0_14default_configENS1_22reduce_config_selectorIxEEZNS1_11reduce_implILb1ES3_N6thrust23THRUST_200600_302600_NS17counting_iteratorIxNS8_11hip_rocprim3tagENS8_11use_defaultESC_EEPxxNS8_4plusIxEEEE10hipError_tPvRmT1_T2_T3_mT4_P12ihipStream_tbEUlT_E0_NS1_11comp_targetILNS1_3genE10ELNS1_11target_archE1201ELNS1_3gpuE5ELNS1_3repE0EEENS1_30default_config_static_selectorELNS0_4arch9wavefront6targetE1EEEvSK_,"axG",@progbits,_ZN7rocprim17ROCPRIM_400000_NS6detail17trampoline_kernelINS0_14default_configENS1_22reduce_config_selectorIxEEZNS1_11reduce_implILb1ES3_N6thrust23THRUST_200600_302600_NS17counting_iteratorIxNS8_11hip_rocprim3tagENS8_11use_defaultESC_EEPxxNS8_4plusIxEEEE10hipError_tPvRmT1_T2_T3_mT4_P12ihipStream_tbEUlT_E0_NS1_11comp_targetILNS1_3genE10ELNS1_11target_archE1201ELNS1_3gpuE5ELNS1_3repE0EEENS1_30default_config_static_selectorELNS0_4arch9wavefront6targetE1EEEvSK_,comdat
.Lfunc_end1078:
	.size	_ZN7rocprim17ROCPRIM_400000_NS6detail17trampoline_kernelINS0_14default_configENS1_22reduce_config_selectorIxEEZNS1_11reduce_implILb1ES3_N6thrust23THRUST_200600_302600_NS17counting_iteratorIxNS8_11hip_rocprim3tagENS8_11use_defaultESC_EEPxxNS8_4plusIxEEEE10hipError_tPvRmT1_T2_T3_mT4_P12ihipStream_tbEUlT_E0_NS1_11comp_targetILNS1_3genE10ELNS1_11target_archE1201ELNS1_3gpuE5ELNS1_3repE0EEENS1_30default_config_static_selectorELNS0_4arch9wavefront6targetE1EEEvSK_, .Lfunc_end1078-_ZN7rocprim17ROCPRIM_400000_NS6detail17trampoline_kernelINS0_14default_configENS1_22reduce_config_selectorIxEEZNS1_11reduce_implILb1ES3_N6thrust23THRUST_200600_302600_NS17counting_iteratorIxNS8_11hip_rocprim3tagENS8_11use_defaultESC_EEPxxNS8_4plusIxEEEE10hipError_tPvRmT1_T2_T3_mT4_P12ihipStream_tbEUlT_E0_NS1_11comp_targetILNS1_3genE10ELNS1_11target_archE1201ELNS1_3gpuE5ELNS1_3repE0EEENS1_30default_config_static_selectorELNS0_4arch9wavefront6targetE1EEEvSK_
                                        ; -- End function
	.set _ZN7rocprim17ROCPRIM_400000_NS6detail17trampoline_kernelINS0_14default_configENS1_22reduce_config_selectorIxEEZNS1_11reduce_implILb1ES3_N6thrust23THRUST_200600_302600_NS17counting_iteratorIxNS8_11hip_rocprim3tagENS8_11use_defaultESC_EEPxxNS8_4plusIxEEEE10hipError_tPvRmT1_T2_T3_mT4_P12ihipStream_tbEUlT_E0_NS1_11comp_targetILNS1_3genE10ELNS1_11target_archE1201ELNS1_3gpuE5ELNS1_3repE0EEENS1_30default_config_static_selectorELNS0_4arch9wavefront6targetE1EEEvSK_.num_vgpr, 0
	.set _ZN7rocprim17ROCPRIM_400000_NS6detail17trampoline_kernelINS0_14default_configENS1_22reduce_config_selectorIxEEZNS1_11reduce_implILb1ES3_N6thrust23THRUST_200600_302600_NS17counting_iteratorIxNS8_11hip_rocprim3tagENS8_11use_defaultESC_EEPxxNS8_4plusIxEEEE10hipError_tPvRmT1_T2_T3_mT4_P12ihipStream_tbEUlT_E0_NS1_11comp_targetILNS1_3genE10ELNS1_11target_archE1201ELNS1_3gpuE5ELNS1_3repE0EEENS1_30default_config_static_selectorELNS0_4arch9wavefront6targetE1EEEvSK_.num_agpr, 0
	.set _ZN7rocprim17ROCPRIM_400000_NS6detail17trampoline_kernelINS0_14default_configENS1_22reduce_config_selectorIxEEZNS1_11reduce_implILb1ES3_N6thrust23THRUST_200600_302600_NS17counting_iteratorIxNS8_11hip_rocprim3tagENS8_11use_defaultESC_EEPxxNS8_4plusIxEEEE10hipError_tPvRmT1_T2_T3_mT4_P12ihipStream_tbEUlT_E0_NS1_11comp_targetILNS1_3genE10ELNS1_11target_archE1201ELNS1_3gpuE5ELNS1_3repE0EEENS1_30default_config_static_selectorELNS0_4arch9wavefront6targetE1EEEvSK_.numbered_sgpr, 0
	.set _ZN7rocprim17ROCPRIM_400000_NS6detail17trampoline_kernelINS0_14default_configENS1_22reduce_config_selectorIxEEZNS1_11reduce_implILb1ES3_N6thrust23THRUST_200600_302600_NS17counting_iteratorIxNS8_11hip_rocprim3tagENS8_11use_defaultESC_EEPxxNS8_4plusIxEEEE10hipError_tPvRmT1_T2_T3_mT4_P12ihipStream_tbEUlT_E0_NS1_11comp_targetILNS1_3genE10ELNS1_11target_archE1201ELNS1_3gpuE5ELNS1_3repE0EEENS1_30default_config_static_selectorELNS0_4arch9wavefront6targetE1EEEvSK_.num_named_barrier, 0
	.set _ZN7rocprim17ROCPRIM_400000_NS6detail17trampoline_kernelINS0_14default_configENS1_22reduce_config_selectorIxEEZNS1_11reduce_implILb1ES3_N6thrust23THRUST_200600_302600_NS17counting_iteratorIxNS8_11hip_rocprim3tagENS8_11use_defaultESC_EEPxxNS8_4plusIxEEEE10hipError_tPvRmT1_T2_T3_mT4_P12ihipStream_tbEUlT_E0_NS1_11comp_targetILNS1_3genE10ELNS1_11target_archE1201ELNS1_3gpuE5ELNS1_3repE0EEENS1_30default_config_static_selectorELNS0_4arch9wavefront6targetE1EEEvSK_.private_seg_size, 0
	.set _ZN7rocprim17ROCPRIM_400000_NS6detail17trampoline_kernelINS0_14default_configENS1_22reduce_config_selectorIxEEZNS1_11reduce_implILb1ES3_N6thrust23THRUST_200600_302600_NS17counting_iteratorIxNS8_11hip_rocprim3tagENS8_11use_defaultESC_EEPxxNS8_4plusIxEEEE10hipError_tPvRmT1_T2_T3_mT4_P12ihipStream_tbEUlT_E0_NS1_11comp_targetILNS1_3genE10ELNS1_11target_archE1201ELNS1_3gpuE5ELNS1_3repE0EEENS1_30default_config_static_selectorELNS0_4arch9wavefront6targetE1EEEvSK_.uses_vcc, 0
	.set _ZN7rocprim17ROCPRIM_400000_NS6detail17trampoline_kernelINS0_14default_configENS1_22reduce_config_selectorIxEEZNS1_11reduce_implILb1ES3_N6thrust23THRUST_200600_302600_NS17counting_iteratorIxNS8_11hip_rocprim3tagENS8_11use_defaultESC_EEPxxNS8_4plusIxEEEE10hipError_tPvRmT1_T2_T3_mT4_P12ihipStream_tbEUlT_E0_NS1_11comp_targetILNS1_3genE10ELNS1_11target_archE1201ELNS1_3gpuE5ELNS1_3repE0EEENS1_30default_config_static_selectorELNS0_4arch9wavefront6targetE1EEEvSK_.uses_flat_scratch, 0
	.set _ZN7rocprim17ROCPRIM_400000_NS6detail17trampoline_kernelINS0_14default_configENS1_22reduce_config_selectorIxEEZNS1_11reduce_implILb1ES3_N6thrust23THRUST_200600_302600_NS17counting_iteratorIxNS8_11hip_rocprim3tagENS8_11use_defaultESC_EEPxxNS8_4plusIxEEEE10hipError_tPvRmT1_T2_T3_mT4_P12ihipStream_tbEUlT_E0_NS1_11comp_targetILNS1_3genE10ELNS1_11target_archE1201ELNS1_3gpuE5ELNS1_3repE0EEENS1_30default_config_static_selectorELNS0_4arch9wavefront6targetE1EEEvSK_.has_dyn_sized_stack, 0
	.set _ZN7rocprim17ROCPRIM_400000_NS6detail17trampoline_kernelINS0_14default_configENS1_22reduce_config_selectorIxEEZNS1_11reduce_implILb1ES3_N6thrust23THRUST_200600_302600_NS17counting_iteratorIxNS8_11hip_rocprim3tagENS8_11use_defaultESC_EEPxxNS8_4plusIxEEEE10hipError_tPvRmT1_T2_T3_mT4_P12ihipStream_tbEUlT_E0_NS1_11comp_targetILNS1_3genE10ELNS1_11target_archE1201ELNS1_3gpuE5ELNS1_3repE0EEENS1_30default_config_static_selectorELNS0_4arch9wavefront6targetE1EEEvSK_.has_recursion, 0
	.set _ZN7rocprim17ROCPRIM_400000_NS6detail17trampoline_kernelINS0_14default_configENS1_22reduce_config_selectorIxEEZNS1_11reduce_implILb1ES3_N6thrust23THRUST_200600_302600_NS17counting_iteratorIxNS8_11hip_rocprim3tagENS8_11use_defaultESC_EEPxxNS8_4plusIxEEEE10hipError_tPvRmT1_T2_T3_mT4_P12ihipStream_tbEUlT_E0_NS1_11comp_targetILNS1_3genE10ELNS1_11target_archE1201ELNS1_3gpuE5ELNS1_3repE0EEENS1_30default_config_static_selectorELNS0_4arch9wavefront6targetE1EEEvSK_.has_indirect_call, 0
	.section	.AMDGPU.csdata,"",@progbits
; Kernel info:
; codeLenInByte = 0
; TotalNumSgprs: 6
; NumVgprs: 0
; NumAgprs: 0
; TotalNumVgprs: 0
; ScratchSize: 0
; MemoryBound: 0
; FloatMode: 240
; IeeeMode: 1
; LDSByteSize: 0 bytes/workgroup (compile time only)
; SGPRBlocks: 0
; VGPRBlocks: 0
; NumSGPRsForWavesPerEU: 6
; NumVGPRsForWavesPerEU: 1
; AccumOffset: 4
; Occupancy: 8
; WaveLimiterHint : 0
; COMPUTE_PGM_RSRC2:SCRATCH_EN: 0
; COMPUTE_PGM_RSRC2:USER_SGPR: 2
; COMPUTE_PGM_RSRC2:TRAP_HANDLER: 0
; COMPUTE_PGM_RSRC2:TGID_X_EN: 1
; COMPUTE_PGM_RSRC2:TGID_Y_EN: 0
; COMPUTE_PGM_RSRC2:TGID_Z_EN: 0
; COMPUTE_PGM_RSRC2:TIDIG_COMP_CNT: 0
; COMPUTE_PGM_RSRC3_GFX90A:ACCUM_OFFSET: 0
; COMPUTE_PGM_RSRC3_GFX90A:TG_SPLIT: 0
	.section	.text._ZN7rocprim17ROCPRIM_400000_NS6detail17trampoline_kernelINS0_14default_configENS1_22reduce_config_selectorIxEEZNS1_11reduce_implILb1ES3_N6thrust23THRUST_200600_302600_NS17counting_iteratorIxNS8_11hip_rocprim3tagENS8_11use_defaultESC_EEPxxNS8_4plusIxEEEE10hipError_tPvRmT1_T2_T3_mT4_P12ihipStream_tbEUlT_E0_NS1_11comp_targetILNS1_3genE10ELNS1_11target_archE1200ELNS1_3gpuE4ELNS1_3repE0EEENS1_30default_config_static_selectorELNS0_4arch9wavefront6targetE1EEEvSK_,"axG",@progbits,_ZN7rocprim17ROCPRIM_400000_NS6detail17trampoline_kernelINS0_14default_configENS1_22reduce_config_selectorIxEEZNS1_11reduce_implILb1ES3_N6thrust23THRUST_200600_302600_NS17counting_iteratorIxNS8_11hip_rocprim3tagENS8_11use_defaultESC_EEPxxNS8_4plusIxEEEE10hipError_tPvRmT1_T2_T3_mT4_P12ihipStream_tbEUlT_E0_NS1_11comp_targetILNS1_3genE10ELNS1_11target_archE1200ELNS1_3gpuE4ELNS1_3repE0EEENS1_30default_config_static_selectorELNS0_4arch9wavefront6targetE1EEEvSK_,comdat
	.protected	_ZN7rocprim17ROCPRIM_400000_NS6detail17trampoline_kernelINS0_14default_configENS1_22reduce_config_selectorIxEEZNS1_11reduce_implILb1ES3_N6thrust23THRUST_200600_302600_NS17counting_iteratorIxNS8_11hip_rocprim3tagENS8_11use_defaultESC_EEPxxNS8_4plusIxEEEE10hipError_tPvRmT1_T2_T3_mT4_P12ihipStream_tbEUlT_E0_NS1_11comp_targetILNS1_3genE10ELNS1_11target_archE1200ELNS1_3gpuE4ELNS1_3repE0EEENS1_30default_config_static_selectorELNS0_4arch9wavefront6targetE1EEEvSK_ ; -- Begin function _ZN7rocprim17ROCPRIM_400000_NS6detail17trampoline_kernelINS0_14default_configENS1_22reduce_config_selectorIxEEZNS1_11reduce_implILb1ES3_N6thrust23THRUST_200600_302600_NS17counting_iteratorIxNS8_11hip_rocprim3tagENS8_11use_defaultESC_EEPxxNS8_4plusIxEEEE10hipError_tPvRmT1_T2_T3_mT4_P12ihipStream_tbEUlT_E0_NS1_11comp_targetILNS1_3genE10ELNS1_11target_archE1200ELNS1_3gpuE4ELNS1_3repE0EEENS1_30default_config_static_selectorELNS0_4arch9wavefront6targetE1EEEvSK_
	.globl	_ZN7rocprim17ROCPRIM_400000_NS6detail17trampoline_kernelINS0_14default_configENS1_22reduce_config_selectorIxEEZNS1_11reduce_implILb1ES3_N6thrust23THRUST_200600_302600_NS17counting_iteratorIxNS8_11hip_rocprim3tagENS8_11use_defaultESC_EEPxxNS8_4plusIxEEEE10hipError_tPvRmT1_T2_T3_mT4_P12ihipStream_tbEUlT_E0_NS1_11comp_targetILNS1_3genE10ELNS1_11target_archE1200ELNS1_3gpuE4ELNS1_3repE0EEENS1_30default_config_static_selectorELNS0_4arch9wavefront6targetE1EEEvSK_
	.p2align	8
	.type	_ZN7rocprim17ROCPRIM_400000_NS6detail17trampoline_kernelINS0_14default_configENS1_22reduce_config_selectorIxEEZNS1_11reduce_implILb1ES3_N6thrust23THRUST_200600_302600_NS17counting_iteratorIxNS8_11hip_rocprim3tagENS8_11use_defaultESC_EEPxxNS8_4plusIxEEEE10hipError_tPvRmT1_T2_T3_mT4_P12ihipStream_tbEUlT_E0_NS1_11comp_targetILNS1_3genE10ELNS1_11target_archE1200ELNS1_3gpuE4ELNS1_3repE0EEENS1_30default_config_static_selectorELNS0_4arch9wavefront6targetE1EEEvSK_,@function
_ZN7rocprim17ROCPRIM_400000_NS6detail17trampoline_kernelINS0_14default_configENS1_22reduce_config_selectorIxEEZNS1_11reduce_implILb1ES3_N6thrust23THRUST_200600_302600_NS17counting_iteratorIxNS8_11hip_rocprim3tagENS8_11use_defaultESC_EEPxxNS8_4plusIxEEEE10hipError_tPvRmT1_T2_T3_mT4_P12ihipStream_tbEUlT_E0_NS1_11comp_targetILNS1_3genE10ELNS1_11target_archE1200ELNS1_3gpuE4ELNS1_3repE0EEENS1_30default_config_static_selectorELNS0_4arch9wavefront6targetE1EEEvSK_: ; @_ZN7rocprim17ROCPRIM_400000_NS6detail17trampoline_kernelINS0_14default_configENS1_22reduce_config_selectorIxEEZNS1_11reduce_implILb1ES3_N6thrust23THRUST_200600_302600_NS17counting_iteratorIxNS8_11hip_rocprim3tagENS8_11use_defaultESC_EEPxxNS8_4plusIxEEEE10hipError_tPvRmT1_T2_T3_mT4_P12ihipStream_tbEUlT_E0_NS1_11comp_targetILNS1_3genE10ELNS1_11target_archE1200ELNS1_3gpuE4ELNS1_3repE0EEENS1_30default_config_static_selectorELNS0_4arch9wavefront6targetE1EEEvSK_
; %bb.0:
	.section	.rodata,"a",@progbits
	.p2align	6, 0x0
	.amdhsa_kernel _ZN7rocprim17ROCPRIM_400000_NS6detail17trampoline_kernelINS0_14default_configENS1_22reduce_config_selectorIxEEZNS1_11reduce_implILb1ES3_N6thrust23THRUST_200600_302600_NS17counting_iteratorIxNS8_11hip_rocprim3tagENS8_11use_defaultESC_EEPxxNS8_4plusIxEEEE10hipError_tPvRmT1_T2_T3_mT4_P12ihipStream_tbEUlT_E0_NS1_11comp_targetILNS1_3genE10ELNS1_11target_archE1200ELNS1_3gpuE4ELNS1_3repE0EEENS1_30default_config_static_selectorELNS0_4arch9wavefront6targetE1EEEvSK_
		.amdhsa_group_segment_fixed_size 0
		.amdhsa_private_segment_fixed_size 0
		.amdhsa_kernarg_size 64
		.amdhsa_user_sgpr_count 2
		.amdhsa_user_sgpr_dispatch_ptr 0
		.amdhsa_user_sgpr_queue_ptr 0
		.amdhsa_user_sgpr_kernarg_segment_ptr 1
		.amdhsa_user_sgpr_dispatch_id 0
		.amdhsa_user_sgpr_kernarg_preload_length 0
		.amdhsa_user_sgpr_kernarg_preload_offset 0
		.amdhsa_user_sgpr_private_segment_size 0
		.amdhsa_uses_dynamic_stack 0
		.amdhsa_enable_private_segment 0
		.amdhsa_system_sgpr_workgroup_id_x 1
		.amdhsa_system_sgpr_workgroup_id_y 0
		.amdhsa_system_sgpr_workgroup_id_z 0
		.amdhsa_system_sgpr_workgroup_info 0
		.amdhsa_system_vgpr_workitem_id 0
		.amdhsa_next_free_vgpr 1
		.amdhsa_next_free_sgpr 0
		.amdhsa_accum_offset 4
		.amdhsa_reserve_vcc 0
		.amdhsa_float_round_mode_32 0
		.amdhsa_float_round_mode_16_64 0
		.amdhsa_float_denorm_mode_32 3
		.amdhsa_float_denorm_mode_16_64 3
		.amdhsa_dx10_clamp 1
		.amdhsa_ieee_mode 1
		.amdhsa_fp16_overflow 0
		.amdhsa_tg_split 0
		.amdhsa_exception_fp_ieee_invalid_op 0
		.amdhsa_exception_fp_denorm_src 0
		.amdhsa_exception_fp_ieee_div_zero 0
		.amdhsa_exception_fp_ieee_overflow 0
		.amdhsa_exception_fp_ieee_underflow 0
		.amdhsa_exception_fp_ieee_inexact 0
		.amdhsa_exception_int_div_zero 0
	.end_amdhsa_kernel
	.section	.text._ZN7rocprim17ROCPRIM_400000_NS6detail17trampoline_kernelINS0_14default_configENS1_22reduce_config_selectorIxEEZNS1_11reduce_implILb1ES3_N6thrust23THRUST_200600_302600_NS17counting_iteratorIxNS8_11hip_rocprim3tagENS8_11use_defaultESC_EEPxxNS8_4plusIxEEEE10hipError_tPvRmT1_T2_T3_mT4_P12ihipStream_tbEUlT_E0_NS1_11comp_targetILNS1_3genE10ELNS1_11target_archE1200ELNS1_3gpuE4ELNS1_3repE0EEENS1_30default_config_static_selectorELNS0_4arch9wavefront6targetE1EEEvSK_,"axG",@progbits,_ZN7rocprim17ROCPRIM_400000_NS6detail17trampoline_kernelINS0_14default_configENS1_22reduce_config_selectorIxEEZNS1_11reduce_implILb1ES3_N6thrust23THRUST_200600_302600_NS17counting_iteratorIxNS8_11hip_rocprim3tagENS8_11use_defaultESC_EEPxxNS8_4plusIxEEEE10hipError_tPvRmT1_T2_T3_mT4_P12ihipStream_tbEUlT_E0_NS1_11comp_targetILNS1_3genE10ELNS1_11target_archE1200ELNS1_3gpuE4ELNS1_3repE0EEENS1_30default_config_static_selectorELNS0_4arch9wavefront6targetE1EEEvSK_,comdat
.Lfunc_end1079:
	.size	_ZN7rocprim17ROCPRIM_400000_NS6detail17trampoline_kernelINS0_14default_configENS1_22reduce_config_selectorIxEEZNS1_11reduce_implILb1ES3_N6thrust23THRUST_200600_302600_NS17counting_iteratorIxNS8_11hip_rocprim3tagENS8_11use_defaultESC_EEPxxNS8_4plusIxEEEE10hipError_tPvRmT1_T2_T3_mT4_P12ihipStream_tbEUlT_E0_NS1_11comp_targetILNS1_3genE10ELNS1_11target_archE1200ELNS1_3gpuE4ELNS1_3repE0EEENS1_30default_config_static_selectorELNS0_4arch9wavefront6targetE1EEEvSK_, .Lfunc_end1079-_ZN7rocprim17ROCPRIM_400000_NS6detail17trampoline_kernelINS0_14default_configENS1_22reduce_config_selectorIxEEZNS1_11reduce_implILb1ES3_N6thrust23THRUST_200600_302600_NS17counting_iteratorIxNS8_11hip_rocprim3tagENS8_11use_defaultESC_EEPxxNS8_4plusIxEEEE10hipError_tPvRmT1_T2_T3_mT4_P12ihipStream_tbEUlT_E0_NS1_11comp_targetILNS1_3genE10ELNS1_11target_archE1200ELNS1_3gpuE4ELNS1_3repE0EEENS1_30default_config_static_selectorELNS0_4arch9wavefront6targetE1EEEvSK_
                                        ; -- End function
	.set _ZN7rocprim17ROCPRIM_400000_NS6detail17trampoline_kernelINS0_14default_configENS1_22reduce_config_selectorIxEEZNS1_11reduce_implILb1ES3_N6thrust23THRUST_200600_302600_NS17counting_iteratorIxNS8_11hip_rocprim3tagENS8_11use_defaultESC_EEPxxNS8_4plusIxEEEE10hipError_tPvRmT1_T2_T3_mT4_P12ihipStream_tbEUlT_E0_NS1_11comp_targetILNS1_3genE10ELNS1_11target_archE1200ELNS1_3gpuE4ELNS1_3repE0EEENS1_30default_config_static_selectorELNS0_4arch9wavefront6targetE1EEEvSK_.num_vgpr, 0
	.set _ZN7rocprim17ROCPRIM_400000_NS6detail17trampoline_kernelINS0_14default_configENS1_22reduce_config_selectorIxEEZNS1_11reduce_implILb1ES3_N6thrust23THRUST_200600_302600_NS17counting_iteratorIxNS8_11hip_rocprim3tagENS8_11use_defaultESC_EEPxxNS8_4plusIxEEEE10hipError_tPvRmT1_T2_T3_mT4_P12ihipStream_tbEUlT_E0_NS1_11comp_targetILNS1_3genE10ELNS1_11target_archE1200ELNS1_3gpuE4ELNS1_3repE0EEENS1_30default_config_static_selectorELNS0_4arch9wavefront6targetE1EEEvSK_.num_agpr, 0
	.set _ZN7rocprim17ROCPRIM_400000_NS6detail17trampoline_kernelINS0_14default_configENS1_22reduce_config_selectorIxEEZNS1_11reduce_implILb1ES3_N6thrust23THRUST_200600_302600_NS17counting_iteratorIxNS8_11hip_rocprim3tagENS8_11use_defaultESC_EEPxxNS8_4plusIxEEEE10hipError_tPvRmT1_T2_T3_mT4_P12ihipStream_tbEUlT_E0_NS1_11comp_targetILNS1_3genE10ELNS1_11target_archE1200ELNS1_3gpuE4ELNS1_3repE0EEENS1_30default_config_static_selectorELNS0_4arch9wavefront6targetE1EEEvSK_.numbered_sgpr, 0
	.set _ZN7rocprim17ROCPRIM_400000_NS6detail17trampoline_kernelINS0_14default_configENS1_22reduce_config_selectorIxEEZNS1_11reduce_implILb1ES3_N6thrust23THRUST_200600_302600_NS17counting_iteratorIxNS8_11hip_rocprim3tagENS8_11use_defaultESC_EEPxxNS8_4plusIxEEEE10hipError_tPvRmT1_T2_T3_mT4_P12ihipStream_tbEUlT_E0_NS1_11comp_targetILNS1_3genE10ELNS1_11target_archE1200ELNS1_3gpuE4ELNS1_3repE0EEENS1_30default_config_static_selectorELNS0_4arch9wavefront6targetE1EEEvSK_.num_named_barrier, 0
	.set _ZN7rocprim17ROCPRIM_400000_NS6detail17trampoline_kernelINS0_14default_configENS1_22reduce_config_selectorIxEEZNS1_11reduce_implILb1ES3_N6thrust23THRUST_200600_302600_NS17counting_iteratorIxNS8_11hip_rocprim3tagENS8_11use_defaultESC_EEPxxNS8_4plusIxEEEE10hipError_tPvRmT1_T2_T3_mT4_P12ihipStream_tbEUlT_E0_NS1_11comp_targetILNS1_3genE10ELNS1_11target_archE1200ELNS1_3gpuE4ELNS1_3repE0EEENS1_30default_config_static_selectorELNS0_4arch9wavefront6targetE1EEEvSK_.private_seg_size, 0
	.set _ZN7rocprim17ROCPRIM_400000_NS6detail17trampoline_kernelINS0_14default_configENS1_22reduce_config_selectorIxEEZNS1_11reduce_implILb1ES3_N6thrust23THRUST_200600_302600_NS17counting_iteratorIxNS8_11hip_rocprim3tagENS8_11use_defaultESC_EEPxxNS8_4plusIxEEEE10hipError_tPvRmT1_T2_T3_mT4_P12ihipStream_tbEUlT_E0_NS1_11comp_targetILNS1_3genE10ELNS1_11target_archE1200ELNS1_3gpuE4ELNS1_3repE0EEENS1_30default_config_static_selectorELNS0_4arch9wavefront6targetE1EEEvSK_.uses_vcc, 0
	.set _ZN7rocprim17ROCPRIM_400000_NS6detail17trampoline_kernelINS0_14default_configENS1_22reduce_config_selectorIxEEZNS1_11reduce_implILb1ES3_N6thrust23THRUST_200600_302600_NS17counting_iteratorIxNS8_11hip_rocprim3tagENS8_11use_defaultESC_EEPxxNS8_4plusIxEEEE10hipError_tPvRmT1_T2_T3_mT4_P12ihipStream_tbEUlT_E0_NS1_11comp_targetILNS1_3genE10ELNS1_11target_archE1200ELNS1_3gpuE4ELNS1_3repE0EEENS1_30default_config_static_selectorELNS0_4arch9wavefront6targetE1EEEvSK_.uses_flat_scratch, 0
	.set _ZN7rocprim17ROCPRIM_400000_NS6detail17trampoline_kernelINS0_14default_configENS1_22reduce_config_selectorIxEEZNS1_11reduce_implILb1ES3_N6thrust23THRUST_200600_302600_NS17counting_iteratorIxNS8_11hip_rocprim3tagENS8_11use_defaultESC_EEPxxNS8_4plusIxEEEE10hipError_tPvRmT1_T2_T3_mT4_P12ihipStream_tbEUlT_E0_NS1_11comp_targetILNS1_3genE10ELNS1_11target_archE1200ELNS1_3gpuE4ELNS1_3repE0EEENS1_30default_config_static_selectorELNS0_4arch9wavefront6targetE1EEEvSK_.has_dyn_sized_stack, 0
	.set _ZN7rocprim17ROCPRIM_400000_NS6detail17trampoline_kernelINS0_14default_configENS1_22reduce_config_selectorIxEEZNS1_11reduce_implILb1ES3_N6thrust23THRUST_200600_302600_NS17counting_iteratorIxNS8_11hip_rocprim3tagENS8_11use_defaultESC_EEPxxNS8_4plusIxEEEE10hipError_tPvRmT1_T2_T3_mT4_P12ihipStream_tbEUlT_E0_NS1_11comp_targetILNS1_3genE10ELNS1_11target_archE1200ELNS1_3gpuE4ELNS1_3repE0EEENS1_30default_config_static_selectorELNS0_4arch9wavefront6targetE1EEEvSK_.has_recursion, 0
	.set _ZN7rocprim17ROCPRIM_400000_NS6detail17trampoline_kernelINS0_14default_configENS1_22reduce_config_selectorIxEEZNS1_11reduce_implILb1ES3_N6thrust23THRUST_200600_302600_NS17counting_iteratorIxNS8_11hip_rocprim3tagENS8_11use_defaultESC_EEPxxNS8_4plusIxEEEE10hipError_tPvRmT1_T2_T3_mT4_P12ihipStream_tbEUlT_E0_NS1_11comp_targetILNS1_3genE10ELNS1_11target_archE1200ELNS1_3gpuE4ELNS1_3repE0EEENS1_30default_config_static_selectorELNS0_4arch9wavefront6targetE1EEEvSK_.has_indirect_call, 0
	.section	.AMDGPU.csdata,"",@progbits
; Kernel info:
; codeLenInByte = 0
; TotalNumSgprs: 6
; NumVgprs: 0
; NumAgprs: 0
; TotalNumVgprs: 0
; ScratchSize: 0
; MemoryBound: 0
; FloatMode: 240
; IeeeMode: 1
; LDSByteSize: 0 bytes/workgroup (compile time only)
; SGPRBlocks: 0
; VGPRBlocks: 0
; NumSGPRsForWavesPerEU: 6
; NumVGPRsForWavesPerEU: 1
; AccumOffset: 4
; Occupancy: 8
; WaveLimiterHint : 0
; COMPUTE_PGM_RSRC2:SCRATCH_EN: 0
; COMPUTE_PGM_RSRC2:USER_SGPR: 2
; COMPUTE_PGM_RSRC2:TRAP_HANDLER: 0
; COMPUTE_PGM_RSRC2:TGID_X_EN: 1
; COMPUTE_PGM_RSRC2:TGID_Y_EN: 0
; COMPUTE_PGM_RSRC2:TGID_Z_EN: 0
; COMPUTE_PGM_RSRC2:TIDIG_COMP_CNT: 0
; COMPUTE_PGM_RSRC3_GFX90A:ACCUM_OFFSET: 0
; COMPUTE_PGM_RSRC3_GFX90A:TG_SPLIT: 0
	.section	.text._ZN7rocprim17ROCPRIM_400000_NS6detail17trampoline_kernelINS0_14default_configENS1_22reduce_config_selectorIxEEZNS1_11reduce_implILb1ES3_N6thrust23THRUST_200600_302600_NS17counting_iteratorIxNS8_11hip_rocprim3tagENS8_11use_defaultESC_EEPxxNS8_4plusIxEEEE10hipError_tPvRmT1_T2_T3_mT4_P12ihipStream_tbEUlT_E0_NS1_11comp_targetILNS1_3genE9ELNS1_11target_archE1100ELNS1_3gpuE3ELNS1_3repE0EEENS1_30default_config_static_selectorELNS0_4arch9wavefront6targetE1EEEvSK_,"axG",@progbits,_ZN7rocprim17ROCPRIM_400000_NS6detail17trampoline_kernelINS0_14default_configENS1_22reduce_config_selectorIxEEZNS1_11reduce_implILb1ES3_N6thrust23THRUST_200600_302600_NS17counting_iteratorIxNS8_11hip_rocprim3tagENS8_11use_defaultESC_EEPxxNS8_4plusIxEEEE10hipError_tPvRmT1_T2_T3_mT4_P12ihipStream_tbEUlT_E0_NS1_11comp_targetILNS1_3genE9ELNS1_11target_archE1100ELNS1_3gpuE3ELNS1_3repE0EEENS1_30default_config_static_selectorELNS0_4arch9wavefront6targetE1EEEvSK_,comdat
	.protected	_ZN7rocprim17ROCPRIM_400000_NS6detail17trampoline_kernelINS0_14default_configENS1_22reduce_config_selectorIxEEZNS1_11reduce_implILb1ES3_N6thrust23THRUST_200600_302600_NS17counting_iteratorIxNS8_11hip_rocprim3tagENS8_11use_defaultESC_EEPxxNS8_4plusIxEEEE10hipError_tPvRmT1_T2_T3_mT4_P12ihipStream_tbEUlT_E0_NS1_11comp_targetILNS1_3genE9ELNS1_11target_archE1100ELNS1_3gpuE3ELNS1_3repE0EEENS1_30default_config_static_selectorELNS0_4arch9wavefront6targetE1EEEvSK_ ; -- Begin function _ZN7rocprim17ROCPRIM_400000_NS6detail17trampoline_kernelINS0_14default_configENS1_22reduce_config_selectorIxEEZNS1_11reduce_implILb1ES3_N6thrust23THRUST_200600_302600_NS17counting_iteratorIxNS8_11hip_rocprim3tagENS8_11use_defaultESC_EEPxxNS8_4plusIxEEEE10hipError_tPvRmT1_T2_T3_mT4_P12ihipStream_tbEUlT_E0_NS1_11comp_targetILNS1_3genE9ELNS1_11target_archE1100ELNS1_3gpuE3ELNS1_3repE0EEENS1_30default_config_static_selectorELNS0_4arch9wavefront6targetE1EEEvSK_
	.globl	_ZN7rocprim17ROCPRIM_400000_NS6detail17trampoline_kernelINS0_14default_configENS1_22reduce_config_selectorIxEEZNS1_11reduce_implILb1ES3_N6thrust23THRUST_200600_302600_NS17counting_iteratorIxNS8_11hip_rocprim3tagENS8_11use_defaultESC_EEPxxNS8_4plusIxEEEE10hipError_tPvRmT1_T2_T3_mT4_P12ihipStream_tbEUlT_E0_NS1_11comp_targetILNS1_3genE9ELNS1_11target_archE1100ELNS1_3gpuE3ELNS1_3repE0EEENS1_30default_config_static_selectorELNS0_4arch9wavefront6targetE1EEEvSK_
	.p2align	8
	.type	_ZN7rocprim17ROCPRIM_400000_NS6detail17trampoline_kernelINS0_14default_configENS1_22reduce_config_selectorIxEEZNS1_11reduce_implILb1ES3_N6thrust23THRUST_200600_302600_NS17counting_iteratorIxNS8_11hip_rocprim3tagENS8_11use_defaultESC_EEPxxNS8_4plusIxEEEE10hipError_tPvRmT1_T2_T3_mT4_P12ihipStream_tbEUlT_E0_NS1_11comp_targetILNS1_3genE9ELNS1_11target_archE1100ELNS1_3gpuE3ELNS1_3repE0EEENS1_30default_config_static_selectorELNS0_4arch9wavefront6targetE1EEEvSK_,@function
_ZN7rocprim17ROCPRIM_400000_NS6detail17trampoline_kernelINS0_14default_configENS1_22reduce_config_selectorIxEEZNS1_11reduce_implILb1ES3_N6thrust23THRUST_200600_302600_NS17counting_iteratorIxNS8_11hip_rocprim3tagENS8_11use_defaultESC_EEPxxNS8_4plusIxEEEE10hipError_tPvRmT1_T2_T3_mT4_P12ihipStream_tbEUlT_E0_NS1_11comp_targetILNS1_3genE9ELNS1_11target_archE1100ELNS1_3gpuE3ELNS1_3repE0EEENS1_30default_config_static_selectorELNS0_4arch9wavefront6targetE1EEEvSK_: ; @_ZN7rocprim17ROCPRIM_400000_NS6detail17trampoline_kernelINS0_14default_configENS1_22reduce_config_selectorIxEEZNS1_11reduce_implILb1ES3_N6thrust23THRUST_200600_302600_NS17counting_iteratorIxNS8_11hip_rocprim3tagENS8_11use_defaultESC_EEPxxNS8_4plusIxEEEE10hipError_tPvRmT1_T2_T3_mT4_P12ihipStream_tbEUlT_E0_NS1_11comp_targetILNS1_3genE9ELNS1_11target_archE1100ELNS1_3gpuE3ELNS1_3repE0EEENS1_30default_config_static_selectorELNS0_4arch9wavefront6targetE1EEEvSK_
; %bb.0:
	.section	.rodata,"a",@progbits
	.p2align	6, 0x0
	.amdhsa_kernel _ZN7rocprim17ROCPRIM_400000_NS6detail17trampoline_kernelINS0_14default_configENS1_22reduce_config_selectorIxEEZNS1_11reduce_implILb1ES3_N6thrust23THRUST_200600_302600_NS17counting_iteratorIxNS8_11hip_rocprim3tagENS8_11use_defaultESC_EEPxxNS8_4plusIxEEEE10hipError_tPvRmT1_T2_T3_mT4_P12ihipStream_tbEUlT_E0_NS1_11comp_targetILNS1_3genE9ELNS1_11target_archE1100ELNS1_3gpuE3ELNS1_3repE0EEENS1_30default_config_static_selectorELNS0_4arch9wavefront6targetE1EEEvSK_
		.amdhsa_group_segment_fixed_size 0
		.amdhsa_private_segment_fixed_size 0
		.amdhsa_kernarg_size 64
		.amdhsa_user_sgpr_count 2
		.amdhsa_user_sgpr_dispatch_ptr 0
		.amdhsa_user_sgpr_queue_ptr 0
		.amdhsa_user_sgpr_kernarg_segment_ptr 1
		.amdhsa_user_sgpr_dispatch_id 0
		.amdhsa_user_sgpr_kernarg_preload_length 0
		.amdhsa_user_sgpr_kernarg_preload_offset 0
		.amdhsa_user_sgpr_private_segment_size 0
		.amdhsa_uses_dynamic_stack 0
		.amdhsa_enable_private_segment 0
		.amdhsa_system_sgpr_workgroup_id_x 1
		.amdhsa_system_sgpr_workgroup_id_y 0
		.amdhsa_system_sgpr_workgroup_id_z 0
		.amdhsa_system_sgpr_workgroup_info 0
		.amdhsa_system_vgpr_workitem_id 0
		.amdhsa_next_free_vgpr 1
		.amdhsa_next_free_sgpr 0
		.amdhsa_accum_offset 4
		.amdhsa_reserve_vcc 0
		.amdhsa_float_round_mode_32 0
		.amdhsa_float_round_mode_16_64 0
		.amdhsa_float_denorm_mode_32 3
		.amdhsa_float_denorm_mode_16_64 3
		.amdhsa_dx10_clamp 1
		.amdhsa_ieee_mode 1
		.amdhsa_fp16_overflow 0
		.amdhsa_tg_split 0
		.amdhsa_exception_fp_ieee_invalid_op 0
		.amdhsa_exception_fp_denorm_src 0
		.amdhsa_exception_fp_ieee_div_zero 0
		.amdhsa_exception_fp_ieee_overflow 0
		.amdhsa_exception_fp_ieee_underflow 0
		.amdhsa_exception_fp_ieee_inexact 0
		.amdhsa_exception_int_div_zero 0
	.end_amdhsa_kernel
	.section	.text._ZN7rocprim17ROCPRIM_400000_NS6detail17trampoline_kernelINS0_14default_configENS1_22reduce_config_selectorIxEEZNS1_11reduce_implILb1ES3_N6thrust23THRUST_200600_302600_NS17counting_iteratorIxNS8_11hip_rocprim3tagENS8_11use_defaultESC_EEPxxNS8_4plusIxEEEE10hipError_tPvRmT1_T2_T3_mT4_P12ihipStream_tbEUlT_E0_NS1_11comp_targetILNS1_3genE9ELNS1_11target_archE1100ELNS1_3gpuE3ELNS1_3repE0EEENS1_30default_config_static_selectorELNS0_4arch9wavefront6targetE1EEEvSK_,"axG",@progbits,_ZN7rocprim17ROCPRIM_400000_NS6detail17trampoline_kernelINS0_14default_configENS1_22reduce_config_selectorIxEEZNS1_11reduce_implILb1ES3_N6thrust23THRUST_200600_302600_NS17counting_iteratorIxNS8_11hip_rocprim3tagENS8_11use_defaultESC_EEPxxNS8_4plusIxEEEE10hipError_tPvRmT1_T2_T3_mT4_P12ihipStream_tbEUlT_E0_NS1_11comp_targetILNS1_3genE9ELNS1_11target_archE1100ELNS1_3gpuE3ELNS1_3repE0EEENS1_30default_config_static_selectorELNS0_4arch9wavefront6targetE1EEEvSK_,comdat
.Lfunc_end1080:
	.size	_ZN7rocprim17ROCPRIM_400000_NS6detail17trampoline_kernelINS0_14default_configENS1_22reduce_config_selectorIxEEZNS1_11reduce_implILb1ES3_N6thrust23THRUST_200600_302600_NS17counting_iteratorIxNS8_11hip_rocprim3tagENS8_11use_defaultESC_EEPxxNS8_4plusIxEEEE10hipError_tPvRmT1_T2_T3_mT4_P12ihipStream_tbEUlT_E0_NS1_11comp_targetILNS1_3genE9ELNS1_11target_archE1100ELNS1_3gpuE3ELNS1_3repE0EEENS1_30default_config_static_selectorELNS0_4arch9wavefront6targetE1EEEvSK_, .Lfunc_end1080-_ZN7rocprim17ROCPRIM_400000_NS6detail17trampoline_kernelINS0_14default_configENS1_22reduce_config_selectorIxEEZNS1_11reduce_implILb1ES3_N6thrust23THRUST_200600_302600_NS17counting_iteratorIxNS8_11hip_rocprim3tagENS8_11use_defaultESC_EEPxxNS8_4plusIxEEEE10hipError_tPvRmT1_T2_T3_mT4_P12ihipStream_tbEUlT_E0_NS1_11comp_targetILNS1_3genE9ELNS1_11target_archE1100ELNS1_3gpuE3ELNS1_3repE0EEENS1_30default_config_static_selectorELNS0_4arch9wavefront6targetE1EEEvSK_
                                        ; -- End function
	.set _ZN7rocprim17ROCPRIM_400000_NS6detail17trampoline_kernelINS0_14default_configENS1_22reduce_config_selectorIxEEZNS1_11reduce_implILb1ES3_N6thrust23THRUST_200600_302600_NS17counting_iteratorIxNS8_11hip_rocprim3tagENS8_11use_defaultESC_EEPxxNS8_4plusIxEEEE10hipError_tPvRmT1_T2_T3_mT4_P12ihipStream_tbEUlT_E0_NS1_11comp_targetILNS1_3genE9ELNS1_11target_archE1100ELNS1_3gpuE3ELNS1_3repE0EEENS1_30default_config_static_selectorELNS0_4arch9wavefront6targetE1EEEvSK_.num_vgpr, 0
	.set _ZN7rocprim17ROCPRIM_400000_NS6detail17trampoline_kernelINS0_14default_configENS1_22reduce_config_selectorIxEEZNS1_11reduce_implILb1ES3_N6thrust23THRUST_200600_302600_NS17counting_iteratorIxNS8_11hip_rocprim3tagENS8_11use_defaultESC_EEPxxNS8_4plusIxEEEE10hipError_tPvRmT1_T2_T3_mT4_P12ihipStream_tbEUlT_E0_NS1_11comp_targetILNS1_3genE9ELNS1_11target_archE1100ELNS1_3gpuE3ELNS1_3repE0EEENS1_30default_config_static_selectorELNS0_4arch9wavefront6targetE1EEEvSK_.num_agpr, 0
	.set _ZN7rocprim17ROCPRIM_400000_NS6detail17trampoline_kernelINS0_14default_configENS1_22reduce_config_selectorIxEEZNS1_11reduce_implILb1ES3_N6thrust23THRUST_200600_302600_NS17counting_iteratorIxNS8_11hip_rocprim3tagENS8_11use_defaultESC_EEPxxNS8_4plusIxEEEE10hipError_tPvRmT1_T2_T3_mT4_P12ihipStream_tbEUlT_E0_NS1_11comp_targetILNS1_3genE9ELNS1_11target_archE1100ELNS1_3gpuE3ELNS1_3repE0EEENS1_30default_config_static_selectorELNS0_4arch9wavefront6targetE1EEEvSK_.numbered_sgpr, 0
	.set _ZN7rocprim17ROCPRIM_400000_NS6detail17trampoline_kernelINS0_14default_configENS1_22reduce_config_selectorIxEEZNS1_11reduce_implILb1ES3_N6thrust23THRUST_200600_302600_NS17counting_iteratorIxNS8_11hip_rocprim3tagENS8_11use_defaultESC_EEPxxNS8_4plusIxEEEE10hipError_tPvRmT1_T2_T3_mT4_P12ihipStream_tbEUlT_E0_NS1_11comp_targetILNS1_3genE9ELNS1_11target_archE1100ELNS1_3gpuE3ELNS1_3repE0EEENS1_30default_config_static_selectorELNS0_4arch9wavefront6targetE1EEEvSK_.num_named_barrier, 0
	.set _ZN7rocprim17ROCPRIM_400000_NS6detail17trampoline_kernelINS0_14default_configENS1_22reduce_config_selectorIxEEZNS1_11reduce_implILb1ES3_N6thrust23THRUST_200600_302600_NS17counting_iteratorIxNS8_11hip_rocprim3tagENS8_11use_defaultESC_EEPxxNS8_4plusIxEEEE10hipError_tPvRmT1_T2_T3_mT4_P12ihipStream_tbEUlT_E0_NS1_11comp_targetILNS1_3genE9ELNS1_11target_archE1100ELNS1_3gpuE3ELNS1_3repE0EEENS1_30default_config_static_selectorELNS0_4arch9wavefront6targetE1EEEvSK_.private_seg_size, 0
	.set _ZN7rocprim17ROCPRIM_400000_NS6detail17trampoline_kernelINS0_14default_configENS1_22reduce_config_selectorIxEEZNS1_11reduce_implILb1ES3_N6thrust23THRUST_200600_302600_NS17counting_iteratorIxNS8_11hip_rocprim3tagENS8_11use_defaultESC_EEPxxNS8_4plusIxEEEE10hipError_tPvRmT1_T2_T3_mT4_P12ihipStream_tbEUlT_E0_NS1_11comp_targetILNS1_3genE9ELNS1_11target_archE1100ELNS1_3gpuE3ELNS1_3repE0EEENS1_30default_config_static_selectorELNS0_4arch9wavefront6targetE1EEEvSK_.uses_vcc, 0
	.set _ZN7rocprim17ROCPRIM_400000_NS6detail17trampoline_kernelINS0_14default_configENS1_22reduce_config_selectorIxEEZNS1_11reduce_implILb1ES3_N6thrust23THRUST_200600_302600_NS17counting_iteratorIxNS8_11hip_rocprim3tagENS8_11use_defaultESC_EEPxxNS8_4plusIxEEEE10hipError_tPvRmT1_T2_T3_mT4_P12ihipStream_tbEUlT_E0_NS1_11comp_targetILNS1_3genE9ELNS1_11target_archE1100ELNS1_3gpuE3ELNS1_3repE0EEENS1_30default_config_static_selectorELNS0_4arch9wavefront6targetE1EEEvSK_.uses_flat_scratch, 0
	.set _ZN7rocprim17ROCPRIM_400000_NS6detail17trampoline_kernelINS0_14default_configENS1_22reduce_config_selectorIxEEZNS1_11reduce_implILb1ES3_N6thrust23THRUST_200600_302600_NS17counting_iteratorIxNS8_11hip_rocprim3tagENS8_11use_defaultESC_EEPxxNS8_4plusIxEEEE10hipError_tPvRmT1_T2_T3_mT4_P12ihipStream_tbEUlT_E0_NS1_11comp_targetILNS1_3genE9ELNS1_11target_archE1100ELNS1_3gpuE3ELNS1_3repE0EEENS1_30default_config_static_selectorELNS0_4arch9wavefront6targetE1EEEvSK_.has_dyn_sized_stack, 0
	.set _ZN7rocprim17ROCPRIM_400000_NS6detail17trampoline_kernelINS0_14default_configENS1_22reduce_config_selectorIxEEZNS1_11reduce_implILb1ES3_N6thrust23THRUST_200600_302600_NS17counting_iteratorIxNS8_11hip_rocprim3tagENS8_11use_defaultESC_EEPxxNS8_4plusIxEEEE10hipError_tPvRmT1_T2_T3_mT4_P12ihipStream_tbEUlT_E0_NS1_11comp_targetILNS1_3genE9ELNS1_11target_archE1100ELNS1_3gpuE3ELNS1_3repE0EEENS1_30default_config_static_selectorELNS0_4arch9wavefront6targetE1EEEvSK_.has_recursion, 0
	.set _ZN7rocprim17ROCPRIM_400000_NS6detail17trampoline_kernelINS0_14default_configENS1_22reduce_config_selectorIxEEZNS1_11reduce_implILb1ES3_N6thrust23THRUST_200600_302600_NS17counting_iteratorIxNS8_11hip_rocprim3tagENS8_11use_defaultESC_EEPxxNS8_4plusIxEEEE10hipError_tPvRmT1_T2_T3_mT4_P12ihipStream_tbEUlT_E0_NS1_11comp_targetILNS1_3genE9ELNS1_11target_archE1100ELNS1_3gpuE3ELNS1_3repE0EEENS1_30default_config_static_selectorELNS0_4arch9wavefront6targetE1EEEvSK_.has_indirect_call, 0
	.section	.AMDGPU.csdata,"",@progbits
; Kernel info:
; codeLenInByte = 0
; TotalNumSgprs: 6
; NumVgprs: 0
; NumAgprs: 0
; TotalNumVgprs: 0
; ScratchSize: 0
; MemoryBound: 0
; FloatMode: 240
; IeeeMode: 1
; LDSByteSize: 0 bytes/workgroup (compile time only)
; SGPRBlocks: 0
; VGPRBlocks: 0
; NumSGPRsForWavesPerEU: 6
; NumVGPRsForWavesPerEU: 1
; AccumOffset: 4
; Occupancy: 8
; WaveLimiterHint : 0
; COMPUTE_PGM_RSRC2:SCRATCH_EN: 0
; COMPUTE_PGM_RSRC2:USER_SGPR: 2
; COMPUTE_PGM_RSRC2:TRAP_HANDLER: 0
; COMPUTE_PGM_RSRC2:TGID_X_EN: 1
; COMPUTE_PGM_RSRC2:TGID_Y_EN: 0
; COMPUTE_PGM_RSRC2:TGID_Z_EN: 0
; COMPUTE_PGM_RSRC2:TIDIG_COMP_CNT: 0
; COMPUTE_PGM_RSRC3_GFX90A:ACCUM_OFFSET: 0
; COMPUTE_PGM_RSRC3_GFX90A:TG_SPLIT: 0
	.section	.text._ZN7rocprim17ROCPRIM_400000_NS6detail17trampoline_kernelINS0_14default_configENS1_22reduce_config_selectorIxEEZNS1_11reduce_implILb1ES3_N6thrust23THRUST_200600_302600_NS17counting_iteratorIxNS8_11hip_rocprim3tagENS8_11use_defaultESC_EEPxxNS8_4plusIxEEEE10hipError_tPvRmT1_T2_T3_mT4_P12ihipStream_tbEUlT_E0_NS1_11comp_targetILNS1_3genE8ELNS1_11target_archE1030ELNS1_3gpuE2ELNS1_3repE0EEENS1_30default_config_static_selectorELNS0_4arch9wavefront6targetE1EEEvSK_,"axG",@progbits,_ZN7rocprim17ROCPRIM_400000_NS6detail17trampoline_kernelINS0_14default_configENS1_22reduce_config_selectorIxEEZNS1_11reduce_implILb1ES3_N6thrust23THRUST_200600_302600_NS17counting_iteratorIxNS8_11hip_rocprim3tagENS8_11use_defaultESC_EEPxxNS8_4plusIxEEEE10hipError_tPvRmT1_T2_T3_mT4_P12ihipStream_tbEUlT_E0_NS1_11comp_targetILNS1_3genE8ELNS1_11target_archE1030ELNS1_3gpuE2ELNS1_3repE0EEENS1_30default_config_static_selectorELNS0_4arch9wavefront6targetE1EEEvSK_,comdat
	.protected	_ZN7rocprim17ROCPRIM_400000_NS6detail17trampoline_kernelINS0_14default_configENS1_22reduce_config_selectorIxEEZNS1_11reduce_implILb1ES3_N6thrust23THRUST_200600_302600_NS17counting_iteratorIxNS8_11hip_rocprim3tagENS8_11use_defaultESC_EEPxxNS8_4plusIxEEEE10hipError_tPvRmT1_T2_T3_mT4_P12ihipStream_tbEUlT_E0_NS1_11comp_targetILNS1_3genE8ELNS1_11target_archE1030ELNS1_3gpuE2ELNS1_3repE0EEENS1_30default_config_static_selectorELNS0_4arch9wavefront6targetE1EEEvSK_ ; -- Begin function _ZN7rocprim17ROCPRIM_400000_NS6detail17trampoline_kernelINS0_14default_configENS1_22reduce_config_selectorIxEEZNS1_11reduce_implILb1ES3_N6thrust23THRUST_200600_302600_NS17counting_iteratorIxNS8_11hip_rocprim3tagENS8_11use_defaultESC_EEPxxNS8_4plusIxEEEE10hipError_tPvRmT1_T2_T3_mT4_P12ihipStream_tbEUlT_E0_NS1_11comp_targetILNS1_3genE8ELNS1_11target_archE1030ELNS1_3gpuE2ELNS1_3repE0EEENS1_30default_config_static_selectorELNS0_4arch9wavefront6targetE1EEEvSK_
	.globl	_ZN7rocprim17ROCPRIM_400000_NS6detail17trampoline_kernelINS0_14default_configENS1_22reduce_config_selectorIxEEZNS1_11reduce_implILb1ES3_N6thrust23THRUST_200600_302600_NS17counting_iteratorIxNS8_11hip_rocprim3tagENS8_11use_defaultESC_EEPxxNS8_4plusIxEEEE10hipError_tPvRmT1_T2_T3_mT4_P12ihipStream_tbEUlT_E0_NS1_11comp_targetILNS1_3genE8ELNS1_11target_archE1030ELNS1_3gpuE2ELNS1_3repE0EEENS1_30default_config_static_selectorELNS0_4arch9wavefront6targetE1EEEvSK_
	.p2align	8
	.type	_ZN7rocprim17ROCPRIM_400000_NS6detail17trampoline_kernelINS0_14default_configENS1_22reduce_config_selectorIxEEZNS1_11reduce_implILb1ES3_N6thrust23THRUST_200600_302600_NS17counting_iteratorIxNS8_11hip_rocprim3tagENS8_11use_defaultESC_EEPxxNS8_4plusIxEEEE10hipError_tPvRmT1_T2_T3_mT4_P12ihipStream_tbEUlT_E0_NS1_11comp_targetILNS1_3genE8ELNS1_11target_archE1030ELNS1_3gpuE2ELNS1_3repE0EEENS1_30default_config_static_selectorELNS0_4arch9wavefront6targetE1EEEvSK_,@function
_ZN7rocprim17ROCPRIM_400000_NS6detail17trampoline_kernelINS0_14default_configENS1_22reduce_config_selectorIxEEZNS1_11reduce_implILb1ES3_N6thrust23THRUST_200600_302600_NS17counting_iteratorIxNS8_11hip_rocprim3tagENS8_11use_defaultESC_EEPxxNS8_4plusIxEEEE10hipError_tPvRmT1_T2_T3_mT4_P12ihipStream_tbEUlT_E0_NS1_11comp_targetILNS1_3genE8ELNS1_11target_archE1030ELNS1_3gpuE2ELNS1_3repE0EEENS1_30default_config_static_selectorELNS0_4arch9wavefront6targetE1EEEvSK_: ; @_ZN7rocprim17ROCPRIM_400000_NS6detail17trampoline_kernelINS0_14default_configENS1_22reduce_config_selectorIxEEZNS1_11reduce_implILb1ES3_N6thrust23THRUST_200600_302600_NS17counting_iteratorIxNS8_11hip_rocprim3tagENS8_11use_defaultESC_EEPxxNS8_4plusIxEEEE10hipError_tPvRmT1_T2_T3_mT4_P12ihipStream_tbEUlT_E0_NS1_11comp_targetILNS1_3genE8ELNS1_11target_archE1030ELNS1_3gpuE2ELNS1_3repE0EEENS1_30default_config_static_selectorELNS0_4arch9wavefront6targetE1EEEvSK_
; %bb.0:
	.section	.rodata,"a",@progbits
	.p2align	6, 0x0
	.amdhsa_kernel _ZN7rocprim17ROCPRIM_400000_NS6detail17trampoline_kernelINS0_14default_configENS1_22reduce_config_selectorIxEEZNS1_11reduce_implILb1ES3_N6thrust23THRUST_200600_302600_NS17counting_iteratorIxNS8_11hip_rocprim3tagENS8_11use_defaultESC_EEPxxNS8_4plusIxEEEE10hipError_tPvRmT1_T2_T3_mT4_P12ihipStream_tbEUlT_E0_NS1_11comp_targetILNS1_3genE8ELNS1_11target_archE1030ELNS1_3gpuE2ELNS1_3repE0EEENS1_30default_config_static_selectorELNS0_4arch9wavefront6targetE1EEEvSK_
		.amdhsa_group_segment_fixed_size 0
		.amdhsa_private_segment_fixed_size 0
		.amdhsa_kernarg_size 64
		.amdhsa_user_sgpr_count 2
		.amdhsa_user_sgpr_dispatch_ptr 0
		.amdhsa_user_sgpr_queue_ptr 0
		.amdhsa_user_sgpr_kernarg_segment_ptr 1
		.amdhsa_user_sgpr_dispatch_id 0
		.amdhsa_user_sgpr_kernarg_preload_length 0
		.amdhsa_user_sgpr_kernarg_preload_offset 0
		.amdhsa_user_sgpr_private_segment_size 0
		.amdhsa_uses_dynamic_stack 0
		.amdhsa_enable_private_segment 0
		.amdhsa_system_sgpr_workgroup_id_x 1
		.amdhsa_system_sgpr_workgroup_id_y 0
		.amdhsa_system_sgpr_workgroup_id_z 0
		.amdhsa_system_sgpr_workgroup_info 0
		.amdhsa_system_vgpr_workitem_id 0
		.amdhsa_next_free_vgpr 1
		.amdhsa_next_free_sgpr 0
		.amdhsa_accum_offset 4
		.amdhsa_reserve_vcc 0
		.amdhsa_float_round_mode_32 0
		.amdhsa_float_round_mode_16_64 0
		.amdhsa_float_denorm_mode_32 3
		.amdhsa_float_denorm_mode_16_64 3
		.amdhsa_dx10_clamp 1
		.amdhsa_ieee_mode 1
		.amdhsa_fp16_overflow 0
		.amdhsa_tg_split 0
		.amdhsa_exception_fp_ieee_invalid_op 0
		.amdhsa_exception_fp_denorm_src 0
		.amdhsa_exception_fp_ieee_div_zero 0
		.amdhsa_exception_fp_ieee_overflow 0
		.amdhsa_exception_fp_ieee_underflow 0
		.amdhsa_exception_fp_ieee_inexact 0
		.amdhsa_exception_int_div_zero 0
	.end_amdhsa_kernel
	.section	.text._ZN7rocprim17ROCPRIM_400000_NS6detail17trampoline_kernelINS0_14default_configENS1_22reduce_config_selectorIxEEZNS1_11reduce_implILb1ES3_N6thrust23THRUST_200600_302600_NS17counting_iteratorIxNS8_11hip_rocprim3tagENS8_11use_defaultESC_EEPxxNS8_4plusIxEEEE10hipError_tPvRmT1_T2_T3_mT4_P12ihipStream_tbEUlT_E0_NS1_11comp_targetILNS1_3genE8ELNS1_11target_archE1030ELNS1_3gpuE2ELNS1_3repE0EEENS1_30default_config_static_selectorELNS0_4arch9wavefront6targetE1EEEvSK_,"axG",@progbits,_ZN7rocprim17ROCPRIM_400000_NS6detail17trampoline_kernelINS0_14default_configENS1_22reduce_config_selectorIxEEZNS1_11reduce_implILb1ES3_N6thrust23THRUST_200600_302600_NS17counting_iteratorIxNS8_11hip_rocprim3tagENS8_11use_defaultESC_EEPxxNS8_4plusIxEEEE10hipError_tPvRmT1_T2_T3_mT4_P12ihipStream_tbEUlT_E0_NS1_11comp_targetILNS1_3genE8ELNS1_11target_archE1030ELNS1_3gpuE2ELNS1_3repE0EEENS1_30default_config_static_selectorELNS0_4arch9wavefront6targetE1EEEvSK_,comdat
.Lfunc_end1081:
	.size	_ZN7rocprim17ROCPRIM_400000_NS6detail17trampoline_kernelINS0_14default_configENS1_22reduce_config_selectorIxEEZNS1_11reduce_implILb1ES3_N6thrust23THRUST_200600_302600_NS17counting_iteratorIxNS8_11hip_rocprim3tagENS8_11use_defaultESC_EEPxxNS8_4plusIxEEEE10hipError_tPvRmT1_T2_T3_mT4_P12ihipStream_tbEUlT_E0_NS1_11comp_targetILNS1_3genE8ELNS1_11target_archE1030ELNS1_3gpuE2ELNS1_3repE0EEENS1_30default_config_static_selectorELNS0_4arch9wavefront6targetE1EEEvSK_, .Lfunc_end1081-_ZN7rocprim17ROCPRIM_400000_NS6detail17trampoline_kernelINS0_14default_configENS1_22reduce_config_selectorIxEEZNS1_11reduce_implILb1ES3_N6thrust23THRUST_200600_302600_NS17counting_iteratorIxNS8_11hip_rocprim3tagENS8_11use_defaultESC_EEPxxNS8_4plusIxEEEE10hipError_tPvRmT1_T2_T3_mT4_P12ihipStream_tbEUlT_E0_NS1_11comp_targetILNS1_3genE8ELNS1_11target_archE1030ELNS1_3gpuE2ELNS1_3repE0EEENS1_30default_config_static_selectorELNS0_4arch9wavefront6targetE1EEEvSK_
                                        ; -- End function
	.set _ZN7rocprim17ROCPRIM_400000_NS6detail17trampoline_kernelINS0_14default_configENS1_22reduce_config_selectorIxEEZNS1_11reduce_implILb1ES3_N6thrust23THRUST_200600_302600_NS17counting_iteratorIxNS8_11hip_rocprim3tagENS8_11use_defaultESC_EEPxxNS8_4plusIxEEEE10hipError_tPvRmT1_T2_T3_mT4_P12ihipStream_tbEUlT_E0_NS1_11comp_targetILNS1_3genE8ELNS1_11target_archE1030ELNS1_3gpuE2ELNS1_3repE0EEENS1_30default_config_static_selectorELNS0_4arch9wavefront6targetE1EEEvSK_.num_vgpr, 0
	.set _ZN7rocprim17ROCPRIM_400000_NS6detail17trampoline_kernelINS0_14default_configENS1_22reduce_config_selectorIxEEZNS1_11reduce_implILb1ES3_N6thrust23THRUST_200600_302600_NS17counting_iteratorIxNS8_11hip_rocprim3tagENS8_11use_defaultESC_EEPxxNS8_4plusIxEEEE10hipError_tPvRmT1_T2_T3_mT4_P12ihipStream_tbEUlT_E0_NS1_11comp_targetILNS1_3genE8ELNS1_11target_archE1030ELNS1_3gpuE2ELNS1_3repE0EEENS1_30default_config_static_selectorELNS0_4arch9wavefront6targetE1EEEvSK_.num_agpr, 0
	.set _ZN7rocprim17ROCPRIM_400000_NS6detail17trampoline_kernelINS0_14default_configENS1_22reduce_config_selectorIxEEZNS1_11reduce_implILb1ES3_N6thrust23THRUST_200600_302600_NS17counting_iteratorIxNS8_11hip_rocprim3tagENS8_11use_defaultESC_EEPxxNS8_4plusIxEEEE10hipError_tPvRmT1_T2_T3_mT4_P12ihipStream_tbEUlT_E0_NS1_11comp_targetILNS1_3genE8ELNS1_11target_archE1030ELNS1_3gpuE2ELNS1_3repE0EEENS1_30default_config_static_selectorELNS0_4arch9wavefront6targetE1EEEvSK_.numbered_sgpr, 0
	.set _ZN7rocprim17ROCPRIM_400000_NS6detail17trampoline_kernelINS0_14default_configENS1_22reduce_config_selectorIxEEZNS1_11reduce_implILb1ES3_N6thrust23THRUST_200600_302600_NS17counting_iteratorIxNS8_11hip_rocprim3tagENS8_11use_defaultESC_EEPxxNS8_4plusIxEEEE10hipError_tPvRmT1_T2_T3_mT4_P12ihipStream_tbEUlT_E0_NS1_11comp_targetILNS1_3genE8ELNS1_11target_archE1030ELNS1_3gpuE2ELNS1_3repE0EEENS1_30default_config_static_selectorELNS0_4arch9wavefront6targetE1EEEvSK_.num_named_barrier, 0
	.set _ZN7rocprim17ROCPRIM_400000_NS6detail17trampoline_kernelINS0_14default_configENS1_22reduce_config_selectorIxEEZNS1_11reduce_implILb1ES3_N6thrust23THRUST_200600_302600_NS17counting_iteratorIxNS8_11hip_rocprim3tagENS8_11use_defaultESC_EEPxxNS8_4plusIxEEEE10hipError_tPvRmT1_T2_T3_mT4_P12ihipStream_tbEUlT_E0_NS1_11comp_targetILNS1_3genE8ELNS1_11target_archE1030ELNS1_3gpuE2ELNS1_3repE0EEENS1_30default_config_static_selectorELNS0_4arch9wavefront6targetE1EEEvSK_.private_seg_size, 0
	.set _ZN7rocprim17ROCPRIM_400000_NS6detail17trampoline_kernelINS0_14default_configENS1_22reduce_config_selectorIxEEZNS1_11reduce_implILb1ES3_N6thrust23THRUST_200600_302600_NS17counting_iteratorIxNS8_11hip_rocprim3tagENS8_11use_defaultESC_EEPxxNS8_4plusIxEEEE10hipError_tPvRmT1_T2_T3_mT4_P12ihipStream_tbEUlT_E0_NS1_11comp_targetILNS1_3genE8ELNS1_11target_archE1030ELNS1_3gpuE2ELNS1_3repE0EEENS1_30default_config_static_selectorELNS0_4arch9wavefront6targetE1EEEvSK_.uses_vcc, 0
	.set _ZN7rocprim17ROCPRIM_400000_NS6detail17trampoline_kernelINS0_14default_configENS1_22reduce_config_selectorIxEEZNS1_11reduce_implILb1ES3_N6thrust23THRUST_200600_302600_NS17counting_iteratorIxNS8_11hip_rocprim3tagENS8_11use_defaultESC_EEPxxNS8_4plusIxEEEE10hipError_tPvRmT1_T2_T3_mT4_P12ihipStream_tbEUlT_E0_NS1_11comp_targetILNS1_3genE8ELNS1_11target_archE1030ELNS1_3gpuE2ELNS1_3repE0EEENS1_30default_config_static_selectorELNS0_4arch9wavefront6targetE1EEEvSK_.uses_flat_scratch, 0
	.set _ZN7rocprim17ROCPRIM_400000_NS6detail17trampoline_kernelINS0_14default_configENS1_22reduce_config_selectorIxEEZNS1_11reduce_implILb1ES3_N6thrust23THRUST_200600_302600_NS17counting_iteratorIxNS8_11hip_rocprim3tagENS8_11use_defaultESC_EEPxxNS8_4plusIxEEEE10hipError_tPvRmT1_T2_T3_mT4_P12ihipStream_tbEUlT_E0_NS1_11comp_targetILNS1_3genE8ELNS1_11target_archE1030ELNS1_3gpuE2ELNS1_3repE0EEENS1_30default_config_static_selectorELNS0_4arch9wavefront6targetE1EEEvSK_.has_dyn_sized_stack, 0
	.set _ZN7rocprim17ROCPRIM_400000_NS6detail17trampoline_kernelINS0_14default_configENS1_22reduce_config_selectorIxEEZNS1_11reduce_implILb1ES3_N6thrust23THRUST_200600_302600_NS17counting_iteratorIxNS8_11hip_rocprim3tagENS8_11use_defaultESC_EEPxxNS8_4plusIxEEEE10hipError_tPvRmT1_T2_T3_mT4_P12ihipStream_tbEUlT_E0_NS1_11comp_targetILNS1_3genE8ELNS1_11target_archE1030ELNS1_3gpuE2ELNS1_3repE0EEENS1_30default_config_static_selectorELNS0_4arch9wavefront6targetE1EEEvSK_.has_recursion, 0
	.set _ZN7rocprim17ROCPRIM_400000_NS6detail17trampoline_kernelINS0_14default_configENS1_22reduce_config_selectorIxEEZNS1_11reduce_implILb1ES3_N6thrust23THRUST_200600_302600_NS17counting_iteratorIxNS8_11hip_rocprim3tagENS8_11use_defaultESC_EEPxxNS8_4plusIxEEEE10hipError_tPvRmT1_T2_T3_mT4_P12ihipStream_tbEUlT_E0_NS1_11comp_targetILNS1_3genE8ELNS1_11target_archE1030ELNS1_3gpuE2ELNS1_3repE0EEENS1_30default_config_static_selectorELNS0_4arch9wavefront6targetE1EEEvSK_.has_indirect_call, 0
	.section	.AMDGPU.csdata,"",@progbits
; Kernel info:
; codeLenInByte = 0
; TotalNumSgprs: 6
; NumVgprs: 0
; NumAgprs: 0
; TotalNumVgprs: 0
; ScratchSize: 0
; MemoryBound: 0
; FloatMode: 240
; IeeeMode: 1
; LDSByteSize: 0 bytes/workgroup (compile time only)
; SGPRBlocks: 0
; VGPRBlocks: 0
; NumSGPRsForWavesPerEU: 6
; NumVGPRsForWavesPerEU: 1
; AccumOffset: 4
; Occupancy: 8
; WaveLimiterHint : 0
; COMPUTE_PGM_RSRC2:SCRATCH_EN: 0
; COMPUTE_PGM_RSRC2:USER_SGPR: 2
; COMPUTE_PGM_RSRC2:TRAP_HANDLER: 0
; COMPUTE_PGM_RSRC2:TGID_X_EN: 1
; COMPUTE_PGM_RSRC2:TGID_Y_EN: 0
; COMPUTE_PGM_RSRC2:TGID_Z_EN: 0
; COMPUTE_PGM_RSRC2:TIDIG_COMP_CNT: 0
; COMPUTE_PGM_RSRC3_GFX90A:ACCUM_OFFSET: 0
; COMPUTE_PGM_RSRC3_GFX90A:TG_SPLIT: 0
	.section	.text._ZN7rocprim17ROCPRIM_400000_NS6detail17trampoline_kernelINS0_14default_configENS1_22reduce_config_selectorIxEEZNS1_11reduce_implILb1ES3_N6thrust23THRUST_200600_302600_NS17counting_iteratorIxNS8_11hip_rocprim3tagENS8_11use_defaultESC_EEPxxNS8_4plusIxEEEE10hipError_tPvRmT1_T2_T3_mT4_P12ihipStream_tbEUlT_E1_NS1_11comp_targetILNS1_3genE0ELNS1_11target_archE4294967295ELNS1_3gpuE0ELNS1_3repE0EEENS1_30default_config_static_selectorELNS0_4arch9wavefront6targetE1EEEvSK_,"axG",@progbits,_ZN7rocprim17ROCPRIM_400000_NS6detail17trampoline_kernelINS0_14default_configENS1_22reduce_config_selectorIxEEZNS1_11reduce_implILb1ES3_N6thrust23THRUST_200600_302600_NS17counting_iteratorIxNS8_11hip_rocprim3tagENS8_11use_defaultESC_EEPxxNS8_4plusIxEEEE10hipError_tPvRmT1_T2_T3_mT4_P12ihipStream_tbEUlT_E1_NS1_11comp_targetILNS1_3genE0ELNS1_11target_archE4294967295ELNS1_3gpuE0ELNS1_3repE0EEENS1_30default_config_static_selectorELNS0_4arch9wavefront6targetE1EEEvSK_,comdat
	.protected	_ZN7rocprim17ROCPRIM_400000_NS6detail17trampoline_kernelINS0_14default_configENS1_22reduce_config_selectorIxEEZNS1_11reduce_implILb1ES3_N6thrust23THRUST_200600_302600_NS17counting_iteratorIxNS8_11hip_rocprim3tagENS8_11use_defaultESC_EEPxxNS8_4plusIxEEEE10hipError_tPvRmT1_T2_T3_mT4_P12ihipStream_tbEUlT_E1_NS1_11comp_targetILNS1_3genE0ELNS1_11target_archE4294967295ELNS1_3gpuE0ELNS1_3repE0EEENS1_30default_config_static_selectorELNS0_4arch9wavefront6targetE1EEEvSK_ ; -- Begin function _ZN7rocprim17ROCPRIM_400000_NS6detail17trampoline_kernelINS0_14default_configENS1_22reduce_config_selectorIxEEZNS1_11reduce_implILb1ES3_N6thrust23THRUST_200600_302600_NS17counting_iteratorIxNS8_11hip_rocprim3tagENS8_11use_defaultESC_EEPxxNS8_4plusIxEEEE10hipError_tPvRmT1_T2_T3_mT4_P12ihipStream_tbEUlT_E1_NS1_11comp_targetILNS1_3genE0ELNS1_11target_archE4294967295ELNS1_3gpuE0ELNS1_3repE0EEENS1_30default_config_static_selectorELNS0_4arch9wavefront6targetE1EEEvSK_
	.globl	_ZN7rocprim17ROCPRIM_400000_NS6detail17trampoline_kernelINS0_14default_configENS1_22reduce_config_selectorIxEEZNS1_11reduce_implILb1ES3_N6thrust23THRUST_200600_302600_NS17counting_iteratorIxNS8_11hip_rocprim3tagENS8_11use_defaultESC_EEPxxNS8_4plusIxEEEE10hipError_tPvRmT1_T2_T3_mT4_P12ihipStream_tbEUlT_E1_NS1_11comp_targetILNS1_3genE0ELNS1_11target_archE4294967295ELNS1_3gpuE0ELNS1_3repE0EEENS1_30default_config_static_selectorELNS0_4arch9wavefront6targetE1EEEvSK_
	.p2align	8
	.type	_ZN7rocprim17ROCPRIM_400000_NS6detail17trampoline_kernelINS0_14default_configENS1_22reduce_config_selectorIxEEZNS1_11reduce_implILb1ES3_N6thrust23THRUST_200600_302600_NS17counting_iteratorIxNS8_11hip_rocprim3tagENS8_11use_defaultESC_EEPxxNS8_4plusIxEEEE10hipError_tPvRmT1_T2_T3_mT4_P12ihipStream_tbEUlT_E1_NS1_11comp_targetILNS1_3genE0ELNS1_11target_archE4294967295ELNS1_3gpuE0ELNS1_3repE0EEENS1_30default_config_static_selectorELNS0_4arch9wavefront6targetE1EEEvSK_,@function
_ZN7rocprim17ROCPRIM_400000_NS6detail17trampoline_kernelINS0_14default_configENS1_22reduce_config_selectorIxEEZNS1_11reduce_implILb1ES3_N6thrust23THRUST_200600_302600_NS17counting_iteratorIxNS8_11hip_rocprim3tagENS8_11use_defaultESC_EEPxxNS8_4plusIxEEEE10hipError_tPvRmT1_T2_T3_mT4_P12ihipStream_tbEUlT_E1_NS1_11comp_targetILNS1_3genE0ELNS1_11target_archE4294967295ELNS1_3gpuE0ELNS1_3repE0EEENS1_30default_config_static_selectorELNS0_4arch9wavefront6targetE1EEEvSK_: ; @_ZN7rocprim17ROCPRIM_400000_NS6detail17trampoline_kernelINS0_14default_configENS1_22reduce_config_selectorIxEEZNS1_11reduce_implILb1ES3_N6thrust23THRUST_200600_302600_NS17counting_iteratorIxNS8_11hip_rocprim3tagENS8_11use_defaultESC_EEPxxNS8_4plusIxEEEE10hipError_tPvRmT1_T2_T3_mT4_P12ihipStream_tbEUlT_E1_NS1_11comp_targetILNS1_3genE0ELNS1_11target_archE4294967295ELNS1_3gpuE0ELNS1_3repE0EEENS1_30default_config_static_selectorELNS0_4arch9wavefront6targetE1EEEvSK_
; %bb.0:
	s_load_dword s16, s[0:1], 0x4
	s_load_dwordx8 s[8:15], s[0:1], 0x8
	s_waitcnt lgkmcnt(0)
	s_cmp_lt_i32 s16, 4
	s_cbranch_scc1 .LBB1082_10
; %bb.1:
	s_cmp_gt_i32 s16, 7
	s_cbranch_scc0 .LBB1082_11
; %bb.2:
	s_cmp_gt_i32 s16, 15
	s_cbranch_scc0 .LBB1082_12
; %bb.3:
	s_mov_b64 s[6:7], 0
	s_cmp_eq_u32 s16, 16
	s_mov_b64 s[0:1], 0
                                        ; implicit-def: $vgpr2_vgpr3
                                        ; implicit-def: $vgpr4_vgpr5
	s_cbranch_scc0 .LBB1082_13
; %bb.4:
	s_mov_b32 s3, 0
	s_lshl_b32 s4, s2, 12
	s_lshr_b64 s[0:1], s[10:11], 12
	s_cmp_lg_u64 s[0:1], s[2:3]
	s_cbranch_scc0 .LBB1082_21
; %bb.5:
	v_or_b32_e32 v2, s4, v0
	v_mov_b32_e32 v3, 0
	v_lshl_add_u64 v[4:5], s[8:9], 0, v[2:3]
	v_mov_b64_e32 v[6:7], 0x7800
	v_lshl_add_u64 v[4:5], v[4:5], 4, v[6:7]
	v_mov_b32_e32 v6, v3
	v_mbcnt_lo_u32_b32 v1, -1, 0
	v_mov_b32_dpp v2, v4 quad_perm:[1,0,3,2] row_mask:0xf bank_mask:0xf bound_ctrl:1
	v_mov_b32_dpp v7, v5 quad_perm:[1,0,3,2] row_mask:0xf bank_mask:0xf bound_ctrl:1
	v_lshl_add_u64 v[4:5], v[4:5], 0, v[2:3]
	v_lshl_add_u64 v[6:7], v[6:7], 0, v[4:5]
	v_mbcnt_hi_u32_b32 v1, -1, v1
	v_mov_b32_dpp v2, v4 quad_perm:[2,3,0,1] row_mask:0xf bank_mask:0xf bound_ctrl:1
	v_mov_b32_dpp v5, v7 quad_perm:[2,3,0,1] row_mask:0xf bank_mask:0xf bound_ctrl:1
	v_mov_b32_e32 v4, v3
	v_lshl_add_u64 v[6:7], v[6:7], 0, v[2:3]
	v_lshl_add_u64 v[4:5], v[6:7], 0, v[4:5]
	v_cmp_eq_u32_e32 vcc, 0, v1
	v_mov_b32_dpp v2, v6 row_ror:4 row_mask:0xf bank_mask:0xf bound_ctrl:1
	v_mov_b32_dpp v7, v5 row_ror:4 row_mask:0xf bank_mask:0xf bound_ctrl:1
	v_mov_b32_e32 v6, v3
	v_lshl_add_u64 v[4:5], v[4:5], 0, v[2:3]
	v_lshl_add_u64 v[6:7], v[4:5], 0, v[6:7]
	s_nop 0
	v_mov_b32_dpp v2, v4 row_ror:8 row_mask:0xf bank_mask:0xf bound_ctrl:1
	v_mov_b32_dpp v5, v7 row_ror:8 row_mask:0xf bank_mask:0xf bound_ctrl:1
	v_mov_b32_e32 v4, v3
	v_lshl_add_u64 v[6:7], v[6:7], 0, v[2:3]
	v_lshl_add_u64 v[4:5], v[6:7], 0, v[4:5]
	s_nop 0
	v_mov_b32_dpp v2, v6 row_bcast:15 row_mask:0xf bank_mask:0xf bound_ctrl:1
	v_mov_b32_dpp v7, v5 row_bcast:15 row_mask:0xf bank_mask:0xf bound_ctrl:1
	v_mov_b32_e32 v6, v3
	v_lshl_add_u64 v[4:5], v[4:5], 0, v[2:3]
	v_lshl_add_u64 v[6:7], v[4:5], 0, v[6:7]
	s_nop 0
	v_mov_b32_dpp v2, v4 row_bcast:31 row_mask:0xf bank_mask:0xf bound_ctrl:1
	v_lshl_add_u64 v[2:3], v[6:7], 0, v[2:3]
	v_lshlrev_b32_e32 v4, 2, v1
	v_or_b32_e32 v5, 0xfc, v4
	v_add_u32_dpp v3, v7, v3 row_bcast:31 row_mask:0xf bank_mask:0xf bound_ctrl:1
	ds_bpermute_b32 v2, v5, v2
	ds_bpermute_b32 v3, v5, v3
	s_and_saveexec_b64 s[0:1], vcc
	s_cbranch_execz .LBB1082_7
; %bb.6:
	v_lshrrev_b32_e32 v5, 3, v0
	v_and_b32_e32 v5, 24, v5
	s_waitcnt lgkmcnt(0)
	ds_write_b64 v5, v[2:3]
.LBB1082_7:
	s_or_b64 exec, exec, s[0:1]
	v_cmp_gt_u32_e32 vcc, 64, v0
	s_waitcnt lgkmcnt(0)
	s_barrier
	s_and_saveexec_b64 s[0:1], vcc
	s_cbranch_execz .LBB1082_9
; %bb.8:
	v_and_b32_e32 v5, 3, v1
	v_lshlrev_b32_e32 v2, 3, v5
	ds_read_b64 v[2:3], v2
	v_cmp_ne_u32_e32 vcc, 3, v5
	v_mov_b32_e32 v8, 0
	v_mov_b32_e32 v7, v8
	v_addc_co_u32_e32 v1, vcc, 0, v1, vcc
	v_lshlrev_b32_e32 v1, 2, v1
	s_waitcnt lgkmcnt(0)
	ds_bpermute_b32 v6, v1, v2
	ds_bpermute_b32 v9, v1, v3
	v_or_b32_e32 v1, 8, v4
	s_waitcnt lgkmcnt(1)
	v_lshl_add_u64 v[2:3], v[2:3], 0, v[6:7]
	s_waitcnt lgkmcnt(0)
	v_lshl_add_u64 v[4:5], v[8:9], 0, v[2:3]
	ds_bpermute_b32 v2, v1, v2
	ds_bpermute_b32 v9, v1, v5
	v_mov_b32_e32 v3, v8
	s_waitcnt lgkmcnt(1)
	v_lshl_add_u64 v[2:3], v[4:5], 0, v[2:3]
	s_waitcnt lgkmcnt(0)
	v_lshl_add_u64 v[2:3], v[2:3], 0, v[8:9]
.LBB1082_9:
	s_or_b64 exec, exec, s[0:1]
	s_mov_b64 s[0:1], 0
	s_branch .LBB1082_22
.LBB1082_10:
	s_mov_b64 s[0:1], 0
                                        ; implicit-def: $vgpr2_vgpr3
                                        ; implicit-def: $vgpr4_vgpr5
	s_cbranch_execnz .LBB1082_65
	s_branch .LBB1082_104
.LBB1082_11:
	s_mov_b64 s[0:1], 0
                                        ; implicit-def: $vgpr2_vgpr3
                                        ; implicit-def: $vgpr4_vgpr5
	s_cbranch_execnz .LBB1082_46
	s_branch .LBB1082_64
.LBB1082_12:
	s_mov_b64 s[6:7], -1
	s_mov_b64 s[0:1], 0
                                        ; implicit-def: $vgpr2_vgpr3
                                        ; implicit-def: $vgpr4_vgpr5
.LBB1082_13:
	s_and_b64 vcc, exec, s[6:7]
	s_cbranch_vccz .LBB1082_45
.LBB1082_14:
	s_cmp_eq_u32 s16, 8
                                        ; implicit-def: $vgpr2_vgpr3
                                        ; implicit-def: $vgpr4_vgpr5
	s_cbranch_scc0 .LBB1082_45
; %bb.15:
	s_mov_b32 s3, 0
	s_lshl_b32 s4, s2, 11
	s_lshr_b64 s[0:1], s[10:11], 11
	s_cmp_lg_u64 s[0:1], s[2:3]
	s_cbranch_scc0 .LBB1082_33
; %bb.16:
	v_or_b32_e32 v2, s4, v0
	v_mov_b32_e32 v3, 0
	v_lshl_add_u64 v[4:5], s[8:9], 0, v[2:3]
	s_waitcnt lgkmcnt(0)
	v_mov_b64_e32 v[6:7], 0x1c00
	v_lshl_add_u64 v[4:5], v[4:5], 3, v[6:7]
	v_mov_b32_e32 v6, v3
	v_mbcnt_lo_u32_b32 v1, -1, 0
	v_mov_b32_dpp v2, v4 quad_perm:[1,0,3,2] row_mask:0xf bank_mask:0xf bound_ctrl:1
	v_mov_b32_dpp v7, v5 quad_perm:[1,0,3,2] row_mask:0xf bank_mask:0xf bound_ctrl:1
	v_lshl_add_u64 v[4:5], v[4:5], 0, v[2:3]
	v_lshl_add_u64 v[6:7], v[6:7], 0, v[4:5]
	v_mbcnt_hi_u32_b32 v1, -1, v1
	v_mov_b32_dpp v2, v4 quad_perm:[2,3,0,1] row_mask:0xf bank_mask:0xf bound_ctrl:1
	v_mov_b32_dpp v5, v7 quad_perm:[2,3,0,1] row_mask:0xf bank_mask:0xf bound_ctrl:1
	v_mov_b32_e32 v4, v3
	v_lshl_add_u64 v[6:7], v[6:7], 0, v[2:3]
	v_lshl_add_u64 v[4:5], v[6:7], 0, v[4:5]
	v_cmp_eq_u32_e32 vcc, 0, v1
	v_mov_b32_dpp v2, v6 row_ror:4 row_mask:0xf bank_mask:0xf bound_ctrl:1
	v_mov_b32_dpp v7, v5 row_ror:4 row_mask:0xf bank_mask:0xf bound_ctrl:1
	v_mov_b32_e32 v6, v3
	v_lshl_add_u64 v[4:5], v[4:5], 0, v[2:3]
	v_lshl_add_u64 v[6:7], v[4:5], 0, v[6:7]
	s_nop 0
	v_mov_b32_dpp v2, v4 row_ror:8 row_mask:0xf bank_mask:0xf bound_ctrl:1
	v_mov_b32_dpp v5, v7 row_ror:8 row_mask:0xf bank_mask:0xf bound_ctrl:1
	v_mov_b32_e32 v4, v3
	v_lshl_add_u64 v[6:7], v[6:7], 0, v[2:3]
	v_lshl_add_u64 v[4:5], v[6:7], 0, v[4:5]
	s_nop 0
	v_mov_b32_dpp v2, v6 row_bcast:15 row_mask:0xf bank_mask:0xf bound_ctrl:1
	v_mov_b32_dpp v7, v5 row_bcast:15 row_mask:0xf bank_mask:0xf bound_ctrl:1
	v_mov_b32_e32 v6, v3
	v_lshl_add_u64 v[4:5], v[4:5], 0, v[2:3]
	v_lshl_add_u64 v[6:7], v[4:5], 0, v[6:7]
	s_nop 0
	v_mov_b32_dpp v2, v4 row_bcast:31 row_mask:0xf bank_mask:0xf bound_ctrl:1
	v_lshl_add_u64 v[2:3], v[6:7], 0, v[2:3]
	v_lshlrev_b32_e32 v4, 2, v1
	v_or_b32_e32 v5, 0xfc, v4
	v_add_u32_dpp v3, v7, v3 row_bcast:31 row_mask:0xf bank_mask:0xf bound_ctrl:1
	ds_bpermute_b32 v2, v5, v2
	ds_bpermute_b32 v3, v5, v3
	s_and_saveexec_b64 s[0:1], vcc
	s_cbranch_execz .LBB1082_18
; %bb.17:
	v_lshrrev_b32_e32 v5, 3, v0
	v_and_b32_e32 v5, 24, v5
	s_waitcnt lgkmcnt(0)
	ds_write_b64 v5, v[2:3] offset:128
.LBB1082_18:
	s_or_b64 exec, exec, s[0:1]
	v_cmp_gt_u32_e32 vcc, 64, v0
	s_waitcnt lgkmcnt(0)
	s_barrier
	s_and_saveexec_b64 s[0:1], vcc
	s_cbranch_execz .LBB1082_20
; %bb.19:
	v_and_b32_e32 v5, 3, v1
	v_lshlrev_b32_e32 v2, 3, v5
	ds_read_b64 v[2:3], v2 offset:128
	v_cmp_ne_u32_e32 vcc, 3, v5
	v_mov_b32_e32 v8, 0
	v_mov_b32_e32 v7, v8
	v_addc_co_u32_e32 v1, vcc, 0, v1, vcc
	v_lshlrev_b32_e32 v1, 2, v1
	s_waitcnt lgkmcnt(0)
	ds_bpermute_b32 v6, v1, v2
	ds_bpermute_b32 v9, v1, v3
	v_or_b32_e32 v1, 8, v4
	s_waitcnt lgkmcnt(1)
	v_lshl_add_u64 v[2:3], v[2:3], 0, v[6:7]
	s_waitcnt lgkmcnt(0)
	v_lshl_add_u64 v[4:5], v[8:9], 0, v[2:3]
	ds_bpermute_b32 v2, v1, v2
	ds_bpermute_b32 v9, v1, v5
	v_mov_b32_e32 v3, v8
	s_waitcnt lgkmcnt(1)
	v_lshl_add_u64 v[2:3], v[4:5], 0, v[2:3]
	s_waitcnt lgkmcnt(0)
	v_lshl_add_u64 v[2:3], v[2:3], 0, v[8:9]
.LBB1082_20:
	s_or_b64 exec, exec, s[0:1]
	s_mov_b64 s[0:1], 0
	s_branch .LBB1082_34
.LBB1082_21:
	s_mov_b64 s[0:1], -1
                                        ; implicit-def: $vgpr2_vgpr3
.LBB1082_22:
	s_and_b64 vcc, exec, s[0:1]
	s_cbranch_vccz .LBB1082_32
; %bb.23:
	s_sub_i32 s5, s10, s4
	s_add_u32 s0, s8, s4
	s_addc_u32 s1, s9, 0
	v_mov_b32_e32 v1, 0
	v_lshl_add_u64 v[2:3], s[0:1], 0, v[0:1]
	v_cmp_gt_u32_e32 vcc, s5, v0
	v_or_b32_e32 v4, 0x100, v0
	v_mov_b32_e32 v5, v1
	v_cndmask_b32_e32 v3, 0, v3, vcc
	v_cndmask_b32_e32 v2, 0, v2, vcc
	v_lshl_add_u64 v[6:7], s[0:1], 0, v[4:5]
	v_or_b32_e32 v8, 0x200, v0
	v_mov_b32_e32 v9, v1
	v_cmp_gt_u32_e32 vcc, s5, v4
	v_lshl_add_u64 v[10:11], s[0:1], 0, v[8:9]
	v_or_b32_e32 v12, 0x300, v0
	v_mov_b32_e32 v13, v1
	v_cndmask_b32_e32 v5, 0, v7, vcc
	v_cndmask_b32_e32 v4, 0, v6, vcc
	v_cmp_gt_u32_e32 vcc, s5, v8
	v_lshl_add_u64 v[14:15], s[0:1], 0, v[12:13]
	v_or_b32_e32 v16, 0x400, v0
	v_mov_b32_e32 v17, v1
	v_cndmask_b32_e32 v9, 0, v11, vcc
	v_cndmask_b32_e32 v8, 0, v10, vcc
	;; [unrolled: 6-line block ×13, first 2 shown]
	v_cmp_gt_u32_e32 vcc, s5, v56
	v_lshl_add_u64 v[10:11], s[0:1], 0, v[6:7]
	s_min_u32 s17, s5, 0x100
	v_cndmask_b32_e32 v35, 0, v59, vcc
	v_cndmask_b32_e32 v34, 0, v58, vcc
	v_cmp_gt_u32_e32 vcc, s5, v6
	s_nop 1
	v_cndmask_b32_e32 v7, 0, v11, vcc
	v_cndmask_b32_e32 v6, 0, v10, vcc
	v_lshl_add_u64 v[6:7], v[6:7], 0, v[34:35]
	v_lshl_add_u64 v[6:7], v[6:7], 0, v[30:31]
	;; [unrolled: 1-line block ×11, first 2 shown]
	v_mbcnt_lo_u32_b32 v4, -1, 0
	v_lshl_add_u64 v[2:3], v[2:3], 0, v[8:9]
	v_mbcnt_hi_u32_b32 v8, -1, v4
	v_and_b32_e32 v10, 63, v8
	v_lshl_add_u64 v[2:3], v[2:3], 0, v[12:13]
	v_and_b32_e32 v4, 0xc0, v0
	v_cmp_ne_u32_e32 vcc, 63, v10
	v_lshl_add_u64 v[2:3], v[2:3], 0, v[14:15]
	v_sub_u32_e64 v9, s17, v4 clamp
	v_addc_co_u32_e32 v4, vcc, 0, v8, vcc
	v_lshl_add_u64 v[2:3], v[2:3], 0, v[16:17]
	v_lshlrev_b32_e32 v5, 2, v4
	ds_bpermute_b32 v4, v5, v2
	ds_bpermute_b32 v7, v5, v3
	v_add_u32_e32 v11, 1, v10
	v_mov_b32_e32 v5, v1
	v_mov_b32_e32 v6, v1
	s_waitcnt lgkmcnt(1)
	v_lshl_add_u64 v[4:5], v[2:3], 0, v[4:5]
	v_cmp_lt_u32_e64 s[0:1], v11, v9
	v_cmp_gt_u32_e32 vcc, 62, v10
	s_waitcnt lgkmcnt(0)
	v_lshl_add_u64 v[6:7], v[6:7], 0, v[4:5]
	v_cndmask_b32_e64 v1, v2, v4, s[0:1]
	v_cndmask_b32_e64 v4, 0, 2, vcc
	v_cndmask_b32_e64 v5, v3, v7, s[0:1]
	v_add_lshl_u32 v4, v4, v8, 2
	ds_bpermute_b32 v12, v4, v1
	ds_bpermute_b32 v13, v4, v5
	v_cndmask_b32_e64 v4, v2, v6, s[0:1]
	v_add_u32_e32 v11, 2, v10
	v_cmp_lt_u32_e32 vcc, v11, v9
	v_cmp_gt_u32_e64 s[4:5], 60, v10
	s_waitcnt lgkmcnt(0)
	v_lshl_add_u64 v[6:7], v[12:13], 0, v[4:5]
	v_cndmask_b32_e32 v5, v5, v7, vcc
	v_cndmask_b32_e64 v7, 0, 4, s[4:5]
	v_cndmask_b32_e32 v1, v1, v6, vcc
	v_add_lshl_u32 v7, v7, v8, 2
	ds_bpermute_b32 v12, v7, v1
	ds_bpermute_b32 v13, v7, v5
	v_cndmask_b32_e32 v4, v4, v6, vcc
	v_add_u32_e32 v11, 4, v10
	v_cmp_lt_u32_e32 vcc, v11, v9
	v_cmp_gt_u32_e64 s[4:5], 56, v10
	s_waitcnt lgkmcnt(0)
	v_lshl_add_u64 v[6:7], v[12:13], 0, v[4:5]
	v_cndmask_b32_e32 v5, v5, v7, vcc
	v_cndmask_b32_e64 v7, 0, 8, s[4:5]
	v_cndmask_b32_e32 v1, v1, v6, vcc
	v_add_lshl_u32 v7, v7, v8, 2
	ds_bpermute_b32 v12, v7, v1
	ds_bpermute_b32 v13, v7, v5
	v_cndmask_b32_e32 v4, v4, v6, vcc
	;; [unrolled: 12-line block ×3, first 2 shown]
	v_add_u32_e32 v11, 16, v10
	v_cmp_lt_u32_e32 vcc, v11, v9
	s_waitcnt lgkmcnt(0)
	v_lshl_add_u64 v[6:7], v[12:13], 0, v[4:5]
	v_cndmask_b32_e32 v11, v1, v6, vcc
	v_lshlrev_b32_e32 v1, 2, v8
	v_cndmask_b32_e32 v12, v5, v7, vcc
	v_or_b32_e32 v13, 0x80, v1
	ds_bpermute_b32 v11, v13, v11
	ds_bpermute_b32 v12, v13, v12
	s_and_saveexec_b64 s[4:5], s[0:1]
	s_cbranch_execz .LBB1082_25
; %bb.24:
	v_add_u32_e32 v10, 32, v10
	v_cndmask_b32_e32 v3, v5, v7, vcc
	v_cndmask_b32_e32 v2, v4, v6, vcc
	v_cmp_lt_u32_e32 vcc, v10, v9
	s_waitcnt lgkmcnt(0)
	s_nop 0
	v_cndmask_b32_e32 v5, 0, v12, vcc
	v_cndmask_b32_e32 v4, 0, v11, vcc
	v_lshl_add_u64 v[2:3], v[4:5], 0, v[2:3]
.LBB1082_25:
	s_or_b64 exec, exec, s[4:5]
	v_cmp_eq_u32_e32 vcc, 0, v8
	s_and_saveexec_b64 s[0:1], vcc
; %bb.26:
	v_lshrrev_b32_e32 v4, 3, v0
	v_and_b32_e32 v4, 24, v4
	ds_write_b64 v4, v[2:3] offset:160
; %bb.27:
	s_or_b64 exec, exec, s[0:1]
	v_cmp_gt_u32_e32 vcc, 4, v0
	s_waitcnt lgkmcnt(0)
	s_barrier
	s_and_saveexec_b64 s[0:1], vcc
	s_cbranch_execz .LBB1082_31
; %bb.28:
	v_lshlrev_b32_e32 v2, 3, v8
	ds_read_b64 v[2:3], v2 offset:160
	v_and_b32_e32 v6, 3, v8
	v_cmp_ne_u32_e32 vcc, 3, v6
	s_add_i32 s17, s17, 63
	s_lshr_b32 s17, s17, 6
	v_addc_co_u32_e32 v4, vcc, 0, v8, vcc
	v_lshlrev_b32_e32 v5, 2, v4
	s_waitcnt lgkmcnt(0)
	ds_bpermute_b32 v4, v5, v2
	ds_bpermute_b32 v9, v5, v3
	v_mov_b32_e32 v8, 0
	v_mov_b32_e32 v5, v8
	v_add_u32_e32 v7, 1, v6
	s_waitcnt lgkmcnt(1)
	v_lshl_add_u64 v[10:11], v[2:3], 0, v[4:5]
	s_waitcnt lgkmcnt(0)
	v_lshl_add_u64 v[4:5], v[8:9], 0, v[10:11]
	v_cmp_gt_u32_e32 vcc, s17, v7
	v_or_b32_e32 v9, 8, v1
	s_nop 0
	v_cndmask_b32_e32 v7, v3, v5, vcc
	v_cndmask_b32_e32 v8, v2, v10, vcc
	ds_bpermute_b32 v1, v9, v8
	ds_bpermute_b32 v7, v9, v7
	s_and_saveexec_b64 s[4:5], vcc
	s_cbranch_execz .LBB1082_30
; %bb.29:
	v_add_u32_e32 v2, 2, v6
	v_cmp_gt_u32_e32 vcc, s17, v2
	s_waitcnt lgkmcnt(0)
	s_nop 0
	v_cndmask_b32_e32 v3, 0, v7, vcc
	v_cndmask_b32_e32 v2, 0, v1, vcc
	v_lshl_add_u64 v[2:3], v[2:3], 0, v[4:5]
.LBB1082_30:
	s_or_b64 exec, exec, s[4:5]
.LBB1082_31:
	s_or_b64 exec, exec, s[0:1]
.LBB1082_32:
	v_cmp_eq_u32_e64 s[0:1], 0, v0
	v_mov_b64_e32 v[4:5], s[2:3]
	s_and_b64 vcc, exec, s[6:7]
	s_cbranch_vccnz .LBB1082_14
	s_branch .LBB1082_45
.LBB1082_33:
	s_mov_b64 s[0:1], -1
                                        ; implicit-def: $vgpr2_vgpr3
.LBB1082_34:
	s_and_b64 vcc, exec, s[0:1]
	s_cbranch_vccz .LBB1082_44
; %bb.35:
	s_sub_i32 s5, s10, s4
	s_add_u32 s0, s8, s4
	s_addc_u32 s1, s9, 0
	s_waitcnt lgkmcnt(1)
	v_mov_b32_e32 v1, 0
	v_lshl_add_u64 v[2:3], s[0:1], 0, v[0:1]
	v_or_b32_e32 v4, 0x100, v0
	v_mov_b32_e32 v5, v1
	v_cmp_gt_u32_e32 vcc, s5, v0
	s_waitcnt lgkmcnt(0)
	v_lshl_add_u64 v[6:7], s[0:1], 0, v[4:5]
	v_or_b32_e32 v8, 0x200, v0
	v_mov_b32_e32 v9, v1
	v_cndmask_b32_e32 v3, 0, v3, vcc
	v_cndmask_b32_e32 v2, 0, v2, vcc
	v_cmp_gt_u32_e32 vcc, s5, v4
	v_lshl_add_u64 v[10:11], s[0:1], 0, v[8:9]
	v_or_b32_e32 v12, 0x300, v0
	v_mov_b32_e32 v13, v1
	v_cndmask_b32_e32 v5, 0, v7, vcc
	v_cndmask_b32_e32 v4, 0, v6, vcc
	v_cmp_gt_u32_e32 vcc, s5, v8
	;; [unrolled: 6-line block ×6, first 2 shown]
	v_lshl_add_u64 v[30:31], s[0:1], 0, v[28:29]
	s_min_u32 s6, s5, 0x100
	v_cndmask_b32_e32 v15, 0, v27, vcc
	v_cndmask_b32_e32 v14, 0, v26, vcc
	v_cmp_gt_u32_e32 vcc, s5, v28
	s_nop 1
	v_cndmask_b32_e32 v17, 0, v31, vcc
	v_cndmask_b32_e32 v16, 0, v30, vcc
	v_lshl_add_u64 v[14:15], v[16:17], 0, v[14:15]
	v_lshl_add_u64 v[10:11], v[14:15], 0, v[10:11]
	;; [unrolled: 1-line block ×7, first 2 shown]
	v_mbcnt_lo_u32_b32 v4, -1, 0
	v_mbcnt_hi_u32_b32 v8, -1, v4
	v_and_b32_e32 v10, 63, v8
	v_and_b32_e32 v4, 0xc0, v0
	v_cmp_ne_u32_e32 vcc, 63, v10
	v_sub_u32_e64 v9, s6, v4 clamp
	v_add_u32_e32 v11, 1, v10
	v_addc_co_u32_e32 v4, vcc, 0, v8, vcc
	v_lshlrev_b32_e32 v5, 2, v4
	ds_bpermute_b32 v4, v5, v2
	ds_bpermute_b32 v7, v5, v3
	v_mov_b32_e32 v5, v1
	v_mov_b32_e32 v6, v1
	v_cmp_lt_u32_e64 s[0:1], v11, v9
	s_waitcnt lgkmcnt(1)
	v_lshl_add_u64 v[4:5], v[2:3], 0, v[4:5]
	v_cmp_gt_u32_e32 vcc, 62, v10
	s_waitcnt lgkmcnt(0)
	v_lshl_add_u64 v[6:7], v[6:7], 0, v[4:5]
	v_cndmask_b32_e64 v1, v2, v4, s[0:1]
	v_cndmask_b32_e64 v4, 0, 2, vcc
	v_cndmask_b32_e64 v5, v3, v7, s[0:1]
	v_add_lshl_u32 v4, v4, v8, 2
	ds_bpermute_b32 v12, v4, v1
	ds_bpermute_b32 v13, v4, v5
	v_cndmask_b32_e64 v4, v2, v6, s[0:1]
	v_add_u32_e32 v11, 2, v10
	v_cmp_lt_u32_e32 vcc, v11, v9
	v_cmp_gt_u32_e64 s[4:5], 60, v10
	s_waitcnt lgkmcnt(0)
	v_lshl_add_u64 v[6:7], v[12:13], 0, v[4:5]
	v_cndmask_b32_e32 v5, v5, v7, vcc
	v_cndmask_b32_e64 v7, 0, 4, s[4:5]
	v_cndmask_b32_e32 v1, v1, v6, vcc
	v_add_lshl_u32 v7, v7, v8, 2
	ds_bpermute_b32 v12, v7, v1
	ds_bpermute_b32 v13, v7, v5
	v_cndmask_b32_e32 v4, v4, v6, vcc
	v_add_u32_e32 v11, 4, v10
	v_cmp_lt_u32_e32 vcc, v11, v9
	v_cmp_gt_u32_e64 s[4:5], 56, v10
	s_waitcnt lgkmcnt(0)
	v_lshl_add_u64 v[6:7], v[12:13], 0, v[4:5]
	v_cndmask_b32_e32 v5, v5, v7, vcc
	v_cndmask_b32_e64 v7, 0, 8, s[4:5]
	v_cndmask_b32_e32 v1, v1, v6, vcc
	v_add_lshl_u32 v7, v7, v8, 2
	ds_bpermute_b32 v12, v7, v1
	ds_bpermute_b32 v13, v7, v5
	v_cndmask_b32_e32 v4, v4, v6, vcc
	;; [unrolled: 12-line block ×3, first 2 shown]
	v_add_u32_e32 v11, 16, v10
	v_cmp_lt_u32_e32 vcc, v11, v9
	s_waitcnt lgkmcnt(0)
	v_lshl_add_u64 v[6:7], v[12:13], 0, v[4:5]
	v_cndmask_b32_e32 v11, v1, v6, vcc
	v_lshlrev_b32_e32 v1, 2, v8
	v_cndmask_b32_e32 v12, v5, v7, vcc
	v_or_b32_e32 v13, 0x80, v1
	ds_bpermute_b32 v11, v13, v11
	ds_bpermute_b32 v12, v13, v12
	s_and_saveexec_b64 s[4:5], s[0:1]
	s_cbranch_execz .LBB1082_37
; %bb.36:
	v_add_u32_e32 v10, 32, v10
	v_cndmask_b32_e32 v3, v5, v7, vcc
	v_cndmask_b32_e32 v2, v4, v6, vcc
	v_cmp_lt_u32_e32 vcc, v10, v9
	s_waitcnt lgkmcnt(0)
	s_nop 0
	v_cndmask_b32_e32 v5, 0, v12, vcc
	v_cndmask_b32_e32 v4, 0, v11, vcc
	v_lshl_add_u64 v[2:3], v[4:5], 0, v[2:3]
.LBB1082_37:
	s_or_b64 exec, exec, s[4:5]
	v_cmp_eq_u32_e32 vcc, 0, v8
	s_and_saveexec_b64 s[0:1], vcc
; %bb.38:
	v_lshrrev_b32_e32 v4, 3, v0
	v_and_b32_e32 v4, 24, v4
	ds_write_b64 v4, v[2:3] offset:160
; %bb.39:
	s_or_b64 exec, exec, s[0:1]
	v_cmp_gt_u32_e32 vcc, 4, v0
	s_waitcnt lgkmcnt(0)
	s_barrier
	s_and_saveexec_b64 s[0:1], vcc
	s_cbranch_execz .LBB1082_43
; %bb.40:
	v_lshlrev_b32_e32 v2, 3, v8
	ds_read_b64 v[2:3], v2 offset:160
	v_and_b32_e32 v6, 3, v8
	v_cmp_ne_u32_e32 vcc, 3, v6
	s_add_i32 s6, s6, 63
	s_lshr_b32 s6, s6, 6
	v_addc_co_u32_e32 v4, vcc, 0, v8, vcc
	v_lshlrev_b32_e32 v5, 2, v4
	s_waitcnt lgkmcnt(0)
	ds_bpermute_b32 v4, v5, v2
	ds_bpermute_b32 v9, v5, v3
	v_mov_b32_e32 v8, 0
	v_mov_b32_e32 v5, v8
	v_add_u32_e32 v7, 1, v6
	s_waitcnt lgkmcnt(1)
	v_lshl_add_u64 v[10:11], v[2:3], 0, v[4:5]
	s_waitcnt lgkmcnt(0)
	v_lshl_add_u64 v[4:5], v[8:9], 0, v[10:11]
	v_cmp_gt_u32_e32 vcc, s6, v7
	v_or_b32_e32 v9, 8, v1
	s_nop 0
	v_cndmask_b32_e32 v7, v3, v5, vcc
	v_cndmask_b32_e32 v8, v2, v10, vcc
	ds_bpermute_b32 v1, v9, v8
	ds_bpermute_b32 v7, v9, v7
	s_and_saveexec_b64 s[4:5], vcc
	s_cbranch_execz .LBB1082_42
; %bb.41:
	v_add_u32_e32 v2, 2, v6
	v_cmp_gt_u32_e32 vcc, s6, v2
	s_waitcnt lgkmcnt(0)
	s_nop 0
	v_cndmask_b32_e32 v3, 0, v7, vcc
	v_cndmask_b32_e32 v2, 0, v1, vcc
	v_lshl_add_u64 v[2:3], v[2:3], 0, v[4:5]
.LBB1082_42:
	s_or_b64 exec, exec, s[4:5]
.LBB1082_43:
	s_or_b64 exec, exec, s[0:1]
.LBB1082_44:
	v_cmp_eq_u32_e64 s[0:1], 0, v0
	v_mov_b64_e32 v[4:5], s[2:3]
.LBB1082_45:
	s_branch .LBB1082_64
.LBB1082_46:
	s_cmp_eq_u32 s16, 4
                                        ; implicit-def: $vgpr2_vgpr3
                                        ; implicit-def: $vgpr4_vgpr5
	s_cbranch_scc0 .LBB1082_64
; %bb.47:
	s_mov_b32 s3, 0
	s_lshl_b32 s4, s2, 10
	s_lshr_b64 s[0:1], s[10:11], 10
	s_cmp_lg_u64 s[0:1], s[2:3]
	s_cbranch_scc0 .LBB1082_53
; %bb.48:
	v_or_b32_e32 v2, s4, v0
	v_mov_b32_e32 v3, 0
	v_lshl_add_u64 v[4:5], s[8:9], 0, v[2:3]
	s_waitcnt lgkmcnt(0)
	v_mov_b64_e32 v[6:7], 0x600
	v_lshl_add_u64 v[4:5], v[4:5], 2, v[6:7]
	v_mov_b32_e32 v6, v3
	v_mbcnt_lo_u32_b32 v1, -1, 0
	v_mov_b32_dpp v2, v4 quad_perm:[1,0,3,2] row_mask:0xf bank_mask:0xf bound_ctrl:1
	v_mov_b32_dpp v7, v5 quad_perm:[1,0,3,2] row_mask:0xf bank_mask:0xf bound_ctrl:1
	v_lshl_add_u64 v[4:5], v[4:5], 0, v[2:3]
	v_lshl_add_u64 v[6:7], v[6:7], 0, v[4:5]
	v_mbcnt_hi_u32_b32 v1, -1, v1
	v_mov_b32_dpp v2, v4 quad_perm:[2,3,0,1] row_mask:0xf bank_mask:0xf bound_ctrl:1
	v_mov_b32_dpp v5, v7 quad_perm:[2,3,0,1] row_mask:0xf bank_mask:0xf bound_ctrl:1
	v_mov_b32_e32 v4, v3
	v_lshl_add_u64 v[6:7], v[6:7], 0, v[2:3]
	v_lshl_add_u64 v[4:5], v[6:7], 0, v[4:5]
	v_cmp_eq_u32_e32 vcc, 0, v1
	v_mov_b32_dpp v2, v6 row_ror:4 row_mask:0xf bank_mask:0xf bound_ctrl:1
	v_mov_b32_dpp v7, v5 row_ror:4 row_mask:0xf bank_mask:0xf bound_ctrl:1
	v_mov_b32_e32 v6, v3
	v_lshl_add_u64 v[4:5], v[4:5], 0, v[2:3]
	v_lshl_add_u64 v[6:7], v[4:5], 0, v[6:7]
	s_nop 0
	v_mov_b32_dpp v2, v4 row_ror:8 row_mask:0xf bank_mask:0xf bound_ctrl:1
	v_mov_b32_dpp v5, v7 row_ror:8 row_mask:0xf bank_mask:0xf bound_ctrl:1
	v_mov_b32_e32 v4, v3
	v_lshl_add_u64 v[6:7], v[6:7], 0, v[2:3]
	v_lshl_add_u64 v[4:5], v[6:7], 0, v[4:5]
	s_nop 0
	v_mov_b32_dpp v2, v6 row_bcast:15 row_mask:0xf bank_mask:0xf bound_ctrl:1
	v_mov_b32_dpp v7, v5 row_bcast:15 row_mask:0xf bank_mask:0xf bound_ctrl:1
	v_mov_b32_e32 v6, v3
	v_lshl_add_u64 v[4:5], v[4:5], 0, v[2:3]
	v_lshl_add_u64 v[6:7], v[4:5], 0, v[6:7]
	s_nop 0
	v_mov_b32_dpp v2, v4 row_bcast:31 row_mask:0xf bank_mask:0xf bound_ctrl:1
	v_lshl_add_u64 v[2:3], v[6:7], 0, v[2:3]
	v_lshlrev_b32_e32 v4, 2, v1
	v_or_b32_e32 v5, 0xfc, v4
	v_add_u32_dpp v3, v7, v3 row_bcast:31 row_mask:0xf bank_mask:0xf bound_ctrl:1
	ds_bpermute_b32 v2, v5, v2
	ds_bpermute_b32 v3, v5, v3
	s_and_saveexec_b64 s[0:1], vcc
	s_cbranch_execz .LBB1082_50
; %bb.49:
	v_lshrrev_b32_e32 v5, 3, v0
	v_and_b32_e32 v5, 24, v5
	s_waitcnt lgkmcnt(0)
	ds_write_b64 v5, v[2:3] offset:96
.LBB1082_50:
	s_or_b64 exec, exec, s[0:1]
	v_cmp_gt_u32_e32 vcc, 64, v0
	s_waitcnt lgkmcnt(0)
	s_barrier
	s_and_saveexec_b64 s[0:1], vcc
	s_cbranch_execz .LBB1082_52
; %bb.51:
	v_and_b32_e32 v5, 3, v1
	v_lshlrev_b32_e32 v2, 3, v5
	ds_read_b64 v[2:3], v2 offset:96
	v_cmp_ne_u32_e32 vcc, 3, v5
	v_mov_b32_e32 v8, 0
	v_mov_b32_e32 v7, v8
	v_addc_co_u32_e32 v1, vcc, 0, v1, vcc
	v_lshlrev_b32_e32 v1, 2, v1
	s_waitcnt lgkmcnt(0)
	ds_bpermute_b32 v6, v1, v2
	ds_bpermute_b32 v9, v1, v3
	v_or_b32_e32 v1, 8, v4
	s_waitcnt lgkmcnt(1)
	v_lshl_add_u64 v[2:3], v[2:3], 0, v[6:7]
	s_waitcnt lgkmcnt(0)
	v_lshl_add_u64 v[4:5], v[8:9], 0, v[2:3]
	ds_bpermute_b32 v2, v1, v2
	ds_bpermute_b32 v9, v1, v5
	v_mov_b32_e32 v3, v8
	s_waitcnt lgkmcnt(1)
	v_lshl_add_u64 v[2:3], v[4:5], 0, v[2:3]
	s_waitcnt lgkmcnt(0)
	v_lshl_add_u64 v[2:3], v[2:3], 0, v[8:9]
.LBB1082_52:
	s_or_b64 exec, exec, s[0:1]
	s_branch .LBB1082_63
.LBB1082_53:
                                        ; implicit-def: $vgpr2_vgpr3
	s_cbranch_execz .LBB1082_63
; %bb.54:
	s_sub_i32 s5, s10, s4
	s_add_u32 s0, s8, s4
	s_addc_u32 s1, s9, 0
	s_waitcnt lgkmcnt(1)
	v_mov_b32_e32 v1, 0
	v_lshl_add_u64 v[2:3], s[0:1], 0, v[0:1]
	v_or_b32_e32 v4, 0x100, v0
	v_mov_b32_e32 v5, v1
	v_cmp_gt_u32_e32 vcc, s5, v0
	s_waitcnt lgkmcnt(0)
	v_lshl_add_u64 v[6:7], s[0:1], 0, v[4:5]
	v_or_b32_e32 v8, 0x200, v0
	v_mov_b32_e32 v9, v1
	v_cndmask_b32_e32 v3, 0, v3, vcc
	v_cndmask_b32_e32 v2, 0, v2, vcc
	v_cmp_gt_u32_e32 vcc, s5, v4
	v_lshl_add_u64 v[10:11], s[0:1], 0, v[8:9]
	v_or_b32_e32 v12, 0x300, v0
	v_mov_b32_e32 v13, v1
	v_cndmask_b32_e32 v5, 0, v7, vcc
	v_cndmask_b32_e32 v4, 0, v6, vcc
	v_cmp_gt_u32_e32 vcc, s5, v8
	v_lshl_add_u64 v[14:15], s[0:1], 0, v[12:13]
	s_min_u32 s6, s5, 0x100
	v_cndmask_b32_e32 v7, 0, v11, vcc
	v_cndmask_b32_e32 v6, 0, v10, vcc
	v_cmp_gt_u32_e32 vcc, s5, v12
	s_nop 1
	v_cndmask_b32_e32 v9, 0, v15, vcc
	v_cndmask_b32_e32 v8, 0, v14, vcc
	v_lshl_add_u64 v[6:7], v[8:9], 0, v[6:7]
	v_lshl_add_u64 v[2:3], v[6:7], 0, v[2:3]
	v_lshl_add_u64 v[2:3], v[2:3], 0, v[4:5]
	v_mbcnt_lo_u32_b32 v4, -1, 0
	v_mbcnt_hi_u32_b32 v8, -1, v4
	v_and_b32_e32 v10, 63, v8
	v_and_b32_e32 v4, 0xc0, v0
	v_cmp_ne_u32_e32 vcc, 63, v10
	v_sub_u32_e64 v9, s6, v4 clamp
	v_add_u32_e32 v11, 1, v10
	v_addc_co_u32_e32 v4, vcc, 0, v8, vcc
	v_lshlrev_b32_e32 v5, 2, v4
	ds_bpermute_b32 v4, v5, v2
	ds_bpermute_b32 v7, v5, v3
	v_mov_b32_e32 v5, v1
	v_mov_b32_e32 v6, v1
	v_cmp_lt_u32_e64 s[0:1], v11, v9
	s_waitcnt lgkmcnt(1)
	v_lshl_add_u64 v[4:5], v[2:3], 0, v[4:5]
	v_cmp_gt_u32_e32 vcc, 62, v10
	s_waitcnt lgkmcnt(0)
	v_lshl_add_u64 v[6:7], v[6:7], 0, v[4:5]
	v_cndmask_b32_e64 v1, v2, v4, s[0:1]
	v_cndmask_b32_e64 v4, 0, 2, vcc
	v_cndmask_b32_e64 v5, v3, v7, s[0:1]
	v_add_lshl_u32 v4, v4, v8, 2
	ds_bpermute_b32 v12, v4, v1
	ds_bpermute_b32 v13, v4, v5
	v_cndmask_b32_e64 v4, v2, v6, s[0:1]
	v_add_u32_e32 v11, 2, v10
	v_cmp_lt_u32_e32 vcc, v11, v9
	v_cmp_gt_u32_e64 s[4:5], 60, v10
	s_waitcnt lgkmcnt(0)
	v_lshl_add_u64 v[6:7], v[12:13], 0, v[4:5]
	v_cndmask_b32_e32 v5, v5, v7, vcc
	v_cndmask_b32_e64 v7, 0, 4, s[4:5]
	v_cndmask_b32_e32 v1, v1, v6, vcc
	v_add_lshl_u32 v7, v7, v8, 2
	ds_bpermute_b32 v12, v7, v1
	ds_bpermute_b32 v13, v7, v5
	v_cndmask_b32_e32 v4, v4, v6, vcc
	v_add_u32_e32 v11, 4, v10
	v_cmp_lt_u32_e32 vcc, v11, v9
	v_cmp_gt_u32_e64 s[4:5], 56, v10
	s_waitcnt lgkmcnt(0)
	v_lshl_add_u64 v[6:7], v[12:13], 0, v[4:5]
	v_cndmask_b32_e32 v5, v5, v7, vcc
	v_cndmask_b32_e64 v7, 0, 8, s[4:5]
	v_cndmask_b32_e32 v1, v1, v6, vcc
	v_add_lshl_u32 v7, v7, v8, 2
	ds_bpermute_b32 v12, v7, v1
	ds_bpermute_b32 v13, v7, v5
	v_cndmask_b32_e32 v4, v4, v6, vcc
	;; [unrolled: 12-line block ×3, first 2 shown]
	v_add_u32_e32 v11, 16, v10
	v_cmp_lt_u32_e32 vcc, v11, v9
	s_waitcnt lgkmcnt(0)
	v_lshl_add_u64 v[6:7], v[12:13], 0, v[4:5]
	v_cndmask_b32_e32 v11, v1, v6, vcc
	v_lshlrev_b32_e32 v1, 2, v8
	v_cndmask_b32_e32 v12, v5, v7, vcc
	v_or_b32_e32 v13, 0x80, v1
	ds_bpermute_b32 v11, v13, v11
	ds_bpermute_b32 v12, v13, v12
	s_and_saveexec_b64 s[4:5], s[0:1]
	s_cbranch_execz .LBB1082_56
; %bb.55:
	v_add_u32_e32 v10, 32, v10
	v_cndmask_b32_e32 v3, v5, v7, vcc
	v_cndmask_b32_e32 v2, v4, v6, vcc
	v_cmp_lt_u32_e32 vcc, v10, v9
	s_waitcnt lgkmcnt(0)
	s_nop 0
	v_cndmask_b32_e32 v5, 0, v12, vcc
	v_cndmask_b32_e32 v4, 0, v11, vcc
	v_lshl_add_u64 v[2:3], v[4:5], 0, v[2:3]
.LBB1082_56:
	s_or_b64 exec, exec, s[4:5]
	v_cmp_eq_u32_e32 vcc, 0, v8
	s_and_saveexec_b64 s[0:1], vcc
; %bb.57:
	v_lshrrev_b32_e32 v4, 3, v0
	v_and_b32_e32 v4, 24, v4
	ds_write_b64 v4, v[2:3] offset:160
; %bb.58:
	s_or_b64 exec, exec, s[0:1]
	v_cmp_gt_u32_e32 vcc, 4, v0
	s_waitcnt lgkmcnt(0)
	s_barrier
	s_and_saveexec_b64 s[0:1], vcc
	s_cbranch_execz .LBB1082_62
; %bb.59:
	v_lshlrev_b32_e32 v2, 3, v8
	ds_read_b64 v[2:3], v2 offset:160
	v_and_b32_e32 v6, 3, v8
	v_cmp_ne_u32_e32 vcc, 3, v6
	s_add_i32 s6, s6, 63
	s_lshr_b32 s6, s6, 6
	v_addc_co_u32_e32 v4, vcc, 0, v8, vcc
	v_lshlrev_b32_e32 v5, 2, v4
	s_waitcnt lgkmcnt(0)
	ds_bpermute_b32 v4, v5, v2
	ds_bpermute_b32 v9, v5, v3
	v_mov_b32_e32 v8, 0
	v_mov_b32_e32 v5, v8
	v_add_u32_e32 v7, 1, v6
	s_waitcnt lgkmcnt(1)
	v_lshl_add_u64 v[10:11], v[2:3], 0, v[4:5]
	s_waitcnt lgkmcnt(0)
	v_lshl_add_u64 v[4:5], v[8:9], 0, v[10:11]
	v_cmp_gt_u32_e32 vcc, s6, v7
	v_or_b32_e32 v9, 8, v1
	s_nop 0
	v_cndmask_b32_e32 v7, v3, v5, vcc
	v_cndmask_b32_e32 v8, v2, v10, vcc
	ds_bpermute_b32 v1, v9, v8
	ds_bpermute_b32 v7, v9, v7
	s_and_saveexec_b64 s[4:5], vcc
	s_cbranch_execz .LBB1082_61
; %bb.60:
	v_add_u32_e32 v2, 2, v6
	v_cmp_gt_u32_e32 vcc, s6, v2
	s_waitcnt lgkmcnt(0)
	s_nop 0
	v_cndmask_b32_e32 v3, 0, v7, vcc
	v_cndmask_b32_e32 v2, 0, v1, vcc
	v_lshl_add_u64 v[2:3], v[2:3], 0, v[4:5]
.LBB1082_61:
	s_or_b64 exec, exec, s[4:5]
.LBB1082_62:
	s_or_b64 exec, exec, s[0:1]
.LBB1082_63:
	v_cmp_eq_u32_e64 s[0:1], 0, v0
	v_mov_b64_e32 v[4:5], s[2:3]
.LBB1082_64:
	s_branch .LBB1082_104
.LBB1082_65:
	s_cmp_gt_i32 s16, 1
	s_cbranch_scc0 .LBB1082_73
; %bb.66:
	s_cmp_eq_u32 s16, 2
                                        ; implicit-def: $vgpr2_vgpr3
                                        ; implicit-def: $vgpr4_vgpr5
	s_cbranch_scc0 .LBB1082_74
; %bb.67:
	s_mov_b32 s3, 0
	s_lshl_b32 s4, s2, 9
	s_lshr_b64 s[0:1], s[10:11], 9
	s_cmp_lg_u64 s[0:1], s[2:3]
	s_cbranch_scc0 .LBB1082_75
; %bb.68:
	s_add_u32 s0, s8, s4
	s_waitcnt lgkmcnt(1)
	v_mov_b32_e32 v1, 0
	s_addc_u32 s1, s9, 0
	v_lshl_add_u64 v[2:3], s[0:1], 0, v[0:1]
	v_mov_b64_e32 v[4:5], 0x100
	v_lshl_add_u64 v[2:3], v[2:3], 1, v[4:5]
	s_waitcnt lgkmcnt(0)
	v_mov_b32_e32 v7, v1
	v_mov_b32_e32 v8, v1
	v_mov_b32_dpp v6, v2 quad_perm:[1,0,3,2] row_mask:0xf bank_mask:0xf bound_ctrl:1
	v_mov_b32_dpp v9, v3 quad_perm:[1,0,3,2] row_mask:0xf bank_mask:0xf bound_ctrl:1
	v_lshl_add_u64 v[2:3], v[2:3], 0, v[6:7]
	v_lshl_add_u64 v[6:7], v[8:9], 0, v[2:3]
	v_mov_b32_e32 v3, v1
	v_mov_b32_dpp v2, v2 quad_perm:[2,3,0,1] row_mask:0xf bank_mask:0xf bound_ctrl:1
	v_mov_b32_dpp v9, v7 quad_perm:[2,3,0,1] row_mask:0xf bank_mask:0xf bound_ctrl:1
	v_lshl_add_u64 v[2:3], v[6:7], 0, v[2:3]
	v_lshl_add_u64 v[6:7], v[2:3], 0, v[8:9]
	v_mov_b32_e32 v3, v1
	v_mov_b32_dpp v2, v2 row_ror:4 row_mask:0xf bank_mask:0xf bound_ctrl:1
	v_mov_b32_dpp v9, v7 row_ror:4 row_mask:0xf bank_mask:0xf bound_ctrl:1
	v_lshl_add_u64 v[2:3], v[6:7], 0, v[2:3]
	v_lshl_add_u64 v[6:7], v[2:3], 0, v[8:9]
	v_mov_b32_e32 v3, v1
	v_mov_b32_dpp v2, v2 row_ror:8 row_mask:0xf bank_mask:0xf bound_ctrl:1
	v_mov_b32_dpp v9, v7 row_ror:8 row_mask:0xf bank_mask:0xf bound_ctrl:1
	v_lshl_add_u64 v[2:3], v[6:7], 0, v[2:3]
	v_lshl_add_u64 v[6:7], v[2:3], 0, v[8:9]
	v_mov_b32_e32 v3, v1
	v_mov_b32_dpp v2, v2 row_bcast:15 row_mask:0xf bank_mask:0xf bound_ctrl:1
	v_mbcnt_lo_u32_b32 v4, -1, 0
	v_mov_b32_dpp v9, v7 row_bcast:15 row_mask:0xf bank_mask:0xf bound_ctrl:1
	v_lshl_add_u64 v[2:3], v[6:7], 0, v[2:3]
	v_mbcnt_hi_u32_b32 v4, -1, v4
	v_lshl_add_u64 v[6:7], v[2:3], 0, v[8:9]
	v_mov_b32_dpp v2, v2 row_bcast:31 row_mask:0xf bank_mask:0xf bound_ctrl:1
	v_mov_b32_e32 v3, v1
	v_lshl_add_u64 v[2:3], v[6:7], 0, v[2:3]
	v_lshlrev_b32_e32 v1, 2, v4
	v_or_b32_e32 v5, 0xfc, v1
	v_add_u32_dpp v3, v7, v3 row_bcast:31 row_mask:0xf bank_mask:0xf bound_ctrl:1
	ds_bpermute_b32 v2, v5, v2
	ds_bpermute_b32 v3, v5, v3
	v_cmp_eq_u32_e32 vcc, 0, v4
	s_and_saveexec_b64 s[0:1], vcc
	s_cbranch_execz .LBB1082_70
; %bb.69:
	v_lshrrev_b32_e32 v5, 3, v0
	v_and_b32_e32 v5, 24, v5
	s_waitcnt lgkmcnt(0)
	ds_write_b64 v5, v[2:3] offset:64
.LBB1082_70:
	s_or_b64 exec, exec, s[0:1]
	v_cmp_gt_u32_e32 vcc, 64, v0
	s_waitcnt lgkmcnt(0)
	s_barrier
	s_and_saveexec_b64 s[0:1], vcc
	s_cbranch_execz .LBB1082_72
; %bb.71:
	v_and_b32_e32 v5, 3, v4
	v_lshlrev_b32_e32 v2, 3, v5
	ds_read_b64 v[2:3], v2 offset:64
	v_cmp_ne_u32_e32 vcc, 3, v5
	v_mov_b32_e32 v6, 0
	v_or_b32_e32 v1, 8, v1
	v_addc_co_u32_e32 v4, vcc, 0, v4, vcc
	v_lshlrev_b32_e32 v5, 2, v4
	s_waitcnt lgkmcnt(0)
	ds_bpermute_b32 v4, v5, v2
	ds_bpermute_b32 v7, v5, v3
	v_mov_b32_e32 v5, v6
	s_waitcnt lgkmcnt(1)
	v_lshl_add_u64 v[2:3], v[2:3], 0, v[4:5]
	s_waitcnt lgkmcnt(0)
	v_lshl_add_u64 v[4:5], v[6:7], 0, v[2:3]
	ds_bpermute_b32 v2, v1, v2
	ds_bpermute_b32 v7, v1, v5
	v_mov_b32_e32 v3, v6
	s_waitcnt lgkmcnt(1)
	v_lshl_add_u64 v[2:3], v[4:5], 0, v[2:3]
	s_waitcnt lgkmcnt(0)
	v_lshl_add_u64 v[2:3], v[2:3], 0, v[6:7]
.LBB1082_72:
	s_or_b64 exec, exec, s[0:1]
	s_branch .LBB1082_85
.LBB1082_73:
                                        ; implicit-def: $vgpr2_vgpr3
                                        ; implicit-def: $vgpr4_vgpr5
	s_cbranch_execnz .LBB1082_86
	s_branch .LBB1082_104
.LBB1082_74:
	s_branch .LBB1082_104
.LBB1082_75:
                                        ; implicit-def: $vgpr2_vgpr3
	s_cbranch_execz .LBB1082_85
; %bb.76:
	s_sub_i32 s5, s10, s4
	s_add_u32 s0, s8, s4
	s_addc_u32 s1, s9, 0
	s_waitcnt lgkmcnt(1)
	v_mov_b32_e32 v1, 0
	v_lshl_add_u64 v[2:3], s[0:1], 0, v[0:1]
	v_or_b32_e32 v4, 0x100, v0
	v_mov_b32_e32 v5, v1
	v_cmp_gt_u32_e32 vcc, s5, v0
	s_waitcnt lgkmcnt(0)
	v_lshl_add_u64 v[6:7], s[0:1], 0, v[4:5]
	s_min_u32 s6, s5, 0x100
	v_cndmask_b32_e32 v3, 0, v3, vcc
	v_cndmask_b32_e32 v2, 0, v2, vcc
	v_cmp_gt_u32_e32 vcc, s5, v4
	s_nop 1
	v_cndmask_b32_e32 v5, 0, v7, vcc
	v_cndmask_b32_e32 v4, 0, v6, vcc
	v_lshl_add_u64 v[2:3], v[2:3], 0, v[4:5]
	v_mbcnt_lo_u32_b32 v4, -1, 0
	v_mbcnt_hi_u32_b32 v8, -1, v4
	v_and_b32_e32 v10, 63, v8
	v_and_b32_e32 v4, 0xc0, v0
	v_cmp_ne_u32_e32 vcc, 63, v10
	v_sub_u32_e64 v9, s6, v4 clamp
	v_add_u32_e32 v11, 1, v10
	v_addc_co_u32_e32 v4, vcc, 0, v8, vcc
	v_lshlrev_b32_e32 v5, 2, v4
	ds_bpermute_b32 v4, v5, v2
	ds_bpermute_b32 v7, v5, v3
	v_mov_b32_e32 v5, v1
	v_mov_b32_e32 v6, v1
	v_cmp_lt_u32_e64 s[0:1], v11, v9
	s_waitcnt lgkmcnt(1)
	v_lshl_add_u64 v[4:5], v[2:3], 0, v[4:5]
	v_cmp_gt_u32_e32 vcc, 62, v10
	s_waitcnt lgkmcnt(0)
	v_lshl_add_u64 v[6:7], v[6:7], 0, v[4:5]
	v_cndmask_b32_e64 v1, v2, v4, s[0:1]
	v_cndmask_b32_e64 v4, 0, 2, vcc
	v_cndmask_b32_e64 v5, v3, v7, s[0:1]
	v_add_lshl_u32 v4, v4, v8, 2
	ds_bpermute_b32 v12, v4, v1
	ds_bpermute_b32 v13, v4, v5
	v_cndmask_b32_e64 v4, v2, v6, s[0:1]
	v_add_u32_e32 v11, 2, v10
	v_cmp_lt_u32_e32 vcc, v11, v9
	v_cmp_gt_u32_e64 s[4:5], 60, v10
	s_waitcnt lgkmcnt(0)
	v_lshl_add_u64 v[6:7], v[12:13], 0, v[4:5]
	v_cndmask_b32_e32 v5, v5, v7, vcc
	v_cndmask_b32_e64 v7, 0, 4, s[4:5]
	v_cndmask_b32_e32 v1, v1, v6, vcc
	v_add_lshl_u32 v7, v7, v8, 2
	ds_bpermute_b32 v12, v7, v1
	ds_bpermute_b32 v13, v7, v5
	v_cndmask_b32_e32 v4, v4, v6, vcc
	v_add_u32_e32 v11, 4, v10
	v_cmp_lt_u32_e32 vcc, v11, v9
	v_cmp_gt_u32_e64 s[4:5], 56, v10
	s_waitcnt lgkmcnt(0)
	v_lshl_add_u64 v[6:7], v[12:13], 0, v[4:5]
	v_cndmask_b32_e32 v5, v5, v7, vcc
	v_cndmask_b32_e64 v7, 0, 8, s[4:5]
	v_cndmask_b32_e32 v1, v1, v6, vcc
	v_add_lshl_u32 v7, v7, v8, 2
	ds_bpermute_b32 v12, v7, v1
	ds_bpermute_b32 v13, v7, v5
	v_cndmask_b32_e32 v4, v4, v6, vcc
	;; [unrolled: 12-line block ×3, first 2 shown]
	v_add_u32_e32 v11, 16, v10
	v_cmp_lt_u32_e32 vcc, v11, v9
	s_waitcnt lgkmcnt(0)
	v_lshl_add_u64 v[6:7], v[12:13], 0, v[4:5]
	v_cndmask_b32_e32 v11, v1, v6, vcc
	v_lshlrev_b32_e32 v1, 2, v8
	v_cndmask_b32_e32 v12, v5, v7, vcc
	v_or_b32_e32 v13, 0x80, v1
	ds_bpermute_b32 v11, v13, v11
	ds_bpermute_b32 v12, v13, v12
	s_and_saveexec_b64 s[4:5], s[0:1]
	s_cbranch_execz .LBB1082_78
; %bb.77:
	v_add_u32_e32 v10, 32, v10
	v_cndmask_b32_e32 v3, v5, v7, vcc
	v_cndmask_b32_e32 v2, v4, v6, vcc
	v_cmp_lt_u32_e32 vcc, v10, v9
	s_waitcnt lgkmcnt(0)
	s_nop 0
	v_cndmask_b32_e32 v5, 0, v12, vcc
	v_cndmask_b32_e32 v4, 0, v11, vcc
	v_lshl_add_u64 v[2:3], v[4:5], 0, v[2:3]
.LBB1082_78:
	s_or_b64 exec, exec, s[4:5]
	v_cmp_eq_u32_e32 vcc, 0, v8
	s_and_saveexec_b64 s[0:1], vcc
; %bb.79:
	v_lshrrev_b32_e32 v4, 3, v0
	v_and_b32_e32 v4, 24, v4
	ds_write_b64 v4, v[2:3] offset:160
; %bb.80:
	s_or_b64 exec, exec, s[0:1]
	v_cmp_gt_u32_e32 vcc, 4, v0
	s_waitcnt lgkmcnt(0)
	s_barrier
	s_and_saveexec_b64 s[0:1], vcc
	s_cbranch_execz .LBB1082_84
; %bb.81:
	v_lshlrev_b32_e32 v2, 3, v8
	ds_read_b64 v[2:3], v2 offset:160
	v_and_b32_e32 v6, 3, v8
	v_cmp_ne_u32_e32 vcc, 3, v6
	s_add_i32 s6, s6, 63
	s_lshr_b32 s6, s6, 6
	v_addc_co_u32_e32 v4, vcc, 0, v8, vcc
	v_lshlrev_b32_e32 v5, 2, v4
	s_waitcnt lgkmcnt(0)
	ds_bpermute_b32 v4, v5, v2
	ds_bpermute_b32 v9, v5, v3
	v_mov_b32_e32 v8, 0
	v_mov_b32_e32 v5, v8
	v_add_u32_e32 v7, 1, v6
	s_waitcnt lgkmcnt(1)
	v_lshl_add_u64 v[10:11], v[2:3], 0, v[4:5]
	s_waitcnt lgkmcnt(0)
	v_lshl_add_u64 v[4:5], v[8:9], 0, v[10:11]
	v_cmp_gt_u32_e32 vcc, s6, v7
	v_or_b32_e32 v9, 8, v1
	s_nop 0
	v_cndmask_b32_e32 v7, v3, v5, vcc
	v_cndmask_b32_e32 v8, v2, v10, vcc
	ds_bpermute_b32 v1, v9, v8
	ds_bpermute_b32 v7, v9, v7
	s_and_saveexec_b64 s[4:5], vcc
	s_cbranch_execz .LBB1082_83
; %bb.82:
	v_add_u32_e32 v2, 2, v6
	v_cmp_gt_u32_e32 vcc, s6, v2
	s_waitcnt lgkmcnt(0)
	s_nop 0
	v_cndmask_b32_e32 v3, 0, v7, vcc
	v_cndmask_b32_e32 v2, 0, v1, vcc
	v_lshl_add_u64 v[2:3], v[2:3], 0, v[4:5]
.LBB1082_83:
	s_or_b64 exec, exec, s[4:5]
.LBB1082_84:
	s_or_b64 exec, exec, s[0:1]
.LBB1082_85:
	v_cmp_eq_u32_e64 s[0:1], 0, v0
	v_mov_b64_e32 v[4:5], s[2:3]
	s_branch .LBB1082_104
.LBB1082_86:
	s_cmp_eq_u32 s16, 1
                                        ; implicit-def: $vgpr2_vgpr3
                                        ; implicit-def: $vgpr4_vgpr5
	s_cbranch_scc0 .LBB1082_104
; %bb.87:
	s_lshl_b32 s4, s2, 8
	s_mov_b32 s3, 0
	s_lshr_b64 s[0:1], s[10:11], 8
	s_cmp_lg_u64 s[0:1], s[2:3]
	v_mbcnt_lo_u32_b32 v4, -1, 0
	s_cbranch_scc0 .LBB1082_93
; %bb.88:
	s_add_u32 s0, s8, s4
	s_waitcnt lgkmcnt(1)
	v_mov_b32_e32 v1, 0
	s_addc_u32 s1, s9, 0
	v_lshl_add_u64 v[2:3], s[0:1], 0, v[0:1]
	s_waitcnt lgkmcnt(0)
	v_mov_b32_e32 v7, v1
	v_mov_b32_e32 v8, v1
	v_mov_b32_dpp v6, v2 quad_perm:[1,0,3,2] row_mask:0xf bank_mask:0xf bound_ctrl:1
	v_mov_b32_dpp v9, v3 quad_perm:[1,0,3,2] row_mask:0xf bank_mask:0xf bound_ctrl:1
	v_lshl_add_u64 v[2:3], v[2:3], 0, v[6:7]
	v_lshl_add_u64 v[6:7], v[8:9], 0, v[2:3]
	v_mov_b32_e32 v3, v1
	v_mov_b32_dpp v2, v2 quad_perm:[2,3,0,1] row_mask:0xf bank_mask:0xf bound_ctrl:1
	v_mov_b32_dpp v9, v7 quad_perm:[2,3,0,1] row_mask:0xf bank_mask:0xf bound_ctrl:1
	v_lshl_add_u64 v[2:3], v[6:7], 0, v[2:3]
	v_lshl_add_u64 v[6:7], v[2:3], 0, v[8:9]
	v_mov_b32_e32 v3, v1
	v_mov_b32_dpp v2, v2 row_ror:4 row_mask:0xf bank_mask:0xf bound_ctrl:1
	v_mov_b32_dpp v9, v7 row_ror:4 row_mask:0xf bank_mask:0xf bound_ctrl:1
	v_lshl_add_u64 v[2:3], v[6:7], 0, v[2:3]
	v_lshl_add_u64 v[6:7], v[2:3], 0, v[8:9]
	v_mov_b32_e32 v3, v1
	v_mov_b32_dpp v2, v2 row_ror:8 row_mask:0xf bank_mask:0xf bound_ctrl:1
	v_mov_b32_dpp v9, v7 row_ror:8 row_mask:0xf bank_mask:0xf bound_ctrl:1
	v_lshl_add_u64 v[2:3], v[6:7], 0, v[2:3]
	v_lshl_add_u64 v[6:7], v[2:3], 0, v[8:9]
	v_mov_b32_e32 v3, v1
	v_mov_b32_dpp v2, v2 row_bcast:15 row_mask:0xf bank_mask:0xf bound_ctrl:1
	v_mov_b32_dpp v9, v7 row_bcast:15 row_mask:0xf bank_mask:0xf bound_ctrl:1
	v_lshl_add_u64 v[2:3], v[6:7], 0, v[2:3]
	v_mbcnt_hi_u32_b32 v5, -1, v4
	v_lshl_add_u64 v[6:7], v[2:3], 0, v[8:9]
	v_mov_b32_dpp v2, v2 row_bcast:31 row_mask:0xf bank_mask:0xf bound_ctrl:1
	v_mov_b32_e32 v3, v1
	v_lshl_add_u64 v[2:3], v[6:7], 0, v[2:3]
	v_lshlrev_b32_e32 v1, 2, v5
	v_or_b32_e32 v6, 0xfc, v1
	v_add_u32_dpp v3, v7, v3 row_bcast:31 row_mask:0xf bank_mask:0xf bound_ctrl:1
	ds_bpermute_b32 v2, v6, v2
	ds_bpermute_b32 v3, v6, v3
	v_cmp_eq_u32_e32 vcc, 0, v5
	s_and_saveexec_b64 s[0:1], vcc
	s_cbranch_execz .LBB1082_90
; %bb.89:
	v_lshrrev_b32_e32 v6, 3, v0
	v_and_b32_e32 v6, 24, v6
	s_waitcnt lgkmcnt(0)
	ds_write_b64 v6, v[2:3] offset:32
.LBB1082_90:
	s_or_b64 exec, exec, s[0:1]
	v_cmp_gt_u32_e32 vcc, 64, v0
	s_waitcnt lgkmcnt(0)
	s_barrier
	s_and_saveexec_b64 s[0:1], vcc
	s_cbranch_execz .LBB1082_92
; %bb.91:
	v_and_b32_e32 v6, 3, v5
	v_lshlrev_b32_e32 v2, 3, v6
	ds_read_b64 v[2:3], v2 offset:32
	v_cmp_ne_u32_e32 vcc, 3, v6
	v_mov_b32_e32 v8, 0
	v_mov_b32_e32 v7, v8
	v_addc_co_u32_e32 v5, vcc, 0, v5, vcc
	v_lshlrev_b32_e32 v5, 2, v5
	s_waitcnt lgkmcnt(0)
	ds_bpermute_b32 v6, v5, v2
	ds_bpermute_b32 v9, v5, v3
	v_or_b32_e32 v1, 8, v1
	s_waitcnt lgkmcnt(1)
	v_lshl_add_u64 v[2:3], v[2:3], 0, v[6:7]
	s_waitcnt lgkmcnt(0)
	v_lshl_add_u64 v[6:7], v[8:9], 0, v[2:3]
	ds_bpermute_b32 v2, v1, v2
	ds_bpermute_b32 v9, v1, v7
	v_mov_b32_e32 v3, v8
	s_waitcnt lgkmcnt(1)
	v_lshl_add_u64 v[2:3], v[6:7], 0, v[2:3]
	s_waitcnt lgkmcnt(0)
	v_lshl_add_u64 v[2:3], v[2:3], 0, v[8:9]
.LBB1082_92:
	s_or_b64 exec, exec, s[0:1]
	s_branch .LBB1082_103
.LBB1082_93:
                                        ; implicit-def: $vgpr2_vgpr3
	s_cbranch_execz .LBB1082_103
; %bb.94:
	s_sub_i32 s5, s10, s4
	v_mbcnt_hi_u32_b32 v8, -1, v4
	s_add_u32 s0, s8, s4
	v_and_b32_e32 v10, 63, v8
	s_addc_u32 s1, s9, 0
	s_min_u32 s6, s5, 0x100
	v_and_b32_e32 v4, 0xc0, v0
	v_cmp_ne_u32_e32 vcc, 63, v10
	s_waitcnt lgkmcnt(1)
	v_mov_b32_e32 v1, 0
	v_sub_u32_e64 v9, s6, v4 clamp
	v_addc_co_u32_e32 v4, vcc, 0, v8, vcc
	v_lshl_add_u64 v[2:3], s[0:1], 0, v[0:1]
	v_lshlrev_b32_e32 v5, 2, v4
	ds_bpermute_b32 v4, v5, v2
	s_waitcnt lgkmcnt(1)
	ds_bpermute_b32 v7, v5, v3
	v_add_u32_e32 v11, 1, v10
	v_mov_b32_e32 v5, v1
	v_mov_b32_e32 v6, v1
	s_waitcnt lgkmcnt(1)
	v_lshl_add_u64 v[4:5], v[2:3], 0, v[4:5]
	v_cmp_lt_u32_e64 s[0:1], v11, v9
	v_cmp_gt_u32_e32 vcc, 62, v10
	s_waitcnt lgkmcnt(0)
	v_lshl_add_u64 v[6:7], v[6:7], 0, v[4:5]
	v_cndmask_b32_e64 v1, v2, v4, s[0:1]
	v_cndmask_b32_e64 v4, 0, 2, vcc
	v_cndmask_b32_e64 v5, v3, v7, s[0:1]
	v_add_lshl_u32 v4, v4, v8, 2
	ds_bpermute_b32 v12, v4, v1
	ds_bpermute_b32 v13, v4, v5
	v_cndmask_b32_e64 v4, v2, v6, s[0:1]
	v_add_u32_e32 v11, 2, v10
	v_cmp_lt_u32_e32 vcc, v11, v9
	v_cmp_gt_u32_e64 s[4:5], 60, v10
	s_waitcnt lgkmcnt(0)
	v_lshl_add_u64 v[6:7], v[12:13], 0, v[4:5]
	v_cndmask_b32_e32 v5, v5, v7, vcc
	v_cndmask_b32_e64 v7, 0, 4, s[4:5]
	v_cndmask_b32_e32 v1, v1, v6, vcc
	v_add_lshl_u32 v7, v7, v8, 2
	ds_bpermute_b32 v12, v7, v1
	ds_bpermute_b32 v13, v7, v5
	v_cndmask_b32_e32 v4, v4, v6, vcc
	v_add_u32_e32 v11, 4, v10
	v_cmp_lt_u32_e32 vcc, v11, v9
	v_cmp_gt_u32_e64 s[4:5], 56, v10
	s_waitcnt lgkmcnt(0)
	v_lshl_add_u64 v[6:7], v[12:13], 0, v[4:5]
	v_cndmask_b32_e32 v5, v5, v7, vcc
	v_cndmask_b32_e64 v7, 0, 8, s[4:5]
	v_cndmask_b32_e32 v1, v1, v6, vcc
	v_add_lshl_u32 v7, v7, v8, 2
	ds_bpermute_b32 v12, v7, v1
	ds_bpermute_b32 v13, v7, v5
	v_cndmask_b32_e32 v4, v4, v6, vcc
	;; [unrolled: 12-line block ×3, first 2 shown]
	v_add_u32_e32 v11, 16, v10
	v_cmp_lt_u32_e32 vcc, v11, v9
	s_waitcnt lgkmcnt(0)
	v_lshl_add_u64 v[6:7], v[12:13], 0, v[4:5]
	v_cndmask_b32_e32 v11, v1, v6, vcc
	v_lshlrev_b32_e32 v1, 2, v8
	v_cndmask_b32_e32 v12, v5, v7, vcc
	v_or_b32_e32 v13, 0x80, v1
	ds_bpermute_b32 v11, v13, v11
	ds_bpermute_b32 v12, v13, v12
	s_and_saveexec_b64 s[4:5], s[0:1]
	s_cbranch_execz .LBB1082_96
; %bb.95:
	v_add_u32_e32 v10, 32, v10
	v_cndmask_b32_e32 v3, v5, v7, vcc
	v_cndmask_b32_e32 v2, v4, v6, vcc
	v_cmp_lt_u32_e32 vcc, v10, v9
	s_waitcnt lgkmcnt(0)
	s_nop 0
	v_cndmask_b32_e32 v5, 0, v12, vcc
	v_cndmask_b32_e32 v4, 0, v11, vcc
	v_lshl_add_u64 v[2:3], v[4:5], 0, v[2:3]
.LBB1082_96:
	s_or_b64 exec, exec, s[4:5]
	v_cmp_eq_u32_e32 vcc, 0, v8
	s_and_saveexec_b64 s[0:1], vcc
; %bb.97:
	v_lshrrev_b32_e32 v4, 3, v0
	v_and_b32_e32 v4, 24, v4
	ds_write_b64 v4, v[2:3] offset:160
; %bb.98:
	s_or_b64 exec, exec, s[0:1]
	v_cmp_gt_u32_e32 vcc, 4, v0
	s_waitcnt lgkmcnt(0)
	s_barrier
	s_and_saveexec_b64 s[0:1], vcc
	s_cbranch_execz .LBB1082_102
; %bb.99:
	v_lshlrev_b32_e32 v2, 3, v8
	ds_read_b64 v[2:3], v2 offset:160
	v_and_b32_e32 v6, 3, v8
	v_cmp_ne_u32_e32 vcc, 3, v6
	s_add_i32 s6, s6, 63
	s_lshr_b32 s6, s6, 6
	v_addc_co_u32_e32 v4, vcc, 0, v8, vcc
	v_lshlrev_b32_e32 v5, 2, v4
	s_waitcnt lgkmcnt(0)
	ds_bpermute_b32 v4, v5, v2
	ds_bpermute_b32 v9, v5, v3
	v_mov_b32_e32 v8, 0
	v_mov_b32_e32 v5, v8
	v_add_u32_e32 v7, 1, v6
	s_waitcnt lgkmcnt(1)
	v_lshl_add_u64 v[10:11], v[2:3], 0, v[4:5]
	s_waitcnt lgkmcnt(0)
	v_lshl_add_u64 v[4:5], v[8:9], 0, v[10:11]
	v_cmp_gt_u32_e32 vcc, s6, v7
	v_or_b32_e32 v9, 8, v1
	s_nop 0
	v_cndmask_b32_e32 v7, v3, v5, vcc
	v_cndmask_b32_e32 v8, v2, v10, vcc
	ds_bpermute_b32 v1, v9, v8
	ds_bpermute_b32 v7, v9, v7
	s_and_saveexec_b64 s[4:5], vcc
	s_cbranch_execz .LBB1082_101
; %bb.100:
	v_add_u32_e32 v2, 2, v6
	v_cmp_gt_u32_e32 vcc, s6, v2
	s_waitcnt lgkmcnt(0)
	s_nop 0
	v_cndmask_b32_e32 v3, 0, v7, vcc
	v_cndmask_b32_e32 v2, 0, v1, vcc
	v_lshl_add_u64 v[2:3], v[2:3], 0, v[4:5]
.LBB1082_101:
	s_or_b64 exec, exec, s[4:5]
.LBB1082_102:
	s_or_b64 exec, exec, s[0:1]
.LBB1082_103:
	v_cmp_eq_u32_e64 s[0:1], 0, v0
	v_mov_b64_e32 v[4:5], s[2:3]
.LBB1082_104:
	s_and_saveexec_b64 s[2:3], s[0:1]
	s_cbranch_execz .LBB1082_106
; %bb.105:
	s_cmp_lg_u64 s[10:11], 0
	s_cselect_b64 vcc, -1, 0
	s_waitcnt lgkmcnt(1)
	v_lshlrev_b64 v[0:1], 3, v[4:5]
	v_cndmask_b32_e32 v3, 0, v3, vcc
	v_cndmask_b32_e32 v2, 0, v2, vcc
	v_lshl_add_u64 v[0:1], s[12:13], 0, v[0:1]
	v_lshl_add_u64 v[2:3], v[2:3], 0, s[14:15]
	global_store_dwordx2 v[0:1], v[2:3], off
.LBB1082_106:
	s_endpgm
	.section	.rodata,"a",@progbits
	.p2align	6, 0x0
	.amdhsa_kernel _ZN7rocprim17ROCPRIM_400000_NS6detail17trampoline_kernelINS0_14default_configENS1_22reduce_config_selectorIxEEZNS1_11reduce_implILb1ES3_N6thrust23THRUST_200600_302600_NS17counting_iteratorIxNS8_11hip_rocprim3tagENS8_11use_defaultESC_EEPxxNS8_4plusIxEEEE10hipError_tPvRmT1_T2_T3_mT4_P12ihipStream_tbEUlT_E1_NS1_11comp_targetILNS1_3genE0ELNS1_11target_archE4294967295ELNS1_3gpuE0ELNS1_3repE0EEENS1_30default_config_static_selectorELNS0_4arch9wavefront6targetE1EEEvSK_
		.amdhsa_group_segment_fixed_size 192
		.amdhsa_private_segment_fixed_size 0
		.amdhsa_kernarg_size 48
		.amdhsa_user_sgpr_count 2
		.amdhsa_user_sgpr_dispatch_ptr 0
		.amdhsa_user_sgpr_queue_ptr 0
		.amdhsa_user_sgpr_kernarg_segment_ptr 1
		.amdhsa_user_sgpr_dispatch_id 0
		.amdhsa_user_sgpr_kernarg_preload_length 0
		.amdhsa_user_sgpr_kernarg_preload_offset 0
		.amdhsa_user_sgpr_private_segment_size 0
		.amdhsa_uses_dynamic_stack 0
		.amdhsa_enable_private_segment 0
		.amdhsa_system_sgpr_workgroup_id_x 1
		.amdhsa_system_sgpr_workgroup_id_y 0
		.amdhsa_system_sgpr_workgroup_id_z 0
		.amdhsa_system_sgpr_workgroup_info 0
		.amdhsa_system_vgpr_workitem_id 0
		.amdhsa_next_free_vgpr 60
		.amdhsa_next_free_sgpr 18
		.amdhsa_accum_offset 60
		.amdhsa_reserve_vcc 1
		.amdhsa_float_round_mode_32 0
		.amdhsa_float_round_mode_16_64 0
		.amdhsa_float_denorm_mode_32 3
		.amdhsa_float_denorm_mode_16_64 3
		.amdhsa_dx10_clamp 1
		.amdhsa_ieee_mode 1
		.amdhsa_fp16_overflow 0
		.amdhsa_tg_split 0
		.amdhsa_exception_fp_ieee_invalid_op 0
		.amdhsa_exception_fp_denorm_src 0
		.amdhsa_exception_fp_ieee_div_zero 0
		.amdhsa_exception_fp_ieee_overflow 0
		.amdhsa_exception_fp_ieee_underflow 0
		.amdhsa_exception_fp_ieee_inexact 0
		.amdhsa_exception_int_div_zero 0
	.end_amdhsa_kernel
	.section	.text._ZN7rocprim17ROCPRIM_400000_NS6detail17trampoline_kernelINS0_14default_configENS1_22reduce_config_selectorIxEEZNS1_11reduce_implILb1ES3_N6thrust23THRUST_200600_302600_NS17counting_iteratorIxNS8_11hip_rocprim3tagENS8_11use_defaultESC_EEPxxNS8_4plusIxEEEE10hipError_tPvRmT1_T2_T3_mT4_P12ihipStream_tbEUlT_E1_NS1_11comp_targetILNS1_3genE0ELNS1_11target_archE4294967295ELNS1_3gpuE0ELNS1_3repE0EEENS1_30default_config_static_selectorELNS0_4arch9wavefront6targetE1EEEvSK_,"axG",@progbits,_ZN7rocprim17ROCPRIM_400000_NS6detail17trampoline_kernelINS0_14default_configENS1_22reduce_config_selectorIxEEZNS1_11reduce_implILb1ES3_N6thrust23THRUST_200600_302600_NS17counting_iteratorIxNS8_11hip_rocprim3tagENS8_11use_defaultESC_EEPxxNS8_4plusIxEEEE10hipError_tPvRmT1_T2_T3_mT4_P12ihipStream_tbEUlT_E1_NS1_11comp_targetILNS1_3genE0ELNS1_11target_archE4294967295ELNS1_3gpuE0ELNS1_3repE0EEENS1_30default_config_static_selectorELNS0_4arch9wavefront6targetE1EEEvSK_,comdat
.Lfunc_end1082:
	.size	_ZN7rocprim17ROCPRIM_400000_NS6detail17trampoline_kernelINS0_14default_configENS1_22reduce_config_selectorIxEEZNS1_11reduce_implILb1ES3_N6thrust23THRUST_200600_302600_NS17counting_iteratorIxNS8_11hip_rocprim3tagENS8_11use_defaultESC_EEPxxNS8_4plusIxEEEE10hipError_tPvRmT1_T2_T3_mT4_P12ihipStream_tbEUlT_E1_NS1_11comp_targetILNS1_3genE0ELNS1_11target_archE4294967295ELNS1_3gpuE0ELNS1_3repE0EEENS1_30default_config_static_selectorELNS0_4arch9wavefront6targetE1EEEvSK_, .Lfunc_end1082-_ZN7rocprim17ROCPRIM_400000_NS6detail17trampoline_kernelINS0_14default_configENS1_22reduce_config_selectorIxEEZNS1_11reduce_implILb1ES3_N6thrust23THRUST_200600_302600_NS17counting_iteratorIxNS8_11hip_rocprim3tagENS8_11use_defaultESC_EEPxxNS8_4plusIxEEEE10hipError_tPvRmT1_T2_T3_mT4_P12ihipStream_tbEUlT_E1_NS1_11comp_targetILNS1_3genE0ELNS1_11target_archE4294967295ELNS1_3gpuE0ELNS1_3repE0EEENS1_30default_config_static_selectorELNS0_4arch9wavefront6targetE1EEEvSK_
                                        ; -- End function
	.set _ZN7rocprim17ROCPRIM_400000_NS6detail17trampoline_kernelINS0_14default_configENS1_22reduce_config_selectorIxEEZNS1_11reduce_implILb1ES3_N6thrust23THRUST_200600_302600_NS17counting_iteratorIxNS8_11hip_rocprim3tagENS8_11use_defaultESC_EEPxxNS8_4plusIxEEEE10hipError_tPvRmT1_T2_T3_mT4_P12ihipStream_tbEUlT_E1_NS1_11comp_targetILNS1_3genE0ELNS1_11target_archE4294967295ELNS1_3gpuE0ELNS1_3repE0EEENS1_30default_config_static_selectorELNS0_4arch9wavefront6targetE1EEEvSK_.num_vgpr, 60
	.set _ZN7rocprim17ROCPRIM_400000_NS6detail17trampoline_kernelINS0_14default_configENS1_22reduce_config_selectorIxEEZNS1_11reduce_implILb1ES3_N6thrust23THRUST_200600_302600_NS17counting_iteratorIxNS8_11hip_rocprim3tagENS8_11use_defaultESC_EEPxxNS8_4plusIxEEEE10hipError_tPvRmT1_T2_T3_mT4_P12ihipStream_tbEUlT_E1_NS1_11comp_targetILNS1_3genE0ELNS1_11target_archE4294967295ELNS1_3gpuE0ELNS1_3repE0EEENS1_30default_config_static_selectorELNS0_4arch9wavefront6targetE1EEEvSK_.num_agpr, 0
	.set _ZN7rocprim17ROCPRIM_400000_NS6detail17trampoline_kernelINS0_14default_configENS1_22reduce_config_selectorIxEEZNS1_11reduce_implILb1ES3_N6thrust23THRUST_200600_302600_NS17counting_iteratorIxNS8_11hip_rocprim3tagENS8_11use_defaultESC_EEPxxNS8_4plusIxEEEE10hipError_tPvRmT1_T2_T3_mT4_P12ihipStream_tbEUlT_E1_NS1_11comp_targetILNS1_3genE0ELNS1_11target_archE4294967295ELNS1_3gpuE0ELNS1_3repE0EEENS1_30default_config_static_selectorELNS0_4arch9wavefront6targetE1EEEvSK_.numbered_sgpr, 18
	.set _ZN7rocprim17ROCPRIM_400000_NS6detail17trampoline_kernelINS0_14default_configENS1_22reduce_config_selectorIxEEZNS1_11reduce_implILb1ES3_N6thrust23THRUST_200600_302600_NS17counting_iteratorIxNS8_11hip_rocprim3tagENS8_11use_defaultESC_EEPxxNS8_4plusIxEEEE10hipError_tPvRmT1_T2_T3_mT4_P12ihipStream_tbEUlT_E1_NS1_11comp_targetILNS1_3genE0ELNS1_11target_archE4294967295ELNS1_3gpuE0ELNS1_3repE0EEENS1_30default_config_static_selectorELNS0_4arch9wavefront6targetE1EEEvSK_.num_named_barrier, 0
	.set _ZN7rocprim17ROCPRIM_400000_NS6detail17trampoline_kernelINS0_14default_configENS1_22reduce_config_selectorIxEEZNS1_11reduce_implILb1ES3_N6thrust23THRUST_200600_302600_NS17counting_iteratorIxNS8_11hip_rocprim3tagENS8_11use_defaultESC_EEPxxNS8_4plusIxEEEE10hipError_tPvRmT1_T2_T3_mT4_P12ihipStream_tbEUlT_E1_NS1_11comp_targetILNS1_3genE0ELNS1_11target_archE4294967295ELNS1_3gpuE0ELNS1_3repE0EEENS1_30default_config_static_selectorELNS0_4arch9wavefront6targetE1EEEvSK_.private_seg_size, 0
	.set _ZN7rocprim17ROCPRIM_400000_NS6detail17trampoline_kernelINS0_14default_configENS1_22reduce_config_selectorIxEEZNS1_11reduce_implILb1ES3_N6thrust23THRUST_200600_302600_NS17counting_iteratorIxNS8_11hip_rocprim3tagENS8_11use_defaultESC_EEPxxNS8_4plusIxEEEE10hipError_tPvRmT1_T2_T3_mT4_P12ihipStream_tbEUlT_E1_NS1_11comp_targetILNS1_3genE0ELNS1_11target_archE4294967295ELNS1_3gpuE0ELNS1_3repE0EEENS1_30default_config_static_selectorELNS0_4arch9wavefront6targetE1EEEvSK_.uses_vcc, 1
	.set _ZN7rocprim17ROCPRIM_400000_NS6detail17trampoline_kernelINS0_14default_configENS1_22reduce_config_selectorIxEEZNS1_11reduce_implILb1ES3_N6thrust23THRUST_200600_302600_NS17counting_iteratorIxNS8_11hip_rocprim3tagENS8_11use_defaultESC_EEPxxNS8_4plusIxEEEE10hipError_tPvRmT1_T2_T3_mT4_P12ihipStream_tbEUlT_E1_NS1_11comp_targetILNS1_3genE0ELNS1_11target_archE4294967295ELNS1_3gpuE0ELNS1_3repE0EEENS1_30default_config_static_selectorELNS0_4arch9wavefront6targetE1EEEvSK_.uses_flat_scratch, 0
	.set _ZN7rocprim17ROCPRIM_400000_NS6detail17trampoline_kernelINS0_14default_configENS1_22reduce_config_selectorIxEEZNS1_11reduce_implILb1ES3_N6thrust23THRUST_200600_302600_NS17counting_iteratorIxNS8_11hip_rocprim3tagENS8_11use_defaultESC_EEPxxNS8_4plusIxEEEE10hipError_tPvRmT1_T2_T3_mT4_P12ihipStream_tbEUlT_E1_NS1_11comp_targetILNS1_3genE0ELNS1_11target_archE4294967295ELNS1_3gpuE0ELNS1_3repE0EEENS1_30default_config_static_selectorELNS0_4arch9wavefront6targetE1EEEvSK_.has_dyn_sized_stack, 0
	.set _ZN7rocprim17ROCPRIM_400000_NS6detail17trampoline_kernelINS0_14default_configENS1_22reduce_config_selectorIxEEZNS1_11reduce_implILb1ES3_N6thrust23THRUST_200600_302600_NS17counting_iteratorIxNS8_11hip_rocprim3tagENS8_11use_defaultESC_EEPxxNS8_4plusIxEEEE10hipError_tPvRmT1_T2_T3_mT4_P12ihipStream_tbEUlT_E1_NS1_11comp_targetILNS1_3genE0ELNS1_11target_archE4294967295ELNS1_3gpuE0ELNS1_3repE0EEENS1_30default_config_static_selectorELNS0_4arch9wavefront6targetE1EEEvSK_.has_recursion, 0
	.set _ZN7rocprim17ROCPRIM_400000_NS6detail17trampoline_kernelINS0_14default_configENS1_22reduce_config_selectorIxEEZNS1_11reduce_implILb1ES3_N6thrust23THRUST_200600_302600_NS17counting_iteratorIxNS8_11hip_rocprim3tagENS8_11use_defaultESC_EEPxxNS8_4plusIxEEEE10hipError_tPvRmT1_T2_T3_mT4_P12ihipStream_tbEUlT_E1_NS1_11comp_targetILNS1_3genE0ELNS1_11target_archE4294967295ELNS1_3gpuE0ELNS1_3repE0EEENS1_30default_config_static_selectorELNS0_4arch9wavefront6targetE1EEEvSK_.has_indirect_call, 0
	.section	.AMDGPU.csdata,"",@progbits
; Kernel info:
; codeLenInByte = 7740
; TotalNumSgprs: 24
; NumVgprs: 60
; NumAgprs: 0
; TotalNumVgprs: 60
; ScratchSize: 0
; MemoryBound: 0
; FloatMode: 240
; IeeeMode: 1
; LDSByteSize: 192 bytes/workgroup (compile time only)
; SGPRBlocks: 2
; VGPRBlocks: 7
; NumSGPRsForWavesPerEU: 24
; NumVGPRsForWavesPerEU: 60
; AccumOffset: 60
; Occupancy: 8
; WaveLimiterHint : 0
; COMPUTE_PGM_RSRC2:SCRATCH_EN: 0
; COMPUTE_PGM_RSRC2:USER_SGPR: 2
; COMPUTE_PGM_RSRC2:TRAP_HANDLER: 0
; COMPUTE_PGM_RSRC2:TGID_X_EN: 1
; COMPUTE_PGM_RSRC2:TGID_Y_EN: 0
; COMPUTE_PGM_RSRC2:TGID_Z_EN: 0
; COMPUTE_PGM_RSRC2:TIDIG_COMP_CNT: 0
; COMPUTE_PGM_RSRC3_GFX90A:ACCUM_OFFSET: 14
; COMPUTE_PGM_RSRC3_GFX90A:TG_SPLIT: 0
	.section	.text._ZN7rocprim17ROCPRIM_400000_NS6detail17trampoline_kernelINS0_14default_configENS1_22reduce_config_selectorIxEEZNS1_11reduce_implILb1ES3_N6thrust23THRUST_200600_302600_NS17counting_iteratorIxNS8_11hip_rocprim3tagENS8_11use_defaultESC_EEPxxNS8_4plusIxEEEE10hipError_tPvRmT1_T2_T3_mT4_P12ihipStream_tbEUlT_E1_NS1_11comp_targetILNS1_3genE5ELNS1_11target_archE942ELNS1_3gpuE9ELNS1_3repE0EEENS1_30default_config_static_selectorELNS0_4arch9wavefront6targetE1EEEvSK_,"axG",@progbits,_ZN7rocprim17ROCPRIM_400000_NS6detail17trampoline_kernelINS0_14default_configENS1_22reduce_config_selectorIxEEZNS1_11reduce_implILb1ES3_N6thrust23THRUST_200600_302600_NS17counting_iteratorIxNS8_11hip_rocprim3tagENS8_11use_defaultESC_EEPxxNS8_4plusIxEEEE10hipError_tPvRmT1_T2_T3_mT4_P12ihipStream_tbEUlT_E1_NS1_11comp_targetILNS1_3genE5ELNS1_11target_archE942ELNS1_3gpuE9ELNS1_3repE0EEENS1_30default_config_static_selectorELNS0_4arch9wavefront6targetE1EEEvSK_,comdat
	.protected	_ZN7rocprim17ROCPRIM_400000_NS6detail17trampoline_kernelINS0_14default_configENS1_22reduce_config_selectorIxEEZNS1_11reduce_implILb1ES3_N6thrust23THRUST_200600_302600_NS17counting_iteratorIxNS8_11hip_rocprim3tagENS8_11use_defaultESC_EEPxxNS8_4plusIxEEEE10hipError_tPvRmT1_T2_T3_mT4_P12ihipStream_tbEUlT_E1_NS1_11comp_targetILNS1_3genE5ELNS1_11target_archE942ELNS1_3gpuE9ELNS1_3repE0EEENS1_30default_config_static_selectorELNS0_4arch9wavefront6targetE1EEEvSK_ ; -- Begin function _ZN7rocprim17ROCPRIM_400000_NS6detail17trampoline_kernelINS0_14default_configENS1_22reduce_config_selectorIxEEZNS1_11reduce_implILb1ES3_N6thrust23THRUST_200600_302600_NS17counting_iteratorIxNS8_11hip_rocprim3tagENS8_11use_defaultESC_EEPxxNS8_4plusIxEEEE10hipError_tPvRmT1_T2_T3_mT4_P12ihipStream_tbEUlT_E1_NS1_11comp_targetILNS1_3genE5ELNS1_11target_archE942ELNS1_3gpuE9ELNS1_3repE0EEENS1_30default_config_static_selectorELNS0_4arch9wavefront6targetE1EEEvSK_
	.globl	_ZN7rocprim17ROCPRIM_400000_NS6detail17trampoline_kernelINS0_14default_configENS1_22reduce_config_selectorIxEEZNS1_11reduce_implILb1ES3_N6thrust23THRUST_200600_302600_NS17counting_iteratorIxNS8_11hip_rocprim3tagENS8_11use_defaultESC_EEPxxNS8_4plusIxEEEE10hipError_tPvRmT1_T2_T3_mT4_P12ihipStream_tbEUlT_E1_NS1_11comp_targetILNS1_3genE5ELNS1_11target_archE942ELNS1_3gpuE9ELNS1_3repE0EEENS1_30default_config_static_selectorELNS0_4arch9wavefront6targetE1EEEvSK_
	.p2align	8
	.type	_ZN7rocprim17ROCPRIM_400000_NS6detail17trampoline_kernelINS0_14default_configENS1_22reduce_config_selectorIxEEZNS1_11reduce_implILb1ES3_N6thrust23THRUST_200600_302600_NS17counting_iteratorIxNS8_11hip_rocprim3tagENS8_11use_defaultESC_EEPxxNS8_4plusIxEEEE10hipError_tPvRmT1_T2_T3_mT4_P12ihipStream_tbEUlT_E1_NS1_11comp_targetILNS1_3genE5ELNS1_11target_archE942ELNS1_3gpuE9ELNS1_3repE0EEENS1_30default_config_static_selectorELNS0_4arch9wavefront6targetE1EEEvSK_,@function
_ZN7rocprim17ROCPRIM_400000_NS6detail17trampoline_kernelINS0_14default_configENS1_22reduce_config_selectorIxEEZNS1_11reduce_implILb1ES3_N6thrust23THRUST_200600_302600_NS17counting_iteratorIxNS8_11hip_rocprim3tagENS8_11use_defaultESC_EEPxxNS8_4plusIxEEEE10hipError_tPvRmT1_T2_T3_mT4_P12ihipStream_tbEUlT_E1_NS1_11comp_targetILNS1_3genE5ELNS1_11target_archE942ELNS1_3gpuE9ELNS1_3repE0EEENS1_30default_config_static_selectorELNS0_4arch9wavefront6targetE1EEEvSK_: ; @_ZN7rocprim17ROCPRIM_400000_NS6detail17trampoline_kernelINS0_14default_configENS1_22reduce_config_selectorIxEEZNS1_11reduce_implILb1ES3_N6thrust23THRUST_200600_302600_NS17counting_iteratorIxNS8_11hip_rocprim3tagENS8_11use_defaultESC_EEPxxNS8_4plusIxEEEE10hipError_tPvRmT1_T2_T3_mT4_P12ihipStream_tbEUlT_E1_NS1_11comp_targetILNS1_3genE5ELNS1_11target_archE942ELNS1_3gpuE9ELNS1_3repE0EEENS1_30default_config_static_selectorELNS0_4arch9wavefront6targetE1EEEvSK_
; %bb.0:
	.section	.rodata,"a",@progbits
	.p2align	6, 0x0
	.amdhsa_kernel _ZN7rocprim17ROCPRIM_400000_NS6detail17trampoline_kernelINS0_14default_configENS1_22reduce_config_selectorIxEEZNS1_11reduce_implILb1ES3_N6thrust23THRUST_200600_302600_NS17counting_iteratorIxNS8_11hip_rocprim3tagENS8_11use_defaultESC_EEPxxNS8_4plusIxEEEE10hipError_tPvRmT1_T2_T3_mT4_P12ihipStream_tbEUlT_E1_NS1_11comp_targetILNS1_3genE5ELNS1_11target_archE942ELNS1_3gpuE9ELNS1_3repE0EEENS1_30default_config_static_selectorELNS0_4arch9wavefront6targetE1EEEvSK_
		.amdhsa_group_segment_fixed_size 0
		.amdhsa_private_segment_fixed_size 0
		.amdhsa_kernarg_size 48
		.amdhsa_user_sgpr_count 2
		.amdhsa_user_sgpr_dispatch_ptr 0
		.amdhsa_user_sgpr_queue_ptr 0
		.amdhsa_user_sgpr_kernarg_segment_ptr 1
		.amdhsa_user_sgpr_dispatch_id 0
		.amdhsa_user_sgpr_kernarg_preload_length 0
		.amdhsa_user_sgpr_kernarg_preload_offset 0
		.amdhsa_user_sgpr_private_segment_size 0
		.amdhsa_uses_dynamic_stack 0
		.amdhsa_enable_private_segment 0
		.amdhsa_system_sgpr_workgroup_id_x 1
		.amdhsa_system_sgpr_workgroup_id_y 0
		.amdhsa_system_sgpr_workgroup_id_z 0
		.amdhsa_system_sgpr_workgroup_info 0
		.amdhsa_system_vgpr_workitem_id 0
		.amdhsa_next_free_vgpr 1
		.amdhsa_next_free_sgpr 0
		.amdhsa_accum_offset 4
		.amdhsa_reserve_vcc 0
		.amdhsa_float_round_mode_32 0
		.amdhsa_float_round_mode_16_64 0
		.amdhsa_float_denorm_mode_32 3
		.amdhsa_float_denorm_mode_16_64 3
		.amdhsa_dx10_clamp 1
		.amdhsa_ieee_mode 1
		.amdhsa_fp16_overflow 0
		.amdhsa_tg_split 0
		.amdhsa_exception_fp_ieee_invalid_op 0
		.amdhsa_exception_fp_denorm_src 0
		.amdhsa_exception_fp_ieee_div_zero 0
		.amdhsa_exception_fp_ieee_overflow 0
		.amdhsa_exception_fp_ieee_underflow 0
		.amdhsa_exception_fp_ieee_inexact 0
		.amdhsa_exception_int_div_zero 0
	.end_amdhsa_kernel
	.section	.text._ZN7rocprim17ROCPRIM_400000_NS6detail17trampoline_kernelINS0_14default_configENS1_22reduce_config_selectorIxEEZNS1_11reduce_implILb1ES3_N6thrust23THRUST_200600_302600_NS17counting_iteratorIxNS8_11hip_rocprim3tagENS8_11use_defaultESC_EEPxxNS8_4plusIxEEEE10hipError_tPvRmT1_T2_T3_mT4_P12ihipStream_tbEUlT_E1_NS1_11comp_targetILNS1_3genE5ELNS1_11target_archE942ELNS1_3gpuE9ELNS1_3repE0EEENS1_30default_config_static_selectorELNS0_4arch9wavefront6targetE1EEEvSK_,"axG",@progbits,_ZN7rocprim17ROCPRIM_400000_NS6detail17trampoline_kernelINS0_14default_configENS1_22reduce_config_selectorIxEEZNS1_11reduce_implILb1ES3_N6thrust23THRUST_200600_302600_NS17counting_iteratorIxNS8_11hip_rocprim3tagENS8_11use_defaultESC_EEPxxNS8_4plusIxEEEE10hipError_tPvRmT1_T2_T3_mT4_P12ihipStream_tbEUlT_E1_NS1_11comp_targetILNS1_3genE5ELNS1_11target_archE942ELNS1_3gpuE9ELNS1_3repE0EEENS1_30default_config_static_selectorELNS0_4arch9wavefront6targetE1EEEvSK_,comdat
.Lfunc_end1083:
	.size	_ZN7rocprim17ROCPRIM_400000_NS6detail17trampoline_kernelINS0_14default_configENS1_22reduce_config_selectorIxEEZNS1_11reduce_implILb1ES3_N6thrust23THRUST_200600_302600_NS17counting_iteratorIxNS8_11hip_rocprim3tagENS8_11use_defaultESC_EEPxxNS8_4plusIxEEEE10hipError_tPvRmT1_T2_T3_mT4_P12ihipStream_tbEUlT_E1_NS1_11comp_targetILNS1_3genE5ELNS1_11target_archE942ELNS1_3gpuE9ELNS1_3repE0EEENS1_30default_config_static_selectorELNS0_4arch9wavefront6targetE1EEEvSK_, .Lfunc_end1083-_ZN7rocprim17ROCPRIM_400000_NS6detail17trampoline_kernelINS0_14default_configENS1_22reduce_config_selectorIxEEZNS1_11reduce_implILb1ES3_N6thrust23THRUST_200600_302600_NS17counting_iteratorIxNS8_11hip_rocprim3tagENS8_11use_defaultESC_EEPxxNS8_4plusIxEEEE10hipError_tPvRmT1_T2_T3_mT4_P12ihipStream_tbEUlT_E1_NS1_11comp_targetILNS1_3genE5ELNS1_11target_archE942ELNS1_3gpuE9ELNS1_3repE0EEENS1_30default_config_static_selectorELNS0_4arch9wavefront6targetE1EEEvSK_
                                        ; -- End function
	.set _ZN7rocprim17ROCPRIM_400000_NS6detail17trampoline_kernelINS0_14default_configENS1_22reduce_config_selectorIxEEZNS1_11reduce_implILb1ES3_N6thrust23THRUST_200600_302600_NS17counting_iteratorIxNS8_11hip_rocprim3tagENS8_11use_defaultESC_EEPxxNS8_4plusIxEEEE10hipError_tPvRmT1_T2_T3_mT4_P12ihipStream_tbEUlT_E1_NS1_11comp_targetILNS1_3genE5ELNS1_11target_archE942ELNS1_3gpuE9ELNS1_3repE0EEENS1_30default_config_static_selectorELNS0_4arch9wavefront6targetE1EEEvSK_.num_vgpr, 0
	.set _ZN7rocprim17ROCPRIM_400000_NS6detail17trampoline_kernelINS0_14default_configENS1_22reduce_config_selectorIxEEZNS1_11reduce_implILb1ES3_N6thrust23THRUST_200600_302600_NS17counting_iteratorIxNS8_11hip_rocprim3tagENS8_11use_defaultESC_EEPxxNS8_4plusIxEEEE10hipError_tPvRmT1_T2_T3_mT4_P12ihipStream_tbEUlT_E1_NS1_11comp_targetILNS1_3genE5ELNS1_11target_archE942ELNS1_3gpuE9ELNS1_3repE0EEENS1_30default_config_static_selectorELNS0_4arch9wavefront6targetE1EEEvSK_.num_agpr, 0
	.set _ZN7rocprim17ROCPRIM_400000_NS6detail17trampoline_kernelINS0_14default_configENS1_22reduce_config_selectorIxEEZNS1_11reduce_implILb1ES3_N6thrust23THRUST_200600_302600_NS17counting_iteratorIxNS8_11hip_rocprim3tagENS8_11use_defaultESC_EEPxxNS8_4plusIxEEEE10hipError_tPvRmT1_T2_T3_mT4_P12ihipStream_tbEUlT_E1_NS1_11comp_targetILNS1_3genE5ELNS1_11target_archE942ELNS1_3gpuE9ELNS1_3repE0EEENS1_30default_config_static_selectorELNS0_4arch9wavefront6targetE1EEEvSK_.numbered_sgpr, 0
	.set _ZN7rocprim17ROCPRIM_400000_NS6detail17trampoline_kernelINS0_14default_configENS1_22reduce_config_selectorIxEEZNS1_11reduce_implILb1ES3_N6thrust23THRUST_200600_302600_NS17counting_iteratorIxNS8_11hip_rocprim3tagENS8_11use_defaultESC_EEPxxNS8_4plusIxEEEE10hipError_tPvRmT1_T2_T3_mT4_P12ihipStream_tbEUlT_E1_NS1_11comp_targetILNS1_3genE5ELNS1_11target_archE942ELNS1_3gpuE9ELNS1_3repE0EEENS1_30default_config_static_selectorELNS0_4arch9wavefront6targetE1EEEvSK_.num_named_barrier, 0
	.set _ZN7rocprim17ROCPRIM_400000_NS6detail17trampoline_kernelINS0_14default_configENS1_22reduce_config_selectorIxEEZNS1_11reduce_implILb1ES3_N6thrust23THRUST_200600_302600_NS17counting_iteratorIxNS8_11hip_rocprim3tagENS8_11use_defaultESC_EEPxxNS8_4plusIxEEEE10hipError_tPvRmT1_T2_T3_mT4_P12ihipStream_tbEUlT_E1_NS1_11comp_targetILNS1_3genE5ELNS1_11target_archE942ELNS1_3gpuE9ELNS1_3repE0EEENS1_30default_config_static_selectorELNS0_4arch9wavefront6targetE1EEEvSK_.private_seg_size, 0
	.set _ZN7rocprim17ROCPRIM_400000_NS6detail17trampoline_kernelINS0_14default_configENS1_22reduce_config_selectorIxEEZNS1_11reduce_implILb1ES3_N6thrust23THRUST_200600_302600_NS17counting_iteratorIxNS8_11hip_rocprim3tagENS8_11use_defaultESC_EEPxxNS8_4plusIxEEEE10hipError_tPvRmT1_T2_T3_mT4_P12ihipStream_tbEUlT_E1_NS1_11comp_targetILNS1_3genE5ELNS1_11target_archE942ELNS1_3gpuE9ELNS1_3repE0EEENS1_30default_config_static_selectorELNS0_4arch9wavefront6targetE1EEEvSK_.uses_vcc, 0
	.set _ZN7rocprim17ROCPRIM_400000_NS6detail17trampoline_kernelINS0_14default_configENS1_22reduce_config_selectorIxEEZNS1_11reduce_implILb1ES3_N6thrust23THRUST_200600_302600_NS17counting_iteratorIxNS8_11hip_rocprim3tagENS8_11use_defaultESC_EEPxxNS8_4plusIxEEEE10hipError_tPvRmT1_T2_T3_mT4_P12ihipStream_tbEUlT_E1_NS1_11comp_targetILNS1_3genE5ELNS1_11target_archE942ELNS1_3gpuE9ELNS1_3repE0EEENS1_30default_config_static_selectorELNS0_4arch9wavefront6targetE1EEEvSK_.uses_flat_scratch, 0
	.set _ZN7rocprim17ROCPRIM_400000_NS6detail17trampoline_kernelINS0_14default_configENS1_22reduce_config_selectorIxEEZNS1_11reduce_implILb1ES3_N6thrust23THRUST_200600_302600_NS17counting_iteratorIxNS8_11hip_rocprim3tagENS8_11use_defaultESC_EEPxxNS8_4plusIxEEEE10hipError_tPvRmT1_T2_T3_mT4_P12ihipStream_tbEUlT_E1_NS1_11comp_targetILNS1_3genE5ELNS1_11target_archE942ELNS1_3gpuE9ELNS1_3repE0EEENS1_30default_config_static_selectorELNS0_4arch9wavefront6targetE1EEEvSK_.has_dyn_sized_stack, 0
	.set _ZN7rocprim17ROCPRIM_400000_NS6detail17trampoline_kernelINS0_14default_configENS1_22reduce_config_selectorIxEEZNS1_11reduce_implILb1ES3_N6thrust23THRUST_200600_302600_NS17counting_iteratorIxNS8_11hip_rocprim3tagENS8_11use_defaultESC_EEPxxNS8_4plusIxEEEE10hipError_tPvRmT1_T2_T3_mT4_P12ihipStream_tbEUlT_E1_NS1_11comp_targetILNS1_3genE5ELNS1_11target_archE942ELNS1_3gpuE9ELNS1_3repE0EEENS1_30default_config_static_selectorELNS0_4arch9wavefront6targetE1EEEvSK_.has_recursion, 0
	.set _ZN7rocprim17ROCPRIM_400000_NS6detail17trampoline_kernelINS0_14default_configENS1_22reduce_config_selectorIxEEZNS1_11reduce_implILb1ES3_N6thrust23THRUST_200600_302600_NS17counting_iteratorIxNS8_11hip_rocprim3tagENS8_11use_defaultESC_EEPxxNS8_4plusIxEEEE10hipError_tPvRmT1_T2_T3_mT4_P12ihipStream_tbEUlT_E1_NS1_11comp_targetILNS1_3genE5ELNS1_11target_archE942ELNS1_3gpuE9ELNS1_3repE0EEENS1_30default_config_static_selectorELNS0_4arch9wavefront6targetE1EEEvSK_.has_indirect_call, 0
	.section	.AMDGPU.csdata,"",@progbits
; Kernel info:
; codeLenInByte = 0
; TotalNumSgprs: 6
; NumVgprs: 0
; NumAgprs: 0
; TotalNumVgprs: 0
; ScratchSize: 0
; MemoryBound: 0
; FloatMode: 240
; IeeeMode: 1
; LDSByteSize: 0 bytes/workgroup (compile time only)
; SGPRBlocks: 0
; VGPRBlocks: 0
; NumSGPRsForWavesPerEU: 6
; NumVGPRsForWavesPerEU: 1
; AccumOffset: 4
; Occupancy: 8
; WaveLimiterHint : 0
; COMPUTE_PGM_RSRC2:SCRATCH_EN: 0
; COMPUTE_PGM_RSRC2:USER_SGPR: 2
; COMPUTE_PGM_RSRC2:TRAP_HANDLER: 0
; COMPUTE_PGM_RSRC2:TGID_X_EN: 1
; COMPUTE_PGM_RSRC2:TGID_Y_EN: 0
; COMPUTE_PGM_RSRC2:TGID_Z_EN: 0
; COMPUTE_PGM_RSRC2:TIDIG_COMP_CNT: 0
; COMPUTE_PGM_RSRC3_GFX90A:ACCUM_OFFSET: 0
; COMPUTE_PGM_RSRC3_GFX90A:TG_SPLIT: 0
	.section	.text._ZN7rocprim17ROCPRIM_400000_NS6detail17trampoline_kernelINS0_14default_configENS1_22reduce_config_selectorIxEEZNS1_11reduce_implILb1ES3_N6thrust23THRUST_200600_302600_NS17counting_iteratorIxNS8_11hip_rocprim3tagENS8_11use_defaultESC_EEPxxNS8_4plusIxEEEE10hipError_tPvRmT1_T2_T3_mT4_P12ihipStream_tbEUlT_E1_NS1_11comp_targetILNS1_3genE4ELNS1_11target_archE910ELNS1_3gpuE8ELNS1_3repE0EEENS1_30default_config_static_selectorELNS0_4arch9wavefront6targetE1EEEvSK_,"axG",@progbits,_ZN7rocprim17ROCPRIM_400000_NS6detail17trampoline_kernelINS0_14default_configENS1_22reduce_config_selectorIxEEZNS1_11reduce_implILb1ES3_N6thrust23THRUST_200600_302600_NS17counting_iteratorIxNS8_11hip_rocprim3tagENS8_11use_defaultESC_EEPxxNS8_4plusIxEEEE10hipError_tPvRmT1_T2_T3_mT4_P12ihipStream_tbEUlT_E1_NS1_11comp_targetILNS1_3genE4ELNS1_11target_archE910ELNS1_3gpuE8ELNS1_3repE0EEENS1_30default_config_static_selectorELNS0_4arch9wavefront6targetE1EEEvSK_,comdat
	.protected	_ZN7rocprim17ROCPRIM_400000_NS6detail17trampoline_kernelINS0_14default_configENS1_22reduce_config_selectorIxEEZNS1_11reduce_implILb1ES3_N6thrust23THRUST_200600_302600_NS17counting_iteratorIxNS8_11hip_rocprim3tagENS8_11use_defaultESC_EEPxxNS8_4plusIxEEEE10hipError_tPvRmT1_T2_T3_mT4_P12ihipStream_tbEUlT_E1_NS1_11comp_targetILNS1_3genE4ELNS1_11target_archE910ELNS1_3gpuE8ELNS1_3repE0EEENS1_30default_config_static_selectorELNS0_4arch9wavefront6targetE1EEEvSK_ ; -- Begin function _ZN7rocprim17ROCPRIM_400000_NS6detail17trampoline_kernelINS0_14default_configENS1_22reduce_config_selectorIxEEZNS1_11reduce_implILb1ES3_N6thrust23THRUST_200600_302600_NS17counting_iteratorIxNS8_11hip_rocprim3tagENS8_11use_defaultESC_EEPxxNS8_4plusIxEEEE10hipError_tPvRmT1_T2_T3_mT4_P12ihipStream_tbEUlT_E1_NS1_11comp_targetILNS1_3genE4ELNS1_11target_archE910ELNS1_3gpuE8ELNS1_3repE0EEENS1_30default_config_static_selectorELNS0_4arch9wavefront6targetE1EEEvSK_
	.globl	_ZN7rocprim17ROCPRIM_400000_NS6detail17trampoline_kernelINS0_14default_configENS1_22reduce_config_selectorIxEEZNS1_11reduce_implILb1ES3_N6thrust23THRUST_200600_302600_NS17counting_iteratorIxNS8_11hip_rocprim3tagENS8_11use_defaultESC_EEPxxNS8_4plusIxEEEE10hipError_tPvRmT1_T2_T3_mT4_P12ihipStream_tbEUlT_E1_NS1_11comp_targetILNS1_3genE4ELNS1_11target_archE910ELNS1_3gpuE8ELNS1_3repE0EEENS1_30default_config_static_selectorELNS0_4arch9wavefront6targetE1EEEvSK_
	.p2align	8
	.type	_ZN7rocprim17ROCPRIM_400000_NS6detail17trampoline_kernelINS0_14default_configENS1_22reduce_config_selectorIxEEZNS1_11reduce_implILb1ES3_N6thrust23THRUST_200600_302600_NS17counting_iteratorIxNS8_11hip_rocprim3tagENS8_11use_defaultESC_EEPxxNS8_4plusIxEEEE10hipError_tPvRmT1_T2_T3_mT4_P12ihipStream_tbEUlT_E1_NS1_11comp_targetILNS1_3genE4ELNS1_11target_archE910ELNS1_3gpuE8ELNS1_3repE0EEENS1_30default_config_static_selectorELNS0_4arch9wavefront6targetE1EEEvSK_,@function
_ZN7rocprim17ROCPRIM_400000_NS6detail17trampoline_kernelINS0_14default_configENS1_22reduce_config_selectorIxEEZNS1_11reduce_implILb1ES3_N6thrust23THRUST_200600_302600_NS17counting_iteratorIxNS8_11hip_rocprim3tagENS8_11use_defaultESC_EEPxxNS8_4plusIxEEEE10hipError_tPvRmT1_T2_T3_mT4_P12ihipStream_tbEUlT_E1_NS1_11comp_targetILNS1_3genE4ELNS1_11target_archE910ELNS1_3gpuE8ELNS1_3repE0EEENS1_30default_config_static_selectorELNS0_4arch9wavefront6targetE1EEEvSK_: ; @_ZN7rocprim17ROCPRIM_400000_NS6detail17trampoline_kernelINS0_14default_configENS1_22reduce_config_selectorIxEEZNS1_11reduce_implILb1ES3_N6thrust23THRUST_200600_302600_NS17counting_iteratorIxNS8_11hip_rocprim3tagENS8_11use_defaultESC_EEPxxNS8_4plusIxEEEE10hipError_tPvRmT1_T2_T3_mT4_P12ihipStream_tbEUlT_E1_NS1_11comp_targetILNS1_3genE4ELNS1_11target_archE910ELNS1_3gpuE8ELNS1_3repE0EEENS1_30default_config_static_selectorELNS0_4arch9wavefront6targetE1EEEvSK_
; %bb.0:
	.section	.rodata,"a",@progbits
	.p2align	6, 0x0
	.amdhsa_kernel _ZN7rocprim17ROCPRIM_400000_NS6detail17trampoline_kernelINS0_14default_configENS1_22reduce_config_selectorIxEEZNS1_11reduce_implILb1ES3_N6thrust23THRUST_200600_302600_NS17counting_iteratorIxNS8_11hip_rocprim3tagENS8_11use_defaultESC_EEPxxNS8_4plusIxEEEE10hipError_tPvRmT1_T2_T3_mT4_P12ihipStream_tbEUlT_E1_NS1_11comp_targetILNS1_3genE4ELNS1_11target_archE910ELNS1_3gpuE8ELNS1_3repE0EEENS1_30default_config_static_selectorELNS0_4arch9wavefront6targetE1EEEvSK_
		.amdhsa_group_segment_fixed_size 0
		.amdhsa_private_segment_fixed_size 0
		.amdhsa_kernarg_size 48
		.amdhsa_user_sgpr_count 2
		.amdhsa_user_sgpr_dispatch_ptr 0
		.amdhsa_user_sgpr_queue_ptr 0
		.amdhsa_user_sgpr_kernarg_segment_ptr 1
		.amdhsa_user_sgpr_dispatch_id 0
		.amdhsa_user_sgpr_kernarg_preload_length 0
		.amdhsa_user_sgpr_kernarg_preload_offset 0
		.amdhsa_user_sgpr_private_segment_size 0
		.amdhsa_uses_dynamic_stack 0
		.amdhsa_enable_private_segment 0
		.amdhsa_system_sgpr_workgroup_id_x 1
		.amdhsa_system_sgpr_workgroup_id_y 0
		.amdhsa_system_sgpr_workgroup_id_z 0
		.amdhsa_system_sgpr_workgroup_info 0
		.amdhsa_system_vgpr_workitem_id 0
		.amdhsa_next_free_vgpr 1
		.amdhsa_next_free_sgpr 0
		.amdhsa_accum_offset 4
		.amdhsa_reserve_vcc 0
		.amdhsa_float_round_mode_32 0
		.amdhsa_float_round_mode_16_64 0
		.amdhsa_float_denorm_mode_32 3
		.amdhsa_float_denorm_mode_16_64 3
		.amdhsa_dx10_clamp 1
		.amdhsa_ieee_mode 1
		.amdhsa_fp16_overflow 0
		.amdhsa_tg_split 0
		.amdhsa_exception_fp_ieee_invalid_op 0
		.amdhsa_exception_fp_denorm_src 0
		.amdhsa_exception_fp_ieee_div_zero 0
		.amdhsa_exception_fp_ieee_overflow 0
		.amdhsa_exception_fp_ieee_underflow 0
		.amdhsa_exception_fp_ieee_inexact 0
		.amdhsa_exception_int_div_zero 0
	.end_amdhsa_kernel
	.section	.text._ZN7rocprim17ROCPRIM_400000_NS6detail17trampoline_kernelINS0_14default_configENS1_22reduce_config_selectorIxEEZNS1_11reduce_implILb1ES3_N6thrust23THRUST_200600_302600_NS17counting_iteratorIxNS8_11hip_rocprim3tagENS8_11use_defaultESC_EEPxxNS8_4plusIxEEEE10hipError_tPvRmT1_T2_T3_mT4_P12ihipStream_tbEUlT_E1_NS1_11comp_targetILNS1_3genE4ELNS1_11target_archE910ELNS1_3gpuE8ELNS1_3repE0EEENS1_30default_config_static_selectorELNS0_4arch9wavefront6targetE1EEEvSK_,"axG",@progbits,_ZN7rocprim17ROCPRIM_400000_NS6detail17trampoline_kernelINS0_14default_configENS1_22reduce_config_selectorIxEEZNS1_11reduce_implILb1ES3_N6thrust23THRUST_200600_302600_NS17counting_iteratorIxNS8_11hip_rocprim3tagENS8_11use_defaultESC_EEPxxNS8_4plusIxEEEE10hipError_tPvRmT1_T2_T3_mT4_P12ihipStream_tbEUlT_E1_NS1_11comp_targetILNS1_3genE4ELNS1_11target_archE910ELNS1_3gpuE8ELNS1_3repE0EEENS1_30default_config_static_selectorELNS0_4arch9wavefront6targetE1EEEvSK_,comdat
.Lfunc_end1084:
	.size	_ZN7rocprim17ROCPRIM_400000_NS6detail17trampoline_kernelINS0_14default_configENS1_22reduce_config_selectorIxEEZNS1_11reduce_implILb1ES3_N6thrust23THRUST_200600_302600_NS17counting_iteratorIxNS8_11hip_rocprim3tagENS8_11use_defaultESC_EEPxxNS8_4plusIxEEEE10hipError_tPvRmT1_T2_T3_mT4_P12ihipStream_tbEUlT_E1_NS1_11comp_targetILNS1_3genE4ELNS1_11target_archE910ELNS1_3gpuE8ELNS1_3repE0EEENS1_30default_config_static_selectorELNS0_4arch9wavefront6targetE1EEEvSK_, .Lfunc_end1084-_ZN7rocprim17ROCPRIM_400000_NS6detail17trampoline_kernelINS0_14default_configENS1_22reduce_config_selectorIxEEZNS1_11reduce_implILb1ES3_N6thrust23THRUST_200600_302600_NS17counting_iteratorIxNS8_11hip_rocprim3tagENS8_11use_defaultESC_EEPxxNS8_4plusIxEEEE10hipError_tPvRmT1_T2_T3_mT4_P12ihipStream_tbEUlT_E1_NS1_11comp_targetILNS1_3genE4ELNS1_11target_archE910ELNS1_3gpuE8ELNS1_3repE0EEENS1_30default_config_static_selectorELNS0_4arch9wavefront6targetE1EEEvSK_
                                        ; -- End function
	.set _ZN7rocprim17ROCPRIM_400000_NS6detail17trampoline_kernelINS0_14default_configENS1_22reduce_config_selectorIxEEZNS1_11reduce_implILb1ES3_N6thrust23THRUST_200600_302600_NS17counting_iteratorIxNS8_11hip_rocprim3tagENS8_11use_defaultESC_EEPxxNS8_4plusIxEEEE10hipError_tPvRmT1_T2_T3_mT4_P12ihipStream_tbEUlT_E1_NS1_11comp_targetILNS1_3genE4ELNS1_11target_archE910ELNS1_3gpuE8ELNS1_3repE0EEENS1_30default_config_static_selectorELNS0_4arch9wavefront6targetE1EEEvSK_.num_vgpr, 0
	.set _ZN7rocprim17ROCPRIM_400000_NS6detail17trampoline_kernelINS0_14default_configENS1_22reduce_config_selectorIxEEZNS1_11reduce_implILb1ES3_N6thrust23THRUST_200600_302600_NS17counting_iteratorIxNS8_11hip_rocprim3tagENS8_11use_defaultESC_EEPxxNS8_4plusIxEEEE10hipError_tPvRmT1_T2_T3_mT4_P12ihipStream_tbEUlT_E1_NS1_11comp_targetILNS1_3genE4ELNS1_11target_archE910ELNS1_3gpuE8ELNS1_3repE0EEENS1_30default_config_static_selectorELNS0_4arch9wavefront6targetE1EEEvSK_.num_agpr, 0
	.set _ZN7rocprim17ROCPRIM_400000_NS6detail17trampoline_kernelINS0_14default_configENS1_22reduce_config_selectorIxEEZNS1_11reduce_implILb1ES3_N6thrust23THRUST_200600_302600_NS17counting_iteratorIxNS8_11hip_rocprim3tagENS8_11use_defaultESC_EEPxxNS8_4plusIxEEEE10hipError_tPvRmT1_T2_T3_mT4_P12ihipStream_tbEUlT_E1_NS1_11comp_targetILNS1_3genE4ELNS1_11target_archE910ELNS1_3gpuE8ELNS1_3repE0EEENS1_30default_config_static_selectorELNS0_4arch9wavefront6targetE1EEEvSK_.numbered_sgpr, 0
	.set _ZN7rocprim17ROCPRIM_400000_NS6detail17trampoline_kernelINS0_14default_configENS1_22reduce_config_selectorIxEEZNS1_11reduce_implILb1ES3_N6thrust23THRUST_200600_302600_NS17counting_iteratorIxNS8_11hip_rocprim3tagENS8_11use_defaultESC_EEPxxNS8_4plusIxEEEE10hipError_tPvRmT1_T2_T3_mT4_P12ihipStream_tbEUlT_E1_NS1_11comp_targetILNS1_3genE4ELNS1_11target_archE910ELNS1_3gpuE8ELNS1_3repE0EEENS1_30default_config_static_selectorELNS0_4arch9wavefront6targetE1EEEvSK_.num_named_barrier, 0
	.set _ZN7rocprim17ROCPRIM_400000_NS6detail17trampoline_kernelINS0_14default_configENS1_22reduce_config_selectorIxEEZNS1_11reduce_implILb1ES3_N6thrust23THRUST_200600_302600_NS17counting_iteratorIxNS8_11hip_rocprim3tagENS8_11use_defaultESC_EEPxxNS8_4plusIxEEEE10hipError_tPvRmT1_T2_T3_mT4_P12ihipStream_tbEUlT_E1_NS1_11comp_targetILNS1_3genE4ELNS1_11target_archE910ELNS1_3gpuE8ELNS1_3repE0EEENS1_30default_config_static_selectorELNS0_4arch9wavefront6targetE1EEEvSK_.private_seg_size, 0
	.set _ZN7rocprim17ROCPRIM_400000_NS6detail17trampoline_kernelINS0_14default_configENS1_22reduce_config_selectorIxEEZNS1_11reduce_implILb1ES3_N6thrust23THRUST_200600_302600_NS17counting_iteratorIxNS8_11hip_rocprim3tagENS8_11use_defaultESC_EEPxxNS8_4plusIxEEEE10hipError_tPvRmT1_T2_T3_mT4_P12ihipStream_tbEUlT_E1_NS1_11comp_targetILNS1_3genE4ELNS1_11target_archE910ELNS1_3gpuE8ELNS1_3repE0EEENS1_30default_config_static_selectorELNS0_4arch9wavefront6targetE1EEEvSK_.uses_vcc, 0
	.set _ZN7rocprim17ROCPRIM_400000_NS6detail17trampoline_kernelINS0_14default_configENS1_22reduce_config_selectorIxEEZNS1_11reduce_implILb1ES3_N6thrust23THRUST_200600_302600_NS17counting_iteratorIxNS8_11hip_rocprim3tagENS8_11use_defaultESC_EEPxxNS8_4plusIxEEEE10hipError_tPvRmT1_T2_T3_mT4_P12ihipStream_tbEUlT_E1_NS1_11comp_targetILNS1_3genE4ELNS1_11target_archE910ELNS1_3gpuE8ELNS1_3repE0EEENS1_30default_config_static_selectorELNS0_4arch9wavefront6targetE1EEEvSK_.uses_flat_scratch, 0
	.set _ZN7rocprim17ROCPRIM_400000_NS6detail17trampoline_kernelINS0_14default_configENS1_22reduce_config_selectorIxEEZNS1_11reduce_implILb1ES3_N6thrust23THRUST_200600_302600_NS17counting_iteratorIxNS8_11hip_rocprim3tagENS8_11use_defaultESC_EEPxxNS8_4plusIxEEEE10hipError_tPvRmT1_T2_T3_mT4_P12ihipStream_tbEUlT_E1_NS1_11comp_targetILNS1_3genE4ELNS1_11target_archE910ELNS1_3gpuE8ELNS1_3repE0EEENS1_30default_config_static_selectorELNS0_4arch9wavefront6targetE1EEEvSK_.has_dyn_sized_stack, 0
	.set _ZN7rocprim17ROCPRIM_400000_NS6detail17trampoline_kernelINS0_14default_configENS1_22reduce_config_selectorIxEEZNS1_11reduce_implILb1ES3_N6thrust23THRUST_200600_302600_NS17counting_iteratorIxNS8_11hip_rocprim3tagENS8_11use_defaultESC_EEPxxNS8_4plusIxEEEE10hipError_tPvRmT1_T2_T3_mT4_P12ihipStream_tbEUlT_E1_NS1_11comp_targetILNS1_3genE4ELNS1_11target_archE910ELNS1_3gpuE8ELNS1_3repE0EEENS1_30default_config_static_selectorELNS0_4arch9wavefront6targetE1EEEvSK_.has_recursion, 0
	.set _ZN7rocprim17ROCPRIM_400000_NS6detail17trampoline_kernelINS0_14default_configENS1_22reduce_config_selectorIxEEZNS1_11reduce_implILb1ES3_N6thrust23THRUST_200600_302600_NS17counting_iteratorIxNS8_11hip_rocprim3tagENS8_11use_defaultESC_EEPxxNS8_4plusIxEEEE10hipError_tPvRmT1_T2_T3_mT4_P12ihipStream_tbEUlT_E1_NS1_11comp_targetILNS1_3genE4ELNS1_11target_archE910ELNS1_3gpuE8ELNS1_3repE0EEENS1_30default_config_static_selectorELNS0_4arch9wavefront6targetE1EEEvSK_.has_indirect_call, 0
	.section	.AMDGPU.csdata,"",@progbits
; Kernel info:
; codeLenInByte = 0
; TotalNumSgprs: 6
; NumVgprs: 0
; NumAgprs: 0
; TotalNumVgprs: 0
; ScratchSize: 0
; MemoryBound: 0
; FloatMode: 240
; IeeeMode: 1
; LDSByteSize: 0 bytes/workgroup (compile time only)
; SGPRBlocks: 0
; VGPRBlocks: 0
; NumSGPRsForWavesPerEU: 6
; NumVGPRsForWavesPerEU: 1
; AccumOffset: 4
; Occupancy: 8
; WaveLimiterHint : 0
; COMPUTE_PGM_RSRC2:SCRATCH_EN: 0
; COMPUTE_PGM_RSRC2:USER_SGPR: 2
; COMPUTE_PGM_RSRC2:TRAP_HANDLER: 0
; COMPUTE_PGM_RSRC2:TGID_X_EN: 1
; COMPUTE_PGM_RSRC2:TGID_Y_EN: 0
; COMPUTE_PGM_RSRC2:TGID_Z_EN: 0
; COMPUTE_PGM_RSRC2:TIDIG_COMP_CNT: 0
; COMPUTE_PGM_RSRC3_GFX90A:ACCUM_OFFSET: 0
; COMPUTE_PGM_RSRC3_GFX90A:TG_SPLIT: 0
	.section	.text._ZN7rocprim17ROCPRIM_400000_NS6detail17trampoline_kernelINS0_14default_configENS1_22reduce_config_selectorIxEEZNS1_11reduce_implILb1ES3_N6thrust23THRUST_200600_302600_NS17counting_iteratorIxNS8_11hip_rocprim3tagENS8_11use_defaultESC_EEPxxNS8_4plusIxEEEE10hipError_tPvRmT1_T2_T3_mT4_P12ihipStream_tbEUlT_E1_NS1_11comp_targetILNS1_3genE3ELNS1_11target_archE908ELNS1_3gpuE7ELNS1_3repE0EEENS1_30default_config_static_selectorELNS0_4arch9wavefront6targetE1EEEvSK_,"axG",@progbits,_ZN7rocprim17ROCPRIM_400000_NS6detail17trampoline_kernelINS0_14default_configENS1_22reduce_config_selectorIxEEZNS1_11reduce_implILb1ES3_N6thrust23THRUST_200600_302600_NS17counting_iteratorIxNS8_11hip_rocprim3tagENS8_11use_defaultESC_EEPxxNS8_4plusIxEEEE10hipError_tPvRmT1_T2_T3_mT4_P12ihipStream_tbEUlT_E1_NS1_11comp_targetILNS1_3genE3ELNS1_11target_archE908ELNS1_3gpuE7ELNS1_3repE0EEENS1_30default_config_static_selectorELNS0_4arch9wavefront6targetE1EEEvSK_,comdat
	.protected	_ZN7rocprim17ROCPRIM_400000_NS6detail17trampoline_kernelINS0_14default_configENS1_22reduce_config_selectorIxEEZNS1_11reduce_implILb1ES3_N6thrust23THRUST_200600_302600_NS17counting_iteratorIxNS8_11hip_rocprim3tagENS8_11use_defaultESC_EEPxxNS8_4plusIxEEEE10hipError_tPvRmT1_T2_T3_mT4_P12ihipStream_tbEUlT_E1_NS1_11comp_targetILNS1_3genE3ELNS1_11target_archE908ELNS1_3gpuE7ELNS1_3repE0EEENS1_30default_config_static_selectorELNS0_4arch9wavefront6targetE1EEEvSK_ ; -- Begin function _ZN7rocprim17ROCPRIM_400000_NS6detail17trampoline_kernelINS0_14default_configENS1_22reduce_config_selectorIxEEZNS1_11reduce_implILb1ES3_N6thrust23THRUST_200600_302600_NS17counting_iteratorIxNS8_11hip_rocprim3tagENS8_11use_defaultESC_EEPxxNS8_4plusIxEEEE10hipError_tPvRmT1_T2_T3_mT4_P12ihipStream_tbEUlT_E1_NS1_11comp_targetILNS1_3genE3ELNS1_11target_archE908ELNS1_3gpuE7ELNS1_3repE0EEENS1_30default_config_static_selectorELNS0_4arch9wavefront6targetE1EEEvSK_
	.globl	_ZN7rocprim17ROCPRIM_400000_NS6detail17trampoline_kernelINS0_14default_configENS1_22reduce_config_selectorIxEEZNS1_11reduce_implILb1ES3_N6thrust23THRUST_200600_302600_NS17counting_iteratorIxNS8_11hip_rocprim3tagENS8_11use_defaultESC_EEPxxNS8_4plusIxEEEE10hipError_tPvRmT1_T2_T3_mT4_P12ihipStream_tbEUlT_E1_NS1_11comp_targetILNS1_3genE3ELNS1_11target_archE908ELNS1_3gpuE7ELNS1_3repE0EEENS1_30default_config_static_selectorELNS0_4arch9wavefront6targetE1EEEvSK_
	.p2align	8
	.type	_ZN7rocprim17ROCPRIM_400000_NS6detail17trampoline_kernelINS0_14default_configENS1_22reduce_config_selectorIxEEZNS1_11reduce_implILb1ES3_N6thrust23THRUST_200600_302600_NS17counting_iteratorIxNS8_11hip_rocprim3tagENS8_11use_defaultESC_EEPxxNS8_4plusIxEEEE10hipError_tPvRmT1_T2_T3_mT4_P12ihipStream_tbEUlT_E1_NS1_11comp_targetILNS1_3genE3ELNS1_11target_archE908ELNS1_3gpuE7ELNS1_3repE0EEENS1_30default_config_static_selectorELNS0_4arch9wavefront6targetE1EEEvSK_,@function
_ZN7rocprim17ROCPRIM_400000_NS6detail17trampoline_kernelINS0_14default_configENS1_22reduce_config_selectorIxEEZNS1_11reduce_implILb1ES3_N6thrust23THRUST_200600_302600_NS17counting_iteratorIxNS8_11hip_rocprim3tagENS8_11use_defaultESC_EEPxxNS8_4plusIxEEEE10hipError_tPvRmT1_T2_T3_mT4_P12ihipStream_tbEUlT_E1_NS1_11comp_targetILNS1_3genE3ELNS1_11target_archE908ELNS1_3gpuE7ELNS1_3repE0EEENS1_30default_config_static_selectorELNS0_4arch9wavefront6targetE1EEEvSK_: ; @_ZN7rocprim17ROCPRIM_400000_NS6detail17trampoline_kernelINS0_14default_configENS1_22reduce_config_selectorIxEEZNS1_11reduce_implILb1ES3_N6thrust23THRUST_200600_302600_NS17counting_iteratorIxNS8_11hip_rocprim3tagENS8_11use_defaultESC_EEPxxNS8_4plusIxEEEE10hipError_tPvRmT1_T2_T3_mT4_P12ihipStream_tbEUlT_E1_NS1_11comp_targetILNS1_3genE3ELNS1_11target_archE908ELNS1_3gpuE7ELNS1_3repE0EEENS1_30default_config_static_selectorELNS0_4arch9wavefront6targetE1EEEvSK_
; %bb.0:
	.section	.rodata,"a",@progbits
	.p2align	6, 0x0
	.amdhsa_kernel _ZN7rocprim17ROCPRIM_400000_NS6detail17trampoline_kernelINS0_14default_configENS1_22reduce_config_selectorIxEEZNS1_11reduce_implILb1ES3_N6thrust23THRUST_200600_302600_NS17counting_iteratorIxNS8_11hip_rocprim3tagENS8_11use_defaultESC_EEPxxNS8_4plusIxEEEE10hipError_tPvRmT1_T2_T3_mT4_P12ihipStream_tbEUlT_E1_NS1_11comp_targetILNS1_3genE3ELNS1_11target_archE908ELNS1_3gpuE7ELNS1_3repE0EEENS1_30default_config_static_selectorELNS0_4arch9wavefront6targetE1EEEvSK_
		.amdhsa_group_segment_fixed_size 0
		.amdhsa_private_segment_fixed_size 0
		.amdhsa_kernarg_size 48
		.amdhsa_user_sgpr_count 2
		.amdhsa_user_sgpr_dispatch_ptr 0
		.amdhsa_user_sgpr_queue_ptr 0
		.amdhsa_user_sgpr_kernarg_segment_ptr 1
		.amdhsa_user_sgpr_dispatch_id 0
		.amdhsa_user_sgpr_kernarg_preload_length 0
		.amdhsa_user_sgpr_kernarg_preload_offset 0
		.amdhsa_user_sgpr_private_segment_size 0
		.amdhsa_uses_dynamic_stack 0
		.amdhsa_enable_private_segment 0
		.amdhsa_system_sgpr_workgroup_id_x 1
		.amdhsa_system_sgpr_workgroup_id_y 0
		.amdhsa_system_sgpr_workgroup_id_z 0
		.amdhsa_system_sgpr_workgroup_info 0
		.amdhsa_system_vgpr_workitem_id 0
		.amdhsa_next_free_vgpr 1
		.amdhsa_next_free_sgpr 0
		.amdhsa_accum_offset 4
		.amdhsa_reserve_vcc 0
		.amdhsa_float_round_mode_32 0
		.amdhsa_float_round_mode_16_64 0
		.amdhsa_float_denorm_mode_32 3
		.amdhsa_float_denorm_mode_16_64 3
		.amdhsa_dx10_clamp 1
		.amdhsa_ieee_mode 1
		.amdhsa_fp16_overflow 0
		.amdhsa_tg_split 0
		.amdhsa_exception_fp_ieee_invalid_op 0
		.amdhsa_exception_fp_denorm_src 0
		.amdhsa_exception_fp_ieee_div_zero 0
		.amdhsa_exception_fp_ieee_overflow 0
		.amdhsa_exception_fp_ieee_underflow 0
		.amdhsa_exception_fp_ieee_inexact 0
		.amdhsa_exception_int_div_zero 0
	.end_amdhsa_kernel
	.section	.text._ZN7rocprim17ROCPRIM_400000_NS6detail17trampoline_kernelINS0_14default_configENS1_22reduce_config_selectorIxEEZNS1_11reduce_implILb1ES3_N6thrust23THRUST_200600_302600_NS17counting_iteratorIxNS8_11hip_rocprim3tagENS8_11use_defaultESC_EEPxxNS8_4plusIxEEEE10hipError_tPvRmT1_T2_T3_mT4_P12ihipStream_tbEUlT_E1_NS1_11comp_targetILNS1_3genE3ELNS1_11target_archE908ELNS1_3gpuE7ELNS1_3repE0EEENS1_30default_config_static_selectorELNS0_4arch9wavefront6targetE1EEEvSK_,"axG",@progbits,_ZN7rocprim17ROCPRIM_400000_NS6detail17trampoline_kernelINS0_14default_configENS1_22reduce_config_selectorIxEEZNS1_11reduce_implILb1ES3_N6thrust23THRUST_200600_302600_NS17counting_iteratorIxNS8_11hip_rocprim3tagENS8_11use_defaultESC_EEPxxNS8_4plusIxEEEE10hipError_tPvRmT1_T2_T3_mT4_P12ihipStream_tbEUlT_E1_NS1_11comp_targetILNS1_3genE3ELNS1_11target_archE908ELNS1_3gpuE7ELNS1_3repE0EEENS1_30default_config_static_selectorELNS0_4arch9wavefront6targetE1EEEvSK_,comdat
.Lfunc_end1085:
	.size	_ZN7rocprim17ROCPRIM_400000_NS6detail17trampoline_kernelINS0_14default_configENS1_22reduce_config_selectorIxEEZNS1_11reduce_implILb1ES3_N6thrust23THRUST_200600_302600_NS17counting_iteratorIxNS8_11hip_rocprim3tagENS8_11use_defaultESC_EEPxxNS8_4plusIxEEEE10hipError_tPvRmT1_T2_T3_mT4_P12ihipStream_tbEUlT_E1_NS1_11comp_targetILNS1_3genE3ELNS1_11target_archE908ELNS1_3gpuE7ELNS1_3repE0EEENS1_30default_config_static_selectorELNS0_4arch9wavefront6targetE1EEEvSK_, .Lfunc_end1085-_ZN7rocprim17ROCPRIM_400000_NS6detail17trampoline_kernelINS0_14default_configENS1_22reduce_config_selectorIxEEZNS1_11reduce_implILb1ES3_N6thrust23THRUST_200600_302600_NS17counting_iteratorIxNS8_11hip_rocprim3tagENS8_11use_defaultESC_EEPxxNS8_4plusIxEEEE10hipError_tPvRmT1_T2_T3_mT4_P12ihipStream_tbEUlT_E1_NS1_11comp_targetILNS1_3genE3ELNS1_11target_archE908ELNS1_3gpuE7ELNS1_3repE0EEENS1_30default_config_static_selectorELNS0_4arch9wavefront6targetE1EEEvSK_
                                        ; -- End function
	.set _ZN7rocprim17ROCPRIM_400000_NS6detail17trampoline_kernelINS0_14default_configENS1_22reduce_config_selectorIxEEZNS1_11reduce_implILb1ES3_N6thrust23THRUST_200600_302600_NS17counting_iteratorIxNS8_11hip_rocprim3tagENS8_11use_defaultESC_EEPxxNS8_4plusIxEEEE10hipError_tPvRmT1_T2_T3_mT4_P12ihipStream_tbEUlT_E1_NS1_11comp_targetILNS1_3genE3ELNS1_11target_archE908ELNS1_3gpuE7ELNS1_3repE0EEENS1_30default_config_static_selectorELNS0_4arch9wavefront6targetE1EEEvSK_.num_vgpr, 0
	.set _ZN7rocprim17ROCPRIM_400000_NS6detail17trampoline_kernelINS0_14default_configENS1_22reduce_config_selectorIxEEZNS1_11reduce_implILb1ES3_N6thrust23THRUST_200600_302600_NS17counting_iteratorIxNS8_11hip_rocprim3tagENS8_11use_defaultESC_EEPxxNS8_4plusIxEEEE10hipError_tPvRmT1_T2_T3_mT4_P12ihipStream_tbEUlT_E1_NS1_11comp_targetILNS1_3genE3ELNS1_11target_archE908ELNS1_3gpuE7ELNS1_3repE0EEENS1_30default_config_static_selectorELNS0_4arch9wavefront6targetE1EEEvSK_.num_agpr, 0
	.set _ZN7rocprim17ROCPRIM_400000_NS6detail17trampoline_kernelINS0_14default_configENS1_22reduce_config_selectorIxEEZNS1_11reduce_implILb1ES3_N6thrust23THRUST_200600_302600_NS17counting_iteratorIxNS8_11hip_rocprim3tagENS8_11use_defaultESC_EEPxxNS8_4plusIxEEEE10hipError_tPvRmT1_T2_T3_mT4_P12ihipStream_tbEUlT_E1_NS1_11comp_targetILNS1_3genE3ELNS1_11target_archE908ELNS1_3gpuE7ELNS1_3repE0EEENS1_30default_config_static_selectorELNS0_4arch9wavefront6targetE1EEEvSK_.numbered_sgpr, 0
	.set _ZN7rocprim17ROCPRIM_400000_NS6detail17trampoline_kernelINS0_14default_configENS1_22reduce_config_selectorIxEEZNS1_11reduce_implILb1ES3_N6thrust23THRUST_200600_302600_NS17counting_iteratorIxNS8_11hip_rocprim3tagENS8_11use_defaultESC_EEPxxNS8_4plusIxEEEE10hipError_tPvRmT1_T2_T3_mT4_P12ihipStream_tbEUlT_E1_NS1_11comp_targetILNS1_3genE3ELNS1_11target_archE908ELNS1_3gpuE7ELNS1_3repE0EEENS1_30default_config_static_selectorELNS0_4arch9wavefront6targetE1EEEvSK_.num_named_barrier, 0
	.set _ZN7rocprim17ROCPRIM_400000_NS6detail17trampoline_kernelINS0_14default_configENS1_22reduce_config_selectorIxEEZNS1_11reduce_implILb1ES3_N6thrust23THRUST_200600_302600_NS17counting_iteratorIxNS8_11hip_rocprim3tagENS8_11use_defaultESC_EEPxxNS8_4plusIxEEEE10hipError_tPvRmT1_T2_T3_mT4_P12ihipStream_tbEUlT_E1_NS1_11comp_targetILNS1_3genE3ELNS1_11target_archE908ELNS1_3gpuE7ELNS1_3repE0EEENS1_30default_config_static_selectorELNS0_4arch9wavefront6targetE1EEEvSK_.private_seg_size, 0
	.set _ZN7rocprim17ROCPRIM_400000_NS6detail17trampoline_kernelINS0_14default_configENS1_22reduce_config_selectorIxEEZNS1_11reduce_implILb1ES3_N6thrust23THRUST_200600_302600_NS17counting_iteratorIxNS8_11hip_rocprim3tagENS8_11use_defaultESC_EEPxxNS8_4plusIxEEEE10hipError_tPvRmT1_T2_T3_mT4_P12ihipStream_tbEUlT_E1_NS1_11comp_targetILNS1_3genE3ELNS1_11target_archE908ELNS1_3gpuE7ELNS1_3repE0EEENS1_30default_config_static_selectorELNS0_4arch9wavefront6targetE1EEEvSK_.uses_vcc, 0
	.set _ZN7rocprim17ROCPRIM_400000_NS6detail17trampoline_kernelINS0_14default_configENS1_22reduce_config_selectorIxEEZNS1_11reduce_implILb1ES3_N6thrust23THRUST_200600_302600_NS17counting_iteratorIxNS8_11hip_rocprim3tagENS8_11use_defaultESC_EEPxxNS8_4plusIxEEEE10hipError_tPvRmT1_T2_T3_mT4_P12ihipStream_tbEUlT_E1_NS1_11comp_targetILNS1_3genE3ELNS1_11target_archE908ELNS1_3gpuE7ELNS1_3repE0EEENS1_30default_config_static_selectorELNS0_4arch9wavefront6targetE1EEEvSK_.uses_flat_scratch, 0
	.set _ZN7rocprim17ROCPRIM_400000_NS6detail17trampoline_kernelINS0_14default_configENS1_22reduce_config_selectorIxEEZNS1_11reduce_implILb1ES3_N6thrust23THRUST_200600_302600_NS17counting_iteratorIxNS8_11hip_rocprim3tagENS8_11use_defaultESC_EEPxxNS8_4plusIxEEEE10hipError_tPvRmT1_T2_T3_mT4_P12ihipStream_tbEUlT_E1_NS1_11comp_targetILNS1_3genE3ELNS1_11target_archE908ELNS1_3gpuE7ELNS1_3repE0EEENS1_30default_config_static_selectorELNS0_4arch9wavefront6targetE1EEEvSK_.has_dyn_sized_stack, 0
	.set _ZN7rocprim17ROCPRIM_400000_NS6detail17trampoline_kernelINS0_14default_configENS1_22reduce_config_selectorIxEEZNS1_11reduce_implILb1ES3_N6thrust23THRUST_200600_302600_NS17counting_iteratorIxNS8_11hip_rocprim3tagENS8_11use_defaultESC_EEPxxNS8_4plusIxEEEE10hipError_tPvRmT1_T2_T3_mT4_P12ihipStream_tbEUlT_E1_NS1_11comp_targetILNS1_3genE3ELNS1_11target_archE908ELNS1_3gpuE7ELNS1_3repE0EEENS1_30default_config_static_selectorELNS0_4arch9wavefront6targetE1EEEvSK_.has_recursion, 0
	.set _ZN7rocprim17ROCPRIM_400000_NS6detail17trampoline_kernelINS0_14default_configENS1_22reduce_config_selectorIxEEZNS1_11reduce_implILb1ES3_N6thrust23THRUST_200600_302600_NS17counting_iteratorIxNS8_11hip_rocprim3tagENS8_11use_defaultESC_EEPxxNS8_4plusIxEEEE10hipError_tPvRmT1_T2_T3_mT4_P12ihipStream_tbEUlT_E1_NS1_11comp_targetILNS1_3genE3ELNS1_11target_archE908ELNS1_3gpuE7ELNS1_3repE0EEENS1_30default_config_static_selectorELNS0_4arch9wavefront6targetE1EEEvSK_.has_indirect_call, 0
	.section	.AMDGPU.csdata,"",@progbits
; Kernel info:
; codeLenInByte = 0
; TotalNumSgprs: 6
; NumVgprs: 0
; NumAgprs: 0
; TotalNumVgprs: 0
; ScratchSize: 0
; MemoryBound: 0
; FloatMode: 240
; IeeeMode: 1
; LDSByteSize: 0 bytes/workgroup (compile time only)
; SGPRBlocks: 0
; VGPRBlocks: 0
; NumSGPRsForWavesPerEU: 6
; NumVGPRsForWavesPerEU: 1
; AccumOffset: 4
; Occupancy: 8
; WaveLimiterHint : 0
; COMPUTE_PGM_RSRC2:SCRATCH_EN: 0
; COMPUTE_PGM_RSRC2:USER_SGPR: 2
; COMPUTE_PGM_RSRC2:TRAP_HANDLER: 0
; COMPUTE_PGM_RSRC2:TGID_X_EN: 1
; COMPUTE_PGM_RSRC2:TGID_Y_EN: 0
; COMPUTE_PGM_RSRC2:TGID_Z_EN: 0
; COMPUTE_PGM_RSRC2:TIDIG_COMP_CNT: 0
; COMPUTE_PGM_RSRC3_GFX90A:ACCUM_OFFSET: 0
; COMPUTE_PGM_RSRC3_GFX90A:TG_SPLIT: 0
	.section	.text._ZN7rocprim17ROCPRIM_400000_NS6detail17trampoline_kernelINS0_14default_configENS1_22reduce_config_selectorIxEEZNS1_11reduce_implILb1ES3_N6thrust23THRUST_200600_302600_NS17counting_iteratorIxNS8_11hip_rocprim3tagENS8_11use_defaultESC_EEPxxNS8_4plusIxEEEE10hipError_tPvRmT1_T2_T3_mT4_P12ihipStream_tbEUlT_E1_NS1_11comp_targetILNS1_3genE2ELNS1_11target_archE906ELNS1_3gpuE6ELNS1_3repE0EEENS1_30default_config_static_selectorELNS0_4arch9wavefront6targetE1EEEvSK_,"axG",@progbits,_ZN7rocprim17ROCPRIM_400000_NS6detail17trampoline_kernelINS0_14default_configENS1_22reduce_config_selectorIxEEZNS1_11reduce_implILb1ES3_N6thrust23THRUST_200600_302600_NS17counting_iteratorIxNS8_11hip_rocprim3tagENS8_11use_defaultESC_EEPxxNS8_4plusIxEEEE10hipError_tPvRmT1_T2_T3_mT4_P12ihipStream_tbEUlT_E1_NS1_11comp_targetILNS1_3genE2ELNS1_11target_archE906ELNS1_3gpuE6ELNS1_3repE0EEENS1_30default_config_static_selectorELNS0_4arch9wavefront6targetE1EEEvSK_,comdat
	.protected	_ZN7rocprim17ROCPRIM_400000_NS6detail17trampoline_kernelINS0_14default_configENS1_22reduce_config_selectorIxEEZNS1_11reduce_implILb1ES3_N6thrust23THRUST_200600_302600_NS17counting_iteratorIxNS8_11hip_rocprim3tagENS8_11use_defaultESC_EEPxxNS8_4plusIxEEEE10hipError_tPvRmT1_T2_T3_mT4_P12ihipStream_tbEUlT_E1_NS1_11comp_targetILNS1_3genE2ELNS1_11target_archE906ELNS1_3gpuE6ELNS1_3repE0EEENS1_30default_config_static_selectorELNS0_4arch9wavefront6targetE1EEEvSK_ ; -- Begin function _ZN7rocprim17ROCPRIM_400000_NS6detail17trampoline_kernelINS0_14default_configENS1_22reduce_config_selectorIxEEZNS1_11reduce_implILb1ES3_N6thrust23THRUST_200600_302600_NS17counting_iteratorIxNS8_11hip_rocprim3tagENS8_11use_defaultESC_EEPxxNS8_4plusIxEEEE10hipError_tPvRmT1_T2_T3_mT4_P12ihipStream_tbEUlT_E1_NS1_11comp_targetILNS1_3genE2ELNS1_11target_archE906ELNS1_3gpuE6ELNS1_3repE0EEENS1_30default_config_static_selectorELNS0_4arch9wavefront6targetE1EEEvSK_
	.globl	_ZN7rocprim17ROCPRIM_400000_NS6detail17trampoline_kernelINS0_14default_configENS1_22reduce_config_selectorIxEEZNS1_11reduce_implILb1ES3_N6thrust23THRUST_200600_302600_NS17counting_iteratorIxNS8_11hip_rocprim3tagENS8_11use_defaultESC_EEPxxNS8_4plusIxEEEE10hipError_tPvRmT1_T2_T3_mT4_P12ihipStream_tbEUlT_E1_NS1_11comp_targetILNS1_3genE2ELNS1_11target_archE906ELNS1_3gpuE6ELNS1_3repE0EEENS1_30default_config_static_selectorELNS0_4arch9wavefront6targetE1EEEvSK_
	.p2align	8
	.type	_ZN7rocprim17ROCPRIM_400000_NS6detail17trampoline_kernelINS0_14default_configENS1_22reduce_config_selectorIxEEZNS1_11reduce_implILb1ES3_N6thrust23THRUST_200600_302600_NS17counting_iteratorIxNS8_11hip_rocprim3tagENS8_11use_defaultESC_EEPxxNS8_4plusIxEEEE10hipError_tPvRmT1_T2_T3_mT4_P12ihipStream_tbEUlT_E1_NS1_11comp_targetILNS1_3genE2ELNS1_11target_archE906ELNS1_3gpuE6ELNS1_3repE0EEENS1_30default_config_static_selectorELNS0_4arch9wavefront6targetE1EEEvSK_,@function
_ZN7rocprim17ROCPRIM_400000_NS6detail17trampoline_kernelINS0_14default_configENS1_22reduce_config_selectorIxEEZNS1_11reduce_implILb1ES3_N6thrust23THRUST_200600_302600_NS17counting_iteratorIxNS8_11hip_rocprim3tagENS8_11use_defaultESC_EEPxxNS8_4plusIxEEEE10hipError_tPvRmT1_T2_T3_mT4_P12ihipStream_tbEUlT_E1_NS1_11comp_targetILNS1_3genE2ELNS1_11target_archE906ELNS1_3gpuE6ELNS1_3repE0EEENS1_30default_config_static_selectorELNS0_4arch9wavefront6targetE1EEEvSK_: ; @_ZN7rocprim17ROCPRIM_400000_NS6detail17trampoline_kernelINS0_14default_configENS1_22reduce_config_selectorIxEEZNS1_11reduce_implILb1ES3_N6thrust23THRUST_200600_302600_NS17counting_iteratorIxNS8_11hip_rocprim3tagENS8_11use_defaultESC_EEPxxNS8_4plusIxEEEE10hipError_tPvRmT1_T2_T3_mT4_P12ihipStream_tbEUlT_E1_NS1_11comp_targetILNS1_3genE2ELNS1_11target_archE906ELNS1_3gpuE6ELNS1_3repE0EEENS1_30default_config_static_selectorELNS0_4arch9wavefront6targetE1EEEvSK_
; %bb.0:
	.section	.rodata,"a",@progbits
	.p2align	6, 0x0
	.amdhsa_kernel _ZN7rocprim17ROCPRIM_400000_NS6detail17trampoline_kernelINS0_14default_configENS1_22reduce_config_selectorIxEEZNS1_11reduce_implILb1ES3_N6thrust23THRUST_200600_302600_NS17counting_iteratorIxNS8_11hip_rocprim3tagENS8_11use_defaultESC_EEPxxNS8_4plusIxEEEE10hipError_tPvRmT1_T2_T3_mT4_P12ihipStream_tbEUlT_E1_NS1_11comp_targetILNS1_3genE2ELNS1_11target_archE906ELNS1_3gpuE6ELNS1_3repE0EEENS1_30default_config_static_selectorELNS0_4arch9wavefront6targetE1EEEvSK_
		.amdhsa_group_segment_fixed_size 0
		.amdhsa_private_segment_fixed_size 0
		.amdhsa_kernarg_size 48
		.amdhsa_user_sgpr_count 2
		.amdhsa_user_sgpr_dispatch_ptr 0
		.amdhsa_user_sgpr_queue_ptr 0
		.amdhsa_user_sgpr_kernarg_segment_ptr 1
		.amdhsa_user_sgpr_dispatch_id 0
		.amdhsa_user_sgpr_kernarg_preload_length 0
		.amdhsa_user_sgpr_kernarg_preload_offset 0
		.amdhsa_user_sgpr_private_segment_size 0
		.amdhsa_uses_dynamic_stack 0
		.amdhsa_enable_private_segment 0
		.amdhsa_system_sgpr_workgroup_id_x 1
		.amdhsa_system_sgpr_workgroup_id_y 0
		.amdhsa_system_sgpr_workgroup_id_z 0
		.amdhsa_system_sgpr_workgroup_info 0
		.amdhsa_system_vgpr_workitem_id 0
		.amdhsa_next_free_vgpr 1
		.amdhsa_next_free_sgpr 0
		.amdhsa_accum_offset 4
		.amdhsa_reserve_vcc 0
		.amdhsa_float_round_mode_32 0
		.amdhsa_float_round_mode_16_64 0
		.amdhsa_float_denorm_mode_32 3
		.amdhsa_float_denorm_mode_16_64 3
		.amdhsa_dx10_clamp 1
		.amdhsa_ieee_mode 1
		.amdhsa_fp16_overflow 0
		.amdhsa_tg_split 0
		.amdhsa_exception_fp_ieee_invalid_op 0
		.amdhsa_exception_fp_denorm_src 0
		.amdhsa_exception_fp_ieee_div_zero 0
		.amdhsa_exception_fp_ieee_overflow 0
		.amdhsa_exception_fp_ieee_underflow 0
		.amdhsa_exception_fp_ieee_inexact 0
		.amdhsa_exception_int_div_zero 0
	.end_amdhsa_kernel
	.section	.text._ZN7rocprim17ROCPRIM_400000_NS6detail17trampoline_kernelINS0_14default_configENS1_22reduce_config_selectorIxEEZNS1_11reduce_implILb1ES3_N6thrust23THRUST_200600_302600_NS17counting_iteratorIxNS8_11hip_rocprim3tagENS8_11use_defaultESC_EEPxxNS8_4plusIxEEEE10hipError_tPvRmT1_T2_T3_mT4_P12ihipStream_tbEUlT_E1_NS1_11comp_targetILNS1_3genE2ELNS1_11target_archE906ELNS1_3gpuE6ELNS1_3repE0EEENS1_30default_config_static_selectorELNS0_4arch9wavefront6targetE1EEEvSK_,"axG",@progbits,_ZN7rocprim17ROCPRIM_400000_NS6detail17trampoline_kernelINS0_14default_configENS1_22reduce_config_selectorIxEEZNS1_11reduce_implILb1ES3_N6thrust23THRUST_200600_302600_NS17counting_iteratorIxNS8_11hip_rocprim3tagENS8_11use_defaultESC_EEPxxNS8_4plusIxEEEE10hipError_tPvRmT1_T2_T3_mT4_P12ihipStream_tbEUlT_E1_NS1_11comp_targetILNS1_3genE2ELNS1_11target_archE906ELNS1_3gpuE6ELNS1_3repE0EEENS1_30default_config_static_selectorELNS0_4arch9wavefront6targetE1EEEvSK_,comdat
.Lfunc_end1086:
	.size	_ZN7rocprim17ROCPRIM_400000_NS6detail17trampoline_kernelINS0_14default_configENS1_22reduce_config_selectorIxEEZNS1_11reduce_implILb1ES3_N6thrust23THRUST_200600_302600_NS17counting_iteratorIxNS8_11hip_rocprim3tagENS8_11use_defaultESC_EEPxxNS8_4plusIxEEEE10hipError_tPvRmT1_T2_T3_mT4_P12ihipStream_tbEUlT_E1_NS1_11comp_targetILNS1_3genE2ELNS1_11target_archE906ELNS1_3gpuE6ELNS1_3repE0EEENS1_30default_config_static_selectorELNS0_4arch9wavefront6targetE1EEEvSK_, .Lfunc_end1086-_ZN7rocprim17ROCPRIM_400000_NS6detail17trampoline_kernelINS0_14default_configENS1_22reduce_config_selectorIxEEZNS1_11reduce_implILb1ES3_N6thrust23THRUST_200600_302600_NS17counting_iteratorIxNS8_11hip_rocprim3tagENS8_11use_defaultESC_EEPxxNS8_4plusIxEEEE10hipError_tPvRmT1_T2_T3_mT4_P12ihipStream_tbEUlT_E1_NS1_11comp_targetILNS1_3genE2ELNS1_11target_archE906ELNS1_3gpuE6ELNS1_3repE0EEENS1_30default_config_static_selectorELNS0_4arch9wavefront6targetE1EEEvSK_
                                        ; -- End function
	.set _ZN7rocprim17ROCPRIM_400000_NS6detail17trampoline_kernelINS0_14default_configENS1_22reduce_config_selectorIxEEZNS1_11reduce_implILb1ES3_N6thrust23THRUST_200600_302600_NS17counting_iteratorIxNS8_11hip_rocprim3tagENS8_11use_defaultESC_EEPxxNS8_4plusIxEEEE10hipError_tPvRmT1_T2_T3_mT4_P12ihipStream_tbEUlT_E1_NS1_11comp_targetILNS1_3genE2ELNS1_11target_archE906ELNS1_3gpuE6ELNS1_3repE0EEENS1_30default_config_static_selectorELNS0_4arch9wavefront6targetE1EEEvSK_.num_vgpr, 0
	.set _ZN7rocprim17ROCPRIM_400000_NS6detail17trampoline_kernelINS0_14default_configENS1_22reduce_config_selectorIxEEZNS1_11reduce_implILb1ES3_N6thrust23THRUST_200600_302600_NS17counting_iteratorIxNS8_11hip_rocprim3tagENS8_11use_defaultESC_EEPxxNS8_4plusIxEEEE10hipError_tPvRmT1_T2_T3_mT4_P12ihipStream_tbEUlT_E1_NS1_11comp_targetILNS1_3genE2ELNS1_11target_archE906ELNS1_3gpuE6ELNS1_3repE0EEENS1_30default_config_static_selectorELNS0_4arch9wavefront6targetE1EEEvSK_.num_agpr, 0
	.set _ZN7rocprim17ROCPRIM_400000_NS6detail17trampoline_kernelINS0_14default_configENS1_22reduce_config_selectorIxEEZNS1_11reduce_implILb1ES3_N6thrust23THRUST_200600_302600_NS17counting_iteratorIxNS8_11hip_rocprim3tagENS8_11use_defaultESC_EEPxxNS8_4plusIxEEEE10hipError_tPvRmT1_T2_T3_mT4_P12ihipStream_tbEUlT_E1_NS1_11comp_targetILNS1_3genE2ELNS1_11target_archE906ELNS1_3gpuE6ELNS1_3repE0EEENS1_30default_config_static_selectorELNS0_4arch9wavefront6targetE1EEEvSK_.numbered_sgpr, 0
	.set _ZN7rocprim17ROCPRIM_400000_NS6detail17trampoline_kernelINS0_14default_configENS1_22reduce_config_selectorIxEEZNS1_11reduce_implILb1ES3_N6thrust23THRUST_200600_302600_NS17counting_iteratorIxNS8_11hip_rocprim3tagENS8_11use_defaultESC_EEPxxNS8_4plusIxEEEE10hipError_tPvRmT1_T2_T3_mT4_P12ihipStream_tbEUlT_E1_NS1_11comp_targetILNS1_3genE2ELNS1_11target_archE906ELNS1_3gpuE6ELNS1_3repE0EEENS1_30default_config_static_selectorELNS0_4arch9wavefront6targetE1EEEvSK_.num_named_barrier, 0
	.set _ZN7rocprim17ROCPRIM_400000_NS6detail17trampoline_kernelINS0_14default_configENS1_22reduce_config_selectorIxEEZNS1_11reduce_implILb1ES3_N6thrust23THRUST_200600_302600_NS17counting_iteratorIxNS8_11hip_rocprim3tagENS8_11use_defaultESC_EEPxxNS8_4plusIxEEEE10hipError_tPvRmT1_T2_T3_mT4_P12ihipStream_tbEUlT_E1_NS1_11comp_targetILNS1_3genE2ELNS1_11target_archE906ELNS1_3gpuE6ELNS1_3repE0EEENS1_30default_config_static_selectorELNS0_4arch9wavefront6targetE1EEEvSK_.private_seg_size, 0
	.set _ZN7rocprim17ROCPRIM_400000_NS6detail17trampoline_kernelINS0_14default_configENS1_22reduce_config_selectorIxEEZNS1_11reduce_implILb1ES3_N6thrust23THRUST_200600_302600_NS17counting_iteratorIxNS8_11hip_rocprim3tagENS8_11use_defaultESC_EEPxxNS8_4plusIxEEEE10hipError_tPvRmT1_T2_T3_mT4_P12ihipStream_tbEUlT_E1_NS1_11comp_targetILNS1_3genE2ELNS1_11target_archE906ELNS1_3gpuE6ELNS1_3repE0EEENS1_30default_config_static_selectorELNS0_4arch9wavefront6targetE1EEEvSK_.uses_vcc, 0
	.set _ZN7rocprim17ROCPRIM_400000_NS6detail17trampoline_kernelINS0_14default_configENS1_22reduce_config_selectorIxEEZNS1_11reduce_implILb1ES3_N6thrust23THRUST_200600_302600_NS17counting_iteratorIxNS8_11hip_rocprim3tagENS8_11use_defaultESC_EEPxxNS8_4plusIxEEEE10hipError_tPvRmT1_T2_T3_mT4_P12ihipStream_tbEUlT_E1_NS1_11comp_targetILNS1_3genE2ELNS1_11target_archE906ELNS1_3gpuE6ELNS1_3repE0EEENS1_30default_config_static_selectorELNS0_4arch9wavefront6targetE1EEEvSK_.uses_flat_scratch, 0
	.set _ZN7rocprim17ROCPRIM_400000_NS6detail17trampoline_kernelINS0_14default_configENS1_22reduce_config_selectorIxEEZNS1_11reduce_implILb1ES3_N6thrust23THRUST_200600_302600_NS17counting_iteratorIxNS8_11hip_rocprim3tagENS8_11use_defaultESC_EEPxxNS8_4plusIxEEEE10hipError_tPvRmT1_T2_T3_mT4_P12ihipStream_tbEUlT_E1_NS1_11comp_targetILNS1_3genE2ELNS1_11target_archE906ELNS1_3gpuE6ELNS1_3repE0EEENS1_30default_config_static_selectorELNS0_4arch9wavefront6targetE1EEEvSK_.has_dyn_sized_stack, 0
	.set _ZN7rocprim17ROCPRIM_400000_NS6detail17trampoline_kernelINS0_14default_configENS1_22reduce_config_selectorIxEEZNS1_11reduce_implILb1ES3_N6thrust23THRUST_200600_302600_NS17counting_iteratorIxNS8_11hip_rocprim3tagENS8_11use_defaultESC_EEPxxNS8_4plusIxEEEE10hipError_tPvRmT1_T2_T3_mT4_P12ihipStream_tbEUlT_E1_NS1_11comp_targetILNS1_3genE2ELNS1_11target_archE906ELNS1_3gpuE6ELNS1_3repE0EEENS1_30default_config_static_selectorELNS0_4arch9wavefront6targetE1EEEvSK_.has_recursion, 0
	.set _ZN7rocprim17ROCPRIM_400000_NS6detail17trampoline_kernelINS0_14default_configENS1_22reduce_config_selectorIxEEZNS1_11reduce_implILb1ES3_N6thrust23THRUST_200600_302600_NS17counting_iteratorIxNS8_11hip_rocprim3tagENS8_11use_defaultESC_EEPxxNS8_4plusIxEEEE10hipError_tPvRmT1_T2_T3_mT4_P12ihipStream_tbEUlT_E1_NS1_11comp_targetILNS1_3genE2ELNS1_11target_archE906ELNS1_3gpuE6ELNS1_3repE0EEENS1_30default_config_static_selectorELNS0_4arch9wavefront6targetE1EEEvSK_.has_indirect_call, 0
	.section	.AMDGPU.csdata,"",@progbits
; Kernel info:
; codeLenInByte = 0
; TotalNumSgprs: 6
; NumVgprs: 0
; NumAgprs: 0
; TotalNumVgprs: 0
; ScratchSize: 0
; MemoryBound: 0
; FloatMode: 240
; IeeeMode: 1
; LDSByteSize: 0 bytes/workgroup (compile time only)
; SGPRBlocks: 0
; VGPRBlocks: 0
; NumSGPRsForWavesPerEU: 6
; NumVGPRsForWavesPerEU: 1
; AccumOffset: 4
; Occupancy: 8
; WaveLimiterHint : 0
; COMPUTE_PGM_RSRC2:SCRATCH_EN: 0
; COMPUTE_PGM_RSRC2:USER_SGPR: 2
; COMPUTE_PGM_RSRC2:TRAP_HANDLER: 0
; COMPUTE_PGM_RSRC2:TGID_X_EN: 1
; COMPUTE_PGM_RSRC2:TGID_Y_EN: 0
; COMPUTE_PGM_RSRC2:TGID_Z_EN: 0
; COMPUTE_PGM_RSRC2:TIDIG_COMP_CNT: 0
; COMPUTE_PGM_RSRC3_GFX90A:ACCUM_OFFSET: 0
; COMPUTE_PGM_RSRC3_GFX90A:TG_SPLIT: 0
	.section	.text._ZN7rocprim17ROCPRIM_400000_NS6detail17trampoline_kernelINS0_14default_configENS1_22reduce_config_selectorIxEEZNS1_11reduce_implILb1ES3_N6thrust23THRUST_200600_302600_NS17counting_iteratorIxNS8_11hip_rocprim3tagENS8_11use_defaultESC_EEPxxNS8_4plusIxEEEE10hipError_tPvRmT1_T2_T3_mT4_P12ihipStream_tbEUlT_E1_NS1_11comp_targetILNS1_3genE10ELNS1_11target_archE1201ELNS1_3gpuE5ELNS1_3repE0EEENS1_30default_config_static_selectorELNS0_4arch9wavefront6targetE1EEEvSK_,"axG",@progbits,_ZN7rocprim17ROCPRIM_400000_NS6detail17trampoline_kernelINS0_14default_configENS1_22reduce_config_selectorIxEEZNS1_11reduce_implILb1ES3_N6thrust23THRUST_200600_302600_NS17counting_iteratorIxNS8_11hip_rocprim3tagENS8_11use_defaultESC_EEPxxNS8_4plusIxEEEE10hipError_tPvRmT1_T2_T3_mT4_P12ihipStream_tbEUlT_E1_NS1_11comp_targetILNS1_3genE10ELNS1_11target_archE1201ELNS1_3gpuE5ELNS1_3repE0EEENS1_30default_config_static_selectorELNS0_4arch9wavefront6targetE1EEEvSK_,comdat
	.protected	_ZN7rocprim17ROCPRIM_400000_NS6detail17trampoline_kernelINS0_14default_configENS1_22reduce_config_selectorIxEEZNS1_11reduce_implILb1ES3_N6thrust23THRUST_200600_302600_NS17counting_iteratorIxNS8_11hip_rocprim3tagENS8_11use_defaultESC_EEPxxNS8_4plusIxEEEE10hipError_tPvRmT1_T2_T3_mT4_P12ihipStream_tbEUlT_E1_NS1_11comp_targetILNS1_3genE10ELNS1_11target_archE1201ELNS1_3gpuE5ELNS1_3repE0EEENS1_30default_config_static_selectorELNS0_4arch9wavefront6targetE1EEEvSK_ ; -- Begin function _ZN7rocprim17ROCPRIM_400000_NS6detail17trampoline_kernelINS0_14default_configENS1_22reduce_config_selectorIxEEZNS1_11reduce_implILb1ES3_N6thrust23THRUST_200600_302600_NS17counting_iteratorIxNS8_11hip_rocprim3tagENS8_11use_defaultESC_EEPxxNS8_4plusIxEEEE10hipError_tPvRmT1_T2_T3_mT4_P12ihipStream_tbEUlT_E1_NS1_11comp_targetILNS1_3genE10ELNS1_11target_archE1201ELNS1_3gpuE5ELNS1_3repE0EEENS1_30default_config_static_selectorELNS0_4arch9wavefront6targetE1EEEvSK_
	.globl	_ZN7rocprim17ROCPRIM_400000_NS6detail17trampoline_kernelINS0_14default_configENS1_22reduce_config_selectorIxEEZNS1_11reduce_implILb1ES3_N6thrust23THRUST_200600_302600_NS17counting_iteratorIxNS8_11hip_rocprim3tagENS8_11use_defaultESC_EEPxxNS8_4plusIxEEEE10hipError_tPvRmT1_T2_T3_mT4_P12ihipStream_tbEUlT_E1_NS1_11comp_targetILNS1_3genE10ELNS1_11target_archE1201ELNS1_3gpuE5ELNS1_3repE0EEENS1_30default_config_static_selectorELNS0_4arch9wavefront6targetE1EEEvSK_
	.p2align	8
	.type	_ZN7rocprim17ROCPRIM_400000_NS6detail17trampoline_kernelINS0_14default_configENS1_22reduce_config_selectorIxEEZNS1_11reduce_implILb1ES3_N6thrust23THRUST_200600_302600_NS17counting_iteratorIxNS8_11hip_rocprim3tagENS8_11use_defaultESC_EEPxxNS8_4plusIxEEEE10hipError_tPvRmT1_T2_T3_mT4_P12ihipStream_tbEUlT_E1_NS1_11comp_targetILNS1_3genE10ELNS1_11target_archE1201ELNS1_3gpuE5ELNS1_3repE0EEENS1_30default_config_static_selectorELNS0_4arch9wavefront6targetE1EEEvSK_,@function
_ZN7rocprim17ROCPRIM_400000_NS6detail17trampoline_kernelINS0_14default_configENS1_22reduce_config_selectorIxEEZNS1_11reduce_implILb1ES3_N6thrust23THRUST_200600_302600_NS17counting_iteratorIxNS8_11hip_rocprim3tagENS8_11use_defaultESC_EEPxxNS8_4plusIxEEEE10hipError_tPvRmT1_T2_T3_mT4_P12ihipStream_tbEUlT_E1_NS1_11comp_targetILNS1_3genE10ELNS1_11target_archE1201ELNS1_3gpuE5ELNS1_3repE0EEENS1_30default_config_static_selectorELNS0_4arch9wavefront6targetE1EEEvSK_: ; @_ZN7rocprim17ROCPRIM_400000_NS6detail17trampoline_kernelINS0_14default_configENS1_22reduce_config_selectorIxEEZNS1_11reduce_implILb1ES3_N6thrust23THRUST_200600_302600_NS17counting_iteratorIxNS8_11hip_rocprim3tagENS8_11use_defaultESC_EEPxxNS8_4plusIxEEEE10hipError_tPvRmT1_T2_T3_mT4_P12ihipStream_tbEUlT_E1_NS1_11comp_targetILNS1_3genE10ELNS1_11target_archE1201ELNS1_3gpuE5ELNS1_3repE0EEENS1_30default_config_static_selectorELNS0_4arch9wavefront6targetE1EEEvSK_
; %bb.0:
	.section	.rodata,"a",@progbits
	.p2align	6, 0x0
	.amdhsa_kernel _ZN7rocprim17ROCPRIM_400000_NS6detail17trampoline_kernelINS0_14default_configENS1_22reduce_config_selectorIxEEZNS1_11reduce_implILb1ES3_N6thrust23THRUST_200600_302600_NS17counting_iteratorIxNS8_11hip_rocprim3tagENS8_11use_defaultESC_EEPxxNS8_4plusIxEEEE10hipError_tPvRmT1_T2_T3_mT4_P12ihipStream_tbEUlT_E1_NS1_11comp_targetILNS1_3genE10ELNS1_11target_archE1201ELNS1_3gpuE5ELNS1_3repE0EEENS1_30default_config_static_selectorELNS0_4arch9wavefront6targetE1EEEvSK_
		.amdhsa_group_segment_fixed_size 0
		.amdhsa_private_segment_fixed_size 0
		.amdhsa_kernarg_size 48
		.amdhsa_user_sgpr_count 2
		.amdhsa_user_sgpr_dispatch_ptr 0
		.amdhsa_user_sgpr_queue_ptr 0
		.amdhsa_user_sgpr_kernarg_segment_ptr 1
		.amdhsa_user_sgpr_dispatch_id 0
		.amdhsa_user_sgpr_kernarg_preload_length 0
		.amdhsa_user_sgpr_kernarg_preload_offset 0
		.amdhsa_user_sgpr_private_segment_size 0
		.amdhsa_uses_dynamic_stack 0
		.amdhsa_enable_private_segment 0
		.amdhsa_system_sgpr_workgroup_id_x 1
		.amdhsa_system_sgpr_workgroup_id_y 0
		.amdhsa_system_sgpr_workgroup_id_z 0
		.amdhsa_system_sgpr_workgroup_info 0
		.amdhsa_system_vgpr_workitem_id 0
		.amdhsa_next_free_vgpr 1
		.amdhsa_next_free_sgpr 0
		.amdhsa_accum_offset 4
		.amdhsa_reserve_vcc 0
		.amdhsa_float_round_mode_32 0
		.amdhsa_float_round_mode_16_64 0
		.amdhsa_float_denorm_mode_32 3
		.amdhsa_float_denorm_mode_16_64 3
		.amdhsa_dx10_clamp 1
		.amdhsa_ieee_mode 1
		.amdhsa_fp16_overflow 0
		.amdhsa_tg_split 0
		.amdhsa_exception_fp_ieee_invalid_op 0
		.amdhsa_exception_fp_denorm_src 0
		.amdhsa_exception_fp_ieee_div_zero 0
		.amdhsa_exception_fp_ieee_overflow 0
		.amdhsa_exception_fp_ieee_underflow 0
		.amdhsa_exception_fp_ieee_inexact 0
		.amdhsa_exception_int_div_zero 0
	.end_amdhsa_kernel
	.section	.text._ZN7rocprim17ROCPRIM_400000_NS6detail17trampoline_kernelINS0_14default_configENS1_22reduce_config_selectorIxEEZNS1_11reduce_implILb1ES3_N6thrust23THRUST_200600_302600_NS17counting_iteratorIxNS8_11hip_rocprim3tagENS8_11use_defaultESC_EEPxxNS8_4plusIxEEEE10hipError_tPvRmT1_T2_T3_mT4_P12ihipStream_tbEUlT_E1_NS1_11comp_targetILNS1_3genE10ELNS1_11target_archE1201ELNS1_3gpuE5ELNS1_3repE0EEENS1_30default_config_static_selectorELNS0_4arch9wavefront6targetE1EEEvSK_,"axG",@progbits,_ZN7rocprim17ROCPRIM_400000_NS6detail17trampoline_kernelINS0_14default_configENS1_22reduce_config_selectorIxEEZNS1_11reduce_implILb1ES3_N6thrust23THRUST_200600_302600_NS17counting_iteratorIxNS8_11hip_rocprim3tagENS8_11use_defaultESC_EEPxxNS8_4plusIxEEEE10hipError_tPvRmT1_T2_T3_mT4_P12ihipStream_tbEUlT_E1_NS1_11comp_targetILNS1_3genE10ELNS1_11target_archE1201ELNS1_3gpuE5ELNS1_3repE0EEENS1_30default_config_static_selectorELNS0_4arch9wavefront6targetE1EEEvSK_,comdat
.Lfunc_end1087:
	.size	_ZN7rocprim17ROCPRIM_400000_NS6detail17trampoline_kernelINS0_14default_configENS1_22reduce_config_selectorIxEEZNS1_11reduce_implILb1ES3_N6thrust23THRUST_200600_302600_NS17counting_iteratorIxNS8_11hip_rocprim3tagENS8_11use_defaultESC_EEPxxNS8_4plusIxEEEE10hipError_tPvRmT1_T2_T3_mT4_P12ihipStream_tbEUlT_E1_NS1_11comp_targetILNS1_3genE10ELNS1_11target_archE1201ELNS1_3gpuE5ELNS1_3repE0EEENS1_30default_config_static_selectorELNS0_4arch9wavefront6targetE1EEEvSK_, .Lfunc_end1087-_ZN7rocprim17ROCPRIM_400000_NS6detail17trampoline_kernelINS0_14default_configENS1_22reduce_config_selectorIxEEZNS1_11reduce_implILb1ES3_N6thrust23THRUST_200600_302600_NS17counting_iteratorIxNS8_11hip_rocprim3tagENS8_11use_defaultESC_EEPxxNS8_4plusIxEEEE10hipError_tPvRmT1_T2_T3_mT4_P12ihipStream_tbEUlT_E1_NS1_11comp_targetILNS1_3genE10ELNS1_11target_archE1201ELNS1_3gpuE5ELNS1_3repE0EEENS1_30default_config_static_selectorELNS0_4arch9wavefront6targetE1EEEvSK_
                                        ; -- End function
	.set _ZN7rocprim17ROCPRIM_400000_NS6detail17trampoline_kernelINS0_14default_configENS1_22reduce_config_selectorIxEEZNS1_11reduce_implILb1ES3_N6thrust23THRUST_200600_302600_NS17counting_iteratorIxNS8_11hip_rocprim3tagENS8_11use_defaultESC_EEPxxNS8_4plusIxEEEE10hipError_tPvRmT1_T2_T3_mT4_P12ihipStream_tbEUlT_E1_NS1_11comp_targetILNS1_3genE10ELNS1_11target_archE1201ELNS1_3gpuE5ELNS1_3repE0EEENS1_30default_config_static_selectorELNS0_4arch9wavefront6targetE1EEEvSK_.num_vgpr, 0
	.set _ZN7rocprim17ROCPRIM_400000_NS6detail17trampoline_kernelINS0_14default_configENS1_22reduce_config_selectorIxEEZNS1_11reduce_implILb1ES3_N6thrust23THRUST_200600_302600_NS17counting_iteratorIxNS8_11hip_rocprim3tagENS8_11use_defaultESC_EEPxxNS8_4plusIxEEEE10hipError_tPvRmT1_T2_T3_mT4_P12ihipStream_tbEUlT_E1_NS1_11comp_targetILNS1_3genE10ELNS1_11target_archE1201ELNS1_3gpuE5ELNS1_3repE0EEENS1_30default_config_static_selectorELNS0_4arch9wavefront6targetE1EEEvSK_.num_agpr, 0
	.set _ZN7rocprim17ROCPRIM_400000_NS6detail17trampoline_kernelINS0_14default_configENS1_22reduce_config_selectorIxEEZNS1_11reduce_implILb1ES3_N6thrust23THRUST_200600_302600_NS17counting_iteratorIxNS8_11hip_rocprim3tagENS8_11use_defaultESC_EEPxxNS8_4plusIxEEEE10hipError_tPvRmT1_T2_T3_mT4_P12ihipStream_tbEUlT_E1_NS1_11comp_targetILNS1_3genE10ELNS1_11target_archE1201ELNS1_3gpuE5ELNS1_3repE0EEENS1_30default_config_static_selectorELNS0_4arch9wavefront6targetE1EEEvSK_.numbered_sgpr, 0
	.set _ZN7rocprim17ROCPRIM_400000_NS6detail17trampoline_kernelINS0_14default_configENS1_22reduce_config_selectorIxEEZNS1_11reduce_implILb1ES3_N6thrust23THRUST_200600_302600_NS17counting_iteratorIxNS8_11hip_rocprim3tagENS8_11use_defaultESC_EEPxxNS8_4plusIxEEEE10hipError_tPvRmT1_T2_T3_mT4_P12ihipStream_tbEUlT_E1_NS1_11comp_targetILNS1_3genE10ELNS1_11target_archE1201ELNS1_3gpuE5ELNS1_3repE0EEENS1_30default_config_static_selectorELNS0_4arch9wavefront6targetE1EEEvSK_.num_named_barrier, 0
	.set _ZN7rocprim17ROCPRIM_400000_NS6detail17trampoline_kernelINS0_14default_configENS1_22reduce_config_selectorIxEEZNS1_11reduce_implILb1ES3_N6thrust23THRUST_200600_302600_NS17counting_iteratorIxNS8_11hip_rocprim3tagENS8_11use_defaultESC_EEPxxNS8_4plusIxEEEE10hipError_tPvRmT1_T2_T3_mT4_P12ihipStream_tbEUlT_E1_NS1_11comp_targetILNS1_3genE10ELNS1_11target_archE1201ELNS1_3gpuE5ELNS1_3repE0EEENS1_30default_config_static_selectorELNS0_4arch9wavefront6targetE1EEEvSK_.private_seg_size, 0
	.set _ZN7rocprim17ROCPRIM_400000_NS6detail17trampoline_kernelINS0_14default_configENS1_22reduce_config_selectorIxEEZNS1_11reduce_implILb1ES3_N6thrust23THRUST_200600_302600_NS17counting_iteratorIxNS8_11hip_rocprim3tagENS8_11use_defaultESC_EEPxxNS8_4plusIxEEEE10hipError_tPvRmT1_T2_T3_mT4_P12ihipStream_tbEUlT_E1_NS1_11comp_targetILNS1_3genE10ELNS1_11target_archE1201ELNS1_3gpuE5ELNS1_3repE0EEENS1_30default_config_static_selectorELNS0_4arch9wavefront6targetE1EEEvSK_.uses_vcc, 0
	.set _ZN7rocprim17ROCPRIM_400000_NS6detail17trampoline_kernelINS0_14default_configENS1_22reduce_config_selectorIxEEZNS1_11reduce_implILb1ES3_N6thrust23THRUST_200600_302600_NS17counting_iteratorIxNS8_11hip_rocprim3tagENS8_11use_defaultESC_EEPxxNS8_4plusIxEEEE10hipError_tPvRmT1_T2_T3_mT4_P12ihipStream_tbEUlT_E1_NS1_11comp_targetILNS1_3genE10ELNS1_11target_archE1201ELNS1_3gpuE5ELNS1_3repE0EEENS1_30default_config_static_selectorELNS0_4arch9wavefront6targetE1EEEvSK_.uses_flat_scratch, 0
	.set _ZN7rocprim17ROCPRIM_400000_NS6detail17trampoline_kernelINS0_14default_configENS1_22reduce_config_selectorIxEEZNS1_11reduce_implILb1ES3_N6thrust23THRUST_200600_302600_NS17counting_iteratorIxNS8_11hip_rocprim3tagENS8_11use_defaultESC_EEPxxNS8_4plusIxEEEE10hipError_tPvRmT1_T2_T3_mT4_P12ihipStream_tbEUlT_E1_NS1_11comp_targetILNS1_3genE10ELNS1_11target_archE1201ELNS1_3gpuE5ELNS1_3repE0EEENS1_30default_config_static_selectorELNS0_4arch9wavefront6targetE1EEEvSK_.has_dyn_sized_stack, 0
	.set _ZN7rocprim17ROCPRIM_400000_NS6detail17trampoline_kernelINS0_14default_configENS1_22reduce_config_selectorIxEEZNS1_11reduce_implILb1ES3_N6thrust23THRUST_200600_302600_NS17counting_iteratorIxNS8_11hip_rocprim3tagENS8_11use_defaultESC_EEPxxNS8_4plusIxEEEE10hipError_tPvRmT1_T2_T3_mT4_P12ihipStream_tbEUlT_E1_NS1_11comp_targetILNS1_3genE10ELNS1_11target_archE1201ELNS1_3gpuE5ELNS1_3repE0EEENS1_30default_config_static_selectorELNS0_4arch9wavefront6targetE1EEEvSK_.has_recursion, 0
	.set _ZN7rocprim17ROCPRIM_400000_NS6detail17trampoline_kernelINS0_14default_configENS1_22reduce_config_selectorIxEEZNS1_11reduce_implILb1ES3_N6thrust23THRUST_200600_302600_NS17counting_iteratorIxNS8_11hip_rocprim3tagENS8_11use_defaultESC_EEPxxNS8_4plusIxEEEE10hipError_tPvRmT1_T2_T3_mT4_P12ihipStream_tbEUlT_E1_NS1_11comp_targetILNS1_3genE10ELNS1_11target_archE1201ELNS1_3gpuE5ELNS1_3repE0EEENS1_30default_config_static_selectorELNS0_4arch9wavefront6targetE1EEEvSK_.has_indirect_call, 0
	.section	.AMDGPU.csdata,"",@progbits
; Kernel info:
; codeLenInByte = 0
; TotalNumSgprs: 6
; NumVgprs: 0
; NumAgprs: 0
; TotalNumVgprs: 0
; ScratchSize: 0
; MemoryBound: 0
; FloatMode: 240
; IeeeMode: 1
; LDSByteSize: 0 bytes/workgroup (compile time only)
; SGPRBlocks: 0
; VGPRBlocks: 0
; NumSGPRsForWavesPerEU: 6
; NumVGPRsForWavesPerEU: 1
; AccumOffset: 4
; Occupancy: 8
; WaveLimiterHint : 0
; COMPUTE_PGM_RSRC2:SCRATCH_EN: 0
; COMPUTE_PGM_RSRC2:USER_SGPR: 2
; COMPUTE_PGM_RSRC2:TRAP_HANDLER: 0
; COMPUTE_PGM_RSRC2:TGID_X_EN: 1
; COMPUTE_PGM_RSRC2:TGID_Y_EN: 0
; COMPUTE_PGM_RSRC2:TGID_Z_EN: 0
; COMPUTE_PGM_RSRC2:TIDIG_COMP_CNT: 0
; COMPUTE_PGM_RSRC3_GFX90A:ACCUM_OFFSET: 0
; COMPUTE_PGM_RSRC3_GFX90A:TG_SPLIT: 0
	.section	.text._ZN7rocprim17ROCPRIM_400000_NS6detail17trampoline_kernelINS0_14default_configENS1_22reduce_config_selectorIxEEZNS1_11reduce_implILb1ES3_N6thrust23THRUST_200600_302600_NS17counting_iteratorIxNS8_11hip_rocprim3tagENS8_11use_defaultESC_EEPxxNS8_4plusIxEEEE10hipError_tPvRmT1_T2_T3_mT4_P12ihipStream_tbEUlT_E1_NS1_11comp_targetILNS1_3genE10ELNS1_11target_archE1200ELNS1_3gpuE4ELNS1_3repE0EEENS1_30default_config_static_selectorELNS0_4arch9wavefront6targetE1EEEvSK_,"axG",@progbits,_ZN7rocprim17ROCPRIM_400000_NS6detail17trampoline_kernelINS0_14default_configENS1_22reduce_config_selectorIxEEZNS1_11reduce_implILb1ES3_N6thrust23THRUST_200600_302600_NS17counting_iteratorIxNS8_11hip_rocprim3tagENS8_11use_defaultESC_EEPxxNS8_4plusIxEEEE10hipError_tPvRmT1_T2_T3_mT4_P12ihipStream_tbEUlT_E1_NS1_11comp_targetILNS1_3genE10ELNS1_11target_archE1200ELNS1_3gpuE4ELNS1_3repE0EEENS1_30default_config_static_selectorELNS0_4arch9wavefront6targetE1EEEvSK_,comdat
	.protected	_ZN7rocprim17ROCPRIM_400000_NS6detail17trampoline_kernelINS0_14default_configENS1_22reduce_config_selectorIxEEZNS1_11reduce_implILb1ES3_N6thrust23THRUST_200600_302600_NS17counting_iteratorIxNS8_11hip_rocprim3tagENS8_11use_defaultESC_EEPxxNS8_4plusIxEEEE10hipError_tPvRmT1_T2_T3_mT4_P12ihipStream_tbEUlT_E1_NS1_11comp_targetILNS1_3genE10ELNS1_11target_archE1200ELNS1_3gpuE4ELNS1_3repE0EEENS1_30default_config_static_selectorELNS0_4arch9wavefront6targetE1EEEvSK_ ; -- Begin function _ZN7rocprim17ROCPRIM_400000_NS6detail17trampoline_kernelINS0_14default_configENS1_22reduce_config_selectorIxEEZNS1_11reduce_implILb1ES3_N6thrust23THRUST_200600_302600_NS17counting_iteratorIxNS8_11hip_rocprim3tagENS8_11use_defaultESC_EEPxxNS8_4plusIxEEEE10hipError_tPvRmT1_T2_T3_mT4_P12ihipStream_tbEUlT_E1_NS1_11comp_targetILNS1_3genE10ELNS1_11target_archE1200ELNS1_3gpuE4ELNS1_3repE0EEENS1_30default_config_static_selectorELNS0_4arch9wavefront6targetE1EEEvSK_
	.globl	_ZN7rocprim17ROCPRIM_400000_NS6detail17trampoline_kernelINS0_14default_configENS1_22reduce_config_selectorIxEEZNS1_11reduce_implILb1ES3_N6thrust23THRUST_200600_302600_NS17counting_iteratorIxNS8_11hip_rocprim3tagENS8_11use_defaultESC_EEPxxNS8_4plusIxEEEE10hipError_tPvRmT1_T2_T3_mT4_P12ihipStream_tbEUlT_E1_NS1_11comp_targetILNS1_3genE10ELNS1_11target_archE1200ELNS1_3gpuE4ELNS1_3repE0EEENS1_30default_config_static_selectorELNS0_4arch9wavefront6targetE1EEEvSK_
	.p2align	8
	.type	_ZN7rocprim17ROCPRIM_400000_NS6detail17trampoline_kernelINS0_14default_configENS1_22reduce_config_selectorIxEEZNS1_11reduce_implILb1ES3_N6thrust23THRUST_200600_302600_NS17counting_iteratorIxNS8_11hip_rocprim3tagENS8_11use_defaultESC_EEPxxNS8_4plusIxEEEE10hipError_tPvRmT1_T2_T3_mT4_P12ihipStream_tbEUlT_E1_NS1_11comp_targetILNS1_3genE10ELNS1_11target_archE1200ELNS1_3gpuE4ELNS1_3repE0EEENS1_30default_config_static_selectorELNS0_4arch9wavefront6targetE1EEEvSK_,@function
_ZN7rocprim17ROCPRIM_400000_NS6detail17trampoline_kernelINS0_14default_configENS1_22reduce_config_selectorIxEEZNS1_11reduce_implILb1ES3_N6thrust23THRUST_200600_302600_NS17counting_iteratorIxNS8_11hip_rocprim3tagENS8_11use_defaultESC_EEPxxNS8_4plusIxEEEE10hipError_tPvRmT1_T2_T3_mT4_P12ihipStream_tbEUlT_E1_NS1_11comp_targetILNS1_3genE10ELNS1_11target_archE1200ELNS1_3gpuE4ELNS1_3repE0EEENS1_30default_config_static_selectorELNS0_4arch9wavefront6targetE1EEEvSK_: ; @_ZN7rocprim17ROCPRIM_400000_NS6detail17trampoline_kernelINS0_14default_configENS1_22reduce_config_selectorIxEEZNS1_11reduce_implILb1ES3_N6thrust23THRUST_200600_302600_NS17counting_iteratorIxNS8_11hip_rocprim3tagENS8_11use_defaultESC_EEPxxNS8_4plusIxEEEE10hipError_tPvRmT1_T2_T3_mT4_P12ihipStream_tbEUlT_E1_NS1_11comp_targetILNS1_3genE10ELNS1_11target_archE1200ELNS1_3gpuE4ELNS1_3repE0EEENS1_30default_config_static_selectorELNS0_4arch9wavefront6targetE1EEEvSK_
; %bb.0:
	.section	.rodata,"a",@progbits
	.p2align	6, 0x0
	.amdhsa_kernel _ZN7rocprim17ROCPRIM_400000_NS6detail17trampoline_kernelINS0_14default_configENS1_22reduce_config_selectorIxEEZNS1_11reduce_implILb1ES3_N6thrust23THRUST_200600_302600_NS17counting_iteratorIxNS8_11hip_rocprim3tagENS8_11use_defaultESC_EEPxxNS8_4plusIxEEEE10hipError_tPvRmT1_T2_T3_mT4_P12ihipStream_tbEUlT_E1_NS1_11comp_targetILNS1_3genE10ELNS1_11target_archE1200ELNS1_3gpuE4ELNS1_3repE0EEENS1_30default_config_static_selectorELNS0_4arch9wavefront6targetE1EEEvSK_
		.amdhsa_group_segment_fixed_size 0
		.amdhsa_private_segment_fixed_size 0
		.amdhsa_kernarg_size 48
		.amdhsa_user_sgpr_count 2
		.amdhsa_user_sgpr_dispatch_ptr 0
		.amdhsa_user_sgpr_queue_ptr 0
		.amdhsa_user_sgpr_kernarg_segment_ptr 1
		.amdhsa_user_sgpr_dispatch_id 0
		.amdhsa_user_sgpr_kernarg_preload_length 0
		.amdhsa_user_sgpr_kernarg_preload_offset 0
		.amdhsa_user_sgpr_private_segment_size 0
		.amdhsa_uses_dynamic_stack 0
		.amdhsa_enable_private_segment 0
		.amdhsa_system_sgpr_workgroup_id_x 1
		.amdhsa_system_sgpr_workgroup_id_y 0
		.amdhsa_system_sgpr_workgroup_id_z 0
		.amdhsa_system_sgpr_workgroup_info 0
		.amdhsa_system_vgpr_workitem_id 0
		.amdhsa_next_free_vgpr 1
		.amdhsa_next_free_sgpr 0
		.amdhsa_accum_offset 4
		.amdhsa_reserve_vcc 0
		.amdhsa_float_round_mode_32 0
		.amdhsa_float_round_mode_16_64 0
		.amdhsa_float_denorm_mode_32 3
		.amdhsa_float_denorm_mode_16_64 3
		.amdhsa_dx10_clamp 1
		.amdhsa_ieee_mode 1
		.amdhsa_fp16_overflow 0
		.amdhsa_tg_split 0
		.amdhsa_exception_fp_ieee_invalid_op 0
		.amdhsa_exception_fp_denorm_src 0
		.amdhsa_exception_fp_ieee_div_zero 0
		.amdhsa_exception_fp_ieee_overflow 0
		.amdhsa_exception_fp_ieee_underflow 0
		.amdhsa_exception_fp_ieee_inexact 0
		.amdhsa_exception_int_div_zero 0
	.end_amdhsa_kernel
	.section	.text._ZN7rocprim17ROCPRIM_400000_NS6detail17trampoline_kernelINS0_14default_configENS1_22reduce_config_selectorIxEEZNS1_11reduce_implILb1ES3_N6thrust23THRUST_200600_302600_NS17counting_iteratorIxNS8_11hip_rocprim3tagENS8_11use_defaultESC_EEPxxNS8_4plusIxEEEE10hipError_tPvRmT1_T2_T3_mT4_P12ihipStream_tbEUlT_E1_NS1_11comp_targetILNS1_3genE10ELNS1_11target_archE1200ELNS1_3gpuE4ELNS1_3repE0EEENS1_30default_config_static_selectorELNS0_4arch9wavefront6targetE1EEEvSK_,"axG",@progbits,_ZN7rocprim17ROCPRIM_400000_NS6detail17trampoline_kernelINS0_14default_configENS1_22reduce_config_selectorIxEEZNS1_11reduce_implILb1ES3_N6thrust23THRUST_200600_302600_NS17counting_iteratorIxNS8_11hip_rocprim3tagENS8_11use_defaultESC_EEPxxNS8_4plusIxEEEE10hipError_tPvRmT1_T2_T3_mT4_P12ihipStream_tbEUlT_E1_NS1_11comp_targetILNS1_3genE10ELNS1_11target_archE1200ELNS1_3gpuE4ELNS1_3repE0EEENS1_30default_config_static_selectorELNS0_4arch9wavefront6targetE1EEEvSK_,comdat
.Lfunc_end1088:
	.size	_ZN7rocprim17ROCPRIM_400000_NS6detail17trampoline_kernelINS0_14default_configENS1_22reduce_config_selectorIxEEZNS1_11reduce_implILb1ES3_N6thrust23THRUST_200600_302600_NS17counting_iteratorIxNS8_11hip_rocprim3tagENS8_11use_defaultESC_EEPxxNS8_4plusIxEEEE10hipError_tPvRmT1_T2_T3_mT4_P12ihipStream_tbEUlT_E1_NS1_11comp_targetILNS1_3genE10ELNS1_11target_archE1200ELNS1_3gpuE4ELNS1_3repE0EEENS1_30default_config_static_selectorELNS0_4arch9wavefront6targetE1EEEvSK_, .Lfunc_end1088-_ZN7rocprim17ROCPRIM_400000_NS6detail17trampoline_kernelINS0_14default_configENS1_22reduce_config_selectorIxEEZNS1_11reduce_implILb1ES3_N6thrust23THRUST_200600_302600_NS17counting_iteratorIxNS8_11hip_rocprim3tagENS8_11use_defaultESC_EEPxxNS8_4plusIxEEEE10hipError_tPvRmT1_T2_T3_mT4_P12ihipStream_tbEUlT_E1_NS1_11comp_targetILNS1_3genE10ELNS1_11target_archE1200ELNS1_3gpuE4ELNS1_3repE0EEENS1_30default_config_static_selectorELNS0_4arch9wavefront6targetE1EEEvSK_
                                        ; -- End function
	.set _ZN7rocprim17ROCPRIM_400000_NS6detail17trampoline_kernelINS0_14default_configENS1_22reduce_config_selectorIxEEZNS1_11reduce_implILb1ES3_N6thrust23THRUST_200600_302600_NS17counting_iteratorIxNS8_11hip_rocprim3tagENS8_11use_defaultESC_EEPxxNS8_4plusIxEEEE10hipError_tPvRmT1_T2_T3_mT4_P12ihipStream_tbEUlT_E1_NS1_11comp_targetILNS1_3genE10ELNS1_11target_archE1200ELNS1_3gpuE4ELNS1_3repE0EEENS1_30default_config_static_selectorELNS0_4arch9wavefront6targetE1EEEvSK_.num_vgpr, 0
	.set _ZN7rocprim17ROCPRIM_400000_NS6detail17trampoline_kernelINS0_14default_configENS1_22reduce_config_selectorIxEEZNS1_11reduce_implILb1ES3_N6thrust23THRUST_200600_302600_NS17counting_iteratorIxNS8_11hip_rocprim3tagENS8_11use_defaultESC_EEPxxNS8_4plusIxEEEE10hipError_tPvRmT1_T2_T3_mT4_P12ihipStream_tbEUlT_E1_NS1_11comp_targetILNS1_3genE10ELNS1_11target_archE1200ELNS1_3gpuE4ELNS1_3repE0EEENS1_30default_config_static_selectorELNS0_4arch9wavefront6targetE1EEEvSK_.num_agpr, 0
	.set _ZN7rocprim17ROCPRIM_400000_NS6detail17trampoline_kernelINS0_14default_configENS1_22reduce_config_selectorIxEEZNS1_11reduce_implILb1ES3_N6thrust23THRUST_200600_302600_NS17counting_iteratorIxNS8_11hip_rocprim3tagENS8_11use_defaultESC_EEPxxNS8_4plusIxEEEE10hipError_tPvRmT1_T2_T3_mT4_P12ihipStream_tbEUlT_E1_NS1_11comp_targetILNS1_3genE10ELNS1_11target_archE1200ELNS1_3gpuE4ELNS1_3repE0EEENS1_30default_config_static_selectorELNS0_4arch9wavefront6targetE1EEEvSK_.numbered_sgpr, 0
	.set _ZN7rocprim17ROCPRIM_400000_NS6detail17trampoline_kernelINS0_14default_configENS1_22reduce_config_selectorIxEEZNS1_11reduce_implILb1ES3_N6thrust23THRUST_200600_302600_NS17counting_iteratorIxNS8_11hip_rocprim3tagENS8_11use_defaultESC_EEPxxNS8_4plusIxEEEE10hipError_tPvRmT1_T2_T3_mT4_P12ihipStream_tbEUlT_E1_NS1_11comp_targetILNS1_3genE10ELNS1_11target_archE1200ELNS1_3gpuE4ELNS1_3repE0EEENS1_30default_config_static_selectorELNS0_4arch9wavefront6targetE1EEEvSK_.num_named_barrier, 0
	.set _ZN7rocprim17ROCPRIM_400000_NS6detail17trampoline_kernelINS0_14default_configENS1_22reduce_config_selectorIxEEZNS1_11reduce_implILb1ES3_N6thrust23THRUST_200600_302600_NS17counting_iteratorIxNS8_11hip_rocprim3tagENS8_11use_defaultESC_EEPxxNS8_4plusIxEEEE10hipError_tPvRmT1_T2_T3_mT4_P12ihipStream_tbEUlT_E1_NS1_11comp_targetILNS1_3genE10ELNS1_11target_archE1200ELNS1_3gpuE4ELNS1_3repE0EEENS1_30default_config_static_selectorELNS0_4arch9wavefront6targetE1EEEvSK_.private_seg_size, 0
	.set _ZN7rocprim17ROCPRIM_400000_NS6detail17trampoline_kernelINS0_14default_configENS1_22reduce_config_selectorIxEEZNS1_11reduce_implILb1ES3_N6thrust23THRUST_200600_302600_NS17counting_iteratorIxNS8_11hip_rocprim3tagENS8_11use_defaultESC_EEPxxNS8_4plusIxEEEE10hipError_tPvRmT1_T2_T3_mT4_P12ihipStream_tbEUlT_E1_NS1_11comp_targetILNS1_3genE10ELNS1_11target_archE1200ELNS1_3gpuE4ELNS1_3repE0EEENS1_30default_config_static_selectorELNS0_4arch9wavefront6targetE1EEEvSK_.uses_vcc, 0
	.set _ZN7rocprim17ROCPRIM_400000_NS6detail17trampoline_kernelINS0_14default_configENS1_22reduce_config_selectorIxEEZNS1_11reduce_implILb1ES3_N6thrust23THRUST_200600_302600_NS17counting_iteratorIxNS8_11hip_rocprim3tagENS8_11use_defaultESC_EEPxxNS8_4plusIxEEEE10hipError_tPvRmT1_T2_T3_mT4_P12ihipStream_tbEUlT_E1_NS1_11comp_targetILNS1_3genE10ELNS1_11target_archE1200ELNS1_3gpuE4ELNS1_3repE0EEENS1_30default_config_static_selectorELNS0_4arch9wavefront6targetE1EEEvSK_.uses_flat_scratch, 0
	.set _ZN7rocprim17ROCPRIM_400000_NS6detail17trampoline_kernelINS0_14default_configENS1_22reduce_config_selectorIxEEZNS1_11reduce_implILb1ES3_N6thrust23THRUST_200600_302600_NS17counting_iteratorIxNS8_11hip_rocprim3tagENS8_11use_defaultESC_EEPxxNS8_4plusIxEEEE10hipError_tPvRmT1_T2_T3_mT4_P12ihipStream_tbEUlT_E1_NS1_11comp_targetILNS1_3genE10ELNS1_11target_archE1200ELNS1_3gpuE4ELNS1_3repE0EEENS1_30default_config_static_selectorELNS0_4arch9wavefront6targetE1EEEvSK_.has_dyn_sized_stack, 0
	.set _ZN7rocprim17ROCPRIM_400000_NS6detail17trampoline_kernelINS0_14default_configENS1_22reduce_config_selectorIxEEZNS1_11reduce_implILb1ES3_N6thrust23THRUST_200600_302600_NS17counting_iteratorIxNS8_11hip_rocprim3tagENS8_11use_defaultESC_EEPxxNS8_4plusIxEEEE10hipError_tPvRmT1_T2_T3_mT4_P12ihipStream_tbEUlT_E1_NS1_11comp_targetILNS1_3genE10ELNS1_11target_archE1200ELNS1_3gpuE4ELNS1_3repE0EEENS1_30default_config_static_selectorELNS0_4arch9wavefront6targetE1EEEvSK_.has_recursion, 0
	.set _ZN7rocprim17ROCPRIM_400000_NS6detail17trampoline_kernelINS0_14default_configENS1_22reduce_config_selectorIxEEZNS1_11reduce_implILb1ES3_N6thrust23THRUST_200600_302600_NS17counting_iteratorIxNS8_11hip_rocprim3tagENS8_11use_defaultESC_EEPxxNS8_4plusIxEEEE10hipError_tPvRmT1_T2_T3_mT4_P12ihipStream_tbEUlT_E1_NS1_11comp_targetILNS1_3genE10ELNS1_11target_archE1200ELNS1_3gpuE4ELNS1_3repE0EEENS1_30default_config_static_selectorELNS0_4arch9wavefront6targetE1EEEvSK_.has_indirect_call, 0
	.section	.AMDGPU.csdata,"",@progbits
; Kernel info:
; codeLenInByte = 0
; TotalNumSgprs: 6
; NumVgprs: 0
; NumAgprs: 0
; TotalNumVgprs: 0
; ScratchSize: 0
; MemoryBound: 0
; FloatMode: 240
; IeeeMode: 1
; LDSByteSize: 0 bytes/workgroup (compile time only)
; SGPRBlocks: 0
; VGPRBlocks: 0
; NumSGPRsForWavesPerEU: 6
; NumVGPRsForWavesPerEU: 1
; AccumOffset: 4
; Occupancy: 8
; WaveLimiterHint : 0
; COMPUTE_PGM_RSRC2:SCRATCH_EN: 0
; COMPUTE_PGM_RSRC2:USER_SGPR: 2
; COMPUTE_PGM_RSRC2:TRAP_HANDLER: 0
; COMPUTE_PGM_RSRC2:TGID_X_EN: 1
; COMPUTE_PGM_RSRC2:TGID_Y_EN: 0
; COMPUTE_PGM_RSRC2:TGID_Z_EN: 0
; COMPUTE_PGM_RSRC2:TIDIG_COMP_CNT: 0
; COMPUTE_PGM_RSRC3_GFX90A:ACCUM_OFFSET: 0
; COMPUTE_PGM_RSRC3_GFX90A:TG_SPLIT: 0
	.section	.text._ZN7rocprim17ROCPRIM_400000_NS6detail17trampoline_kernelINS0_14default_configENS1_22reduce_config_selectorIxEEZNS1_11reduce_implILb1ES3_N6thrust23THRUST_200600_302600_NS17counting_iteratorIxNS8_11hip_rocprim3tagENS8_11use_defaultESC_EEPxxNS8_4plusIxEEEE10hipError_tPvRmT1_T2_T3_mT4_P12ihipStream_tbEUlT_E1_NS1_11comp_targetILNS1_3genE9ELNS1_11target_archE1100ELNS1_3gpuE3ELNS1_3repE0EEENS1_30default_config_static_selectorELNS0_4arch9wavefront6targetE1EEEvSK_,"axG",@progbits,_ZN7rocprim17ROCPRIM_400000_NS6detail17trampoline_kernelINS0_14default_configENS1_22reduce_config_selectorIxEEZNS1_11reduce_implILb1ES3_N6thrust23THRUST_200600_302600_NS17counting_iteratorIxNS8_11hip_rocprim3tagENS8_11use_defaultESC_EEPxxNS8_4plusIxEEEE10hipError_tPvRmT1_T2_T3_mT4_P12ihipStream_tbEUlT_E1_NS1_11comp_targetILNS1_3genE9ELNS1_11target_archE1100ELNS1_3gpuE3ELNS1_3repE0EEENS1_30default_config_static_selectorELNS0_4arch9wavefront6targetE1EEEvSK_,comdat
	.protected	_ZN7rocprim17ROCPRIM_400000_NS6detail17trampoline_kernelINS0_14default_configENS1_22reduce_config_selectorIxEEZNS1_11reduce_implILb1ES3_N6thrust23THRUST_200600_302600_NS17counting_iteratorIxNS8_11hip_rocprim3tagENS8_11use_defaultESC_EEPxxNS8_4plusIxEEEE10hipError_tPvRmT1_T2_T3_mT4_P12ihipStream_tbEUlT_E1_NS1_11comp_targetILNS1_3genE9ELNS1_11target_archE1100ELNS1_3gpuE3ELNS1_3repE0EEENS1_30default_config_static_selectorELNS0_4arch9wavefront6targetE1EEEvSK_ ; -- Begin function _ZN7rocprim17ROCPRIM_400000_NS6detail17trampoline_kernelINS0_14default_configENS1_22reduce_config_selectorIxEEZNS1_11reduce_implILb1ES3_N6thrust23THRUST_200600_302600_NS17counting_iteratorIxNS8_11hip_rocprim3tagENS8_11use_defaultESC_EEPxxNS8_4plusIxEEEE10hipError_tPvRmT1_T2_T3_mT4_P12ihipStream_tbEUlT_E1_NS1_11comp_targetILNS1_3genE9ELNS1_11target_archE1100ELNS1_3gpuE3ELNS1_3repE0EEENS1_30default_config_static_selectorELNS0_4arch9wavefront6targetE1EEEvSK_
	.globl	_ZN7rocprim17ROCPRIM_400000_NS6detail17trampoline_kernelINS0_14default_configENS1_22reduce_config_selectorIxEEZNS1_11reduce_implILb1ES3_N6thrust23THRUST_200600_302600_NS17counting_iteratorIxNS8_11hip_rocprim3tagENS8_11use_defaultESC_EEPxxNS8_4plusIxEEEE10hipError_tPvRmT1_T2_T3_mT4_P12ihipStream_tbEUlT_E1_NS1_11comp_targetILNS1_3genE9ELNS1_11target_archE1100ELNS1_3gpuE3ELNS1_3repE0EEENS1_30default_config_static_selectorELNS0_4arch9wavefront6targetE1EEEvSK_
	.p2align	8
	.type	_ZN7rocprim17ROCPRIM_400000_NS6detail17trampoline_kernelINS0_14default_configENS1_22reduce_config_selectorIxEEZNS1_11reduce_implILb1ES3_N6thrust23THRUST_200600_302600_NS17counting_iteratorIxNS8_11hip_rocprim3tagENS8_11use_defaultESC_EEPxxNS8_4plusIxEEEE10hipError_tPvRmT1_T2_T3_mT4_P12ihipStream_tbEUlT_E1_NS1_11comp_targetILNS1_3genE9ELNS1_11target_archE1100ELNS1_3gpuE3ELNS1_3repE0EEENS1_30default_config_static_selectorELNS0_4arch9wavefront6targetE1EEEvSK_,@function
_ZN7rocprim17ROCPRIM_400000_NS6detail17trampoline_kernelINS0_14default_configENS1_22reduce_config_selectorIxEEZNS1_11reduce_implILb1ES3_N6thrust23THRUST_200600_302600_NS17counting_iteratorIxNS8_11hip_rocprim3tagENS8_11use_defaultESC_EEPxxNS8_4plusIxEEEE10hipError_tPvRmT1_T2_T3_mT4_P12ihipStream_tbEUlT_E1_NS1_11comp_targetILNS1_3genE9ELNS1_11target_archE1100ELNS1_3gpuE3ELNS1_3repE0EEENS1_30default_config_static_selectorELNS0_4arch9wavefront6targetE1EEEvSK_: ; @_ZN7rocprim17ROCPRIM_400000_NS6detail17trampoline_kernelINS0_14default_configENS1_22reduce_config_selectorIxEEZNS1_11reduce_implILb1ES3_N6thrust23THRUST_200600_302600_NS17counting_iteratorIxNS8_11hip_rocprim3tagENS8_11use_defaultESC_EEPxxNS8_4plusIxEEEE10hipError_tPvRmT1_T2_T3_mT4_P12ihipStream_tbEUlT_E1_NS1_11comp_targetILNS1_3genE9ELNS1_11target_archE1100ELNS1_3gpuE3ELNS1_3repE0EEENS1_30default_config_static_selectorELNS0_4arch9wavefront6targetE1EEEvSK_
; %bb.0:
	.section	.rodata,"a",@progbits
	.p2align	6, 0x0
	.amdhsa_kernel _ZN7rocprim17ROCPRIM_400000_NS6detail17trampoline_kernelINS0_14default_configENS1_22reduce_config_selectorIxEEZNS1_11reduce_implILb1ES3_N6thrust23THRUST_200600_302600_NS17counting_iteratorIxNS8_11hip_rocprim3tagENS8_11use_defaultESC_EEPxxNS8_4plusIxEEEE10hipError_tPvRmT1_T2_T3_mT4_P12ihipStream_tbEUlT_E1_NS1_11comp_targetILNS1_3genE9ELNS1_11target_archE1100ELNS1_3gpuE3ELNS1_3repE0EEENS1_30default_config_static_selectorELNS0_4arch9wavefront6targetE1EEEvSK_
		.amdhsa_group_segment_fixed_size 0
		.amdhsa_private_segment_fixed_size 0
		.amdhsa_kernarg_size 48
		.amdhsa_user_sgpr_count 2
		.amdhsa_user_sgpr_dispatch_ptr 0
		.amdhsa_user_sgpr_queue_ptr 0
		.amdhsa_user_sgpr_kernarg_segment_ptr 1
		.amdhsa_user_sgpr_dispatch_id 0
		.amdhsa_user_sgpr_kernarg_preload_length 0
		.amdhsa_user_sgpr_kernarg_preload_offset 0
		.amdhsa_user_sgpr_private_segment_size 0
		.amdhsa_uses_dynamic_stack 0
		.amdhsa_enable_private_segment 0
		.amdhsa_system_sgpr_workgroup_id_x 1
		.amdhsa_system_sgpr_workgroup_id_y 0
		.amdhsa_system_sgpr_workgroup_id_z 0
		.amdhsa_system_sgpr_workgroup_info 0
		.amdhsa_system_vgpr_workitem_id 0
		.amdhsa_next_free_vgpr 1
		.amdhsa_next_free_sgpr 0
		.amdhsa_accum_offset 4
		.amdhsa_reserve_vcc 0
		.amdhsa_float_round_mode_32 0
		.amdhsa_float_round_mode_16_64 0
		.amdhsa_float_denorm_mode_32 3
		.amdhsa_float_denorm_mode_16_64 3
		.amdhsa_dx10_clamp 1
		.amdhsa_ieee_mode 1
		.amdhsa_fp16_overflow 0
		.amdhsa_tg_split 0
		.amdhsa_exception_fp_ieee_invalid_op 0
		.amdhsa_exception_fp_denorm_src 0
		.amdhsa_exception_fp_ieee_div_zero 0
		.amdhsa_exception_fp_ieee_overflow 0
		.amdhsa_exception_fp_ieee_underflow 0
		.amdhsa_exception_fp_ieee_inexact 0
		.amdhsa_exception_int_div_zero 0
	.end_amdhsa_kernel
	.section	.text._ZN7rocprim17ROCPRIM_400000_NS6detail17trampoline_kernelINS0_14default_configENS1_22reduce_config_selectorIxEEZNS1_11reduce_implILb1ES3_N6thrust23THRUST_200600_302600_NS17counting_iteratorIxNS8_11hip_rocprim3tagENS8_11use_defaultESC_EEPxxNS8_4plusIxEEEE10hipError_tPvRmT1_T2_T3_mT4_P12ihipStream_tbEUlT_E1_NS1_11comp_targetILNS1_3genE9ELNS1_11target_archE1100ELNS1_3gpuE3ELNS1_3repE0EEENS1_30default_config_static_selectorELNS0_4arch9wavefront6targetE1EEEvSK_,"axG",@progbits,_ZN7rocprim17ROCPRIM_400000_NS6detail17trampoline_kernelINS0_14default_configENS1_22reduce_config_selectorIxEEZNS1_11reduce_implILb1ES3_N6thrust23THRUST_200600_302600_NS17counting_iteratorIxNS8_11hip_rocprim3tagENS8_11use_defaultESC_EEPxxNS8_4plusIxEEEE10hipError_tPvRmT1_T2_T3_mT4_P12ihipStream_tbEUlT_E1_NS1_11comp_targetILNS1_3genE9ELNS1_11target_archE1100ELNS1_3gpuE3ELNS1_3repE0EEENS1_30default_config_static_selectorELNS0_4arch9wavefront6targetE1EEEvSK_,comdat
.Lfunc_end1089:
	.size	_ZN7rocprim17ROCPRIM_400000_NS6detail17trampoline_kernelINS0_14default_configENS1_22reduce_config_selectorIxEEZNS1_11reduce_implILb1ES3_N6thrust23THRUST_200600_302600_NS17counting_iteratorIxNS8_11hip_rocprim3tagENS8_11use_defaultESC_EEPxxNS8_4plusIxEEEE10hipError_tPvRmT1_T2_T3_mT4_P12ihipStream_tbEUlT_E1_NS1_11comp_targetILNS1_3genE9ELNS1_11target_archE1100ELNS1_3gpuE3ELNS1_3repE0EEENS1_30default_config_static_selectorELNS0_4arch9wavefront6targetE1EEEvSK_, .Lfunc_end1089-_ZN7rocprim17ROCPRIM_400000_NS6detail17trampoline_kernelINS0_14default_configENS1_22reduce_config_selectorIxEEZNS1_11reduce_implILb1ES3_N6thrust23THRUST_200600_302600_NS17counting_iteratorIxNS8_11hip_rocprim3tagENS8_11use_defaultESC_EEPxxNS8_4plusIxEEEE10hipError_tPvRmT1_T2_T3_mT4_P12ihipStream_tbEUlT_E1_NS1_11comp_targetILNS1_3genE9ELNS1_11target_archE1100ELNS1_3gpuE3ELNS1_3repE0EEENS1_30default_config_static_selectorELNS0_4arch9wavefront6targetE1EEEvSK_
                                        ; -- End function
	.set _ZN7rocprim17ROCPRIM_400000_NS6detail17trampoline_kernelINS0_14default_configENS1_22reduce_config_selectorIxEEZNS1_11reduce_implILb1ES3_N6thrust23THRUST_200600_302600_NS17counting_iteratorIxNS8_11hip_rocprim3tagENS8_11use_defaultESC_EEPxxNS8_4plusIxEEEE10hipError_tPvRmT1_T2_T3_mT4_P12ihipStream_tbEUlT_E1_NS1_11comp_targetILNS1_3genE9ELNS1_11target_archE1100ELNS1_3gpuE3ELNS1_3repE0EEENS1_30default_config_static_selectorELNS0_4arch9wavefront6targetE1EEEvSK_.num_vgpr, 0
	.set _ZN7rocprim17ROCPRIM_400000_NS6detail17trampoline_kernelINS0_14default_configENS1_22reduce_config_selectorIxEEZNS1_11reduce_implILb1ES3_N6thrust23THRUST_200600_302600_NS17counting_iteratorIxNS8_11hip_rocprim3tagENS8_11use_defaultESC_EEPxxNS8_4plusIxEEEE10hipError_tPvRmT1_T2_T3_mT4_P12ihipStream_tbEUlT_E1_NS1_11comp_targetILNS1_3genE9ELNS1_11target_archE1100ELNS1_3gpuE3ELNS1_3repE0EEENS1_30default_config_static_selectorELNS0_4arch9wavefront6targetE1EEEvSK_.num_agpr, 0
	.set _ZN7rocprim17ROCPRIM_400000_NS6detail17trampoline_kernelINS0_14default_configENS1_22reduce_config_selectorIxEEZNS1_11reduce_implILb1ES3_N6thrust23THRUST_200600_302600_NS17counting_iteratorIxNS8_11hip_rocprim3tagENS8_11use_defaultESC_EEPxxNS8_4plusIxEEEE10hipError_tPvRmT1_T2_T3_mT4_P12ihipStream_tbEUlT_E1_NS1_11comp_targetILNS1_3genE9ELNS1_11target_archE1100ELNS1_3gpuE3ELNS1_3repE0EEENS1_30default_config_static_selectorELNS0_4arch9wavefront6targetE1EEEvSK_.numbered_sgpr, 0
	.set _ZN7rocprim17ROCPRIM_400000_NS6detail17trampoline_kernelINS0_14default_configENS1_22reduce_config_selectorIxEEZNS1_11reduce_implILb1ES3_N6thrust23THRUST_200600_302600_NS17counting_iteratorIxNS8_11hip_rocprim3tagENS8_11use_defaultESC_EEPxxNS8_4plusIxEEEE10hipError_tPvRmT1_T2_T3_mT4_P12ihipStream_tbEUlT_E1_NS1_11comp_targetILNS1_3genE9ELNS1_11target_archE1100ELNS1_3gpuE3ELNS1_3repE0EEENS1_30default_config_static_selectorELNS0_4arch9wavefront6targetE1EEEvSK_.num_named_barrier, 0
	.set _ZN7rocprim17ROCPRIM_400000_NS6detail17trampoline_kernelINS0_14default_configENS1_22reduce_config_selectorIxEEZNS1_11reduce_implILb1ES3_N6thrust23THRUST_200600_302600_NS17counting_iteratorIxNS8_11hip_rocprim3tagENS8_11use_defaultESC_EEPxxNS8_4plusIxEEEE10hipError_tPvRmT1_T2_T3_mT4_P12ihipStream_tbEUlT_E1_NS1_11comp_targetILNS1_3genE9ELNS1_11target_archE1100ELNS1_3gpuE3ELNS1_3repE0EEENS1_30default_config_static_selectorELNS0_4arch9wavefront6targetE1EEEvSK_.private_seg_size, 0
	.set _ZN7rocprim17ROCPRIM_400000_NS6detail17trampoline_kernelINS0_14default_configENS1_22reduce_config_selectorIxEEZNS1_11reduce_implILb1ES3_N6thrust23THRUST_200600_302600_NS17counting_iteratorIxNS8_11hip_rocprim3tagENS8_11use_defaultESC_EEPxxNS8_4plusIxEEEE10hipError_tPvRmT1_T2_T3_mT4_P12ihipStream_tbEUlT_E1_NS1_11comp_targetILNS1_3genE9ELNS1_11target_archE1100ELNS1_3gpuE3ELNS1_3repE0EEENS1_30default_config_static_selectorELNS0_4arch9wavefront6targetE1EEEvSK_.uses_vcc, 0
	.set _ZN7rocprim17ROCPRIM_400000_NS6detail17trampoline_kernelINS0_14default_configENS1_22reduce_config_selectorIxEEZNS1_11reduce_implILb1ES3_N6thrust23THRUST_200600_302600_NS17counting_iteratorIxNS8_11hip_rocprim3tagENS8_11use_defaultESC_EEPxxNS8_4plusIxEEEE10hipError_tPvRmT1_T2_T3_mT4_P12ihipStream_tbEUlT_E1_NS1_11comp_targetILNS1_3genE9ELNS1_11target_archE1100ELNS1_3gpuE3ELNS1_3repE0EEENS1_30default_config_static_selectorELNS0_4arch9wavefront6targetE1EEEvSK_.uses_flat_scratch, 0
	.set _ZN7rocprim17ROCPRIM_400000_NS6detail17trampoline_kernelINS0_14default_configENS1_22reduce_config_selectorIxEEZNS1_11reduce_implILb1ES3_N6thrust23THRUST_200600_302600_NS17counting_iteratorIxNS8_11hip_rocprim3tagENS8_11use_defaultESC_EEPxxNS8_4plusIxEEEE10hipError_tPvRmT1_T2_T3_mT4_P12ihipStream_tbEUlT_E1_NS1_11comp_targetILNS1_3genE9ELNS1_11target_archE1100ELNS1_3gpuE3ELNS1_3repE0EEENS1_30default_config_static_selectorELNS0_4arch9wavefront6targetE1EEEvSK_.has_dyn_sized_stack, 0
	.set _ZN7rocprim17ROCPRIM_400000_NS6detail17trampoline_kernelINS0_14default_configENS1_22reduce_config_selectorIxEEZNS1_11reduce_implILb1ES3_N6thrust23THRUST_200600_302600_NS17counting_iteratorIxNS8_11hip_rocprim3tagENS8_11use_defaultESC_EEPxxNS8_4plusIxEEEE10hipError_tPvRmT1_T2_T3_mT4_P12ihipStream_tbEUlT_E1_NS1_11comp_targetILNS1_3genE9ELNS1_11target_archE1100ELNS1_3gpuE3ELNS1_3repE0EEENS1_30default_config_static_selectorELNS0_4arch9wavefront6targetE1EEEvSK_.has_recursion, 0
	.set _ZN7rocprim17ROCPRIM_400000_NS6detail17trampoline_kernelINS0_14default_configENS1_22reduce_config_selectorIxEEZNS1_11reduce_implILb1ES3_N6thrust23THRUST_200600_302600_NS17counting_iteratorIxNS8_11hip_rocprim3tagENS8_11use_defaultESC_EEPxxNS8_4plusIxEEEE10hipError_tPvRmT1_T2_T3_mT4_P12ihipStream_tbEUlT_E1_NS1_11comp_targetILNS1_3genE9ELNS1_11target_archE1100ELNS1_3gpuE3ELNS1_3repE0EEENS1_30default_config_static_selectorELNS0_4arch9wavefront6targetE1EEEvSK_.has_indirect_call, 0
	.section	.AMDGPU.csdata,"",@progbits
; Kernel info:
; codeLenInByte = 0
; TotalNumSgprs: 6
; NumVgprs: 0
; NumAgprs: 0
; TotalNumVgprs: 0
; ScratchSize: 0
; MemoryBound: 0
; FloatMode: 240
; IeeeMode: 1
; LDSByteSize: 0 bytes/workgroup (compile time only)
; SGPRBlocks: 0
; VGPRBlocks: 0
; NumSGPRsForWavesPerEU: 6
; NumVGPRsForWavesPerEU: 1
; AccumOffset: 4
; Occupancy: 8
; WaveLimiterHint : 0
; COMPUTE_PGM_RSRC2:SCRATCH_EN: 0
; COMPUTE_PGM_RSRC2:USER_SGPR: 2
; COMPUTE_PGM_RSRC2:TRAP_HANDLER: 0
; COMPUTE_PGM_RSRC2:TGID_X_EN: 1
; COMPUTE_PGM_RSRC2:TGID_Y_EN: 0
; COMPUTE_PGM_RSRC2:TGID_Z_EN: 0
; COMPUTE_PGM_RSRC2:TIDIG_COMP_CNT: 0
; COMPUTE_PGM_RSRC3_GFX90A:ACCUM_OFFSET: 0
; COMPUTE_PGM_RSRC3_GFX90A:TG_SPLIT: 0
	.section	.text._ZN7rocprim17ROCPRIM_400000_NS6detail17trampoline_kernelINS0_14default_configENS1_22reduce_config_selectorIxEEZNS1_11reduce_implILb1ES3_N6thrust23THRUST_200600_302600_NS17counting_iteratorIxNS8_11hip_rocprim3tagENS8_11use_defaultESC_EEPxxNS8_4plusIxEEEE10hipError_tPvRmT1_T2_T3_mT4_P12ihipStream_tbEUlT_E1_NS1_11comp_targetILNS1_3genE8ELNS1_11target_archE1030ELNS1_3gpuE2ELNS1_3repE0EEENS1_30default_config_static_selectorELNS0_4arch9wavefront6targetE1EEEvSK_,"axG",@progbits,_ZN7rocprim17ROCPRIM_400000_NS6detail17trampoline_kernelINS0_14default_configENS1_22reduce_config_selectorIxEEZNS1_11reduce_implILb1ES3_N6thrust23THRUST_200600_302600_NS17counting_iteratorIxNS8_11hip_rocprim3tagENS8_11use_defaultESC_EEPxxNS8_4plusIxEEEE10hipError_tPvRmT1_T2_T3_mT4_P12ihipStream_tbEUlT_E1_NS1_11comp_targetILNS1_3genE8ELNS1_11target_archE1030ELNS1_3gpuE2ELNS1_3repE0EEENS1_30default_config_static_selectorELNS0_4arch9wavefront6targetE1EEEvSK_,comdat
	.protected	_ZN7rocprim17ROCPRIM_400000_NS6detail17trampoline_kernelINS0_14default_configENS1_22reduce_config_selectorIxEEZNS1_11reduce_implILb1ES3_N6thrust23THRUST_200600_302600_NS17counting_iteratorIxNS8_11hip_rocprim3tagENS8_11use_defaultESC_EEPxxNS8_4plusIxEEEE10hipError_tPvRmT1_T2_T3_mT4_P12ihipStream_tbEUlT_E1_NS1_11comp_targetILNS1_3genE8ELNS1_11target_archE1030ELNS1_3gpuE2ELNS1_3repE0EEENS1_30default_config_static_selectorELNS0_4arch9wavefront6targetE1EEEvSK_ ; -- Begin function _ZN7rocprim17ROCPRIM_400000_NS6detail17trampoline_kernelINS0_14default_configENS1_22reduce_config_selectorIxEEZNS1_11reduce_implILb1ES3_N6thrust23THRUST_200600_302600_NS17counting_iteratorIxNS8_11hip_rocprim3tagENS8_11use_defaultESC_EEPxxNS8_4plusIxEEEE10hipError_tPvRmT1_T2_T3_mT4_P12ihipStream_tbEUlT_E1_NS1_11comp_targetILNS1_3genE8ELNS1_11target_archE1030ELNS1_3gpuE2ELNS1_3repE0EEENS1_30default_config_static_selectorELNS0_4arch9wavefront6targetE1EEEvSK_
	.globl	_ZN7rocprim17ROCPRIM_400000_NS6detail17trampoline_kernelINS0_14default_configENS1_22reduce_config_selectorIxEEZNS1_11reduce_implILb1ES3_N6thrust23THRUST_200600_302600_NS17counting_iteratorIxNS8_11hip_rocprim3tagENS8_11use_defaultESC_EEPxxNS8_4plusIxEEEE10hipError_tPvRmT1_T2_T3_mT4_P12ihipStream_tbEUlT_E1_NS1_11comp_targetILNS1_3genE8ELNS1_11target_archE1030ELNS1_3gpuE2ELNS1_3repE0EEENS1_30default_config_static_selectorELNS0_4arch9wavefront6targetE1EEEvSK_
	.p2align	8
	.type	_ZN7rocprim17ROCPRIM_400000_NS6detail17trampoline_kernelINS0_14default_configENS1_22reduce_config_selectorIxEEZNS1_11reduce_implILb1ES3_N6thrust23THRUST_200600_302600_NS17counting_iteratorIxNS8_11hip_rocprim3tagENS8_11use_defaultESC_EEPxxNS8_4plusIxEEEE10hipError_tPvRmT1_T2_T3_mT4_P12ihipStream_tbEUlT_E1_NS1_11comp_targetILNS1_3genE8ELNS1_11target_archE1030ELNS1_3gpuE2ELNS1_3repE0EEENS1_30default_config_static_selectorELNS0_4arch9wavefront6targetE1EEEvSK_,@function
_ZN7rocprim17ROCPRIM_400000_NS6detail17trampoline_kernelINS0_14default_configENS1_22reduce_config_selectorIxEEZNS1_11reduce_implILb1ES3_N6thrust23THRUST_200600_302600_NS17counting_iteratorIxNS8_11hip_rocprim3tagENS8_11use_defaultESC_EEPxxNS8_4plusIxEEEE10hipError_tPvRmT1_T2_T3_mT4_P12ihipStream_tbEUlT_E1_NS1_11comp_targetILNS1_3genE8ELNS1_11target_archE1030ELNS1_3gpuE2ELNS1_3repE0EEENS1_30default_config_static_selectorELNS0_4arch9wavefront6targetE1EEEvSK_: ; @_ZN7rocprim17ROCPRIM_400000_NS6detail17trampoline_kernelINS0_14default_configENS1_22reduce_config_selectorIxEEZNS1_11reduce_implILb1ES3_N6thrust23THRUST_200600_302600_NS17counting_iteratorIxNS8_11hip_rocprim3tagENS8_11use_defaultESC_EEPxxNS8_4plusIxEEEE10hipError_tPvRmT1_T2_T3_mT4_P12ihipStream_tbEUlT_E1_NS1_11comp_targetILNS1_3genE8ELNS1_11target_archE1030ELNS1_3gpuE2ELNS1_3repE0EEENS1_30default_config_static_selectorELNS0_4arch9wavefront6targetE1EEEvSK_
; %bb.0:
	.section	.rodata,"a",@progbits
	.p2align	6, 0x0
	.amdhsa_kernel _ZN7rocprim17ROCPRIM_400000_NS6detail17trampoline_kernelINS0_14default_configENS1_22reduce_config_selectorIxEEZNS1_11reduce_implILb1ES3_N6thrust23THRUST_200600_302600_NS17counting_iteratorIxNS8_11hip_rocprim3tagENS8_11use_defaultESC_EEPxxNS8_4plusIxEEEE10hipError_tPvRmT1_T2_T3_mT4_P12ihipStream_tbEUlT_E1_NS1_11comp_targetILNS1_3genE8ELNS1_11target_archE1030ELNS1_3gpuE2ELNS1_3repE0EEENS1_30default_config_static_selectorELNS0_4arch9wavefront6targetE1EEEvSK_
		.amdhsa_group_segment_fixed_size 0
		.amdhsa_private_segment_fixed_size 0
		.amdhsa_kernarg_size 48
		.amdhsa_user_sgpr_count 2
		.amdhsa_user_sgpr_dispatch_ptr 0
		.amdhsa_user_sgpr_queue_ptr 0
		.amdhsa_user_sgpr_kernarg_segment_ptr 1
		.amdhsa_user_sgpr_dispatch_id 0
		.amdhsa_user_sgpr_kernarg_preload_length 0
		.amdhsa_user_sgpr_kernarg_preload_offset 0
		.amdhsa_user_sgpr_private_segment_size 0
		.amdhsa_uses_dynamic_stack 0
		.amdhsa_enable_private_segment 0
		.amdhsa_system_sgpr_workgroup_id_x 1
		.amdhsa_system_sgpr_workgroup_id_y 0
		.amdhsa_system_sgpr_workgroup_id_z 0
		.amdhsa_system_sgpr_workgroup_info 0
		.amdhsa_system_vgpr_workitem_id 0
		.amdhsa_next_free_vgpr 1
		.amdhsa_next_free_sgpr 0
		.amdhsa_accum_offset 4
		.amdhsa_reserve_vcc 0
		.amdhsa_float_round_mode_32 0
		.amdhsa_float_round_mode_16_64 0
		.amdhsa_float_denorm_mode_32 3
		.amdhsa_float_denorm_mode_16_64 3
		.amdhsa_dx10_clamp 1
		.amdhsa_ieee_mode 1
		.amdhsa_fp16_overflow 0
		.amdhsa_tg_split 0
		.amdhsa_exception_fp_ieee_invalid_op 0
		.amdhsa_exception_fp_denorm_src 0
		.amdhsa_exception_fp_ieee_div_zero 0
		.amdhsa_exception_fp_ieee_overflow 0
		.amdhsa_exception_fp_ieee_underflow 0
		.amdhsa_exception_fp_ieee_inexact 0
		.amdhsa_exception_int_div_zero 0
	.end_amdhsa_kernel
	.section	.text._ZN7rocprim17ROCPRIM_400000_NS6detail17trampoline_kernelINS0_14default_configENS1_22reduce_config_selectorIxEEZNS1_11reduce_implILb1ES3_N6thrust23THRUST_200600_302600_NS17counting_iteratorIxNS8_11hip_rocprim3tagENS8_11use_defaultESC_EEPxxNS8_4plusIxEEEE10hipError_tPvRmT1_T2_T3_mT4_P12ihipStream_tbEUlT_E1_NS1_11comp_targetILNS1_3genE8ELNS1_11target_archE1030ELNS1_3gpuE2ELNS1_3repE0EEENS1_30default_config_static_selectorELNS0_4arch9wavefront6targetE1EEEvSK_,"axG",@progbits,_ZN7rocprim17ROCPRIM_400000_NS6detail17trampoline_kernelINS0_14default_configENS1_22reduce_config_selectorIxEEZNS1_11reduce_implILb1ES3_N6thrust23THRUST_200600_302600_NS17counting_iteratorIxNS8_11hip_rocprim3tagENS8_11use_defaultESC_EEPxxNS8_4plusIxEEEE10hipError_tPvRmT1_T2_T3_mT4_P12ihipStream_tbEUlT_E1_NS1_11comp_targetILNS1_3genE8ELNS1_11target_archE1030ELNS1_3gpuE2ELNS1_3repE0EEENS1_30default_config_static_selectorELNS0_4arch9wavefront6targetE1EEEvSK_,comdat
.Lfunc_end1090:
	.size	_ZN7rocprim17ROCPRIM_400000_NS6detail17trampoline_kernelINS0_14default_configENS1_22reduce_config_selectorIxEEZNS1_11reduce_implILb1ES3_N6thrust23THRUST_200600_302600_NS17counting_iteratorIxNS8_11hip_rocprim3tagENS8_11use_defaultESC_EEPxxNS8_4plusIxEEEE10hipError_tPvRmT1_T2_T3_mT4_P12ihipStream_tbEUlT_E1_NS1_11comp_targetILNS1_3genE8ELNS1_11target_archE1030ELNS1_3gpuE2ELNS1_3repE0EEENS1_30default_config_static_selectorELNS0_4arch9wavefront6targetE1EEEvSK_, .Lfunc_end1090-_ZN7rocprim17ROCPRIM_400000_NS6detail17trampoline_kernelINS0_14default_configENS1_22reduce_config_selectorIxEEZNS1_11reduce_implILb1ES3_N6thrust23THRUST_200600_302600_NS17counting_iteratorIxNS8_11hip_rocprim3tagENS8_11use_defaultESC_EEPxxNS8_4plusIxEEEE10hipError_tPvRmT1_T2_T3_mT4_P12ihipStream_tbEUlT_E1_NS1_11comp_targetILNS1_3genE8ELNS1_11target_archE1030ELNS1_3gpuE2ELNS1_3repE0EEENS1_30default_config_static_selectorELNS0_4arch9wavefront6targetE1EEEvSK_
                                        ; -- End function
	.set _ZN7rocprim17ROCPRIM_400000_NS6detail17trampoline_kernelINS0_14default_configENS1_22reduce_config_selectorIxEEZNS1_11reduce_implILb1ES3_N6thrust23THRUST_200600_302600_NS17counting_iteratorIxNS8_11hip_rocprim3tagENS8_11use_defaultESC_EEPxxNS8_4plusIxEEEE10hipError_tPvRmT1_T2_T3_mT4_P12ihipStream_tbEUlT_E1_NS1_11comp_targetILNS1_3genE8ELNS1_11target_archE1030ELNS1_3gpuE2ELNS1_3repE0EEENS1_30default_config_static_selectorELNS0_4arch9wavefront6targetE1EEEvSK_.num_vgpr, 0
	.set _ZN7rocprim17ROCPRIM_400000_NS6detail17trampoline_kernelINS0_14default_configENS1_22reduce_config_selectorIxEEZNS1_11reduce_implILb1ES3_N6thrust23THRUST_200600_302600_NS17counting_iteratorIxNS8_11hip_rocprim3tagENS8_11use_defaultESC_EEPxxNS8_4plusIxEEEE10hipError_tPvRmT1_T2_T3_mT4_P12ihipStream_tbEUlT_E1_NS1_11comp_targetILNS1_3genE8ELNS1_11target_archE1030ELNS1_3gpuE2ELNS1_3repE0EEENS1_30default_config_static_selectorELNS0_4arch9wavefront6targetE1EEEvSK_.num_agpr, 0
	.set _ZN7rocprim17ROCPRIM_400000_NS6detail17trampoline_kernelINS0_14default_configENS1_22reduce_config_selectorIxEEZNS1_11reduce_implILb1ES3_N6thrust23THRUST_200600_302600_NS17counting_iteratorIxNS8_11hip_rocprim3tagENS8_11use_defaultESC_EEPxxNS8_4plusIxEEEE10hipError_tPvRmT1_T2_T3_mT4_P12ihipStream_tbEUlT_E1_NS1_11comp_targetILNS1_3genE8ELNS1_11target_archE1030ELNS1_3gpuE2ELNS1_3repE0EEENS1_30default_config_static_selectorELNS0_4arch9wavefront6targetE1EEEvSK_.numbered_sgpr, 0
	.set _ZN7rocprim17ROCPRIM_400000_NS6detail17trampoline_kernelINS0_14default_configENS1_22reduce_config_selectorIxEEZNS1_11reduce_implILb1ES3_N6thrust23THRUST_200600_302600_NS17counting_iteratorIxNS8_11hip_rocprim3tagENS8_11use_defaultESC_EEPxxNS8_4plusIxEEEE10hipError_tPvRmT1_T2_T3_mT4_P12ihipStream_tbEUlT_E1_NS1_11comp_targetILNS1_3genE8ELNS1_11target_archE1030ELNS1_3gpuE2ELNS1_3repE0EEENS1_30default_config_static_selectorELNS0_4arch9wavefront6targetE1EEEvSK_.num_named_barrier, 0
	.set _ZN7rocprim17ROCPRIM_400000_NS6detail17trampoline_kernelINS0_14default_configENS1_22reduce_config_selectorIxEEZNS1_11reduce_implILb1ES3_N6thrust23THRUST_200600_302600_NS17counting_iteratorIxNS8_11hip_rocprim3tagENS8_11use_defaultESC_EEPxxNS8_4plusIxEEEE10hipError_tPvRmT1_T2_T3_mT4_P12ihipStream_tbEUlT_E1_NS1_11comp_targetILNS1_3genE8ELNS1_11target_archE1030ELNS1_3gpuE2ELNS1_3repE0EEENS1_30default_config_static_selectorELNS0_4arch9wavefront6targetE1EEEvSK_.private_seg_size, 0
	.set _ZN7rocprim17ROCPRIM_400000_NS6detail17trampoline_kernelINS0_14default_configENS1_22reduce_config_selectorIxEEZNS1_11reduce_implILb1ES3_N6thrust23THRUST_200600_302600_NS17counting_iteratorIxNS8_11hip_rocprim3tagENS8_11use_defaultESC_EEPxxNS8_4plusIxEEEE10hipError_tPvRmT1_T2_T3_mT4_P12ihipStream_tbEUlT_E1_NS1_11comp_targetILNS1_3genE8ELNS1_11target_archE1030ELNS1_3gpuE2ELNS1_3repE0EEENS1_30default_config_static_selectorELNS0_4arch9wavefront6targetE1EEEvSK_.uses_vcc, 0
	.set _ZN7rocprim17ROCPRIM_400000_NS6detail17trampoline_kernelINS0_14default_configENS1_22reduce_config_selectorIxEEZNS1_11reduce_implILb1ES3_N6thrust23THRUST_200600_302600_NS17counting_iteratorIxNS8_11hip_rocprim3tagENS8_11use_defaultESC_EEPxxNS8_4plusIxEEEE10hipError_tPvRmT1_T2_T3_mT4_P12ihipStream_tbEUlT_E1_NS1_11comp_targetILNS1_3genE8ELNS1_11target_archE1030ELNS1_3gpuE2ELNS1_3repE0EEENS1_30default_config_static_selectorELNS0_4arch9wavefront6targetE1EEEvSK_.uses_flat_scratch, 0
	.set _ZN7rocprim17ROCPRIM_400000_NS6detail17trampoline_kernelINS0_14default_configENS1_22reduce_config_selectorIxEEZNS1_11reduce_implILb1ES3_N6thrust23THRUST_200600_302600_NS17counting_iteratorIxNS8_11hip_rocprim3tagENS8_11use_defaultESC_EEPxxNS8_4plusIxEEEE10hipError_tPvRmT1_T2_T3_mT4_P12ihipStream_tbEUlT_E1_NS1_11comp_targetILNS1_3genE8ELNS1_11target_archE1030ELNS1_3gpuE2ELNS1_3repE0EEENS1_30default_config_static_selectorELNS0_4arch9wavefront6targetE1EEEvSK_.has_dyn_sized_stack, 0
	.set _ZN7rocprim17ROCPRIM_400000_NS6detail17trampoline_kernelINS0_14default_configENS1_22reduce_config_selectorIxEEZNS1_11reduce_implILb1ES3_N6thrust23THRUST_200600_302600_NS17counting_iteratorIxNS8_11hip_rocprim3tagENS8_11use_defaultESC_EEPxxNS8_4plusIxEEEE10hipError_tPvRmT1_T2_T3_mT4_P12ihipStream_tbEUlT_E1_NS1_11comp_targetILNS1_3genE8ELNS1_11target_archE1030ELNS1_3gpuE2ELNS1_3repE0EEENS1_30default_config_static_selectorELNS0_4arch9wavefront6targetE1EEEvSK_.has_recursion, 0
	.set _ZN7rocprim17ROCPRIM_400000_NS6detail17trampoline_kernelINS0_14default_configENS1_22reduce_config_selectorIxEEZNS1_11reduce_implILb1ES3_N6thrust23THRUST_200600_302600_NS17counting_iteratorIxNS8_11hip_rocprim3tagENS8_11use_defaultESC_EEPxxNS8_4plusIxEEEE10hipError_tPvRmT1_T2_T3_mT4_P12ihipStream_tbEUlT_E1_NS1_11comp_targetILNS1_3genE8ELNS1_11target_archE1030ELNS1_3gpuE2ELNS1_3repE0EEENS1_30default_config_static_selectorELNS0_4arch9wavefront6targetE1EEEvSK_.has_indirect_call, 0
	.section	.AMDGPU.csdata,"",@progbits
; Kernel info:
; codeLenInByte = 0
; TotalNumSgprs: 6
; NumVgprs: 0
; NumAgprs: 0
; TotalNumVgprs: 0
; ScratchSize: 0
; MemoryBound: 0
; FloatMode: 240
; IeeeMode: 1
; LDSByteSize: 0 bytes/workgroup (compile time only)
; SGPRBlocks: 0
; VGPRBlocks: 0
; NumSGPRsForWavesPerEU: 6
; NumVGPRsForWavesPerEU: 1
; AccumOffset: 4
; Occupancy: 8
; WaveLimiterHint : 0
; COMPUTE_PGM_RSRC2:SCRATCH_EN: 0
; COMPUTE_PGM_RSRC2:USER_SGPR: 2
; COMPUTE_PGM_RSRC2:TRAP_HANDLER: 0
; COMPUTE_PGM_RSRC2:TGID_X_EN: 1
; COMPUTE_PGM_RSRC2:TGID_Y_EN: 0
; COMPUTE_PGM_RSRC2:TGID_Z_EN: 0
; COMPUTE_PGM_RSRC2:TIDIG_COMP_CNT: 0
; COMPUTE_PGM_RSRC3_GFX90A:ACCUM_OFFSET: 0
; COMPUTE_PGM_RSRC3_GFX90A:TG_SPLIT: 0
	.section	.text._ZN7rocprim17ROCPRIM_400000_NS6detail17trampoline_kernelINS0_14default_configENS1_22reduce_config_selectorIiEEZNS1_11reduce_implILb1ES3_N6thrust23THRUST_200600_302600_NS17counting_iteratorIiNS8_11hip_rocprim3tagENS8_11use_defaultESC_EEPiiNS8_4plusIiEEEE10hipError_tPvRmT1_T2_T3_mT4_P12ihipStream_tbEUlT_E0_NS1_11comp_targetILNS1_3genE0ELNS1_11target_archE4294967295ELNS1_3gpuE0ELNS1_3repE0EEENS1_30default_config_static_selectorELNS0_4arch9wavefront6targetE1EEEvSK_,"axG",@progbits,_ZN7rocprim17ROCPRIM_400000_NS6detail17trampoline_kernelINS0_14default_configENS1_22reduce_config_selectorIiEEZNS1_11reduce_implILb1ES3_N6thrust23THRUST_200600_302600_NS17counting_iteratorIiNS8_11hip_rocprim3tagENS8_11use_defaultESC_EEPiiNS8_4plusIiEEEE10hipError_tPvRmT1_T2_T3_mT4_P12ihipStream_tbEUlT_E0_NS1_11comp_targetILNS1_3genE0ELNS1_11target_archE4294967295ELNS1_3gpuE0ELNS1_3repE0EEENS1_30default_config_static_selectorELNS0_4arch9wavefront6targetE1EEEvSK_,comdat
	.protected	_ZN7rocprim17ROCPRIM_400000_NS6detail17trampoline_kernelINS0_14default_configENS1_22reduce_config_selectorIiEEZNS1_11reduce_implILb1ES3_N6thrust23THRUST_200600_302600_NS17counting_iteratorIiNS8_11hip_rocprim3tagENS8_11use_defaultESC_EEPiiNS8_4plusIiEEEE10hipError_tPvRmT1_T2_T3_mT4_P12ihipStream_tbEUlT_E0_NS1_11comp_targetILNS1_3genE0ELNS1_11target_archE4294967295ELNS1_3gpuE0ELNS1_3repE0EEENS1_30default_config_static_selectorELNS0_4arch9wavefront6targetE1EEEvSK_ ; -- Begin function _ZN7rocprim17ROCPRIM_400000_NS6detail17trampoline_kernelINS0_14default_configENS1_22reduce_config_selectorIiEEZNS1_11reduce_implILb1ES3_N6thrust23THRUST_200600_302600_NS17counting_iteratorIiNS8_11hip_rocprim3tagENS8_11use_defaultESC_EEPiiNS8_4plusIiEEEE10hipError_tPvRmT1_T2_T3_mT4_P12ihipStream_tbEUlT_E0_NS1_11comp_targetILNS1_3genE0ELNS1_11target_archE4294967295ELNS1_3gpuE0ELNS1_3repE0EEENS1_30default_config_static_selectorELNS0_4arch9wavefront6targetE1EEEvSK_
	.globl	_ZN7rocprim17ROCPRIM_400000_NS6detail17trampoline_kernelINS0_14default_configENS1_22reduce_config_selectorIiEEZNS1_11reduce_implILb1ES3_N6thrust23THRUST_200600_302600_NS17counting_iteratorIiNS8_11hip_rocprim3tagENS8_11use_defaultESC_EEPiiNS8_4plusIiEEEE10hipError_tPvRmT1_T2_T3_mT4_P12ihipStream_tbEUlT_E0_NS1_11comp_targetILNS1_3genE0ELNS1_11target_archE4294967295ELNS1_3gpuE0ELNS1_3repE0EEENS1_30default_config_static_selectorELNS0_4arch9wavefront6targetE1EEEvSK_
	.p2align	8
	.type	_ZN7rocprim17ROCPRIM_400000_NS6detail17trampoline_kernelINS0_14default_configENS1_22reduce_config_selectorIiEEZNS1_11reduce_implILb1ES3_N6thrust23THRUST_200600_302600_NS17counting_iteratorIiNS8_11hip_rocprim3tagENS8_11use_defaultESC_EEPiiNS8_4plusIiEEEE10hipError_tPvRmT1_T2_T3_mT4_P12ihipStream_tbEUlT_E0_NS1_11comp_targetILNS1_3genE0ELNS1_11target_archE4294967295ELNS1_3gpuE0ELNS1_3repE0EEENS1_30default_config_static_selectorELNS0_4arch9wavefront6targetE1EEEvSK_,@function
_ZN7rocprim17ROCPRIM_400000_NS6detail17trampoline_kernelINS0_14default_configENS1_22reduce_config_selectorIiEEZNS1_11reduce_implILb1ES3_N6thrust23THRUST_200600_302600_NS17counting_iteratorIiNS8_11hip_rocprim3tagENS8_11use_defaultESC_EEPiiNS8_4plusIiEEEE10hipError_tPvRmT1_T2_T3_mT4_P12ihipStream_tbEUlT_E0_NS1_11comp_targetILNS1_3genE0ELNS1_11target_archE4294967295ELNS1_3gpuE0ELNS1_3repE0EEENS1_30default_config_static_selectorELNS0_4arch9wavefront6targetE1EEEvSK_: ; @_ZN7rocprim17ROCPRIM_400000_NS6detail17trampoline_kernelINS0_14default_configENS1_22reduce_config_selectorIiEEZNS1_11reduce_implILb1ES3_N6thrust23THRUST_200600_302600_NS17counting_iteratorIiNS8_11hip_rocprim3tagENS8_11use_defaultESC_EEPiiNS8_4plusIiEEEE10hipError_tPvRmT1_T2_T3_mT4_P12ihipStream_tbEUlT_E0_NS1_11comp_targetILNS1_3genE0ELNS1_11target_archE4294967295ELNS1_3gpuE0ELNS1_3repE0EEENS1_30default_config_static_selectorELNS0_4arch9wavefront6targetE1EEEvSK_
; %bb.0:
	s_load_dword s15, s[0:1], 0x0
	s_load_dwordx8 s[4:11], s[0:1], 0x8
	s_load_dwordx2 s[12:13], s[0:1], 0x28
	s_lshl_b32 s16, s2, 10
	s_mov_b32 s3, 0
	v_mbcnt_lo_u32_b32 v2, -1, 0
	s_waitcnt lgkmcnt(0)
	s_add_i32 s15, s15, s4
	s_lshr_b64 s[4:5], s[6:7], 10
	s_cmp_lg_u64 s[4:5], s[2:3]
	s_cbranch_scc0 .LBB1091_6
; %bb.1:
	s_add_i32 s4, s15, s16
	v_add_u32_e32 v1, s4, v0
	v_mov_b32_e32 v3, 0x600
	v_lshl_add_u32 v1, v1, 2, v3
	v_mbcnt_hi_u32_b32 v3, -1, v2
	v_lshlrev_b32_e32 v4, 2, v3
	v_add_u32_dpp v1, v1, v1 quad_perm:[1,0,3,2] row_mask:0xf bank_mask:0xf bound_ctrl:1
	v_or_b32_e32 v5, 0xfc, v4
	v_cmp_eq_u32_e32 vcc, 0, v3
	v_add_u32_dpp v1, v1, v1 quad_perm:[2,3,0,1] row_mask:0xf bank_mask:0xf bound_ctrl:1
	s_nop 1
	v_add_u32_dpp v1, v1, v1 row_ror:4 row_mask:0xf bank_mask:0xf bound_ctrl:1
	s_nop 1
	v_add_u32_dpp v1, v1, v1 row_ror:8 row_mask:0xf bank_mask:0xf bound_ctrl:1
	s_nop 1
	v_add_u32_dpp v1, v1, v1 row_bcast:15 row_mask:0xf bank_mask:0xf bound_ctrl:1
	s_nop 1
	v_add_u32_dpp v1, v1, v1 row_bcast:31 row_mask:0xf bank_mask:0xf bound_ctrl:1
	ds_bpermute_b32 v1, v5, v1
	s_and_saveexec_b64 s[4:5], vcc
	s_cbranch_execz .LBB1091_3
; %bb.2:
	v_lshrrev_b32_e32 v5, 4, v0
	v_and_b32_e32 v5, 12, v5
	s_waitcnt lgkmcnt(0)
	ds_write_b32 v5, v1
.LBB1091_3:
	s_or_b64 exec, exec, s[4:5]
	v_cmp_gt_u32_e32 vcc, 64, v0
	s_waitcnt lgkmcnt(0)
	s_barrier
	s_and_saveexec_b64 s[4:5], vcc
	s_cbranch_execz .LBB1091_5
; %bb.4:
	v_and_b32_e32 v1, 3, v3
	v_lshlrev_b32_e32 v5, 2, v1
	ds_read_b32 v5, v5
	v_cmp_ne_u32_e32 vcc, 3, v1
	s_nop 1
	v_addc_co_u32_e32 v1, vcc, 0, v3, vcc
	v_lshlrev_b32_e32 v1, 2, v1
	s_waitcnt lgkmcnt(0)
	ds_bpermute_b32 v1, v1, v5
	v_or_b32_e32 v3, 8, v4
	s_waitcnt lgkmcnt(0)
	v_add_u32_e32 v1, v1, v5
	ds_bpermute_b32 v3, v3, v1
	s_waitcnt lgkmcnt(0)
	v_add_u32_e32 v1, v3, v1
.LBB1091_5:
	s_or_b64 exec, exec, s[4:5]
	s_load_dword s14, s[0:1], 0x30
	s_branch .LBB1091_12
.LBB1091_6:
                                        ; implicit-def: $vgpr1
	s_load_dword s14, s[0:1], 0x30
	s_cbranch_execz .LBB1091_12
; %bb.7:
	s_sub_i32 s0, s6, s16
	s_add_i32 s15, s15, s16
	v_add_u32_e32 v1, s15, v0
	v_or_b32_e32 v3, 0x100, v0
	v_cmp_gt_u32_e32 vcc, s0, v0
	v_add_u32_e32 v4, s15, v3
	v_or_b32_e32 v5, 0x200, v0
	v_cndmask_b32_e32 v1, 0, v1, vcc
	v_cmp_gt_u32_e32 vcc, s0, v3
	v_add_u32_e32 v6, s15, v5
	v_or_b32_e32 v7, 0x300, v0
	v_cndmask_b32_e32 v3, 0, v4, vcc
	v_cmp_gt_u32_e32 vcc, s0, v5
	v_add_u32_e32 v8, s15, v7
	v_mbcnt_hi_u32_b32 v2, -1, v2
	v_cndmask_b32_e32 v4, 0, v6, vcc
	v_cmp_gt_u32_e32 vcc, s0, v7
	s_min_u32 s4, s0, 0x100
	s_nop 0
	v_cndmask_b32_e32 v5, 0, v8, vcc
	v_add_u32_e32 v4, v5, v4
	v_add3_u32 v1, v4, v1, v3
	v_and_b32_e32 v4, 63, v2
	v_cmp_ne_u32_e32 vcc, 63, v4
	v_and_b32_e32 v5, 0xc0, v0
	v_sub_u32_e64 v5, s4, v5 clamp
	v_addc_co_u32_e32 v3, vcc, 0, v2, vcc
	v_lshlrev_b32_e32 v3, 2, v3
	ds_bpermute_b32 v3, v3, v1
	v_add_u32_e32 v6, 1, v4
	v_cmp_lt_u32_e32 vcc, v6, v5
	v_add_u32_e32 v6, 2, v4
	s_waitcnt lgkmcnt(0)
	v_cndmask_b32_e32 v3, 0, v3, vcc
	v_cmp_gt_u32_e32 vcc, 62, v4
	v_add_u32_e32 v1, v3, v1
	s_nop 0
	v_cndmask_b32_e64 v3, 0, 2, vcc
	v_add_lshl_u32 v3, v3, v2, 2
	ds_bpermute_b32 v3, v3, v1
	v_cmp_lt_u32_e32 vcc, v6, v5
	v_add_u32_e32 v6, 4, v4
	s_waitcnt lgkmcnt(0)
	v_cndmask_b32_e32 v3, 0, v3, vcc
	v_cmp_gt_u32_e32 vcc, 60, v4
	v_add_u32_e32 v1, v1, v3
	s_nop 0
	v_cndmask_b32_e64 v3, 0, 4, vcc
	v_add_lshl_u32 v3, v3, v2, 2
	ds_bpermute_b32 v3, v3, v1
	;; [unrolled: 10-line block ×3, first 2 shown]
	v_cmp_lt_u32_e32 vcc, v6, v5
	v_add_u32_e32 v6, 16, v4
	s_waitcnt lgkmcnt(0)
	v_cndmask_b32_e32 v3, 0, v3, vcc
	v_cmp_gt_u32_e32 vcc, 48, v4
	v_add_u32_e32 v1, v1, v3
	v_add_u32_e32 v4, 32, v4
	v_cndmask_b32_e64 v3, 0, 16, vcc
	v_add_lshl_u32 v3, v3, v2, 2
	ds_bpermute_b32 v3, v3, v1
	v_cmp_lt_u32_e32 vcc, v6, v5
	s_waitcnt lgkmcnt(0)
	s_nop 0
	v_cndmask_b32_e32 v3, 0, v3, vcc
	v_add_u32_e32 v1, v1, v3
	v_lshlrev_b32_e32 v3, 2, v2
	v_or_b32_e32 v6, 0x80, v3
	ds_bpermute_b32 v6, v6, v1
	v_cmp_lt_u32_e32 vcc, v4, v5
	s_waitcnt lgkmcnt(0)
	s_nop 0
	v_cndmask_b32_e32 v4, 0, v6, vcc
	v_add_u32_e32 v1, v1, v4
	v_cmp_eq_u32_e32 vcc, 0, v2
	s_and_saveexec_b64 s[0:1], vcc
; %bb.8:
	v_lshrrev_b32_e32 v4, 4, v0
	v_and_b32_e32 v4, 12, v4
	ds_write_b32 v4, v1 offset:16
; %bb.9:
	s_or_b64 exec, exec, s[0:1]
	v_cmp_gt_u32_e32 vcc, 4, v0
	s_waitcnt lgkmcnt(0)
	s_barrier
	s_and_saveexec_b64 s[0:1], vcc
	s_cbranch_execz .LBB1091_11
; %bb.10:
	ds_read_b32 v1, v3 offset:16
	v_and_b32_e32 v4, 3, v2
	v_cmp_ne_u32_e32 vcc, 3, v4
	s_add_i32 s4, s4, 63
	s_lshr_b32 s4, s4, 6
	v_addc_co_u32_e32 v2, vcc, 0, v2, vcc
	v_lshlrev_b32_e32 v2, 2, v2
	s_waitcnt lgkmcnt(0)
	ds_bpermute_b32 v2, v2, v1
	v_add_u32_e32 v5, 1, v4
	v_cmp_gt_u32_e32 vcc, s4, v5
	s_waitcnt lgkmcnt(0)
	s_nop 0
	v_cndmask_b32_e32 v2, 0, v2, vcc
	v_add_u32_e32 v1, v2, v1
	v_or_b32_e32 v2, 8, v3
	ds_bpermute_b32 v2, v2, v1
	v_add_u32_e32 v3, 2, v4
	v_cmp_gt_u32_e32 vcc, s4, v3
	s_waitcnt lgkmcnt(0)
	s_nop 0
	v_cndmask_b32_e32 v2, 0, v2, vcc
	v_add_u32_e32 v1, v1, v2
.LBB1091_11:
	s_or_b64 exec, exec, s[0:1]
.LBB1091_12:
	v_cmp_eq_u32_e32 vcc, 0, v0
	s_and_saveexec_b64 s[0:1], vcc
	s_cbranch_execnz .LBB1091_14
; %bb.13:
	s_endpgm
.LBB1091_14:
	s_mul_i32 s0, s12, s11
	s_mul_hi_u32 s1, s12, s10
	s_add_i32 s0, s1, s0
	s_mul_i32 s1, s13, s10
	s_add_i32 s1, s0, s1
	s_mul_i32 s0, s12, s10
	s_lshl_b64 s[0:1], s[0:1], 2
	s_add_u32 s4, s8, s0
	s_addc_u32 s5, s9, s1
	s_cmp_eq_u64 s[6:7], 0
	s_cselect_b64 vcc, -1, 0
	s_lshl_b64 s[0:1], s[2:3], 2
	s_waitcnt lgkmcnt(0)
	v_mov_b32_e32 v0, s14
	s_add_u32 s0, s4, s0
	v_cndmask_b32_e32 v0, v1, v0, vcc
	s_addc_u32 s1, s5, s1
	v_mov_b32_e32 v1, 0
	global_store_dword v1, v0, s[0:1]
	s_endpgm
	.section	.rodata,"a",@progbits
	.p2align	6, 0x0
	.amdhsa_kernel _ZN7rocprim17ROCPRIM_400000_NS6detail17trampoline_kernelINS0_14default_configENS1_22reduce_config_selectorIiEEZNS1_11reduce_implILb1ES3_N6thrust23THRUST_200600_302600_NS17counting_iteratorIiNS8_11hip_rocprim3tagENS8_11use_defaultESC_EEPiiNS8_4plusIiEEEE10hipError_tPvRmT1_T2_T3_mT4_P12ihipStream_tbEUlT_E0_NS1_11comp_targetILNS1_3genE0ELNS1_11target_archE4294967295ELNS1_3gpuE0ELNS1_3repE0EEENS1_30default_config_static_selectorELNS0_4arch9wavefront6targetE1EEEvSK_
		.amdhsa_group_segment_fixed_size 32
		.amdhsa_private_segment_fixed_size 0
		.amdhsa_kernarg_size 56
		.amdhsa_user_sgpr_count 2
		.amdhsa_user_sgpr_dispatch_ptr 0
		.amdhsa_user_sgpr_queue_ptr 0
		.amdhsa_user_sgpr_kernarg_segment_ptr 1
		.amdhsa_user_sgpr_dispatch_id 0
		.amdhsa_user_sgpr_kernarg_preload_length 0
		.amdhsa_user_sgpr_kernarg_preload_offset 0
		.amdhsa_user_sgpr_private_segment_size 0
		.amdhsa_uses_dynamic_stack 0
		.amdhsa_enable_private_segment 0
		.amdhsa_system_sgpr_workgroup_id_x 1
		.amdhsa_system_sgpr_workgroup_id_y 0
		.amdhsa_system_sgpr_workgroup_id_z 0
		.amdhsa_system_sgpr_workgroup_info 0
		.amdhsa_system_vgpr_workitem_id 0
		.amdhsa_next_free_vgpr 9
		.amdhsa_next_free_sgpr 17
		.amdhsa_accum_offset 12
		.amdhsa_reserve_vcc 1
		.amdhsa_float_round_mode_32 0
		.amdhsa_float_round_mode_16_64 0
		.amdhsa_float_denorm_mode_32 3
		.amdhsa_float_denorm_mode_16_64 3
		.amdhsa_dx10_clamp 1
		.amdhsa_ieee_mode 1
		.amdhsa_fp16_overflow 0
		.amdhsa_tg_split 0
		.amdhsa_exception_fp_ieee_invalid_op 0
		.amdhsa_exception_fp_denorm_src 0
		.amdhsa_exception_fp_ieee_div_zero 0
		.amdhsa_exception_fp_ieee_overflow 0
		.amdhsa_exception_fp_ieee_underflow 0
		.amdhsa_exception_fp_ieee_inexact 0
		.amdhsa_exception_int_div_zero 0
	.end_amdhsa_kernel
	.section	.text._ZN7rocprim17ROCPRIM_400000_NS6detail17trampoline_kernelINS0_14default_configENS1_22reduce_config_selectorIiEEZNS1_11reduce_implILb1ES3_N6thrust23THRUST_200600_302600_NS17counting_iteratorIiNS8_11hip_rocprim3tagENS8_11use_defaultESC_EEPiiNS8_4plusIiEEEE10hipError_tPvRmT1_T2_T3_mT4_P12ihipStream_tbEUlT_E0_NS1_11comp_targetILNS1_3genE0ELNS1_11target_archE4294967295ELNS1_3gpuE0ELNS1_3repE0EEENS1_30default_config_static_selectorELNS0_4arch9wavefront6targetE1EEEvSK_,"axG",@progbits,_ZN7rocprim17ROCPRIM_400000_NS6detail17trampoline_kernelINS0_14default_configENS1_22reduce_config_selectorIiEEZNS1_11reduce_implILb1ES3_N6thrust23THRUST_200600_302600_NS17counting_iteratorIiNS8_11hip_rocprim3tagENS8_11use_defaultESC_EEPiiNS8_4plusIiEEEE10hipError_tPvRmT1_T2_T3_mT4_P12ihipStream_tbEUlT_E0_NS1_11comp_targetILNS1_3genE0ELNS1_11target_archE4294967295ELNS1_3gpuE0ELNS1_3repE0EEENS1_30default_config_static_selectorELNS0_4arch9wavefront6targetE1EEEvSK_,comdat
.Lfunc_end1091:
	.size	_ZN7rocprim17ROCPRIM_400000_NS6detail17trampoline_kernelINS0_14default_configENS1_22reduce_config_selectorIiEEZNS1_11reduce_implILb1ES3_N6thrust23THRUST_200600_302600_NS17counting_iteratorIiNS8_11hip_rocprim3tagENS8_11use_defaultESC_EEPiiNS8_4plusIiEEEE10hipError_tPvRmT1_T2_T3_mT4_P12ihipStream_tbEUlT_E0_NS1_11comp_targetILNS1_3genE0ELNS1_11target_archE4294967295ELNS1_3gpuE0ELNS1_3repE0EEENS1_30default_config_static_selectorELNS0_4arch9wavefront6targetE1EEEvSK_, .Lfunc_end1091-_ZN7rocprim17ROCPRIM_400000_NS6detail17trampoline_kernelINS0_14default_configENS1_22reduce_config_selectorIiEEZNS1_11reduce_implILb1ES3_N6thrust23THRUST_200600_302600_NS17counting_iteratorIiNS8_11hip_rocprim3tagENS8_11use_defaultESC_EEPiiNS8_4plusIiEEEE10hipError_tPvRmT1_T2_T3_mT4_P12ihipStream_tbEUlT_E0_NS1_11comp_targetILNS1_3genE0ELNS1_11target_archE4294967295ELNS1_3gpuE0ELNS1_3repE0EEENS1_30default_config_static_selectorELNS0_4arch9wavefront6targetE1EEEvSK_
                                        ; -- End function
	.set _ZN7rocprim17ROCPRIM_400000_NS6detail17trampoline_kernelINS0_14default_configENS1_22reduce_config_selectorIiEEZNS1_11reduce_implILb1ES3_N6thrust23THRUST_200600_302600_NS17counting_iteratorIiNS8_11hip_rocprim3tagENS8_11use_defaultESC_EEPiiNS8_4plusIiEEEE10hipError_tPvRmT1_T2_T3_mT4_P12ihipStream_tbEUlT_E0_NS1_11comp_targetILNS1_3genE0ELNS1_11target_archE4294967295ELNS1_3gpuE0ELNS1_3repE0EEENS1_30default_config_static_selectorELNS0_4arch9wavefront6targetE1EEEvSK_.num_vgpr, 9
	.set _ZN7rocprim17ROCPRIM_400000_NS6detail17trampoline_kernelINS0_14default_configENS1_22reduce_config_selectorIiEEZNS1_11reduce_implILb1ES3_N6thrust23THRUST_200600_302600_NS17counting_iteratorIiNS8_11hip_rocprim3tagENS8_11use_defaultESC_EEPiiNS8_4plusIiEEEE10hipError_tPvRmT1_T2_T3_mT4_P12ihipStream_tbEUlT_E0_NS1_11comp_targetILNS1_3genE0ELNS1_11target_archE4294967295ELNS1_3gpuE0ELNS1_3repE0EEENS1_30default_config_static_selectorELNS0_4arch9wavefront6targetE1EEEvSK_.num_agpr, 0
	.set _ZN7rocprim17ROCPRIM_400000_NS6detail17trampoline_kernelINS0_14default_configENS1_22reduce_config_selectorIiEEZNS1_11reduce_implILb1ES3_N6thrust23THRUST_200600_302600_NS17counting_iteratorIiNS8_11hip_rocprim3tagENS8_11use_defaultESC_EEPiiNS8_4plusIiEEEE10hipError_tPvRmT1_T2_T3_mT4_P12ihipStream_tbEUlT_E0_NS1_11comp_targetILNS1_3genE0ELNS1_11target_archE4294967295ELNS1_3gpuE0ELNS1_3repE0EEENS1_30default_config_static_selectorELNS0_4arch9wavefront6targetE1EEEvSK_.numbered_sgpr, 17
	.set _ZN7rocprim17ROCPRIM_400000_NS6detail17trampoline_kernelINS0_14default_configENS1_22reduce_config_selectorIiEEZNS1_11reduce_implILb1ES3_N6thrust23THRUST_200600_302600_NS17counting_iteratorIiNS8_11hip_rocprim3tagENS8_11use_defaultESC_EEPiiNS8_4plusIiEEEE10hipError_tPvRmT1_T2_T3_mT4_P12ihipStream_tbEUlT_E0_NS1_11comp_targetILNS1_3genE0ELNS1_11target_archE4294967295ELNS1_3gpuE0ELNS1_3repE0EEENS1_30default_config_static_selectorELNS0_4arch9wavefront6targetE1EEEvSK_.num_named_barrier, 0
	.set _ZN7rocprim17ROCPRIM_400000_NS6detail17trampoline_kernelINS0_14default_configENS1_22reduce_config_selectorIiEEZNS1_11reduce_implILb1ES3_N6thrust23THRUST_200600_302600_NS17counting_iteratorIiNS8_11hip_rocprim3tagENS8_11use_defaultESC_EEPiiNS8_4plusIiEEEE10hipError_tPvRmT1_T2_T3_mT4_P12ihipStream_tbEUlT_E0_NS1_11comp_targetILNS1_3genE0ELNS1_11target_archE4294967295ELNS1_3gpuE0ELNS1_3repE0EEENS1_30default_config_static_selectorELNS0_4arch9wavefront6targetE1EEEvSK_.private_seg_size, 0
	.set _ZN7rocprim17ROCPRIM_400000_NS6detail17trampoline_kernelINS0_14default_configENS1_22reduce_config_selectorIiEEZNS1_11reduce_implILb1ES3_N6thrust23THRUST_200600_302600_NS17counting_iteratorIiNS8_11hip_rocprim3tagENS8_11use_defaultESC_EEPiiNS8_4plusIiEEEE10hipError_tPvRmT1_T2_T3_mT4_P12ihipStream_tbEUlT_E0_NS1_11comp_targetILNS1_3genE0ELNS1_11target_archE4294967295ELNS1_3gpuE0ELNS1_3repE0EEENS1_30default_config_static_selectorELNS0_4arch9wavefront6targetE1EEEvSK_.uses_vcc, 1
	.set _ZN7rocprim17ROCPRIM_400000_NS6detail17trampoline_kernelINS0_14default_configENS1_22reduce_config_selectorIiEEZNS1_11reduce_implILb1ES3_N6thrust23THRUST_200600_302600_NS17counting_iteratorIiNS8_11hip_rocprim3tagENS8_11use_defaultESC_EEPiiNS8_4plusIiEEEE10hipError_tPvRmT1_T2_T3_mT4_P12ihipStream_tbEUlT_E0_NS1_11comp_targetILNS1_3genE0ELNS1_11target_archE4294967295ELNS1_3gpuE0ELNS1_3repE0EEENS1_30default_config_static_selectorELNS0_4arch9wavefront6targetE1EEEvSK_.uses_flat_scratch, 0
	.set _ZN7rocprim17ROCPRIM_400000_NS6detail17trampoline_kernelINS0_14default_configENS1_22reduce_config_selectorIiEEZNS1_11reduce_implILb1ES3_N6thrust23THRUST_200600_302600_NS17counting_iteratorIiNS8_11hip_rocprim3tagENS8_11use_defaultESC_EEPiiNS8_4plusIiEEEE10hipError_tPvRmT1_T2_T3_mT4_P12ihipStream_tbEUlT_E0_NS1_11comp_targetILNS1_3genE0ELNS1_11target_archE4294967295ELNS1_3gpuE0ELNS1_3repE0EEENS1_30default_config_static_selectorELNS0_4arch9wavefront6targetE1EEEvSK_.has_dyn_sized_stack, 0
	.set _ZN7rocprim17ROCPRIM_400000_NS6detail17trampoline_kernelINS0_14default_configENS1_22reduce_config_selectorIiEEZNS1_11reduce_implILb1ES3_N6thrust23THRUST_200600_302600_NS17counting_iteratorIiNS8_11hip_rocprim3tagENS8_11use_defaultESC_EEPiiNS8_4plusIiEEEE10hipError_tPvRmT1_T2_T3_mT4_P12ihipStream_tbEUlT_E0_NS1_11comp_targetILNS1_3genE0ELNS1_11target_archE4294967295ELNS1_3gpuE0ELNS1_3repE0EEENS1_30default_config_static_selectorELNS0_4arch9wavefront6targetE1EEEvSK_.has_recursion, 0
	.set _ZN7rocprim17ROCPRIM_400000_NS6detail17trampoline_kernelINS0_14default_configENS1_22reduce_config_selectorIiEEZNS1_11reduce_implILb1ES3_N6thrust23THRUST_200600_302600_NS17counting_iteratorIiNS8_11hip_rocprim3tagENS8_11use_defaultESC_EEPiiNS8_4plusIiEEEE10hipError_tPvRmT1_T2_T3_mT4_P12ihipStream_tbEUlT_E0_NS1_11comp_targetILNS1_3genE0ELNS1_11target_archE4294967295ELNS1_3gpuE0ELNS1_3repE0EEENS1_30default_config_static_selectorELNS0_4arch9wavefront6targetE1EEEvSK_.has_indirect_call, 0
	.section	.AMDGPU.csdata,"",@progbits
; Kernel info:
; codeLenInByte = 1012
; TotalNumSgprs: 23
; NumVgprs: 9
; NumAgprs: 0
; TotalNumVgprs: 9
; ScratchSize: 0
; MemoryBound: 0
; FloatMode: 240
; IeeeMode: 1
; LDSByteSize: 32 bytes/workgroup (compile time only)
; SGPRBlocks: 2
; VGPRBlocks: 1
; NumSGPRsForWavesPerEU: 23
; NumVGPRsForWavesPerEU: 9
; AccumOffset: 12
; Occupancy: 8
; WaveLimiterHint : 0
; COMPUTE_PGM_RSRC2:SCRATCH_EN: 0
; COMPUTE_PGM_RSRC2:USER_SGPR: 2
; COMPUTE_PGM_RSRC2:TRAP_HANDLER: 0
; COMPUTE_PGM_RSRC2:TGID_X_EN: 1
; COMPUTE_PGM_RSRC2:TGID_Y_EN: 0
; COMPUTE_PGM_RSRC2:TGID_Z_EN: 0
; COMPUTE_PGM_RSRC2:TIDIG_COMP_CNT: 0
; COMPUTE_PGM_RSRC3_GFX90A:ACCUM_OFFSET: 2
; COMPUTE_PGM_RSRC3_GFX90A:TG_SPLIT: 0
	.section	.text._ZN7rocprim17ROCPRIM_400000_NS6detail17trampoline_kernelINS0_14default_configENS1_22reduce_config_selectorIiEEZNS1_11reduce_implILb1ES3_N6thrust23THRUST_200600_302600_NS17counting_iteratorIiNS8_11hip_rocprim3tagENS8_11use_defaultESC_EEPiiNS8_4plusIiEEEE10hipError_tPvRmT1_T2_T3_mT4_P12ihipStream_tbEUlT_E0_NS1_11comp_targetILNS1_3genE5ELNS1_11target_archE942ELNS1_3gpuE9ELNS1_3repE0EEENS1_30default_config_static_selectorELNS0_4arch9wavefront6targetE1EEEvSK_,"axG",@progbits,_ZN7rocprim17ROCPRIM_400000_NS6detail17trampoline_kernelINS0_14default_configENS1_22reduce_config_selectorIiEEZNS1_11reduce_implILb1ES3_N6thrust23THRUST_200600_302600_NS17counting_iteratorIiNS8_11hip_rocprim3tagENS8_11use_defaultESC_EEPiiNS8_4plusIiEEEE10hipError_tPvRmT1_T2_T3_mT4_P12ihipStream_tbEUlT_E0_NS1_11comp_targetILNS1_3genE5ELNS1_11target_archE942ELNS1_3gpuE9ELNS1_3repE0EEENS1_30default_config_static_selectorELNS0_4arch9wavefront6targetE1EEEvSK_,comdat
	.protected	_ZN7rocprim17ROCPRIM_400000_NS6detail17trampoline_kernelINS0_14default_configENS1_22reduce_config_selectorIiEEZNS1_11reduce_implILb1ES3_N6thrust23THRUST_200600_302600_NS17counting_iteratorIiNS8_11hip_rocprim3tagENS8_11use_defaultESC_EEPiiNS8_4plusIiEEEE10hipError_tPvRmT1_T2_T3_mT4_P12ihipStream_tbEUlT_E0_NS1_11comp_targetILNS1_3genE5ELNS1_11target_archE942ELNS1_3gpuE9ELNS1_3repE0EEENS1_30default_config_static_selectorELNS0_4arch9wavefront6targetE1EEEvSK_ ; -- Begin function _ZN7rocprim17ROCPRIM_400000_NS6detail17trampoline_kernelINS0_14default_configENS1_22reduce_config_selectorIiEEZNS1_11reduce_implILb1ES3_N6thrust23THRUST_200600_302600_NS17counting_iteratorIiNS8_11hip_rocprim3tagENS8_11use_defaultESC_EEPiiNS8_4plusIiEEEE10hipError_tPvRmT1_T2_T3_mT4_P12ihipStream_tbEUlT_E0_NS1_11comp_targetILNS1_3genE5ELNS1_11target_archE942ELNS1_3gpuE9ELNS1_3repE0EEENS1_30default_config_static_selectorELNS0_4arch9wavefront6targetE1EEEvSK_
	.globl	_ZN7rocprim17ROCPRIM_400000_NS6detail17trampoline_kernelINS0_14default_configENS1_22reduce_config_selectorIiEEZNS1_11reduce_implILb1ES3_N6thrust23THRUST_200600_302600_NS17counting_iteratorIiNS8_11hip_rocprim3tagENS8_11use_defaultESC_EEPiiNS8_4plusIiEEEE10hipError_tPvRmT1_T2_T3_mT4_P12ihipStream_tbEUlT_E0_NS1_11comp_targetILNS1_3genE5ELNS1_11target_archE942ELNS1_3gpuE9ELNS1_3repE0EEENS1_30default_config_static_selectorELNS0_4arch9wavefront6targetE1EEEvSK_
	.p2align	8
	.type	_ZN7rocprim17ROCPRIM_400000_NS6detail17trampoline_kernelINS0_14default_configENS1_22reduce_config_selectorIiEEZNS1_11reduce_implILb1ES3_N6thrust23THRUST_200600_302600_NS17counting_iteratorIiNS8_11hip_rocprim3tagENS8_11use_defaultESC_EEPiiNS8_4plusIiEEEE10hipError_tPvRmT1_T2_T3_mT4_P12ihipStream_tbEUlT_E0_NS1_11comp_targetILNS1_3genE5ELNS1_11target_archE942ELNS1_3gpuE9ELNS1_3repE0EEENS1_30default_config_static_selectorELNS0_4arch9wavefront6targetE1EEEvSK_,@function
_ZN7rocprim17ROCPRIM_400000_NS6detail17trampoline_kernelINS0_14default_configENS1_22reduce_config_selectorIiEEZNS1_11reduce_implILb1ES3_N6thrust23THRUST_200600_302600_NS17counting_iteratorIiNS8_11hip_rocprim3tagENS8_11use_defaultESC_EEPiiNS8_4plusIiEEEE10hipError_tPvRmT1_T2_T3_mT4_P12ihipStream_tbEUlT_E0_NS1_11comp_targetILNS1_3genE5ELNS1_11target_archE942ELNS1_3gpuE9ELNS1_3repE0EEENS1_30default_config_static_selectorELNS0_4arch9wavefront6targetE1EEEvSK_: ; @_ZN7rocprim17ROCPRIM_400000_NS6detail17trampoline_kernelINS0_14default_configENS1_22reduce_config_selectorIiEEZNS1_11reduce_implILb1ES3_N6thrust23THRUST_200600_302600_NS17counting_iteratorIiNS8_11hip_rocprim3tagENS8_11use_defaultESC_EEPiiNS8_4plusIiEEEE10hipError_tPvRmT1_T2_T3_mT4_P12ihipStream_tbEUlT_E0_NS1_11comp_targetILNS1_3genE5ELNS1_11target_archE942ELNS1_3gpuE9ELNS1_3repE0EEENS1_30default_config_static_selectorELNS0_4arch9wavefront6targetE1EEEvSK_
; %bb.0:
	.section	.rodata,"a",@progbits
	.p2align	6, 0x0
	.amdhsa_kernel _ZN7rocprim17ROCPRIM_400000_NS6detail17trampoline_kernelINS0_14default_configENS1_22reduce_config_selectorIiEEZNS1_11reduce_implILb1ES3_N6thrust23THRUST_200600_302600_NS17counting_iteratorIiNS8_11hip_rocprim3tagENS8_11use_defaultESC_EEPiiNS8_4plusIiEEEE10hipError_tPvRmT1_T2_T3_mT4_P12ihipStream_tbEUlT_E0_NS1_11comp_targetILNS1_3genE5ELNS1_11target_archE942ELNS1_3gpuE9ELNS1_3repE0EEENS1_30default_config_static_selectorELNS0_4arch9wavefront6targetE1EEEvSK_
		.amdhsa_group_segment_fixed_size 0
		.amdhsa_private_segment_fixed_size 0
		.amdhsa_kernarg_size 56
		.amdhsa_user_sgpr_count 2
		.amdhsa_user_sgpr_dispatch_ptr 0
		.amdhsa_user_sgpr_queue_ptr 0
		.amdhsa_user_sgpr_kernarg_segment_ptr 1
		.amdhsa_user_sgpr_dispatch_id 0
		.amdhsa_user_sgpr_kernarg_preload_length 0
		.amdhsa_user_sgpr_kernarg_preload_offset 0
		.amdhsa_user_sgpr_private_segment_size 0
		.amdhsa_uses_dynamic_stack 0
		.amdhsa_enable_private_segment 0
		.amdhsa_system_sgpr_workgroup_id_x 1
		.amdhsa_system_sgpr_workgroup_id_y 0
		.amdhsa_system_sgpr_workgroup_id_z 0
		.amdhsa_system_sgpr_workgroup_info 0
		.amdhsa_system_vgpr_workitem_id 0
		.amdhsa_next_free_vgpr 1
		.amdhsa_next_free_sgpr 0
		.amdhsa_accum_offset 4
		.amdhsa_reserve_vcc 0
		.amdhsa_float_round_mode_32 0
		.amdhsa_float_round_mode_16_64 0
		.amdhsa_float_denorm_mode_32 3
		.amdhsa_float_denorm_mode_16_64 3
		.amdhsa_dx10_clamp 1
		.amdhsa_ieee_mode 1
		.amdhsa_fp16_overflow 0
		.amdhsa_tg_split 0
		.amdhsa_exception_fp_ieee_invalid_op 0
		.amdhsa_exception_fp_denorm_src 0
		.amdhsa_exception_fp_ieee_div_zero 0
		.amdhsa_exception_fp_ieee_overflow 0
		.amdhsa_exception_fp_ieee_underflow 0
		.amdhsa_exception_fp_ieee_inexact 0
		.amdhsa_exception_int_div_zero 0
	.end_amdhsa_kernel
	.section	.text._ZN7rocprim17ROCPRIM_400000_NS6detail17trampoline_kernelINS0_14default_configENS1_22reduce_config_selectorIiEEZNS1_11reduce_implILb1ES3_N6thrust23THRUST_200600_302600_NS17counting_iteratorIiNS8_11hip_rocprim3tagENS8_11use_defaultESC_EEPiiNS8_4plusIiEEEE10hipError_tPvRmT1_T2_T3_mT4_P12ihipStream_tbEUlT_E0_NS1_11comp_targetILNS1_3genE5ELNS1_11target_archE942ELNS1_3gpuE9ELNS1_3repE0EEENS1_30default_config_static_selectorELNS0_4arch9wavefront6targetE1EEEvSK_,"axG",@progbits,_ZN7rocprim17ROCPRIM_400000_NS6detail17trampoline_kernelINS0_14default_configENS1_22reduce_config_selectorIiEEZNS1_11reduce_implILb1ES3_N6thrust23THRUST_200600_302600_NS17counting_iteratorIiNS8_11hip_rocprim3tagENS8_11use_defaultESC_EEPiiNS8_4plusIiEEEE10hipError_tPvRmT1_T2_T3_mT4_P12ihipStream_tbEUlT_E0_NS1_11comp_targetILNS1_3genE5ELNS1_11target_archE942ELNS1_3gpuE9ELNS1_3repE0EEENS1_30default_config_static_selectorELNS0_4arch9wavefront6targetE1EEEvSK_,comdat
.Lfunc_end1092:
	.size	_ZN7rocprim17ROCPRIM_400000_NS6detail17trampoline_kernelINS0_14default_configENS1_22reduce_config_selectorIiEEZNS1_11reduce_implILb1ES3_N6thrust23THRUST_200600_302600_NS17counting_iteratorIiNS8_11hip_rocprim3tagENS8_11use_defaultESC_EEPiiNS8_4plusIiEEEE10hipError_tPvRmT1_T2_T3_mT4_P12ihipStream_tbEUlT_E0_NS1_11comp_targetILNS1_3genE5ELNS1_11target_archE942ELNS1_3gpuE9ELNS1_3repE0EEENS1_30default_config_static_selectorELNS0_4arch9wavefront6targetE1EEEvSK_, .Lfunc_end1092-_ZN7rocprim17ROCPRIM_400000_NS6detail17trampoline_kernelINS0_14default_configENS1_22reduce_config_selectorIiEEZNS1_11reduce_implILb1ES3_N6thrust23THRUST_200600_302600_NS17counting_iteratorIiNS8_11hip_rocprim3tagENS8_11use_defaultESC_EEPiiNS8_4plusIiEEEE10hipError_tPvRmT1_T2_T3_mT4_P12ihipStream_tbEUlT_E0_NS1_11comp_targetILNS1_3genE5ELNS1_11target_archE942ELNS1_3gpuE9ELNS1_3repE0EEENS1_30default_config_static_selectorELNS0_4arch9wavefront6targetE1EEEvSK_
                                        ; -- End function
	.set _ZN7rocprim17ROCPRIM_400000_NS6detail17trampoline_kernelINS0_14default_configENS1_22reduce_config_selectorIiEEZNS1_11reduce_implILb1ES3_N6thrust23THRUST_200600_302600_NS17counting_iteratorIiNS8_11hip_rocprim3tagENS8_11use_defaultESC_EEPiiNS8_4plusIiEEEE10hipError_tPvRmT1_T2_T3_mT4_P12ihipStream_tbEUlT_E0_NS1_11comp_targetILNS1_3genE5ELNS1_11target_archE942ELNS1_3gpuE9ELNS1_3repE0EEENS1_30default_config_static_selectorELNS0_4arch9wavefront6targetE1EEEvSK_.num_vgpr, 0
	.set _ZN7rocprim17ROCPRIM_400000_NS6detail17trampoline_kernelINS0_14default_configENS1_22reduce_config_selectorIiEEZNS1_11reduce_implILb1ES3_N6thrust23THRUST_200600_302600_NS17counting_iteratorIiNS8_11hip_rocprim3tagENS8_11use_defaultESC_EEPiiNS8_4plusIiEEEE10hipError_tPvRmT1_T2_T3_mT4_P12ihipStream_tbEUlT_E0_NS1_11comp_targetILNS1_3genE5ELNS1_11target_archE942ELNS1_3gpuE9ELNS1_3repE0EEENS1_30default_config_static_selectorELNS0_4arch9wavefront6targetE1EEEvSK_.num_agpr, 0
	.set _ZN7rocprim17ROCPRIM_400000_NS6detail17trampoline_kernelINS0_14default_configENS1_22reduce_config_selectorIiEEZNS1_11reduce_implILb1ES3_N6thrust23THRUST_200600_302600_NS17counting_iteratorIiNS8_11hip_rocprim3tagENS8_11use_defaultESC_EEPiiNS8_4plusIiEEEE10hipError_tPvRmT1_T2_T3_mT4_P12ihipStream_tbEUlT_E0_NS1_11comp_targetILNS1_3genE5ELNS1_11target_archE942ELNS1_3gpuE9ELNS1_3repE0EEENS1_30default_config_static_selectorELNS0_4arch9wavefront6targetE1EEEvSK_.numbered_sgpr, 0
	.set _ZN7rocprim17ROCPRIM_400000_NS6detail17trampoline_kernelINS0_14default_configENS1_22reduce_config_selectorIiEEZNS1_11reduce_implILb1ES3_N6thrust23THRUST_200600_302600_NS17counting_iteratorIiNS8_11hip_rocprim3tagENS8_11use_defaultESC_EEPiiNS8_4plusIiEEEE10hipError_tPvRmT1_T2_T3_mT4_P12ihipStream_tbEUlT_E0_NS1_11comp_targetILNS1_3genE5ELNS1_11target_archE942ELNS1_3gpuE9ELNS1_3repE0EEENS1_30default_config_static_selectorELNS0_4arch9wavefront6targetE1EEEvSK_.num_named_barrier, 0
	.set _ZN7rocprim17ROCPRIM_400000_NS6detail17trampoline_kernelINS0_14default_configENS1_22reduce_config_selectorIiEEZNS1_11reduce_implILb1ES3_N6thrust23THRUST_200600_302600_NS17counting_iteratorIiNS8_11hip_rocprim3tagENS8_11use_defaultESC_EEPiiNS8_4plusIiEEEE10hipError_tPvRmT1_T2_T3_mT4_P12ihipStream_tbEUlT_E0_NS1_11comp_targetILNS1_3genE5ELNS1_11target_archE942ELNS1_3gpuE9ELNS1_3repE0EEENS1_30default_config_static_selectorELNS0_4arch9wavefront6targetE1EEEvSK_.private_seg_size, 0
	.set _ZN7rocprim17ROCPRIM_400000_NS6detail17trampoline_kernelINS0_14default_configENS1_22reduce_config_selectorIiEEZNS1_11reduce_implILb1ES3_N6thrust23THRUST_200600_302600_NS17counting_iteratorIiNS8_11hip_rocprim3tagENS8_11use_defaultESC_EEPiiNS8_4plusIiEEEE10hipError_tPvRmT1_T2_T3_mT4_P12ihipStream_tbEUlT_E0_NS1_11comp_targetILNS1_3genE5ELNS1_11target_archE942ELNS1_3gpuE9ELNS1_3repE0EEENS1_30default_config_static_selectorELNS0_4arch9wavefront6targetE1EEEvSK_.uses_vcc, 0
	.set _ZN7rocprim17ROCPRIM_400000_NS6detail17trampoline_kernelINS0_14default_configENS1_22reduce_config_selectorIiEEZNS1_11reduce_implILb1ES3_N6thrust23THRUST_200600_302600_NS17counting_iteratorIiNS8_11hip_rocprim3tagENS8_11use_defaultESC_EEPiiNS8_4plusIiEEEE10hipError_tPvRmT1_T2_T3_mT4_P12ihipStream_tbEUlT_E0_NS1_11comp_targetILNS1_3genE5ELNS1_11target_archE942ELNS1_3gpuE9ELNS1_3repE0EEENS1_30default_config_static_selectorELNS0_4arch9wavefront6targetE1EEEvSK_.uses_flat_scratch, 0
	.set _ZN7rocprim17ROCPRIM_400000_NS6detail17trampoline_kernelINS0_14default_configENS1_22reduce_config_selectorIiEEZNS1_11reduce_implILb1ES3_N6thrust23THRUST_200600_302600_NS17counting_iteratorIiNS8_11hip_rocprim3tagENS8_11use_defaultESC_EEPiiNS8_4plusIiEEEE10hipError_tPvRmT1_T2_T3_mT4_P12ihipStream_tbEUlT_E0_NS1_11comp_targetILNS1_3genE5ELNS1_11target_archE942ELNS1_3gpuE9ELNS1_3repE0EEENS1_30default_config_static_selectorELNS0_4arch9wavefront6targetE1EEEvSK_.has_dyn_sized_stack, 0
	.set _ZN7rocprim17ROCPRIM_400000_NS6detail17trampoline_kernelINS0_14default_configENS1_22reduce_config_selectorIiEEZNS1_11reduce_implILb1ES3_N6thrust23THRUST_200600_302600_NS17counting_iteratorIiNS8_11hip_rocprim3tagENS8_11use_defaultESC_EEPiiNS8_4plusIiEEEE10hipError_tPvRmT1_T2_T3_mT4_P12ihipStream_tbEUlT_E0_NS1_11comp_targetILNS1_3genE5ELNS1_11target_archE942ELNS1_3gpuE9ELNS1_3repE0EEENS1_30default_config_static_selectorELNS0_4arch9wavefront6targetE1EEEvSK_.has_recursion, 0
	.set _ZN7rocprim17ROCPRIM_400000_NS6detail17trampoline_kernelINS0_14default_configENS1_22reduce_config_selectorIiEEZNS1_11reduce_implILb1ES3_N6thrust23THRUST_200600_302600_NS17counting_iteratorIiNS8_11hip_rocprim3tagENS8_11use_defaultESC_EEPiiNS8_4plusIiEEEE10hipError_tPvRmT1_T2_T3_mT4_P12ihipStream_tbEUlT_E0_NS1_11comp_targetILNS1_3genE5ELNS1_11target_archE942ELNS1_3gpuE9ELNS1_3repE0EEENS1_30default_config_static_selectorELNS0_4arch9wavefront6targetE1EEEvSK_.has_indirect_call, 0
	.section	.AMDGPU.csdata,"",@progbits
; Kernel info:
; codeLenInByte = 0
; TotalNumSgprs: 6
; NumVgprs: 0
; NumAgprs: 0
; TotalNumVgprs: 0
; ScratchSize: 0
; MemoryBound: 0
; FloatMode: 240
; IeeeMode: 1
; LDSByteSize: 0 bytes/workgroup (compile time only)
; SGPRBlocks: 0
; VGPRBlocks: 0
; NumSGPRsForWavesPerEU: 6
; NumVGPRsForWavesPerEU: 1
; AccumOffset: 4
; Occupancy: 8
; WaveLimiterHint : 0
; COMPUTE_PGM_RSRC2:SCRATCH_EN: 0
; COMPUTE_PGM_RSRC2:USER_SGPR: 2
; COMPUTE_PGM_RSRC2:TRAP_HANDLER: 0
; COMPUTE_PGM_RSRC2:TGID_X_EN: 1
; COMPUTE_PGM_RSRC2:TGID_Y_EN: 0
; COMPUTE_PGM_RSRC2:TGID_Z_EN: 0
; COMPUTE_PGM_RSRC2:TIDIG_COMP_CNT: 0
; COMPUTE_PGM_RSRC3_GFX90A:ACCUM_OFFSET: 0
; COMPUTE_PGM_RSRC3_GFX90A:TG_SPLIT: 0
	.section	.text._ZN7rocprim17ROCPRIM_400000_NS6detail17trampoline_kernelINS0_14default_configENS1_22reduce_config_selectorIiEEZNS1_11reduce_implILb1ES3_N6thrust23THRUST_200600_302600_NS17counting_iteratorIiNS8_11hip_rocprim3tagENS8_11use_defaultESC_EEPiiNS8_4plusIiEEEE10hipError_tPvRmT1_T2_T3_mT4_P12ihipStream_tbEUlT_E0_NS1_11comp_targetILNS1_3genE4ELNS1_11target_archE910ELNS1_3gpuE8ELNS1_3repE0EEENS1_30default_config_static_selectorELNS0_4arch9wavefront6targetE1EEEvSK_,"axG",@progbits,_ZN7rocprim17ROCPRIM_400000_NS6detail17trampoline_kernelINS0_14default_configENS1_22reduce_config_selectorIiEEZNS1_11reduce_implILb1ES3_N6thrust23THRUST_200600_302600_NS17counting_iteratorIiNS8_11hip_rocprim3tagENS8_11use_defaultESC_EEPiiNS8_4plusIiEEEE10hipError_tPvRmT1_T2_T3_mT4_P12ihipStream_tbEUlT_E0_NS1_11comp_targetILNS1_3genE4ELNS1_11target_archE910ELNS1_3gpuE8ELNS1_3repE0EEENS1_30default_config_static_selectorELNS0_4arch9wavefront6targetE1EEEvSK_,comdat
	.protected	_ZN7rocprim17ROCPRIM_400000_NS6detail17trampoline_kernelINS0_14default_configENS1_22reduce_config_selectorIiEEZNS1_11reduce_implILb1ES3_N6thrust23THRUST_200600_302600_NS17counting_iteratorIiNS8_11hip_rocprim3tagENS8_11use_defaultESC_EEPiiNS8_4plusIiEEEE10hipError_tPvRmT1_T2_T3_mT4_P12ihipStream_tbEUlT_E0_NS1_11comp_targetILNS1_3genE4ELNS1_11target_archE910ELNS1_3gpuE8ELNS1_3repE0EEENS1_30default_config_static_selectorELNS0_4arch9wavefront6targetE1EEEvSK_ ; -- Begin function _ZN7rocprim17ROCPRIM_400000_NS6detail17trampoline_kernelINS0_14default_configENS1_22reduce_config_selectorIiEEZNS1_11reduce_implILb1ES3_N6thrust23THRUST_200600_302600_NS17counting_iteratorIiNS8_11hip_rocprim3tagENS8_11use_defaultESC_EEPiiNS8_4plusIiEEEE10hipError_tPvRmT1_T2_T3_mT4_P12ihipStream_tbEUlT_E0_NS1_11comp_targetILNS1_3genE4ELNS1_11target_archE910ELNS1_3gpuE8ELNS1_3repE0EEENS1_30default_config_static_selectorELNS0_4arch9wavefront6targetE1EEEvSK_
	.globl	_ZN7rocprim17ROCPRIM_400000_NS6detail17trampoline_kernelINS0_14default_configENS1_22reduce_config_selectorIiEEZNS1_11reduce_implILb1ES3_N6thrust23THRUST_200600_302600_NS17counting_iteratorIiNS8_11hip_rocprim3tagENS8_11use_defaultESC_EEPiiNS8_4plusIiEEEE10hipError_tPvRmT1_T2_T3_mT4_P12ihipStream_tbEUlT_E0_NS1_11comp_targetILNS1_3genE4ELNS1_11target_archE910ELNS1_3gpuE8ELNS1_3repE0EEENS1_30default_config_static_selectorELNS0_4arch9wavefront6targetE1EEEvSK_
	.p2align	8
	.type	_ZN7rocprim17ROCPRIM_400000_NS6detail17trampoline_kernelINS0_14default_configENS1_22reduce_config_selectorIiEEZNS1_11reduce_implILb1ES3_N6thrust23THRUST_200600_302600_NS17counting_iteratorIiNS8_11hip_rocprim3tagENS8_11use_defaultESC_EEPiiNS8_4plusIiEEEE10hipError_tPvRmT1_T2_T3_mT4_P12ihipStream_tbEUlT_E0_NS1_11comp_targetILNS1_3genE4ELNS1_11target_archE910ELNS1_3gpuE8ELNS1_3repE0EEENS1_30default_config_static_selectorELNS0_4arch9wavefront6targetE1EEEvSK_,@function
_ZN7rocprim17ROCPRIM_400000_NS6detail17trampoline_kernelINS0_14default_configENS1_22reduce_config_selectorIiEEZNS1_11reduce_implILb1ES3_N6thrust23THRUST_200600_302600_NS17counting_iteratorIiNS8_11hip_rocprim3tagENS8_11use_defaultESC_EEPiiNS8_4plusIiEEEE10hipError_tPvRmT1_T2_T3_mT4_P12ihipStream_tbEUlT_E0_NS1_11comp_targetILNS1_3genE4ELNS1_11target_archE910ELNS1_3gpuE8ELNS1_3repE0EEENS1_30default_config_static_selectorELNS0_4arch9wavefront6targetE1EEEvSK_: ; @_ZN7rocprim17ROCPRIM_400000_NS6detail17trampoline_kernelINS0_14default_configENS1_22reduce_config_selectorIiEEZNS1_11reduce_implILb1ES3_N6thrust23THRUST_200600_302600_NS17counting_iteratorIiNS8_11hip_rocprim3tagENS8_11use_defaultESC_EEPiiNS8_4plusIiEEEE10hipError_tPvRmT1_T2_T3_mT4_P12ihipStream_tbEUlT_E0_NS1_11comp_targetILNS1_3genE4ELNS1_11target_archE910ELNS1_3gpuE8ELNS1_3repE0EEENS1_30default_config_static_selectorELNS0_4arch9wavefront6targetE1EEEvSK_
; %bb.0:
	.section	.rodata,"a",@progbits
	.p2align	6, 0x0
	.amdhsa_kernel _ZN7rocprim17ROCPRIM_400000_NS6detail17trampoline_kernelINS0_14default_configENS1_22reduce_config_selectorIiEEZNS1_11reduce_implILb1ES3_N6thrust23THRUST_200600_302600_NS17counting_iteratorIiNS8_11hip_rocprim3tagENS8_11use_defaultESC_EEPiiNS8_4plusIiEEEE10hipError_tPvRmT1_T2_T3_mT4_P12ihipStream_tbEUlT_E0_NS1_11comp_targetILNS1_3genE4ELNS1_11target_archE910ELNS1_3gpuE8ELNS1_3repE0EEENS1_30default_config_static_selectorELNS0_4arch9wavefront6targetE1EEEvSK_
		.amdhsa_group_segment_fixed_size 0
		.amdhsa_private_segment_fixed_size 0
		.amdhsa_kernarg_size 56
		.amdhsa_user_sgpr_count 2
		.amdhsa_user_sgpr_dispatch_ptr 0
		.amdhsa_user_sgpr_queue_ptr 0
		.amdhsa_user_sgpr_kernarg_segment_ptr 1
		.amdhsa_user_sgpr_dispatch_id 0
		.amdhsa_user_sgpr_kernarg_preload_length 0
		.amdhsa_user_sgpr_kernarg_preload_offset 0
		.amdhsa_user_sgpr_private_segment_size 0
		.amdhsa_uses_dynamic_stack 0
		.amdhsa_enable_private_segment 0
		.amdhsa_system_sgpr_workgroup_id_x 1
		.amdhsa_system_sgpr_workgroup_id_y 0
		.amdhsa_system_sgpr_workgroup_id_z 0
		.amdhsa_system_sgpr_workgroup_info 0
		.amdhsa_system_vgpr_workitem_id 0
		.amdhsa_next_free_vgpr 1
		.amdhsa_next_free_sgpr 0
		.amdhsa_accum_offset 4
		.amdhsa_reserve_vcc 0
		.amdhsa_float_round_mode_32 0
		.amdhsa_float_round_mode_16_64 0
		.amdhsa_float_denorm_mode_32 3
		.amdhsa_float_denorm_mode_16_64 3
		.amdhsa_dx10_clamp 1
		.amdhsa_ieee_mode 1
		.amdhsa_fp16_overflow 0
		.amdhsa_tg_split 0
		.amdhsa_exception_fp_ieee_invalid_op 0
		.amdhsa_exception_fp_denorm_src 0
		.amdhsa_exception_fp_ieee_div_zero 0
		.amdhsa_exception_fp_ieee_overflow 0
		.amdhsa_exception_fp_ieee_underflow 0
		.amdhsa_exception_fp_ieee_inexact 0
		.amdhsa_exception_int_div_zero 0
	.end_amdhsa_kernel
	.section	.text._ZN7rocprim17ROCPRIM_400000_NS6detail17trampoline_kernelINS0_14default_configENS1_22reduce_config_selectorIiEEZNS1_11reduce_implILb1ES3_N6thrust23THRUST_200600_302600_NS17counting_iteratorIiNS8_11hip_rocprim3tagENS8_11use_defaultESC_EEPiiNS8_4plusIiEEEE10hipError_tPvRmT1_T2_T3_mT4_P12ihipStream_tbEUlT_E0_NS1_11comp_targetILNS1_3genE4ELNS1_11target_archE910ELNS1_3gpuE8ELNS1_3repE0EEENS1_30default_config_static_selectorELNS0_4arch9wavefront6targetE1EEEvSK_,"axG",@progbits,_ZN7rocprim17ROCPRIM_400000_NS6detail17trampoline_kernelINS0_14default_configENS1_22reduce_config_selectorIiEEZNS1_11reduce_implILb1ES3_N6thrust23THRUST_200600_302600_NS17counting_iteratorIiNS8_11hip_rocprim3tagENS8_11use_defaultESC_EEPiiNS8_4plusIiEEEE10hipError_tPvRmT1_T2_T3_mT4_P12ihipStream_tbEUlT_E0_NS1_11comp_targetILNS1_3genE4ELNS1_11target_archE910ELNS1_3gpuE8ELNS1_3repE0EEENS1_30default_config_static_selectorELNS0_4arch9wavefront6targetE1EEEvSK_,comdat
.Lfunc_end1093:
	.size	_ZN7rocprim17ROCPRIM_400000_NS6detail17trampoline_kernelINS0_14default_configENS1_22reduce_config_selectorIiEEZNS1_11reduce_implILb1ES3_N6thrust23THRUST_200600_302600_NS17counting_iteratorIiNS8_11hip_rocprim3tagENS8_11use_defaultESC_EEPiiNS8_4plusIiEEEE10hipError_tPvRmT1_T2_T3_mT4_P12ihipStream_tbEUlT_E0_NS1_11comp_targetILNS1_3genE4ELNS1_11target_archE910ELNS1_3gpuE8ELNS1_3repE0EEENS1_30default_config_static_selectorELNS0_4arch9wavefront6targetE1EEEvSK_, .Lfunc_end1093-_ZN7rocprim17ROCPRIM_400000_NS6detail17trampoline_kernelINS0_14default_configENS1_22reduce_config_selectorIiEEZNS1_11reduce_implILb1ES3_N6thrust23THRUST_200600_302600_NS17counting_iteratorIiNS8_11hip_rocprim3tagENS8_11use_defaultESC_EEPiiNS8_4plusIiEEEE10hipError_tPvRmT1_T2_T3_mT4_P12ihipStream_tbEUlT_E0_NS1_11comp_targetILNS1_3genE4ELNS1_11target_archE910ELNS1_3gpuE8ELNS1_3repE0EEENS1_30default_config_static_selectorELNS0_4arch9wavefront6targetE1EEEvSK_
                                        ; -- End function
	.set _ZN7rocprim17ROCPRIM_400000_NS6detail17trampoline_kernelINS0_14default_configENS1_22reduce_config_selectorIiEEZNS1_11reduce_implILb1ES3_N6thrust23THRUST_200600_302600_NS17counting_iteratorIiNS8_11hip_rocprim3tagENS8_11use_defaultESC_EEPiiNS8_4plusIiEEEE10hipError_tPvRmT1_T2_T3_mT4_P12ihipStream_tbEUlT_E0_NS1_11comp_targetILNS1_3genE4ELNS1_11target_archE910ELNS1_3gpuE8ELNS1_3repE0EEENS1_30default_config_static_selectorELNS0_4arch9wavefront6targetE1EEEvSK_.num_vgpr, 0
	.set _ZN7rocprim17ROCPRIM_400000_NS6detail17trampoline_kernelINS0_14default_configENS1_22reduce_config_selectorIiEEZNS1_11reduce_implILb1ES3_N6thrust23THRUST_200600_302600_NS17counting_iteratorIiNS8_11hip_rocprim3tagENS8_11use_defaultESC_EEPiiNS8_4plusIiEEEE10hipError_tPvRmT1_T2_T3_mT4_P12ihipStream_tbEUlT_E0_NS1_11comp_targetILNS1_3genE4ELNS1_11target_archE910ELNS1_3gpuE8ELNS1_3repE0EEENS1_30default_config_static_selectorELNS0_4arch9wavefront6targetE1EEEvSK_.num_agpr, 0
	.set _ZN7rocprim17ROCPRIM_400000_NS6detail17trampoline_kernelINS0_14default_configENS1_22reduce_config_selectorIiEEZNS1_11reduce_implILb1ES3_N6thrust23THRUST_200600_302600_NS17counting_iteratorIiNS8_11hip_rocprim3tagENS8_11use_defaultESC_EEPiiNS8_4plusIiEEEE10hipError_tPvRmT1_T2_T3_mT4_P12ihipStream_tbEUlT_E0_NS1_11comp_targetILNS1_3genE4ELNS1_11target_archE910ELNS1_3gpuE8ELNS1_3repE0EEENS1_30default_config_static_selectorELNS0_4arch9wavefront6targetE1EEEvSK_.numbered_sgpr, 0
	.set _ZN7rocprim17ROCPRIM_400000_NS6detail17trampoline_kernelINS0_14default_configENS1_22reduce_config_selectorIiEEZNS1_11reduce_implILb1ES3_N6thrust23THRUST_200600_302600_NS17counting_iteratorIiNS8_11hip_rocprim3tagENS8_11use_defaultESC_EEPiiNS8_4plusIiEEEE10hipError_tPvRmT1_T2_T3_mT4_P12ihipStream_tbEUlT_E0_NS1_11comp_targetILNS1_3genE4ELNS1_11target_archE910ELNS1_3gpuE8ELNS1_3repE0EEENS1_30default_config_static_selectorELNS0_4arch9wavefront6targetE1EEEvSK_.num_named_barrier, 0
	.set _ZN7rocprim17ROCPRIM_400000_NS6detail17trampoline_kernelINS0_14default_configENS1_22reduce_config_selectorIiEEZNS1_11reduce_implILb1ES3_N6thrust23THRUST_200600_302600_NS17counting_iteratorIiNS8_11hip_rocprim3tagENS8_11use_defaultESC_EEPiiNS8_4plusIiEEEE10hipError_tPvRmT1_T2_T3_mT4_P12ihipStream_tbEUlT_E0_NS1_11comp_targetILNS1_3genE4ELNS1_11target_archE910ELNS1_3gpuE8ELNS1_3repE0EEENS1_30default_config_static_selectorELNS0_4arch9wavefront6targetE1EEEvSK_.private_seg_size, 0
	.set _ZN7rocprim17ROCPRIM_400000_NS6detail17trampoline_kernelINS0_14default_configENS1_22reduce_config_selectorIiEEZNS1_11reduce_implILb1ES3_N6thrust23THRUST_200600_302600_NS17counting_iteratorIiNS8_11hip_rocprim3tagENS8_11use_defaultESC_EEPiiNS8_4plusIiEEEE10hipError_tPvRmT1_T2_T3_mT4_P12ihipStream_tbEUlT_E0_NS1_11comp_targetILNS1_3genE4ELNS1_11target_archE910ELNS1_3gpuE8ELNS1_3repE0EEENS1_30default_config_static_selectorELNS0_4arch9wavefront6targetE1EEEvSK_.uses_vcc, 0
	.set _ZN7rocprim17ROCPRIM_400000_NS6detail17trampoline_kernelINS0_14default_configENS1_22reduce_config_selectorIiEEZNS1_11reduce_implILb1ES3_N6thrust23THRUST_200600_302600_NS17counting_iteratorIiNS8_11hip_rocprim3tagENS8_11use_defaultESC_EEPiiNS8_4plusIiEEEE10hipError_tPvRmT1_T2_T3_mT4_P12ihipStream_tbEUlT_E0_NS1_11comp_targetILNS1_3genE4ELNS1_11target_archE910ELNS1_3gpuE8ELNS1_3repE0EEENS1_30default_config_static_selectorELNS0_4arch9wavefront6targetE1EEEvSK_.uses_flat_scratch, 0
	.set _ZN7rocprim17ROCPRIM_400000_NS6detail17trampoline_kernelINS0_14default_configENS1_22reduce_config_selectorIiEEZNS1_11reduce_implILb1ES3_N6thrust23THRUST_200600_302600_NS17counting_iteratorIiNS8_11hip_rocprim3tagENS8_11use_defaultESC_EEPiiNS8_4plusIiEEEE10hipError_tPvRmT1_T2_T3_mT4_P12ihipStream_tbEUlT_E0_NS1_11comp_targetILNS1_3genE4ELNS1_11target_archE910ELNS1_3gpuE8ELNS1_3repE0EEENS1_30default_config_static_selectorELNS0_4arch9wavefront6targetE1EEEvSK_.has_dyn_sized_stack, 0
	.set _ZN7rocprim17ROCPRIM_400000_NS6detail17trampoline_kernelINS0_14default_configENS1_22reduce_config_selectorIiEEZNS1_11reduce_implILb1ES3_N6thrust23THRUST_200600_302600_NS17counting_iteratorIiNS8_11hip_rocprim3tagENS8_11use_defaultESC_EEPiiNS8_4plusIiEEEE10hipError_tPvRmT1_T2_T3_mT4_P12ihipStream_tbEUlT_E0_NS1_11comp_targetILNS1_3genE4ELNS1_11target_archE910ELNS1_3gpuE8ELNS1_3repE0EEENS1_30default_config_static_selectorELNS0_4arch9wavefront6targetE1EEEvSK_.has_recursion, 0
	.set _ZN7rocprim17ROCPRIM_400000_NS6detail17trampoline_kernelINS0_14default_configENS1_22reduce_config_selectorIiEEZNS1_11reduce_implILb1ES3_N6thrust23THRUST_200600_302600_NS17counting_iteratorIiNS8_11hip_rocprim3tagENS8_11use_defaultESC_EEPiiNS8_4plusIiEEEE10hipError_tPvRmT1_T2_T3_mT4_P12ihipStream_tbEUlT_E0_NS1_11comp_targetILNS1_3genE4ELNS1_11target_archE910ELNS1_3gpuE8ELNS1_3repE0EEENS1_30default_config_static_selectorELNS0_4arch9wavefront6targetE1EEEvSK_.has_indirect_call, 0
	.section	.AMDGPU.csdata,"",@progbits
; Kernel info:
; codeLenInByte = 0
; TotalNumSgprs: 6
; NumVgprs: 0
; NumAgprs: 0
; TotalNumVgprs: 0
; ScratchSize: 0
; MemoryBound: 0
; FloatMode: 240
; IeeeMode: 1
; LDSByteSize: 0 bytes/workgroup (compile time only)
; SGPRBlocks: 0
; VGPRBlocks: 0
; NumSGPRsForWavesPerEU: 6
; NumVGPRsForWavesPerEU: 1
; AccumOffset: 4
; Occupancy: 8
; WaveLimiterHint : 0
; COMPUTE_PGM_RSRC2:SCRATCH_EN: 0
; COMPUTE_PGM_RSRC2:USER_SGPR: 2
; COMPUTE_PGM_RSRC2:TRAP_HANDLER: 0
; COMPUTE_PGM_RSRC2:TGID_X_EN: 1
; COMPUTE_PGM_RSRC2:TGID_Y_EN: 0
; COMPUTE_PGM_RSRC2:TGID_Z_EN: 0
; COMPUTE_PGM_RSRC2:TIDIG_COMP_CNT: 0
; COMPUTE_PGM_RSRC3_GFX90A:ACCUM_OFFSET: 0
; COMPUTE_PGM_RSRC3_GFX90A:TG_SPLIT: 0
	.section	.text._ZN7rocprim17ROCPRIM_400000_NS6detail17trampoline_kernelINS0_14default_configENS1_22reduce_config_selectorIiEEZNS1_11reduce_implILb1ES3_N6thrust23THRUST_200600_302600_NS17counting_iteratorIiNS8_11hip_rocprim3tagENS8_11use_defaultESC_EEPiiNS8_4plusIiEEEE10hipError_tPvRmT1_T2_T3_mT4_P12ihipStream_tbEUlT_E0_NS1_11comp_targetILNS1_3genE3ELNS1_11target_archE908ELNS1_3gpuE7ELNS1_3repE0EEENS1_30default_config_static_selectorELNS0_4arch9wavefront6targetE1EEEvSK_,"axG",@progbits,_ZN7rocprim17ROCPRIM_400000_NS6detail17trampoline_kernelINS0_14default_configENS1_22reduce_config_selectorIiEEZNS1_11reduce_implILb1ES3_N6thrust23THRUST_200600_302600_NS17counting_iteratorIiNS8_11hip_rocprim3tagENS8_11use_defaultESC_EEPiiNS8_4plusIiEEEE10hipError_tPvRmT1_T2_T3_mT4_P12ihipStream_tbEUlT_E0_NS1_11comp_targetILNS1_3genE3ELNS1_11target_archE908ELNS1_3gpuE7ELNS1_3repE0EEENS1_30default_config_static_selectorELNS0_4arch9wavefront6targetE1EEEvSK_,comdat
	.protected	_ZN7rocprim17ROCPRIM_400000_NS6detail17trampoline_kernelINS0_14default_configENS1_22reduce_config_selectorIiEEZNS1_11reduce_implILb1ES3_N6thrust23THRUST_200600_302600_NS17counting_iteratorIiNS8_11hip_rocprim3tagENS8_11use_defaultESC_EEPiiNS8_4plusIiEEEE10hipError_tPvRmT1_T2_T3_mT4_P12ihipStream_tbEUlT_E0_NS1_11comp_targetILNS1_3genE3ELNS1_11target_archE908ELNS1_3gpuE7ELNS1_3repE0EEENS1_30default_config_static_selectorELNS0_4arch9wavefront6targetE1EEEvSK_ ; -- Begin function _ZN7rocprim17ROCPRIM_400000_NS6detail17trampoline_kernelINS0_14default_configENS1_22reduce_config_selectorIiEEZNS1_11reduce_implILb1ES3_N6thrust23THRUST_200600_302600_NS17counting_iteratorIiNS8_11hip_rocprim3tagENS8_11use_defaultESC_EEPiiNS8_4plusIiEEEE10hipError_tPvRmT1_T2_T3_mT4_P12ihipStream_tbEUlT_E0_NS1_11comp_targetILNS1_3genE3ELNS1_11target_archE908ELNS1_3gpuE7ELNS1_3repE0EEENS1_30default_config_static_selectorELNS0_4arch9wavefront6targetE1EEEvSK_
	.globl	_ZN7rocprim17ROCPRIM_400000_NS6detail17trampoline_kernelINS0_14default_configENS1_22reduce_config_selectorIiEEZNS1_11reduce_implILb1ES3_N6thrust23THRUST_200600_302600_NS17counting_iteratorIiNS8_11hip_rocprim3tagENS8_11use_defaultESC_EEPiiNS8_4plusIiEEEE10hipError_tPvRmT1_T2_T3_mT4_P12ihipStream_tbEUlT_E0_NS1_11comp_targetILNS1_3genE3ELNS1_11target_archE908ELNS1_3gpuE7ELNS1_3repE0EEENS1_30default_config_static_selectorELNS0_4arch9wavefront6targetE1EEEvSK_
	.p2align	8
	.type	_ZN7rocprim17ROCPRIM_400000_NS6detail17trampoline_kernelINS0_14default_configENS1_22reduce_config_selectorIiEEZNS1_11reduce_implILb1ES3_N6thrust23THRUST_200600_302600_NS17counting_iteratorIiNS8_11hip_rocprim3tagENS8_11use_defaultESC_EEPiiNS8_4plusIiEEEE10hipError_tPvRmT1_T2_T3_mT4_P12ihipStream_tbEUlT_E0_NS1_11comp_targetILNS1_3genE3ELNS1_11target_archE908ELNS1_3gpuE7ELNS1_3repE0EEENS1_30default_config_static_selectorELNS0_4arch9wavefront6targetE1EEEvSK_,@function
_ZN7rocprim17ROCPRIM_400000_NS6detail17trampoline_kernelINS0_14default_configENS1_22reduce_config_selectorIiEEZNS1_11reduce_implILb1ES3_N6thrust23THRUST_200600_302600_NS17counting_iteratorIiNS8_11hip_rocprim3tagENS8_11use_defaultESC_EEPiiNS8_4plusIiEEEE10hipError_tPvRmT1_T2_T3_mT4_P12ihipStream_tbEUlT_E0_NS1_11comp_targetILNS1_3genE3ELNS1_11target_archE908ELNS1_3gpuE7ELNS1_3repE0EEENS1_30default_config_static_selectorELNS0_4arch9wavefront6targetE1EEEvSK_: ; @_ZN7rocprim17ROCPRIM_400000_NS6detail17trampoline_kernelINS0_14default_configENS1_22reduce_config_selectorIiEEZNS1_11reduce_implILb1ES3_N6thrust23THRUST_200600_302600_NS17counting_iteratorIiNS8_11hip_rocprim3tagENS8_11use_defaultESC_EEPiiNS8_4plusIiEEEE10hipError_tPvRmT1_T2_T3_mT4_P12ihipStream_tbEUlT_E0_NS1_11comp_targetILNS1_3genE3ELNS1_11target_archE908ELNS1_3gpuE7ELNS1_3repE0EEENS1_30default_config_static_selectorELNS0_4arch9wavefront6targetE1EEEvSK_
; %bb.0:
	.section	.rodata,"a",@progbits
	.p2align	6, 0x0
	.amdhsa_kernel _ZN7rocprim17ROCPRIM_400000_NS6detail17trampoline_kernelINS0_14default_configENS1_22reduce_config_selectorIiEEZNS1_11reduce_implILb1ES3_N6thrust23THRUST_200600_302600_NS17counting_iteratorIiNS8_11hip_rocprim3tagENS8_11use_defaultESC_EEPiiNS8_4plusIiEEEE10hipError_tPvRmT1_T2_T3_mT4_P12ihipStream_tbEUlT_E0_NS1_11comp_targetILNS1_3genE3ELNS1_11target_archE908ELNS1_3gpuE7ELNS1_3repE0EEENS1_30default_config_static_selectorELNS0_4arch9wavefront6targetE1EEEvSK_
		.amdhsa_group_segment_fixed_size 0
		.amdhsa_private_segment_fixed_size 0
		.amdhsa_kernarg_size 56
		.amdhsa_user_sgpr_count 2
		.amdhsa_user_sgpr_dispatch_ptr 0
		.amdhsa_user_sgpr_queue_ptr 0
		.amdhsa_user_sgpr_kernarg_segment_ptr 1
		.amdhsa_user_sgpr_dispatch_id 0
		.amdhsa_user_sgpr_kernarg_preload_length 0
		.amdhsa_user_sgpr_kernarg_preload_offset 0
		.amdhsa_user_sgpr_private_segment_size 0
		.amdhsa_uses_dynamic_stack 0
		.amdhsa_enable_private_segment 0
		.amdhsa_system_sgpr_workgroup_id_x 1
		.amdhsa_system_sgpr_workgroup_id_y 0
		.amdhsa_system_sgpr_workgroup_id_z 0
		.amdhsa_system_sgpr_workgroup_info 0
		.amdhsa_system_vgpr_workitem_id 0
		.amdhsa_next_free_vgpr 1
		.amdhsa_next_free_sgpr 0
		.amdhsa_accum_offset 4
		.amdhsa_reserve_vcc 0
		.amdhsa_float_round_mode_32 0
		.amdhsa_float_round_mode_16_64 0
		.amdhsa_float_denorm_mode_32 3
		.amdhsa_float_denorm_mode_16_64 3
		.amdhsa_dx10_clamp 1
		.amdhsa_ieee_mode 1
		.amdhsa_fp16_overflow 0
		.amdhsa_tg_split 0
		.amdhsa_exception_fp_ieee_invalid_op 0
		.amdhsa_exception_fp_denorm_src 0
		.amdhsa_exception_fp_ieee_div_zero 0
		.amdhsa_exception_fp_ieee_overflow 0
		.amdhsa_exception_fp_ieee_underflow 0
		.amdhsa_exception_fp_ieee_inexact 0
		.amdhsa_exception_int_div_zero 0
	.end_amdhsa_kernel
	.section	.text._ZN7rocprim17ROCPRIM_400000_NS6detail17trampoline_kernelINS0_14default_configENS1_22reduce_config_selectorIiEEZNS1_11reduce_implILb1ES3_N6thrust23THRUST_200600_302600_NS17counting_iteratorIiNS8_11hip_rocprim3tagENS8_11use_defaultESC_EEPiiNS8_4plusIiEEEE10hipError_tPvRmT1_T2_T3_mT4_P12ihipStream_tbEUlT_E0_NS1_11comp_targetILNS1_3genE3ELNS1_11target_archE908ELNS1_3gpuE7ELNS1_3repE0EEENS1_30default_config_static_selectorELNS0_4arch9wavefront6targetE1EEEvSK_,"axG",@progbits,_ZN7rocprim17ROCPRIM_400000_NS6detail17trampoline_kernelINS0_14default_configENS1_22reduce_config_selectorIiEEZNS1_11reduce_implILb1ES3_N6thrust23THRUST_200600_302600_NS17counting_iteratorIiNS8_11hip_rocprim3tagENS8_11use_defaultESC_EEPiiNS8_4plusIiEEEE10hipError_tPvRmT1_T2_T3_mT4_P12ihipStream_tbEUlT_E0_NS1_11comp_targetILNS1_3genE3ELNS1_11target_archE908ELNS1_3gpuE7ELNS1_3repE0EEENS1_30default_config_static_selectorELNS0_4arch9wavefront6targetE1EEEvSK_,comdat
.Lfunc_end1094:
	.size	_ZN7rocprim17ROCPRIM_400000_NS6detail17trampoline_kernelINS0_14default_configENS1_22reduce_config_selectorIiEEZNS1_11reduce_implILb1ES3_N6thrust23THRUST_200600_302600_NS17counting_iteratorIiNS8_11hip_rocprim3tagENS8_11use_defaultESC_EEPiiNS8_4plusIiEEEE10hipError_tPvRmT1_T2_T3_mT4_P12ihipStream_tbEUlT_E0_NS1_11comp_targetILNS1_3genE3ELNS1_11target_archE908ELNS1_3gpuE7ELNS1_3repE0EEENS1_30default_config_static_selectorELNS0_4arch9wavefront6targetE1EEEvSK_, .Lfunc_end1094-_ZN7rocprim17ROCPRIM_400000_NS6detail17trampoline_kernelINS0_14default_configENS1_22reduce_config_selectorIiEEZNS1_11reduce_implILb1ES3_N6thrust23THRUST_200600_302600_NS17counting_iteratorIiNS8_11hip_rocprim3tagENS8_11use_defaultESC_EEPiiNS8_4plusIiEEEE10hipError_tPvRmT1_T2_T3_mT4_P12ihipStream_tbEUlT_E0_NS1_11comp_targetILNS1_3genE3ELNS1_11target_archE908ELNS1_3gpuE7ELNS1_3repE0EEENS1_30default_config_static_selectorELNS0_4arch9wavefront6targetE1EEEvSK_
                                        ; -- End function
	.set _ZN7rocprim17ROCPRIM_400000_NS6detail17trampoline_kernelINS0_14default_configENS1_22reduce_config_selectorIiEEZNS1_11reduce_implILb1ES3_N6thrust23THRUST_200600_302600_NS17counting_iteratorIiNS8_11hip_rocprim3tagENS8_11use_defaultESC_EEPiiNS8_4plusIiEEEE10hipError_tPvRmT1_T2_T3_mT4_P12ihipStream_tbEUlT_E0_NS1_11comp_targetILNS1_3genE3ELNS1_11target_archE908ELNS1_3gpuE7ELNS1_3repE0EEENS1_30default_config_static_selectorELNS0_4arch9wavefront6targetE1EEEvSK_.num_vgpr, 0
	.set _ZN7rocprim17ROCPRIM_400000_NS6detail17trampoline_kernelINS0_14default_configENS1_22reduce_config_selectorIiEEZNS1_11reduce_implILb1ES3_N6thrust23THRUST_200600_302600_NS17counting_iteratorIiNS8_11hip_rocprim3tagENS8_11use_defaultESC_EEPiiNS8_4plusIiEEEE10hipError_tPvRmT1_T2_T3_mT4_P12ihipStream_tbEUlT_E0_NS1_11comp_targetILNS1_3genE3ELNS1_11target_archE908ELNS1_3gpuE7ELNS1_3repE0EEENS1_30default_config_static_selectorELNS0_4arch9wavefront6targetE1EEEvSK_.num_agpr, 0
	.set _ZN7rocprim17ROCPRIM_400000_NS6detail17trampoline_kernelINS0_14default_configENS1_22reduce_config_selectorIiEEZNS1_11reduce_implILb1ES3_N6thrust23THRUST_200600_302600_NS17counting_iteratorIiNS8_11hip_rocprim3tagENS8_11use_defaultESC_EEPiiNS8_4plusIiEEEE10hipError_tPvRmT1_T2_T3_mT4_P12ihipStream_tbEUlT_E0_NS1_11comp_targetILNS1_3genE3ELNS1_11target_archE908ELNS1_3gpuE7ELNS1_3repE0EEENS1_30default_config_static_selectorELNS0_4arch9wavefront6targetE1EEEvSK_.numbered_sgpr, 0
	.set _ZN7rocprim17ROCPRIM_400000_NS6detail17trampoline_kernelINS0_14default_configENS1_22reduce_config_selectorIiEEZNS1_11reduce_implILb1ES3_N6thrust23THRUST_200600_302600_NS17counting_iteratorIiNS8_11hip_rocprim3tagENS8_11use_defaultESC_EEPiiNS8_4plusIiEEEE10hipError_tPvRmT1_T2_T3_mT4_P12ihipStream_tbEUlT_E0_NS1_11comp_targetILNS1_3genE3ELNS1_11target_archE908ELNS1_3gpuE7ELNS1_3repE0EEENS1_30default_config_static_selectorELNS0_4arch9wavefront6targetE1EEEvSK_.num_named_barrier, 0
	.set _ZN7rocprim17ROCPRIM_400000_NS6detail17trampoline_kernelINS0_14default_configENS1_22reduce_config_selectorIiEEZNS1_11reduce_implILb1ES3_N6thrust23THRUST_200600_302600_NS17counting_iteratorIiNS8_11hip_rocprim3tagENS8_11use_defaultESC_EEPiiNS8_4plusIiEEEE10hipError_tPvRmT1_T2_T3_mT4_P12ihipStream_tbEUlT_E0_NS1_11comp_targetILNS1_3genE3ELNS1_11target_archE908ELNS1_3gpuE7ELNS1_3repE0EEENS1_30default_config_static_selectorELNS0_4arch9wavefront6targetE1EEEvSK_.private_seg_size, 0
	.set _ZN7rocprim17ROCPRIM_400000_NS6detail17trampoline_kernelINS0_14default_configENS1_22reduce_config_selectorIiEEZNS1_11reduce_implILb1ES3_N6thrust23THRUST_200600_302600_NS17counting_iteratorIiNS8_11hip_rocprim3tagENS8_11use_defaultESC_EEPiiNS8_4plusIiEEEE10hipError_tPvRmT1_T2_T3_mT4_P12ihipStream_tbEUlT_E0_NS1_11comp_targetILNS1_3genE3ELNS1_11target_archE908ELNS1_3gpuE7ELNS1_3repE0EEENS1_30default_config_static_selectorELNS0_4arch9wavefront6targetE1EEEvSK_.uses_vcc, 0
	.set _ZN7rocprim17ROCPRIM_400000_NS6detail17trampoline_kernelINS0_14default_configENS1_22reduce_config_selectorIiEEZNS1_11reduce_implILb1ES3_N6thrust23THRUST_200600_302600_NS17counting_iteratorIiNS8_11hip_rocprim3tagENS8_11use_defaultESC_EEPiiNS8_4plusIiEEEE10hipError_tPvRmT1_T2_T3_mT4_P12ihipStream_tbEUlT_E0_NS1_11comp_targetILNS1_3genE3ELNS1_11target_archE908ELNS1_3gpuE7ELNS1_3repE0EEENS1_30default_config_static_selectorELNS0_4arch9wavefront6targetE1EEEvSK_.uses_flat_scratch, 0
	.set _ZN7rocprim17ROCPRIM_400000_NS6detail17trampoline_kernelINS0_14default_configENS1_22reduce_config_selectorIiEEZNS1_11reduce_implILb1ES3_N6thrust23THRUST_200600_302600_NS17counting_iteratorIiNS8_11hip_rocprim3tagENS8_11use_defaultESC_EEPiiNS8_4plusIiEEEE10hipError_tPvRmT1_T2_T3_mT4_P12ihipStream_tbEUlT_E0_NS1_11comp_targetILNS1_3genE3ELNS1_11target_archE908ELNS1_3gpuE7ELNS1_3repE0EEENS1_30default_config_static_selectorELNS0_4arch9wavefront6targetE1EEEvSK_.has_dyn_sized_stack, 0
	.set _ZN7rocprim17ROCPRIM_400000_NS6detail17trampoline_kernelINS0_14default_configENS1_22reduce_config_selectorIiEEZNS1_11reduce_implILb1ES3_N6thrust23THRUST_200600_302600_NS17counting_iteratorIiNS8_11hip_rocprim3tagENS8_11use_defaultESC_EEPiiNS8_4plusIiEEEE10hipError_tPvRmT1_T2_T3_mT4_P12ihipStream_tbEUlT_E0_NS1_11comp_targetILNS1_3genE3ELNS1_11target_archE908ELNS1_3gpuE7ELNS1_3repE0EEENS1_30default_config_static_selectorELNS0_4arch9wavefront6targetE1EEEvSK_.has_recursion, 0
	.set _ZN7rocprim17ROCPRIM_400000_NS6detail17trampoline_kernelINS0_14default_configENS1_22reduce_config_selectorIiEEZNS1_11reduce_implILb1ES3_N6thrust23THRUST_200600_302600_NS17counting_iteratorIiNS8_11hip_rocprim3tagENS8_11use_defaultESC_EEPiiNS8_4plusIiEEEE10hipError_tPvRmT1_T2_T3_mT4_P12ihipStream_tbEUlT_E0_NS1_11comp_targetILNS1_3genE3ELNS1_11target_archE908ELNS1_3gpuE7ELNS1_3repE0EEENS1_30default_config_static_selectorELNS0_4arch9wavefront6targetE1EEEvSK_.has_indirect_call, 0
	.section	.AMDGPU.csdata,"",@progbits
; Kernel info:
; codeLenInByte = 0
; TotalNumSgprs: 6
; NumVgprs: 0
; NumAgprs: 0
; TotalNumVgprs: 0
; ScratchSize: 0
; MemoryBound: 0
; FloatMode: 240
; IeeeMode: 1
; LDSByteSize: 0 bytes/workgroup (compile time only)
; SGPRBlocks: 0
; VGPRBlocks: 0
; NumSGPRsForWavesPerEU: 6
; NumVGPRsForWavesPerEU: 1
; AccumOffset: 4
; Occupancy: 8
; WaveLimiterHint : 0
; COMPUTE_PGM_RSRC2:SCRATCH_EN: 0
; COMPUTE_PGM_RSRC2:USER_SGPR: 2
; COMPUTE_PGM_RSRC2:TRAP_HANDLER: 0
; COMPUTE_PGM_RSRC2:TGID_X_EN: 1
; COMPUTE_PGM_RSRC2:TGID_Y_EN: 0
; COMPUTE_PGM_RSRC2:TGID_Z_EN: 0
; COMPUTE_PGM_RSRC2:TIDIG_COMP_CNT: 0
; COMPUTE_PGM_RSRC3_GFX90A:ACCUM_OFFSET: 0
; COMPUTE_PGM_RSRC3_GFX90A:TG_SPLIT: 0
	.section	.text._ZN7rocprim17ROCPRIM_400000_NS6detail17trampoline_kernelINS0_14default_configENS1_22reduce_config_selectorIiEEZNS1_11reduce_implILb1ES3_N6thrust23THRUST_200600_302600_NS17counting_iteratorIiNS8_11hip_rocprim3tagENS8_11use_defaultESC_EEPiiNS8_4plusIiEEEE10hipError_tPvRmT1_T2_T3_mT4_P12ihipStream_tbEUlT_E0_NS1_11comp_targetILNS1_3genE2ELNS1_11target_archE906ELNS1_3gpuE6ELNS1_3repE0EEENS1_30default_config_static_selectorELNS0_4arch9wavefront6targetE1EEEvSK_,"axG",@progbits,_ZN7rocprim17ROCPRIM_400000_NS6detail17trampoline_kernelINS0_14default_configENS1_22reduce_config_selectorIiEEZNS1_11reduce_implILb1ES3_N6thrust23THRUST_200600_302600_NS17counting_iteratorIiNS8_11hip_rocprim3tagENS8_11use_defaultESC_EEPiiNS8_4plusIiEEEE10hipError_tPvRmT1_T2_T3_mT4_P12ihipStream_tbEUlT_E0_NS1_11comp_targetILNS1_3genE2ELNS1_11target_archE906ELNS1_3gpuE6ELNS1_3repE0EEENS1_30default_config_static_selectorELNS0_4arch9wavefront6targetE1EEEvSK_,comdat
	.protected	_ZN7rocprim17ROCPRIM_400000_NS6detail17trampoline_kernelINS0_14default_configENS1_22reduce_config_selectorIiEEZNS1_11reduce_implILb1ES3_N6thrust23THRUST_200600_302600_NS17counting_iteratorIiNS8_11hip_rocprim3tagENS8_11use_defaultESC_EEPiiNS8_4plusIiEEEE10hipError_tPvRmT1_T2_T3_mT4_P12ihipStream_tbEUlT_E0_NS1_11comp_targetILNS1_3genE2ELNS1_11target_archE906ELNS1_3gpuE6ELNS1_3repE0EEENS1_30default_config_static_selectorELNS0_4arch9wavefront6targetE1EEEvSK_ ; -- Begin function _ZN7rocprim17ROCPRIM_400000_NS6detail17trampoline_kernelINS0_14default_configENS1_22reduce_config_selectorIiEEZNS1_11reduce_implILb1ES3_N6thrust23THRUST_200600_302600_NS17counting_iteratorIiNS8_11hip_rocprim3tagENS8_11use_defaultESC_EEPiiNS8_4plusIiEEEE10hipError_tPvRmT1_T2_T3_mT4_P12ihipStream_tbEUlT_E0_NS1_11comp_targetILNS1_3genE2ELNS1_11target_archE906ELNS1_3gpuE6ELNS1_3repE0EEENS1_30default_config_static_selectorELNS0_4arch9wavefront6targetE1EEEvSK_
	.globl	_ZN7rocprim17ROCPRIM_400000_NS6detail17trampoline_kernelINS0_14default_configENS1_22reduce_config_selectorIiEEZNS1_11reduce_implILb1ES3_N6thrust23THRUST_200600_302600_NS17counting_iteratorIiNS8_11hip_rocprim3tagENS8_11use_defaultESC_EEPiiNS8_4plusIiEEEE10hipError_tPvRmT1_T2_T3_mT4_P12ihipStream_tbEUlT_E0_NS1_11comp_targetILNS1_3genE2ELNS1_11target_archE906ELNS1_3gpuE6ELNS1_3repE0EEENS1_30default_config_static_selectorELNS0_4arch9wavefront6targetE1EEEvSK_
	.p2align	8
	.type	_ZN7rocprim17ROCPRIM_400000_NS6detail17trampoline_kernelINS0_14default_configENS1_22reduce_config_selectorIiEEZNS1_11reduce_implILb1ES3_N6thrust23THRUST_200600_302600_NS17counting_iteratorIiNS8_11hip_rocprim3tagENS8_11use_defaultESC_EEPiiNS8_4plusIiEEEE10hipError_tPvRmT1_T2_T3_mT4_P12ihipStream_tbEUlT_E0_NS1_11comp_targetILNS1_3genE2ELNS1_11target_archE906ELNS1_3gpuE6ELNS1_3repE0EEENS1_30default_config_static_selectorELNS0_4arch9wavefront6targetE1EEEvSK_,@function
_ZN7rocprim17ROCPRIM_400000_NS6detail17trampoline_kernelINS0_14default_configENS1_22reduce_config_selectorIiEEZNS1_11reduce_implILb1ES3_N6thrust23THRUST_200600_302600_NS17counting_iteratorIiNS8_11hip_rocprim3tagENS8_11use_defaultESC_EEPiiNS8_4plusIiEEEE10hipError_tPvRmT1_T2_T3_mT4_P12ihipStream_tbEUlT_E0_NS1_11comp_targetILNS1_3genE2ELNS1_11target_archE906ELNS1_3gpuE6ELNS1_3repE0EEENS1_30default_config_static_selectorELNS0_4arch9wavefront6targetE1EEEvSK_: ; @_ZN7rocprim17ROCPRIM_400000_NS6detail17trampoline_kernelINS0_14default_configENS1_22reduce_config_selectorIiEEZNS1_11reduce_implILb1ES3_N6thrust23THRUST_200600_302600_NS17counting_iteratorIiNS8_11hip_rocprim3tagENS8_11use_defaultESC_EEPiiNS8_4plusIiEEEE10hipError_tPvRmT1_T2_T3_mT4_P12ihipStream_tbEUlT_E0_NS1_11comp_targetILNS1_3genE2ELNS1_11target_archE906ELNS1_3gpuE6ELNS1_3repE0EEENS1_30default_config_static_selectorELNS0_4arch9wavefront6targetE1EEEvSK_
; %bb.0:
	.section	.rodata,"a",@progbits
	.p2align	6, 0x0
	.amdhsa_kernel _ZN7rocprim17ROCPRIM_400000_NS6detail17trampoline_kernelINS0_14default_configENS1_22reduce_config_selectorIiEEZNS1_11reduce_implILb1ES3_N6thrust23THRUST_200600_302600_NS17counting_iteratorIiNS8_11hip_rocprim3tagENS8_11use_defaultESC_EEPiiNS8_4plusIiEEEE10hipError_tPvRmT1_T2_T3_mT4_P12ihipStream_tbEUlT_E0_NS1_11comp_targetILNS1_3genE2ELNS1_11target_archE906ELNS1_3gpuE6ELNS1_3repE0EEENS1_30default_config_static_selectorELNS0_4arch9wavefront6targetE1EEEvSK_
		.amdhsa_group_segment_fixed_size 0
		.amdhsa_private_segment_fixed_size 0
		.amdhsa_kernarg_size 56
		.amdhsa_user_sgpr_count 2
		.amdhsa_user_sgpr_dispatch_ptr 0
		.amdhsa_user_sgpr_queue_ptr 0
		.amdhsa_user_sgpr_kernarg_segment_ptr 1
		.amdhsa_user_sgpr_dispatch_id 0
		.amdhsa_user_sgpr_kernarg_preload_length 0
		.amdhsa_user_sgpr_kernarg_preload_offset 0
		.amdhsa_user_sgpr_private_segment_size 0
		.amdhsa_uses_dynamic_stack 0
		.amdhsa_enable_private_segment 0
		.amdhsa_system_sgpr_workgroup_id_x 1
		.amdhsa_system_sgpr_workgroup_id_y 0
		.amdhsa_system_sgpr_workgroup_id_z 0
		.amdhsa_system_sgpr_workgroup_info 0
		.amdhsa_system_vgpr_workitem_id 0
		.amdhsa_next_free_vgpr 1
		.amdhsa_next_free_sgpr 0
		.amdhsa_accum_offset 4
		.amdhsa_reserve_vcc 0
		.amdhsa_float_round_mode_32 0
		.amdhsa_float_round_mode_16_64 0
		.amdhsa_float_denorm_mode_32 3
		.amdhsa_float_denorm_mode_16_64 3
		.amdhsa_dx10_clamp 1
		.amdhsa_ieee_mode 1
		.amdhsa_fp16_overflow 0
		.amdhsa_tg_split 0
		.amdhsa_exception_fp_ieee_invalid_op 0
		.amdhsa_exception_fp_denorm_src 0
		.amdhsa_exception_fp_ieee_div_zero 0
		.amdhsa_exception_fp_ieee_overflow 0
		.amdhsa_exception_fp_ieee_underflow 0
		.amdhsa_exception_fp_ieee_inexact 0
		.amdhsa_exception_int_div_zero 0
	.end_amdhsa_kernel
	.section	.text._ZN7rocprim17ROCPRIM_400000_NS6detail17trampoline_kernelINS0_14default_configENS1_22reduce_config_selectorIiEEZNS1_11reduce_implILb1ES3_N6thrust23THRUST_200600_302600_NS17counting_iteratorIiNS8_11hip_rocprim3tagENS8_11use_defaultESC_EEPiiNS8_4plusIiEEEE10hipError_tPvRmT1_T2_T3_mT4_P12ihipStream_tbEUlT_E0_NS1_11comp_targetILNS1_3genE2ELNS1_11target_archE906ELNS1_3gpuE6ELNS1_3repE0EEENS1_30default_config_static_selectorELNS0_4arch9wavefront6targetE1EEEvSK_,"axG",@progbits,_ZN7rocprim17ROCPRIM_400000_NS6detail17trampoline_kernelINS0_14default_configENS1_22reduce_config_selectorIiEEZNS1_11reduce_implILb1ES3_N6thrust23THRUST_200600_302600_NS17counting_iteratorIiNS8_11hip_rocprim3tagENS8_11use_defaultESC_EEPiiNS8_4plusIiEEEE10hipError_tPvRmT1_T2_T3_mT4_P12ihipStream_tbEUlT_E0_NS1_11comp_targetILNS1_3genE2ELNS1_11target_archE906ELNS1_3gpuE6ELNS1_3repE0EEENS1_30default_config_static_selectorELNS0_4arch9wavefront6targetE1EEEvSK_,comdat
.Lfunc_end1095:
	.size	_ZN7rocprim17ROCPRIM_400000_NS6detail17trampoline_kernelINS0_14default_configENS1_22reduce_config_selectorIiEEZNS1_11reduce_implILb1ES3_N6thrust23THRUST_200600_302600_NS17counting_iteratorIiNS8_11hip_rocprim3tagENS8_11use_defaultESC_EEPiiNS8_4plusIiEEEE10hipError_tPvRmT1_T2_T3_mT4_P12ihipStream_tbEUlT_E0_NS1_11comp_targetILNS1_3genE2ELNS1_11target_archE906ELNS1_3gpuE6ELNS1_3repE0EEENS1_30default_config_static_selectorELNS0_4arch9wavefront6targetE1EEEvSK_, .Lfunc_end1095-_ZN7rocprim17ROCPRIM_400000_NS6detail17trampoline_kernelINS0_14default_configENS1_22reduce_config_selectorIiEEZNS1_11reduce_implILb1ES3_N6thrust23THRUST_200600_302600_NS17counting_iteratorIiNS8_11hip_rocprim3tagENS8_11use_defaultESC_EEPiiNS8_4plusIiEEEE10hipError_tPvRmT1_T2_T3_mT4_P12ihipStream_tbEUlT_E0_NS1_11comp_targetILNS1_3genE2ELNS1_11target_archE906ELNS1_3gpuE6ELNS1_3repE0EEENS1_30default_config_static_selectorELNS0_4arch9wavefront6targetE1EEEvSK_
                                        ; -- End function
	.set _ZN7rocprim17ROCPRIM_400000_NS6detail17trampoline_kernelINS0_14default_configENS1_22reduce_config_selectorIiEEZNS1_11reduce_implILb1ES3_N6thrust23THRUST_200600_302600_NS17counting_iteratorIiNS8_11hip_rocprim3tagENS8_11use_defaultESC_EEPiiNS8_4plusIiEEEE10hipError_tPvRmT1_T2_T3_mT4_P12ihipStream_tbEUlT_E0_NS1_11comp_targetILNS1_3genE2ELNS1_11target_archE906ELNS1_3gpuE6ELNS1_3repE0EEENS1_30default_config_static_selectorELNS0_4arch9wavefront6targetE1EEEvSK_.num_vgpr, 0
	.set _ZN7rocprim17ROCPRIM_400000_NS6detail17trampoline_kernelINS0_14default_configENS1_22reduce_config_selectorIiEEZNS1_11reduce_implILb1ES3_N6thrust23THRUST_200600_302600_NS17counting_iteratorIiNS8_11hip_rocprim3tagENS8_11use_defaultESC_EEPiiNS8_4plusIiEEEE10hipError_tPvRmT1_T2_T3_mT4_P12ihipStream_tbEUlT_E0_NS1_11comp_targetILNS1_3genE2ELNS1_11target_archE906ELNS1_3gpuE6ELNS1_3repE0EEENS1_30default_config_static_selectorELNS0_4arch9wavefront6targetE1EEEvSK_.num_agpr, 0
	.set _ZN7rocprim17ROCPRIM_400000_NS6detail17trampoline_kernelINS0_14default_configENS1_22reduce_config_selectorIiEEZNS1_11reduce_implILb1ES3_N6thrust23THRUST_200600_302600_NS17counting_iteratorIiNS8_11hip_rocprim3tagENS8_11use_defaultESC_EEPiiNS8_4plusIiEEEE10hipError_tPvRmT1_T2_T3_mT4_P12ihipStream_tbEUlT_E0_NS1_11comp_targetILNS1_3genE2ELNS1_11target_archE906ELNS1_3gpuE6ELNS1_3repE0EEENS1_30default_config_static_selectorELNS0_4arch9wavefront6targetE1EEEvSK_.numbered_sgpr, 0
	.set _ZN7rocprim17ROCPRIM_400000_NS6detail17trampoline_kernelINS0_14default_configENS1_22reduce_config_selectorIiEEZNS1_11reduce_implILb1ES3_N6thrust23THRUST_200600_302600_NS17counting_iteratorIiNS8_11hip_rocprim3tagENS8_11use_defaultESC_EEPiiNS8_4plusIiEEEE10hipError_tPvRmT1_T2_T3_mT4_P12ihipStream_tbEUlT_E0_NS1_11comp_targetILNS1_3genE2ELNS1_11target_archE906ELNS1_3gpuE6ELNS1_3repE0EEENS1_30default_config_static_selectorELNS0_4arch9wavefront6targetE1EEEvSK_.num_named_barrier, 0
	.set _ZN7rocprim17ROCPRIM_400000_NS6detail17trampoline_kernelINS0_14default_configENS1_22reduce_config_selectorIiEEZNS1_11reduce_implILb1ES3_N6thrust23THRUST_200600_302600_NS17counting_iteratorIiNS8_11hip_rocprim3tagENS8_11use_defaultESC_EEPiiNS8_4plusIiEEEE10hipError_tPvRmT1_T2_T3_mT4_P12ihipStream_tbEUlT_E0_NS1_11comp_targetILNS1_3genE2ELNS1_11target_archE906ELNS1_3gpuE6ELNS1_3repE0EEENS1_30default_config_static_selectorELNS0_4arch9wavefront6targetE1EEEvSK_.private_seg_size, 0
	.set _ZN7rocprim17ROCPRIM_400000_NS6detail17trampoline_kernelINS0_14default_configENS1_22reduce_config_selectorIiEEZNS1_11reduce_implILb1ES3_N6thrust23THRUST_200600_302600_NS17counting_iteratorIiNS8_11hip_rocprim3tagENS8_11use_defaultESC_EEPiiNS8_4plusIiEEEE10hipError_tPvRmT1_T2_T3_mT4_P12ihipStream_tbEUlT_E0_NS1_11comp_targetILNS1_3genE2ELNS1_11target_archE906ELNS1_3gpuE6ELNS1_3repE0EEENS1_30default_config_static_selectorELNS0_4arch9wavefront6targetE1EEEvSK_.uses_vcc, 0
	.set _ZN7rocprim17ROCPRIM_400000_NS6detail17trampoline_kernelINS0_14default_configENS1_22reduce_config_selectorIiEEZNS1_11reduce_implILb1ES3_N6thrust23THRUST_200600_302600_NS17counting_iteratorIiNS8_11hip_rocprim3tagENS8_11use_defaultESC_EEPiiNS8_4plusIiEEEE10hipError_tPvRmT1_T2_T3_mT4_P12ihipStream_tbEUlT_E0_NS1_11comp_targetILNS1_3genE2ELNS1_11target_archE906ELNS1_3gpuE6ELNS1_3repE0EEENS1_30default_config_static_selectorELNS0_4arch9wavefront6targetE1EEEvSK_.uses_flat_scratch, 0
	.set _ZN7rocprim17ROCPRIM_400000_NS6detail17trampoline_kernelINS0_14default_configENS1_22reduce_config_selectorIiEEZNS1_11reduce_implILb1ES3_N6thrust23THRUST_200600_302600_NS17counting_iteratorIiNS8_11hip_rocprim3tagENS8_11use_defaultESC_EEPiiNS8_4plusIiEEEE10hipError_tPvRmT1_T2_T3_mT4_P12ihipStream_tbEUlT_E0_NS1_11comp_targetILNS1_3genE2ELNS1_11target_archE906ELNS1_3gpuE6ELNS1_3repE0EEENS1_30default_config_static_selectorELNS0_4arch9wavefront6targetE1EEEvSK_.has_dyn_sized_stack, 0
	.set _ZN7rocprim17ROCPRIM_400000_NS6detail17trampoline_kernelINS0_14default_configENS1_22reduce_config_selectorIiEEZNS1_11reduce_implILb1ES3_N6thrust23THRUST_200600_302600_NS17counting_iteratorIiNS8_11hip_rocprim3tagENS8_11use_defaultESC_EEPiiNS8_4plusIiEEEE10hipError_tPvRmT1_T2_T3_mT4_P12ihipStream_tbEUlT_E0_NS1_11comp_targetILNS1_3genE2ELNS1_11target_archE906ELNS1_3gpuE6ELNS1_3repE0EEENS1_30default_config_static_selectorELNS0_4arch9wavefront6targetE1EEEvSK_.has_recursion, 0
	.set _ZN7rocprim17ROCPRIM_400000_NS6detail17trampoline_kernelINS0_14default_configENS1_22reduce_config_selectorIiEEZNS1_11reduce_implILb1ES3_N6thrust23THRUST_200600_302600_NS17counting_iteratorIiNS8_11hip_rocprim3tagENS8_11use_defaultESC_EEPiiNS8_4plusIiEEEE10hipError_tPvRmT1_T2_T3_mT4_P12ihipStream_tbEUlT_E0_NS1_11comp_targetILNS1_3genE2ELNS1_11target_archE906ELNS1_3gpuE6ELNS1_3repE0EEENS1_30default_config_static_selectorELNS0_4arch9wavefront6targetE1EEEvSK_.has_indirect_call, 0
	.section	.AMDGPU.csdata,"",@progbits
; Kernel info:
; codeLenInByte = 0
; TotalNumSgprs: 6
; NumVgprs: 0
; NumAgprs: 0
; TotalNumVgprs: 0
; ScratchSize: 0
; MemoryBound: 0
; FloatMode: 240
; IeeeMode: 1
; LDSByteSize: 0 bytes/workgroup (compile time only)
; SGPRBlocks: 0
; VGPRBlocks: 0
; NumSGPRsForWavesPerEU: 6
; NumVGPRsForWavesPerEU: 1
; AccumOffset: 4
; Occupancy: 8
; WaveLimiterHint : 0
; COMPUTE_PGM_RSRC2:SCRATCH_EN: 0
; COMPUTE_PGM_RSRC2:USER_SGPR: 2
; COMPUTE_PGM_RSRC2:TRAP_HANDLER: 0
; COMPUTE_PGM_RSRC2:TGID_X_EN: 1
; COMPUTE_PGM_RSRC2:TGID_Y_EN: 0
; COMPUTE_PGM_RSRC2:TGID_Z_EN: 0
; COMPUTE_PGM_RSRC2:TIDIG_COMP_CNT: 0
; COMPUTE_PGM_RSRC3_GFX90A:ACCUM_OFFSET: 0
; COMPUTE_PGM_RSRC3_GFX90A:TG_SPLIT: 0
	.section	.text._ZN7rocprim17ROCPRIM_400000_NS6detail17trampoline_kernelINS0_14default_configENS1_22reduce_config_selectorIiEEZNS1_11reduce_implILb1ES3_N6thrust23THRUST_200600_302600_NS17counting_iteratorIiNS8_11hip_rocprim3tagENS8_11use_defaultESC_EEPiiNS8_4plusIiEEEE10hipError_tPvRmT1_T2_T3_mT4_P12ihipStream_tbEUlT_E0_NS1_11comp_targetILNS1_3genE10ELNS1_11target_archE1201ELNS1_3gpuE5ELNS1_3repE0EEENS1_30default_config_static_selectorELNS0_4arch9wavefront6targetE1EEEvSK_,"axG",@progbits,_ZN7rocprim17ROCPRIM_400000_NS6detail17trampoline_kernelINS0_14default_configENS1_22reduce_config_selectorIiEEZNS1_11reduce_implILb1ES3_N6thrust23THRUST_200600_302600_NS17counting_iteratorIiNS8_11hip_rocprim3tagENS8_11use_defaultESC_EEPiiNS8_4plusIiEEEE10hipError_tPvRmT1_T2_T3_mT4_P12ihipStream_tbEUlT_E0_NS1_11comp_targetILNS1_3genE10ELNS1_11target_archE1201ELNS1_3gpuE5ELNS1_3repE0EEENS1_30default_config_static_selectorELNS0_4arch9wavefront6targetE1EEEvSK_,comdat
	.protected	_ZN7rocprim17ROCPRIM_400000_NS6detail17trampoline_kernelINS0_14default_configENS1_22reduce_config_selectorIiEEZNS1_11reduce_implILb1ES3_N6thrust23THRUST_200600_302600_NS17counting_iteratorIiNS8_11hip_rocprim3tagENS8_11use_defaultESC_EEPiiNS8_4plusIiEEEE10hipError_tPvRmT1_T2_T3_mT4_P12ihipStream_tbEUlT_E0_NS1_11comp_targetILNS1_3genE10ELNS1_11target_archE1201ELNS1_3gpuE5ELNS1_3repE0EEENS1_30default_config_static_selectorELNS0_4arch9wavefront6targetE1EEEvSK_ ; -- Begin function _ZN7rocprim17ROCPRIM_400000_NS6detail17trampoline_kernelINS0_14default_configENS1_22reduce_config_selectorIiEEZNS1_11reduce_implILb1ES3_N6thrust23THRUST_200600_302600_NS17counting_iteratorIiNS8_11hip_rocprim3tagENS8_11use_defaultESC_EEPiiNS8_4plusIiEEEE10hipError_tPvRmT1_T2_T3_mT4_P12ihipStream_tbEUlT_E0_NS1_11comp_targetILNS1_3genE10ELNS1_11target_archE1201ELNS1_3gpuE5ELNS1_3repE0EEENS1_30default_config_static_selectorELNS0_4arch9wavefront6targetE1EEEvSK_
	.globl	_ZN7rocprim17ROCPRIM_400000_NS6detail17trampoline_kernelINS0_14default_configENS1_22reduce_config_selectorIiEEZNS1_11reduce_implILb1ES3_N6thrust23THRUST_200600_302600_NS17counting_iteratorIiNS8_11hip_rocprim3tagENS8_11use_defaultESC_EEPiiNS8_4plusIiEEEE10hipError_tPvRmT1_T2_T3_mT4_P12ihipStream_tbEUlT_E0_NS1_11comp_targetILNS1_3genE10ELNS1_11target_archE1201ELNS1_3gpuE5ELNS1_3repE0EEENS1_30default_config_static_selectorELNS0_4arch9wavefront6targetE1EEEvSK_
	.p2align	8
	.type	_ZN7rocprim17ROCPRIM_400000_NS6detail17trampoline_kernelINS0_14default_configENS1_22reduce_config_selectorIiEEZNS1_11reduce_implILb1ES3_N6thrust23THRUST_200600_302600_NS17counting_iteratorIiNS8_11hip_rocprim3tagENS8_11use_defaultESC_EEPiiNS8_4plusIiEEEE10hipError_tPvRmT1_T2_T3_mT4_P12ihipStream_tbEUlT_E0_NS1_11comp_targetILNS1_3genE10ELNS1_11target_archE1201ELNS1_3gpuE5ELNS1_3repE0EEENS1_30default_config_static_selectorELNS0_4arch9wavefront6targetE1EEEvSK_,@function
_ZN7rocprim17ROCPRIM_400000_NS6detail17trampoline_kernelINS0_14default_configENS1_22reduce_config_selectorIiEEZNS1_11reduce_implILb1ES3_N6thrust23THRUST_200600_302600_NS17counting_iteratorIiNS8_11hip_rocprim3tagENS8_11use_defaultESC_EEPiiNS8_4plusIiEEEE10hipError_tPvRmT1_T2_T3_mT4_P12ihipStream_tbEUlT_E0_NS1_11comp_targetILNS1_3genE10ELNS1_11target_archE1201ELNS1_3gpuE5ELNS1_3repE0EEENS1_30default_config_static_selectorELNS0_4arch9wavefront6targetE1EEEvSK_: ; @_ZN7rocprim17ROCPRIM_400000_NS6detail17trampoline_kernelINS0_14default_configENS1_22reduce_config_selectorIiEEZNS1_11reduce_implILb1ES3_N6thrust23THRUST_200600_302600_NS17counting_iteratorIiNS8_11hip_rocprim3tagENS8_11use_defaultESC_EEPiiNS8_4plusIiEEEE10hipError_tPvRmT1_T2_T3_mT4_P12ihipStream_tbEUlT_E0_NS1_11comp_targetILNS1_3genE10ELNS1_11target_archE1201ELNS1_3gpuE5ELNS1_3repE0EEENS1_30default_config_static_selectorELNS0_4arch9wavefront6targetE1EEEvSK_
; %bb.0:
	.section	.rodata,"a",@progbits
	.p2align	6, 0x0
	.amdhsa_kernel _ZN7rocprim17ROCPRIM_400000_NS6detail17trampoline_kernelINS0_14default_configENS1_22reduce_config_selectorIiEEZNS1_11reduce_implILb1ES3_N6thrust23THRUST_200600_302600_NS17counting_iteratorIiNS8_11hip_rocprim3tagENS8_11use_defaultESC_EEPiiNS8_4plusIiEEEE10hipError_tPvRmT1_T2_T3_mT4_P12ihipStream_tbEUlT_E0_NS1_11comp_targetILNS1_3genE10ELNS1_11target_archE1201ELNS1_3gpuE5ELNS1_3repE0EEENS1_30default_config_static_selectorELNS0_4arch9wavefront6targetE1EEEvSK_
		.amdhsa_group_segment_fixed_size 0
		.amdhsa_private_segment_fixed_size 0
		.amdhsa_kernarg_size 56
		.amdhsa_user_sgpr_count 2
		.amdhsa_user_sgpr_dispatch_ptr 0
		.amdhsa_user_sgpr_queue_ptr 0
		.amdhsa_user_sgpr_kernarg_segment_ptr 1
		.amdhsa_user_sgpr_dispatch_id 0
		.amdhsa_user_sgpr_kernarg_preload_length 0
		.amdhsa_user_sgpr_kernarg_preload_offset 0
		.amdhsa_user_sgpr_private_segment_size 0
		.amdhsa_uses_dynamic_stack 0
		.amdhsa_enable_private_segment 0
		.amdhsa_system_sgpr_workgroup_id_x 1
		.amdhsa_system_sgpr_workgroup_id_y 0
		.amdhsa_system_sgpr_workgroup_id_z 0
		.amdhsa_system_sgpr_workgroup_info 0
		.amdhsa_system_vgpr_workitem_id 0
		.amdhsa_next_free_vgpr 1
		.amdhsa_next_free_sgpr 0
		.amdhsa_accum_offset 4
		.amdhsa_reserve_vcc 0
		.amdhsa_float_round_mode_32 0
		.amdhsa_float_round_mode_16_64 0
		.amdhsa_float_denorm_mode_32 3
		.amdhsa_float_denorm_mode_16_64 3
		.amdhsa_dx10_clamp 1
		.amdhsa_ieee_mode 1
		.amdhsa_fp16_overflow 0
		.amdhsa_tg_split 0
		.amdhsa_exception_fp_ieee_invalid_op 0
		.amdhsa_exception_fp_denorm_src 0
		.amdhsa_exception_fp_ieee_div_zero 0
		.amdhsa_exception_fp_ieee_overflow 0
		.amdhsa_exception_fp_ieee_underflow 0
		.amdhsa_exception_fp_ieee_inexact 0
		.amdhsa_exception_int_div_zero 0
	.end_amdhsa_kernel
	.section	.text._ZN7rocprim17ROCPRIM_400000_NS6detail17trampoline_kernelINS0_14default_configENS1_22reduce_config_selectorIiEEZNS1_11reduce_implILb1ES3_N6thrust23THRUST_200600_302600_NS17counting_iteratorIiNS8_11hip_rocprim3tagENS8_11use_defaultESC_EEPiiNS8_4plusIiEEEE10hipError_tPvRmT1_T2_T3_mT4_P12ihipStream_tbEUlT_E0_NS1_11comp_targetILNS1_3genE10ELNS1_11target_archE1201ELNS1_3gpuE5ELNS1_3repE0EEENS1_30default_config_static_selectorELNS0_4arch9wavefront6targetE1EEEvSK_,"axG",@progbits,_ZN7rocprim17ROCPRIM_400000_NS6detail17trampoline_kernelINS0_14default_configENS1_22reduce_config_selectorIiEEZNS1_11reduce_implILb1ES3_N6thrust23THRUST_200600_302600_NS17counting_iteratorIiNS8_11hip_rocprim3tagENS8_11use_defaultESC_EEPiiNS8_4plusIiEEEE10hipError_tPvRmT1_T2_T3_mT4_P12ihipStream_tbEUlT_E0_NS1_11comp_targetILNS1_3genE10ELNS1_11target_archE1201ELNS1_3gpuE5ELNS1_3repE0EEENS1_30default_config_static_selectorELNS0_4arch9wavefront6targetE1EEEvSK_,comdat
.Lfunc_end1096:
	.size	_ZN7rocprim17ROCPRIM_400000_NS6detail17trampoline_kernelINS0_14default_configENS1_22reduce_config_selectorIiEEZNS1_11reduce_implILb1ES3_N6thrust23THRUST_200600_302600_NS17counting_iteratorIiNS8_11hip_rocprim3tagENS8_11use_defaultESC_EEPiiNS8_4plusIiEEEE10hipError_tPvRmT1_T2_T3_mT4_P12ihipStream_tbEUlT_E0_NS1_11comp_targetILNS1_3genE10ELNS1_11target_archE1201ELNS1_3gpuE5ELNS1_3repE0EEENS1_30default_config_static_selectorELNS0_4arch9wavefront6targetE1EEEvSK_, .Lfunc_end1096-_ZN7rocprim17ROCPRIM_400000_NS6detail17trampoline_kernelINS0_14default_configENS1_22reduce_config_selectorIiEEZNS1_11reduce_implILb1ES3_N6thrust23THRUST_200600_302600_NS17counting_iteratorIiNS8_11hip_rocprim3tagENS8_11use_defaultESC_EEPiiNS8_4plusIiEEEE10hipError_tPvRmT1_T2_T3_mT4_P12ihipStream_tbEUlT_E0_NS1_11comp_targetILNS1_3genE10ELNS1_11target_archE1201ELNS1_3gpuE5ELNS1_3repE0EEENS1_30default_config_static_selectorELNS0_4arch9wavefront6targetE1EEEvSK_
                                        ; -- End function
	.set _ZN7rocprim17ROCPRIM_400000_NS6detail17trampoline_kernelINS0_14default_configENS1_22reduce_config_selectorIiEEZNS1_11reduce_implILb1ES3_N6thrust23THRUST_200600_302600_NS17counting_iteratorIiNS8_11hip_rocprim3tagENS8_11use_defaultESC_EEPiiNS8_4plusIiEEEE10hipError_tPvRmT1_T2_T3_mT4_P12ihipStream_tbEUlT_E0_NS1_11comp_targetILNS1_3genE10ELNS1_11target_archE1201ELNS1_3gpuE5ELNS1_3repE0EEENS1_30default_config_static_selectorELNS0_4arch9wavefront6targetE1EEEvSK_.num_vgpr, 0
	.set _ZN7rocprim17ROCPRIM_400000_NS6detail17trampoline_kernelINS0_14default_configENS1_22reduce_config_selectorIiEEZNS1_11reduce_implILb1ES3_N6thrust23THRUST_200600_302600_NS17counting_iteratorIiNS8_11hip_rocprim3tagENS8_11use_defaultESC_EEPiiNS8_4plusIiEEEE10hipError_tPvRmT1_T2_T3_mT4_P12ihipStream_tbEUlT_E0_NS1_11comp_targetILNS1_3genE10ELNS1_11target_archE1201ELNS1_3gpuE5ELNS1_3repE0EEENS1_30default_config_static_selectorELNS0_4arch9wavefront6targetE1EEEvSK_.num_agpr, 0
	.set _ZN7rocprim17ROCPRIM_400000_NS6detail17trampoline_kernelINS0_14default_configENS1_22reduce_config_selectorIiEEZNS1_11reduce_implILb1ES3_N6thrust23THRUST_200600_302600_NS17counting_iteratorIiNS8_11hip_rocprim3tagENS8_11use_defaultESC_EEPiiNS8_4plusIiEEEE10hipError_tPvRmT1_T2_T3_mT4_P12ihipStream_tbEUlT_E0_NS1_11comp_targetILNS1_3genE10ELNS1_11target_archE1201ELNS1_3gpuE5ELNS1_3repE0EEENS1_30default_config_static_selectorELNS0_4arch9wavefront6targetE1EEEvSK_.numbered_sgpr, 0
	.set _ZN7rocprim17ROCPRIM_400000_NS6detail17trampoline_kernelINS0_14default_configENS1_22reduce_config_selectorIiEEZNS1_11reduce_implILb1ES3_N6thrust23THRUST_200600_302600_NS17counting_iteratorIiNS8_11hip_rocprim3tagENS8_11use_defaultESC_EEPiiNS8_4plusIiEEEE10hipError_tPvRmT1_T2_T3_mT4_P12ihipStream_tbEUlT_E0_NS1_11comp_targetILNS1_3genE10ELNS1_11target_archE1201ELNS1_3gpuE5ELNS1_3repE0EEENS1_30default_config_static_selectorELNS0_4arch9wavefront6targetE1EEEvSK_.num_named_barrier, 0
	.set _ZN7rocprim17ROCPRIM_400000_NS6detail17trampoline_kernelINS0_14default_configENS1_22reduce_config_selectorIiEEZNS1_11reduce_implILb1ES3_N6thrust23THRUST_200600_302600_NS17counting_iteratorIiNS8_11hip_rocprim3tagENS8_11use_defaultESC_EEPiiNS8_4plusIiEEEE10hipError_tPvRmT1_T2_T3_mT4_P12ihipStream_tbEUlT_E0_NS1_11comp_targetILNS1_3genE10ELNS1_11target_archE1201ELNS1_3gpuE5ELNS1_3repE0EEENS1_30default_config_static_selectorELNS0_4arch9wavefront6targetE1EEEvSK_.private_seg_size, 0
	.set _ZN7rocprim17ROCPRIM_400000_NS6detail17trampoline_kernelINS0_14default_configENS1_22reduce_config_selectorIiEEZNS1_11reduce_implILb1ES3_N6thrust23THRUST_200600_302600_NS17counting_iteratorIiNS8_11hip_rocprim3tagENS8_11use_defaultESC_EEPiiNS8_4plusIiEEEE10hipError_tPvRmT1_T2_T3_mT4_P12ihipStream_tbEUlT_E0_NS1_11comp_targetILNS1_3genE10ELNS1_11target_archE1201ELNS1_3gpuE5ELNS1_3repE0EEENS1_30default_config_static_selectorELNS0_4arch9wavefront6targetE1EEEvSK_.uses_vcc, 0
	.set _ZN7rocprim17ROCPRIM_400000_NS6detail17trampoline_kernelINS0_14default_configENS1_22reduce_config_selectorIiEEZNS1_11reduce_implILb1ES3_N6thrust23THRUST_200600_302600_NS17counting_iteratorIiNS8_11hip_rocprim3tagENS8_11use_defaultESC_EEPiiNS8_4plusIiEEEE10hipError_tPvRmT1_T2_T3_mT4_P12ihipStream_tbEUlT_E0_NS1_11comp_targetILNS1_3genE10ELNS1_11target_archE1201ELNS1_3gpuE5ELNS1_3repE0EEENS1_30default_config_static_selectorELNS0_4arch9wavefront6targetE1EEEvSK_.uses_flat_scratch, 0
	.set _ZN7rocprim17ROCPRIM_400000_NS6detail17trampoline_kernelINS0_14default_configENS1_22reduce_config_selectorIiEEZNS1_11reduce_implILb1ES3_N6thrust23THRUST_200600_302600_NS17counting_iteratorIiNS8_11hip_rocprim3tagENS8_11use_defaultESC_EEPiiNS8_4plusIiEEEE10hipError_tPvRmT1_T2_T3_mT4_P12ihipStream_tbEUlT_E0_NS1_11comp_targetILNS1_3genE10ELNS1_11target_archE1201ELNS1_3gpuE5ELNS1_3repE0EEENS1_30default_config_static_selectorELNS0_4arch9wavefront6targetE1EEEvSK_.has_dyn_sized_stack, 0
	.set _ZN7rocprim17ROCPRIM_400000_NS6detail17trampoline_kernelINS0_14default_configENS1_22reduce_config_selectorIiEEZNS1_11reduce_implILb1ES3_N6thrust23THRUST_200600_302600_NS17counting_iteratorIiNS8_11hip_rocprim3tagENS8_11use_defaultESC_EEPiiNS8_4plusIiEEEE10hipError_tPvRmT1_T2_T3_mT4_P12ihipStream_tbEUlT_E0_NS1_11comp_targetILNS1_3genE10ELNS1_11target_archE1201ELNS1_3gpuE5ELNS1_3repE0EEENS1_30default_config_static_selectorELNS0_4arch9wavefront6targetE1EEEvSK_.has_recursion, 0
	.set _ZN7rocprim17ROCPRIM_400000_NS6detail17trampoline_kernelINS0_14default_configENS1_22reduce_config_selectorIiEEZNS1_11reduce_implILb1ES3_N6thrust23THRUST_200600_302600_NS17counting_iteratorIiNS8_11hip_rocprim3tagENS8_11use_defaultESC_EEPiiNS8_4plusIiEEEE10hipError_tPvRmT1_T2_T3_mT4_P12ihipStream_tbEUlT_E0_NS1_11comp_targetILNS1_3genE10ELNS1_11target_archE1201ELNS1_3gpuE5ELNS1_3repE0EEENS1_30default_config_static_selectorELNS0_4arch9wavefront6targetE1EEEvSK_.has_indirect_call, 0
	.section	.AMDGPU.csdata,"",@progbits
; Kernel info:
; codeLenInByte = 0
; TotalNumSgprs: 6
; NumVgprs: 0
; NumAgprs: 0
; TotalNumVgprs: 0
; ScratchSize: 0
; MemoryBound: 0
; FloatMode: 240
; IeeeMode: 1
; LDSByteSize: 0 bytes/workgroup (compile time only)
; SGPRBlocks: 0
; VGPRBlocks: 0
; NumSGPRsForWavesPerEU: 6
; NumVGPRsForWavesPerEU: 1
; AccumOffset: 4
; Occupancy: 8
; WaveLimiterHint : 0
; COMPUTE_PGM_RSRC2:SCRATCH_EN: 0
; COMPUTE_PGM_RSRC2:USER_SGPR: 2
; COMPUTE_PGM_RSRC2:TRAP_HANDLER: 0
; COMPUTE_PGM_RSRC2:TGID_X_EN: 1
; COMPUTE_PGM_RSRC2:TGID_Y_EN: 0
; COMPUTE_PGM_RSRC2:TGID_Z_EN: 0
; COMPUTE_PGM_RSRC2:TIDIG_COMP_CNT: 0
; COMPUTE_PGM_RSRC3_GFX90A:ACCUM_OFFSET: 0
; COMPUTE_PGM_RSRC3_GFX90A:TG_SPLIT: 0
	.section	.text._ZN7rocprim17ROCPRIM_400000_NS6detail17trampoline_kernelINS0_14default_configENS1_22reduce_config_selectorIiEEZNS1_11reduce_implILb1ES3_N6thrust23THRUST_200600_302600_NS17counting_iteratorIiNS8_11hip_rocprim3tagENS8_11use_defaultESC_EEPiiNS8_4plusIiEEEE10hipError_tPvRmT1_T2_T3_mT4_P12ihipStream_tbEUlT_E0_NS1_11comp_targetILNS1_3genE10ELNS1_11target_archE1200ELNS1_3gpuE4ELNS1_3repE0EEENS1_30default_config_static_selectorELNS0_4arch9wavefront6targetE1EEEvSK_,"axG",@progbits,_ZN7rocprim17ROCPRIM_400000_NS6detail17trampoline_kernelINS0_14default_configENS1_22reduce_config_selectorIiEEZNS1_11reduce_implILb1ES3_N6thrust23THRUST_200600_302600_NS17counting_iteratorIiNS8_11hip_rocprim3tagENS8_11use_defaultESC_EEPiiNS8_4plusIiEEEE10hipError_tPvRmT1_T2_T3_mT4_P12ihipStream_tbEUlT_E0_NS1_11comp_targetILNS1_3genE10ELNS1_11target_archE1200ELNS1_3gpuE4ELNS1_3repE0EEENS1_30default_config_static_selectorELNS0_4arch9wavefront6targetE1EEEvSK_,comdat
	.protected	_ZN7rocprim17ROCPRIM_400000_NS6detail17trampoline_kernelINS0_14default_configENS1_22reduce_config_selectorIiEEZNS1_11reduce_implILb1ES3_N6thrust23THRUST_200600_302600_NS17counting_iteratorIiNS8_11hip_rocprim3tagENS8_11use_defaultESC_EEPiiNS8_4plusIiEEEE10hipError_tPvRmT1_T2_T3_mT4_P12ihipStream_tbEUlT_E0_NS1_11comp_targetILNS1_3genE10ELNS1_11target_archE1200ELNS1_3gpuE4ELNS1_3repE0EEENS1_30default_config_static_selectorELNS0_4arch9wavefront6targetE1EEEvSK_ ; -- Begin function _ZN7rocprim17ROCPRIM_400000_NS6detail17trampoline_kernelINS0_14default_configENS1_22reduce_config_selectorIiEEZNS1_11reduce_implILb1ES3_N6thrust23THRUST_200600_302600_NS17counting_iteratorIiNS8_11hip_rocprim3tagENS8_11use_defaultESC_EEPiiNS8_4plusIiEEEE10hipError_tPvRmT1_T2_T3_mT4_P12ihipStream_tbEUlT_E0_NS1_11comp_targetILNS1_3genE10ELNS1_11target_archE1200ELNS1_3gpuE4ELNS1_3repE0EEENS1_30default_config_static_selectorELNS0_4arch9wavefront6targetE1EEEvSK_
	.globl	_ZN7rocprim17ROCPRIM_400000_NS6detail17trampoline_kernelINS0_14default_configENS1_22reduce_config_selectorIiEEZNS1_11reduce_implILb1ES3_N6thrust23THRUST_200600_302600_NS17counting_iteratorIiNS8_11hip_rocprim3tagENS8_11use_defaultESC_EEPiiNS8_4plusIiEEEE10hipError_tPvRmT1_T2_T3_mT4_P12ihipStream_tbEUlT_E0_NS1_11comp_targetILNS1_3genE10ELNS1_11target_archE1200ELNS1_3gpuE4ELNS1_3repE0EEENS1_30default_config_static_selectorELNS0_4arch9wavefront6targetE1EEEvSK_
	.p2align	8
	.type	_ZN7rocprim17ROCPRIM_400000_NS6detail17trampoline_kernelINS0_14default_configENS1_22reduce_config_selectorIiEEZNS1_11reduce_implILb1ES3_N6thrust23THRUST_200600_302600_NS17counting_iteratorIiNS8_11hip_rocprim3tagENS8_11use_defaultESC_EEPiiNS8_4plusIiEEEE10hipError_tPvRmT1_T2_T3_mT4_P12ihipStream_tbEUlT_E0_NS1_11comp_targetILNS1_3genE10ELNS1_11target_archE1200ELNS1_3gpuE4ELNS1_3repE0EEENS1_30default_config_static_selectorELNS0_4arch9wavefront6targetE1EEEvSK_,@function
_ZN7rocprim17ROCPRIM_400000_NS6detail17trampoline_kernelINS0_14default_configENS1_22reduce_config_selectorIiEEZNS1_11reduce_implILb1ES3_N6thrust23THRUST_200600_302600_NS17counting_iteratorIiNS8_11hip_rocprim3tagENS8_11use_defaultESC_EEPiiNS8_4plusIiEEEE10hipError_tPvRmT1_T2_T3_mT4_P12ihipStream_tbEUlT_E0_NS1_11comp_targetILNS1_3genE10ELNS1_11target_archE1200ELNS1_3gpuE4ELNS1_3repE0EEENS1_30default_config_static_selectorELNS0_4arch9wavefront6targetE1EEEvSK_: ; @_ZN7rocprim17ROCPRIM_400000_NS6detail17trampoline_kernelINS0_14default_configENS1_22reduce_config_selectorIiEEZNS1_11reduce_implILb1ES3_N6thrust23THRUST_200600_302600_NS17counting_iteratorIiNS8_11hip_rocprim3tagENS8_11use_defaultESC_EEPiiNS8_4plusIiEEEE10hipError_tPvRmT1_T2_T3_mT4_P12ihipStream_tbEUlT_E0_NS1_11comp_targetILNS1_3genE10ELNS1_11target_archE1200ELNS1_3gpuE4ELNS1_3repE0EEENS1_30default_config_static_selectorELNS0_4arch9wavefront6targetE1EEEvSK_
; %bb.0:
	.section	.rodata,"a",@progbits
	.p2align	6, 0x0
	.amdhsa_kernel _ZN7rocprim17ROCPRIM_400000_NS6detail17trampoline_kernelINS0_14default_configENS1_22reduce_config_selectorIiEEZNS1_11reduce_implILb1ES3_N6thrust23THRUST_200600_302600_NS17counting_iteratorIiNS8_11hip_rocprim3tagENS8_11use_defaultESC_EEPiiNS8_4plusIiEEEE10hipError_tPvRmT1_T2_T3_mT4_P12ihipStream_tbEUlT_E0_NS1_11comp_targetILNS1_3genE10ELNS1_11target_archE1200ELNS1_3gpuE4ELNS1_3repE0EEENS1_30default_config_static_selectorELNS0_4arch9wavefront6targetE1EEEvSK_
		.amdhsa_group_segment_fixed_size 0
		.amdhsa_private_segment_fixed_size 0
		.amdhsa_kernarg_size 56
		.amdhsa_user_sgpr_count 2
		.amdhsa_user_sgpr_dispatch_ptr 0
		.amdhsa_user_sgpr_queue_ptr 0
		.amdhsa_user_sgpr_kernarg_segment_ptr 1
		.amdhsa_user_sgpr_dispatch_id 0
		.amdhsa_user_sgpr_kernarg_preload_length 0
		.amdhsa_user_sgpr_kernarg_preload_offset 0
		.amdhsa_user_sgpr_private_segment_size 0
		.amdhsa_uses_dynamic_stack 0
		.amdhsa_enable_private_segment 0
		.amdhsa_system_sgpr_workgroup_id_x 1
		.amdhsa_system_sgpr_workgroup_id_y 0
		.amdhsa_system_sgpr_workgroup_id_z 0
		.amdhsa_system_sgpr_workgroup_info 0
		.amdhsa_system_vgpr_workitem_id 0
		.amdhsa_next_free_vgpr 1
		.amdhsa_next_free_sgpr 0
		.amdhsa_accum_offset 4
		.amdhsa_reserve_vcc 0
		.amdhsa_float_round_mode_32 0
		.amdhsa_float_round_mode_16_64 0
		.amdhsa_float_denorm_mode_32 3
		.amdhsa_float_denorm_mode_16_64 3
		.amdhsa_dx10_clamp 1
		.amdhsa_ieee_mode 1
		.amdhsa_fp16_overflow 0
		.amdhsa_tg_split 0
		.amdhsa_exception_fp_ieee_invalid_op 0
		.amdhsa_exception_fp_denorm_src 0
		.amdhsa_exception_fp_ieee_div_zero 0
		.amdhsa_exception_fp_ieee_overflow 0
		.amdhsa_exception_fp_ieee_underflow 0
		.amdhsa_exception_fp_ieee_inexact 0
		.amdhsa_exception_int_div_zero 0
	.end_amdhsa_kernel
	.section	.text._ZN7rocprim17ROCPRIM_400000_NS6detail17trampoline_kernelINS0_14default_configENS1_22reduce_config_selectorIiEEZNS1_11reduce_implILb1ES3_N6thrust23THRUST_200600_302600_NS17counting_iteratorIiNS8_11hip_rocprim3tagENS8_11use_defaultESC_EEPiiNS8_4plusIiEEEE10hipError_tPvRmT1_T2_T3_mT4_P12ihipStream_tbEUlT_E0_NS1_11comp_targetILNS1_3genE10ELNS1_11target_archE1200ELNS1_3gpuE4ELNS1_3repE0EEENS1_30default_config_static_selectorELNS0_4arch9wavefront6targetE1EEEvSK_,"axG",@progbits,_ZN7rocprim17ROCPRIM_400000_NS6detail17trampoline_kernelINS0_14default_configENS1_22reduce_config_selectorIiEEZNS1_11reduce_implILb1ES3_N6thrust23THRUST_200600_302600_NS17counting_iteratorIiNS8_11hip_rocprim3tagENS8_11use_defaultESC_EEPiiNS8_4plusIiEEEE10hipError_tPvRmT1_T2_T3_mT4_P12ihipStream_tbEUlT_E0_NS1_11comp_targetILNS1_3genE10ELNS1_11target_archE1200ELNS1_3gpuE4ELNS1_3repE0EEENS1_30default_config_static_selectorELNS0_4arch9wavefront6targetE1EEEvSK_,comdat
.Lfunc_end1097:
	.size	_ZN7rocprim17ROCPRIM_400000_NS6detail17trampoline_kernelINS0_14default_configENS1_22reduce_config_selectorIiEEZNS1_11reduce_implILb1ES3_N6thrust23THRUST_200600_302600_NS17counting_iteratorIiNS8_11hip_rocprim3tagENS8_11use_defaultESC_EEPiiNS8_4plusIiEEEE10hipError_tPvRmT1_T2_T3_mT4_P12ihipStream_tbEUlT_E0_NS1_11comp_targetILNS1_3genE10ELNS1_11target_archE1200ELNS1_3gpuE4ELNS1_3repE0EEENS1_30default_config_static_selectorELNS0_4arch9wavefront6targetE1EEEvSK_, .Lfunc_end1097-_ZN7rocprim17ROCPRIM_400000_NS6detail17trampoline_kernelINS0_14default_configENS1_22reduce_config_selectorIiEEZNS1_11reduce_implILb1ES3_N6thrust23THRUST_200600_302600_NS17counting_iteratorIiNS8_11hip_rocprim3tagENS8_11use_defaultESC_EEPiiNS8_4plusIiEEEE10hipError_tPvRmT1_T2_T3_mT4_P12ihipStream_tbEUlT_E0_NS1_11comp_targetILNS1_3genE10ELNS1_11target_archE1200ELNS1_3gpuE4ELNS1_3repE0EEENS1_30default_config_static_selectorELNS0_4arch9wavefront6targetE1EEEvSK_
                                        ; -- End function
	.set _ZN7rocprim17ROCPRIM_400000_NS6detail17trampoline_kernelINS0_14default_configENS1_22reduce_config_selectorIiEEZNS1_11reduce_implILb1ES3_N6thrust23THRUST_200600_302600_NS17counting_iteratorIiNS8_11hip_rocprim3tagENS8_11use_defaultESC_EEPiiNS8_4plusIiEEEE10hipError_tPvRmT1_T2_T3_mT4_P12ihipStream_tbEUlT_E0_NS1_11comp_targetILNS1_3genE10ELNS1_11target_archE1200ELNS1_3gpuE4ELNS1_3repE0EEENS1_30default_config_static_selectorELNS0_4arch9wavefront6targetE1EEEvSK_.num_vgpr, 0
	.set _ZN7rocprim17ROCPRIM_400000_NS6detail17trampoline_kernelINS0_14default_configENS1_22reduce_config_selectorIiEEZNS1_11reduce_implILb1ES3_N6thrust23THRUST_200600_302600_NS17counting_iteratorIiNS8_11hip_rocprim3tagENS8_11use_defaultESC_EEPiiNS8_4plusIiEEEE10hipError_tPvRmT1_T2_T3_mT4_P12ihipStream_tbEUlT_E0_NS1_11comp_targetILNS1_3genE10ELNS1_11target_archE1200ELNS1_3gpuE4ELNS1_3repE0EEENS1_30default_config_static_selectorELNS0_4arch9wavefront6targetE1EEEvSK_.num_agpr, 0
	.set _ZN7rocprim17ROCPRIM_400000_NS6detail17trampoline_kernelINS0_14default_configENS1_22reduce_config_selectorIiEEZNS1_11reduce_implILb1ES3_N6thrust23THRUST_200600_302600_NS17counting_iteratorIiNS8_11hip_rocprim3tagENS8_11use_defaultESC_EEPiiNS8_4plusIiEEEE10hipError_tPvRmT1_T2_T3_mT4_P12ihipStream_tbEUlT_E0_NS1_11comp_targetILNS1_3genE10ELNS1_11target_archE1200ELNS1_3gpuE4ELNS1_3repE0EEENS1_30default_config_static_selectorELNS0_4arch9wavefront6targetE1EEEvSK_.numbered_sgpr, 0
	.set _ZN7rocprim17ROCPRIM_400000_NS6detail17trampoline_kernelINS0_14default_configENS1_22reduce_config_selectorIiEEZNS1_11reduce_implILb1ES3_N6thrust23THRUST_200600_302600_NS17counting_iteratorIiNS8_11hip_rocprim3tagENS8_11use_defaultESC_EEPiiNS8_4plusIiEEEE10hipError_tPvRmT1_T2_T3_mT4_P12ihipStream_tbEUlT_E0_NS1_11comp_targetILNS1_3genE10ELNS1_11target_archE1200ELNS1_3gpuE4ELNS1_3repE0EEENS1_30default_config_static_selectorELNS0_4arch9wavefront6targetE1EEEvSK_.num_named_barrier, 0
	.set _ZN7rocprim17ROCPRIM_400000_NS6detail17trampoline_kernelINS0_14default_configENS1_22reduce_config_selectorIiEEZNS1_11reduce_implILb1ES3_N6thrust23THRUST_200600_302600_NS17counting_iteratorIiNS8_11hip_rocprim3tagENS8_11use_defaultESC_EEPiiNS8_4plusIiEEEE10hipError_tPvRmT1_T2_T3_mT4_P12ihipStream_tbEUlT_E0_NS1_11comp_targetILNS1_3genE10ELNS1_11target_archE1200ELNS1_3gpuE4ELNS1_3repE0EEENS1_30default_config_static_selectorELNS0_4arch9wavefront6targetE1EEEvSK_.private_seg_size, 0
	.set _ZN7rocprim17ROCPRIM_400000_NS6detail17trampoline_kernelINS0_14default_configENS1_22reduce_config_selectorIiEEZNS1_11reduce_implILb1ES3_N6thrust23THRUST_200600_302600_NS17counting_iteratorIiNS8_11hip_rocprim3tagENS8_11use_defaultESC_EEPiiNS8_4plusIiEEEE10hipError_tPvRmT1_T2_T3_mT4_P12ihipStream_tbEUlT_E0_NS1_11comp_targetILNS1_3genE10ELNS1_11target_archE1200ELNS1_3gpuE4ELNS1_3repE0EEENS1_30default_config_static_selectorELNS0_4arch9wavefront6targetE1EEEvSK_.uses_vcc, 0
	.set _ZN7rocprim17ROCPRIM_400000_NS6detail17trampoline_kernelINS0_14default_configENS1_22reduce_config_selectorIiEEZNS1_11reduce_implILb1ES3_N6thrust23THRUST_200600_302600_NS17counting_iteratorIiNS8_11hip_rocprim3tagENS8_11use_defaultESC_EEPiiNS8_4plusIiEEEE10hipError_tPvRmT1_T2_T3_mT4_P12ihipStream_tbEUlT_E0_NS1_11comp_targetILNS1_3genE10ELNS1_11target_archE1200ELNS1_3gpuE4ELNS1_3repE0EEENS1_30default_config_static_selectorELNS0_4arch9wavefront6targetE1EEEvSK_.uses_flat_scratch, 0
	.set _ZN7rocprim17ROCPRIM_400000_NS6detail17trampoline_kernelINS0_14default_configENS1_22reduce_config_selectorIiEEZNS1_11reduce_implILb1ES3_N6thrust23THRUST_200600_302600_NS17counting_iteratorIiNS8_11hip_rocprim3tagENS8_11use_defaultESC_EEPiiNS8_4plusIiEEEE10hipError_tPvRmT1_T2_T3_mT4_P12ihipStream_tbEUlT_E0_NS1_11comp_targetILNS1_3genE10ELNS1_11target_archE1200ELNS1_3gpuE4ELNS1_3repE0EEENS1_30default_config_static_selectorELNS0_4arch9wavefront6targetE1EEEvSK_.has_dyn_sized_stack, 0
	.set _ZN7rocprim17ROCPRIM_400000_NS6detail17trampoline_kernelINS0_14default_configENS1_22reduce_config_selectorIiEEZNS1_11reduce_implILb1ES3_N6thrust23THRUST_200600_302600_NS17counting_iteratorIiNS8_11hip_rocprim3tagENS8_11use_defaultESC_EEPiiNS8_4plusIiEEEE10hipError_tPvRmT1_T2_T3_mT4_P12ihipStream_tbEUlT_E0_NS1_11comp_targetILNS1_3genE10ELNS1_11target_archE1200ELNS1_3gpuE4ELNS1_3repE0EEENS1_30default_config_static_selectorELNS0_4arch9wavefront6targetE1EEEvSK_.has_recursion, 0
	.set _ZN7rocprim17ROCPRIM_400000_NS6detail17trampoline_kernelINS0_14default_configENS1_22reduce_config_selectorIiEEZNS1_11reduce_implILb1ES3_N6thrust23THRUST_200600_302600_NS17counting_iteratorIiNS8_11hip_rocprim3tagENS8_11use_defaultESC_EEPiiNS8_4plusIiEEEE10hipError_tPvRmT1_T2_T3_mT4_P12ihipStream_tbEUlT_E0_NS1_11comp_targetILNS1_3genE10ELNS1_11target_archE1200ELNS1_3gpuE4ELNS1_3repE0EEENS1_30default_config_static_selectorELNS0_4arch9wavefront6targetE1EEEvSK_.has_indirect_call, 0
	.section	.AMDGPU.csdata,"",@progbits
; Kernel info:
; codeLenInByte = 0
; TotalNumSgprs: 6
; NumVgprs: 0
; NumAgprs: 0
; TotalNumVgprs: 0
; ScratchSize: 0
; MemoryBound: 0
; FloatMode: 240
; IeeeMode: 1
; LDSByteSize: 0 bytes/workgroup (compile time only)
; SGPRBlocks: 0
; VGPRBlocks: 0
; NumSGPRsForWavesPerEU: 6
; NumVGPRsForWavesPerEU: 1
; AccumOffset: 4
; Occupancy: 8
; WaveLimiterHint : 0
; COMPUTE_PGM_RSRC2:SCRATCH_EN: 0
; COMPUTE_PGM_RSRC2:USER_SGPR: 2
; COMPUTE_PGM_RSRC2:TRAP_HANDLER: 0
; COMPUTE_PGM_RSRC2:TGID_X_EN: 1
; COMPUTE_PGM_RSRC2:TGID_Y_EN: 0
; COMPUTE_PGM_RSRC2:TGID_Z_EN: 0
; COMPUTE_PGM_RSRC2:TIDIG_COMP_CNT: 0
; COMPUTE_PGM_RSRC3_GFX90A:ACCUM_OFFSET: 0
; COMPUTE_PGM_RSRC3_GFX90A:TG_SPLIT: 0
	.section	.text._ZN7rocprim17ROCPRIM_400000_NS6detail17trampoline_kernelINS0_14default_configENS1_22reduce_config_selectorIiEEZNS1_11reduce_implILb1ES3_N6thrust23THRUST_200600_302600_NS17counting_iteratorIiNS8_11hip_rocprim3tagENS8_11use_defaultESC_EEPiiNS8_4plusIiEEEE10hipError_tPvRmT1_T2_T3_mT4_P12ihipStream_tbEUlT_E0_NS1_11comp_targetILNS1_3genE9ELNS1_11target_archE1100ELNS1_3gpuE3ELNS1_3repE0EEENS1_30default_config_static_selectorELNS0_4arch9wavefront6targetE1EEEvSK_,"axG",@progbits,_ZN7rocprim17ROCPRIM_400000_NS6detail17trampoline_kernelINS0_14default_configENS1_22reduce_config_selectorIiEEZNS1_11reduce_implILb1ES3_N6thrust23THRUST_200600_302600_NS17counting_iteratorIiNS8_11hip_rocprim3tagENS8_11use_defaultESC_EEPiiNS8_4plusIiEEEE10hipError_tPvRmT1_T2_T3_mT4_P12ihipStream_tbEUlT_E0_NS1_11comp_targetILNS1_3genE9ELNS1_11target_archE1100ELNS1_3gpuE3ELNS1_3repE0EEENS1_30default_config_static_selectorELNS0_4arch9wavefront6targetE1EEEvSK_,comdat
	.protected	_ZN7rocprim17ROCPRIM_400000_NS6detail17trampoline_kernelINS0_14default_configENS1_22reduce_config_selectorIiEEZNS1_11reduce_implILb1ES3_N6thrust23THRUST_200600_302600_NS17counting_iteratorIiNS8_11hip_rocprim3tagENS8_11use_defaultESC_EEPiiNS8_4plusIiEEEE10hipError_tPvRmT1_T2_T3_mT4_P12ihipStream_tbEUlT_E0_NS1_11comp_targetILNS1_3genE9ELNS1_11target_archE1100ELNS1_3gpuE3ELNS1_3repE0EEENS1_30default_config_static_selectorELNS0_4arch9wavefront6targetE1EEEvSK_ ; -- Begin function _ZN7rocprim17ROCPRIM_400000_NS6detail17trampoline_kernelINS0_14default_configENS1_22reduce_config_selectorIiEEZNS1_11reduce_implILb1ES3_N6thrust23THRUST_200600_302600_NS17counting_iteratorIiNS8_11hip_rocprim3tagENS8_11use_defaultESC_EEPiiNS8_4plusIiEEEE10hipError_tPvRmT1_T2_T3_mT4_P12ihipStream_tbEUlT_E0_NS1_11comp_targetILNS1_3genE9ELNS1_11target_archE1100ELNS1_3gpuE3ELNS1_3repE0EEENS1_30default_config_static_selectorELNS0_4arch9wavefront6targetE1EEEvSK_
	.globl	_ZN7rocprim17ROCPRIM_400000_NS6detail17trampoline_kernelINS0_14default_configENS1_22reduce_config_selectorIiEEZNS1_11reduce_implILb1ES3_N6thrust23THRUST_200600_302600_NS17counting_iteratorIiNS8_11hip_rocprim3tagENS8_11use_defaultESC_EEPiiNS8_4plusIiEEEE10hipError_tPvRmT1_T2_T3_mT4_P12ihipStream_tbEUlT_E0_NS1_11comp_targetILNS1_3genE9ELNS1_11target_archE1100ELNS1_3gpuE3ELNS1_3repE0EEENS1_30default_config_static_selectorELNS0_4arch9wavefront6targetE1EEEvSK_
	.p2align	8
	.type	_ZN7rocprim17ROCPRIM_400000_NS6detail17trampoline_kernelINS0_14default_configENS1_22reduce_config_selectorIiEEZNS1_11reduce_implILb1ES3_N6thrust23THRUST_200600_302600_NS17counting_iteratorIiNS8_11hip_rocprim3tagENS8_11use_defaultESC_EEPiiNS8_4plusIiEEEE10hipError_tPvRmT1_T2_T3_mT4_P12ihipStream_tbEUlT_E0_NS1_11comp_targetILNS1_3genE9ELNS1_11target_archE1100ELNS1_3gpuE3ELNS1_3repE0EEENS1_30default_config_static_selectorELNS0_4arch9wavefront6targetE1EEEvSK_,@function
_ZN7rocprim17ROCPRIM_400000_NS6detail17trampoline_kernelINS0_14default_configENS1_22reduce_config_selectorIiEEZNS1_11reduce_implILb1ES3_N6thrust23THRUST_200600_302600_NS17counting_iteratorIiNS8_11hip_rocprim3tagENS8_11use_defaultESC_EEPiiNS8_4plusIiEEEE10hipError_tPvRmT1_T2_T3_mT4_P12ihipStream_tbEUlT_E0_NS1_11comp_targetILNS1_3genE9ELNS1_11target_archE1100ELNS1_3gpuE3ELNS1_3repE0EEENS1_30default_config_static_selectorELNS0_4arch9wavefront6targetE1EEEvSK_: ; @_ZN7rocprim17ROCPRIM_400000_NS6detail17trampoline_kernelINS0_14default_configENS1_22reduce_config_selectorIiEEZNS1_11reduce_implILb1ES3_N6thrust23THRUST_200600_302600_NS17counting_iteratorIiNS8_11hip_rocprim3tagENS8_11use_defaultESC_EEPiiNS8_4plusIiEEEE10hipError_tPvRmT1_T2_T3_mT4_P12ihipStream_tbEUlT_E0_NS1_11comp_targetILNS1_3genE9ELNS1_11target_archE1100ELNS1_3gpuE3ELNS1_3repE0EEENS1_30default_config_static_selectorELNS0_4arch9wavefront6targetE1EEEvSK_
; %bb.0:
	.section	.rodata,"a",@progbits
	.p2align	6, 0x0
	.amdhsa_kernel _ZN7rocprim17ROCPRIM_400000_NS6detail17trampoline_kernelINS0_14default_configENS1_22reduce_config_selectorIiEEZNS1_11reduce_implILb1ES3_N6thrust23THRUST_200600_302600_NS17counting_iteratorIiNS8_11hip_rocprim3tagENS8_11use_defaultESC_EEPiiNS8_4plusIiEEEE10hipError_tPvRmT1_T2_T3_mT4_P12ihipStream_tbEUlT_E0_NS1_11comp_targetILNS1_3genE9ELNS1_11target_archE1100ELNS1_3gpuE3ELNS1_3repE0EEENS1_30default_config_static_selectorELNS0_4arch9wavefront6targetE1EEEvSK_
		.amdhsa_group_segment_fixed_size 0
		.amdhsa_private_segment_fixed_size 0
		.amdhsa_kernarg_size 56
		.amdhsa_user_sgpr_count 2
		.amdhsa_user_sgpr_dispatch_ptr 0
		.amdhsa_user_sgpr_queue_ptr 0
		.amdhsa_user_sgpr_kernarg_segment_ptr 1
		.amdhsa_user_sgpr_dispatch_id 0
		.amdhsa_user_sgpr_kernarg_preload_length 0
		.amdhsa_user_sgpr_kernarg_preload_offset 0
		.amdhsa_user_sgpr_private_segment_size 0
		.amdhsa_uses_dynamic_stack 0
		.amdhsa_enable_private_segment 0
		.amdhsa_system_sgpr_workgroup_id_x 1
		.amdhsa_system_sgpr_workgroup_id_y 0
		.amdhsa_system_sgpr_workgroup_id_z 0
		.amdhsa_system_sgpr_workgroup_info 0
		.amdhsa_system_vgpr_workitem_id 0
		.amdhsa_next_free_vgpr 1
		.amdhsa_next_free_sgpr 0
		.amdhsa_accum_offset 4
		.amdhsa_reserve_vcc 0
		.amdhsa_float_round_mode_32 0
		.amdhsa_float_round_mode_16_64 0
		.amdhsa_float_denorm_mode_32 3
		.amdhsa_float_denorm_mode_16_64 3
		.amdhsa_dx10_clamp 1
		.amdhsa_ieee_mode 1
		.amdhsa_fp16_overflow 0
		.amdhsa_tg_split 0
		.amdhsa_exception_fp_ieee_invalid_op 0
		.amdhsa_exception_fp_denorm_src 0
		.amdhsa_exception_fp_ieee_div_zero 0
		.amdhsa_exception_fp_ieee_overflow 0
		.amdhsa_exception_fp_ieee_underflow 0
		.amdhsa_exception_fp_ieee_inexact 0
		.amdhsa_exception_int_div_zero 0
	.end_amdhsa_kernel
	.section	.text._ZN7rocprim17ROCPRIM_400000_NS6detail17trampoline_kernelINS0_14default_configENS1_22reduce_config_selectorIiEEZNS1_11reduce_implILb1ES3_N6thrust23THRUST_200600_302600_NS17counting_iteratorIiNS8_11hip_rocprim3tagENS8_11use_defaultESC_EEPiiNS8_4plusIiEEEE10hipError_tPvRmT1_T2_T3_mT4_P12ihipStream_tbEUlT_E0_NS1_11comp_targetILNS1_3genE9ELNS1_11target_archE1100ELNS1_3gpuE3ELNS1_3repE0EEENS1_30default_config_static_selectorELNS0_4arch9wavefront6targetE1EEEvSK_,"axG",@progbits,_ZN7rocprim17ROCPRIM_400000_NS6detail17trampoline_kernelINS0_14default_configENS1_22reduce_config_selectorIiEEZNS1_11reduce_implILb1ES3_N6thrust23THRUST_200600_302600_NS17counting_iteratorIiNS8_11hip_rocprim3tagENS8_11use_defaultESC_EEPiiNS8_4plusIiEEEE10hipError_tPvRmT1_T2_T3_mT4_P12ihipStream_tbEUlT_E0_NS1_11comp_targetILNS1_3genE9ELNS1_11target_archE1100ELNS1_3gpuE3ELNS1_3repE0EEENS1_30default_config_static_selectorELNS0_4arch9wavefront6targetE1EEEvSK_,comdat
.Lfunc_end1098:
	.size	_ZN7rocprim17ROCPRIM_400000_NS6detail17trampoline_kernelINS0_14default_configENS1_22reduce_config_selectorIiEEZNS1_11reduce_implILb1ES3_N6thrust23THRUST_200600_302600_NS17counting_iteratorIiNS8_11hip_rocprim3tagENS8_11use_defaultESC_EEPiiNS8_4plusIiEEEE10hipError_tPvRmT1_T2_T3_mT4_P12ihipStream_tbEUlT_E0_NS1_11comp_targetILNS1_3genE9ELNS1_11target_archE1100ELNS1_3gpuE3ELNS1_3repE0EEENS1_30default_config_static_selectorELNS0_4arch9wavefront6targetE1EEEvSK_, .Lfunc_end1098-_ZN7rocprim17ROCPRIM_400000_NS6detail17trampoline_kernelINS0_14default_configENS1_22reduce_config_selectorIiEEZNS1_11reduce_implILb1ES3_N6thrust23THRUST_200600_302600_NS17counting_iteratorIiNS8_11hip_rocprim3tagENS8_11use_defaultESC_EEPiiNS8_4plusIiEEEE10hipError_tPvRmT1_T2_T3_mT4_P12ihipStream_tbEUlT_E0_NS1_11comp_targetILNS1_3genE9ELNS1_11target_archE1100ELNS1_3gpuE3ELNS1_3repE0EEENS1_30default_config_static_selectorELNS0_4arch9wavefront6targetE1EEEvSK_
                                        ; -- End function
	.set _ZN7rocprim17ROCPRIM_400000_NS6detail17trampoline_kernelINS0_14default_configENS1_22reduce_config_selectorIiEEZNS1_11reduce_implILb1ES3_N6thrust23THRUST_200600_302600_NS17counting_iteratorIiNS8_11hip_rocprim3tagENS8_11use_defaultESC_EEPiiNS8_4plusIiEEEE10hipError_tPvRmT1_T2_T3_mT4_P12ihipStream_tbEUlT_E0_NS1_11comp_targetILNS1_3genE9ELNS1_11target_archE1100ELNS1_3gpuE3ELNS1_3repE0EEENS1_30default_config_static_selectorELNS0_4arch9wavefront6targetE1EEEvSK_.num_vgpr, 0
	.set _ZN7rocprim17ROCPRIM_400000_NS6detail17trampoline_kernelINS0_14default_configENS1_22reduce_config_selectorIiEEZNS1_11reduce_implILb1ES3_N6thrust23THRUST_200600_302600_NS17counting_iteratorIiNS8_11hip_rocprim3tagENS8_11use_defaultESC_EEPiiNS8_4plusIiEEEE10hipError_tPvRmT1_T2_T3_mT4_P12ihipStream_tbEUlT_E0_NS1_11comp_targetILNS1_3genE9ELNS1_11target_archE1100ELNS1_3gpuE3ELNS1_3repE0EEENS1_30default_config_static_selectorELNS0_4arch9wavefront6targetE1EEEvSK_.num_agpr, 0
	.set _ZN7rocprim17ROCPRIM_400000_NS6detail17trampoline_kernelINS0_14default_configENS1_22reduce_config_selectorIiEEZNS1_11reduce_implILb1ES3_N6thrust23THRUST_200600_302600_NS17counting_iteratorIiNS8_11hip_rocprim3tagENS8_11use_defaultESC_EEPiiNS8_4plusIiEEEE10hipError_tPvRmT1_T2_T3_mT4_P12ihipStream_tbEUlT_E0_NS1_11comp_targetILNS1_3genE9ELNS1_11target_archE1100ELNS1_3gpuE3ELNS1_3repE0EEENS1_30default_config_static_selectorELNS0_4arch9wavefront6targetE1EEEvSK_.numbered_sgpr, 0
	.set _ZN7rocprim17ROCPRIM_400000_NS6detail17trampoline_kernelINS0_14default_configENS1_22reduce_config_selectorIiEEZNS1_11reduce_implILb1ES3_N6thrust23THRUST_200600_302600_NS17counting_iteratorIiNS8_11hip_rocprim3tagENS8_11use_defaultESC_EEPiiNS8_4plusIiEEEE10hipError_tPvRmT1_T2_T3_mT4_P12ihipStream_tbEUlT_E0_NS1_11comp_targetILNS1_3genE9ELNS1_11target_archE1100ELNS1_3gpuE3ELNS1_3repE0EEENS1_30default_config_static_selectorELNS0_4arch9wavefront6targetE1EEEvSK_.num_named_barrier, 0
	.set _ZN7rocprim17ROCPRIM_400000_NS6detail17trampoline_kernelINS0_14default_configENS1_22reduce_config_selectorIiEEZNS1_11reduce_implILb1ES3_N6thrust23THRUST_200600_302600_NS17counting_iteratorIiNS8_11hip_rocprim3tagENS8_11use_defaultESC_EEPiiNS8_4plusIiEEEE10hipError_tPvRmT1_T2_T3_mT4_P12ihipStream_tbEUlT_E0_NS1_11comp_targetILNS1_3genE9ELNS1_11target_archE1100ELNS1_3gpuE3ELNS1_3repE0EEENS1_30default_config_static_selectorELNS0_4arch9wavefront6targetE1EEEvSK_.private_seg_size, 0
	.set _ZN7rocprim17ROCPRIM_400000_NS6detail17trampoline_kernelINS0_14default_configENS1_22reduce_config_selectorIiEEZNS1_11reduce_implILb1ES3_N6thrust23THRUST_200600_302600_NS17counting_iteratorIiNS8_11hip_rocprim3tagENS8_11use_defaultESC_EEPiiNS8_4plusIiEEEE10hipError_tPvRmT1_T2_T3_mT4_P12ihipStream_tbEUlT_E0_NS1_11comp_targetILNS1_3genE9ELNS1_11target_archE1100ELNS1_3gpuE3ELNS1_3repE0EEENS1_30default_config_static_selectorELNS0_4arch9wavefront6targetE1EEEvSK_.uses_vcc, 0
	.set _ZN7rocprim17ROCPRIM_400000_NS6detail17trampoline_kernelINS0_14default_configENS1_22reduce_config_selectorIiEEZNS1_11reduce_implILb1ES3_N6thrust23THRUST_200600_302600_NS17counting_iteratorIiNS8_11hip_rocprim3tagENS8_11use_defaultESC_EEPiiNS8_4plusIiEEEE10hipError_tPvRmT1_T2_T3_mT4_P12ihipStream_tbEUlT_E0_NS1_11comp_targetILNS1_3genE9ELNS1_11target_archE1100ELNS1_3gpuE3ELNS1_3repE0EEENS1_30default_config_static_selectorELNS0_4arch9wavefront6targetE1EEEvSK_.uses_flat_scratch, 0
	.set _ZN7rocprim17ROCPRIM_400000_NS6detail17trampoline_kernelINS0_14default_configENS1_22reduce_config_selectorIiEEZNS1_11reduce_implILb1ES3_N6thrust23THRUST_200600_302600_NS17counting_iteratorIiNS8_11hip_rocprim3tagENS8_11use_defaultESC_EEPiiNS8_4plusIiEEEE10hipError_tPvRmT1_T2_T3_mT4_P12ihipStream_tbEUlT_E0_NS1_11comp_targetILNS1_3genE9ELNS1_11target_archE1100ELNS1_3gpuE3ELNS1_3repE0EEENS1_30default_config_static_selectorELNS0_4arch9wavefront6targetE1EEEvSK_.has_dyn_sized_stack, 0
	.set _ZN7rocprim17ROCPRIM_400000_NS6detail17trampoline_kernelINS0_14default_configENS1_22reduce_config_selectorIiEEZNS1_11reduce_implILb1ES3_N6thrust23THRUST_200600_302600_NS17counting_iteratorIiNS8_11hip_rocprim3tagENS8_11use_defaultESC_EEPiiNS8_4plusIiEEEE10hipError_tPvRmT1_T2_T3_mT4_P12ihipStream_tbEUlT_E0_NS1_11comp_targetILNS1_3genE9ELNS1_11target_archE1100ELNS1_3gpuE3ELNS1_3repE0EEENS1_30default_config_static_selectorELNS0_4arch9wavefront6targetE1EEEvSK_.has_recursion, 0
	.set _ZN7rocprim17ROCPRIM_400000_NS6detail17trampoline_kernelINS0_14default_configENS1_22reduce_config_selectorIiEEZNS1_11reduce_implILb1ES3_N6thrust23THRUST_200600_302600_NS17counting_iteratorIiNS8_11hip_rocprim3tagENS8_11use_defaultESC_EEPiiNS8_4plusIiEEEE10hipError_tPvRmT1_T2_T3_mT4_P12ihipStream_tbEUlT_E0_NS1_11comp_targetILNS1_3genE9ELNS1_11target_archE1100ELNS1_3gpuE3ELNS1_3repE0EEENS1_30default_config_static_selectorELNS0_4arch9wavefront6targetE1EEEvSK_.has_indirect_call, 0
	.section	.AMDGPU.csdata,"",@progbits
; Kernel info:
; codeLenInByte = 0
; TotalNumSgprs: 6
; NumVgprs: 0
; NumAgprs: 0
; TotalNumVgprs: 0
; ScratchSize: 0
; MemoryBound: 0
; FloatMode: 240
; IeeeMode: 1
; LDSByteSize: 0 bytes/workgroup (compile time only)
; SGPRBlocks: 0
; VGPRBlocks: 0
; NumSGPRsForWavesPerEU: 6
; NumVGPRsForWavesPerEU: 1
; AccumOffset: 4
; Occupancy: 8
; WaveLimiterHint : 0
; COMPUTE_PGM_RSRC2:SCRATCH_EN: 0
; COMPUTE_PGM_RSRC2:USER_SGPR: 2
; COMPUTE_PGM_RSRC2:TRAP_HANDLER: 0
; COMPUTE_PGM_RSRC2:TGID_X_EN: 1
; COMPUTE_PGM_RSRC2:TGID_Y_EN: 0
; COMPUTE_PGM_RSRC2:TGID_Z_EN: 0
; COMPUTE_PGM_RSRC2:TIDIG_COMP_CNT: 0
; COMPUTE_PGM_RSRC3_GFX90A:ACCUM_OFFSET: 0
; COMPUTE_PGM_RSRC3_GFX90A:TG_SPLIT: 0
	.section	.text._ZN7rocprim17ROCPRIM_400000_NS6detail17trampoline_kernelINS0_14default_configENS1_22reduce_config_selectorIiEEZNS1_11reduce_implILb1ES3_N6thrust23THRUST_200600_302600_NS17counting_iteratorIiNS8_11hip_rocprim3tagENS8_11use_defaultESC_EEPiiNS8_4plusIiEEEE10hipError_tPvRmT1_T2_T3_mT4_P12ihipStream_tbEUlT_E0_NS1_11comp_targetILNS1_3genE8ELNS1_11target_archE1030ELNS1_3gpuE2ELNS1_3repE0EEENS1_30default_config_static_selectorELNS0_4arch9wavefront6targetE1EEEvSK_,"axG",@progbits,_ZN7rocprim17ROCPRIM_400000_NS6detail17trampoline_kernelINS0_14default_configENS1_22reduce_config_selectorIiEEZNS1_11reduce_implILb1ES3_N6thrust23THRUST_200600_302600_NS17counting_iteratorIiNS8_11hip_rocprim3tagENS8_11use_defaultESC_EEPiiNS8_4plusIiEEEE10hipError_tPvRmT1_T2_T3_mT4_P12ihipStream_tbEUlT_E0_NS1_11comp_targetILNS1_3genE8ELNS1_11target_archE1030ELNS1_3gpuE2ELNS1_3repE0EEENS1_30default_config_static_selectorELNS0_4arch9wavefront6targetE1EEEvSK_,comdat
	.protected	_ZN7rocprim17ROCPRIM_400000_NS6detail17trampoline_kernelINS0_14default_configENS1_22reduce_config_selectorIiEEZNS1_11reduce_implILb1ES3_N6thrust23THRUST_200600_302600_NS17counting_iteratorIiNS8_11hip_rocprim3tagENS8_11use_defaultESC_EEPiiNS8_4plusIiEEEE10hipError_tPvRmT1_T2_T3_mT4_P12ihipStream_tbEUlT_E0_NS1_11comp_targetILNS1_3genE8ELNS1_11target_archE1030ELNS1_3gpuE2ELNS1_3repE0EEENS1_30default_config_static_selectorELNS0_4arch9wavefront6targetE1EEEvSK_ ; -- Begin function _ZN7rocprim17ROCPRIM_400000_NS6detail17trampoline_kernelINS0_14default_configENS1_22reduce_config_selectorIiEEZNS1_11reduce_implILb1ES3_N6thrust23THRUST_200600_302600_NS17counting_iteratorIiNS8_11hip_rocprim3tagENS8_11use_defaultESC_EEPiiNS8_4plusIiEEEE10hipError_tPvRmT1_T2_T3_mT4_P12ihipStream_tbEUlT_E0_NS1_11comp_targetILNS1_3genE8ELNS1_11target_archE1030ELNS1_3gpuE2ELNS1_3repE0EEENS1_30default_config_static_selectorELNS0_4arch9wavefront6targetE1EEEvSK_
	.globl	_ZN7rocprim17ROCPRIM_400000_NS6detail17trampoline_kernelINS0_14default_configENS1_22reduce_config_selectorIiEEZNS1_11reduce_implILb1ES3_N6thrust23THRUST_200600_302600_NS17counting_iteratorIiNS8_11hip_rocprim3tagENS8_11use_defaultESC_EEPiiNS8_4plusIiEEEE10hipError_tPvRmT1_T2_T3_mT4_P12ihipStream_tbEUlT_E0_NS1_11comp_targetILNS1_3genE8ELNS1_11target_archE1030ELNS1_3gpuE2ELNS1_3repE0EEENS1_30default_config_static_selectorELNS0_4arch9wavefront6targetE1EEEvSK_
	.p2align	8
	.type	_ZN7rocprim17ROCPRIM_400000_NS6detail17trampoline_kernelINS0_14default_configENS1_22reduce_config_selectorIiEEZNS1_11reduce_implILb1ES3_N6thrust23THRUST_200600_302600_NS17counting_iteratorIiNS8_11hip_rocprim3tagENS8_11use_defaultESC_EEPiiNS8_4plusIiEEEE10hipError_tPvRmT1_T2_T3_mT4_P12ihipStream_tbEUlT_E0_NS1_11comp_targetILNS1_3genE8ELNS1_11target_archE1030ELNS1_3gpuE2ELNS1_3repE0EEENS1_30default_config_static_selectorELNS0_4arch9wavefront6targetE1EEEvSK_,@function
_ZN7rocprim17ROCPRIM_400000_NS6detail17trampoline_kernelINS0_14default_configENS1_22reduce_config_selectorIiEEZNS1_11reduce_implILb1ES3_N6thrust23THRUST_200600_302600_NS17counting_iteratorIiNS8_11hip_rocprim3tagENS8_11use_defaultESC_EEPiiNS8_4plusIiEEEE10hipError_tPvRmT1_T2_T3_mT4_P12ihipStream_tbEUlT_E0_NS1_11comp_targetILNS1_3genE8ELNS1_11target_archE1030ELNS1_3gpuE2ELNS1_3repE0EEENS1_30default_config_static_selectorELNS0_4arch9wavefront6targetE1EEEvSK_: ; @_ZN7rocprim17ROCPRIM_400000_NS6detail17trampoline_kernelINS0_14default_configENS1_22reduce_config_selectorIiEEZNS1_11reduce_implILb1ES3_N6thrust23THRUST_200600_302600_NS17counting_iteratorIiNS8_11hip_rocprim3tagENS8_11use_defaultESC_EEPiiNS8_4plusIiEEEE10hipError_tPvRmT1_T2_T3_mT4_P12ihipStream_tbEUlT_E0_NS1_11comp_targetILNS1_3genE8ELNS1_11target_archE1030ELNS1_3gpuE2ELNS1_3repE0EEENS1_30default_config_static_selectorELNS0_4arch9wavefront6targetE1EEEvSK_
; %bb.0:
	.section	.rodata,"a",@progbits
	.p2align	6, 0x0
	.amdhsa_kernel _ZN7rocprim17ROCPRIM_400000_NS6detail17trampoline_kernelINS0_14default_configENS1_22reduce_config_selectorIiEEZNS1_11reduce_implILb1ES3_N6thrust23THRUST_200600_302600_NS17counting_iteratorIiNS8_11hip_rocprim3tagENS8_11use_defaultESC_EEPiiNS8_4plusIiEEEE10hipError_tPvRmT1_T2_T3_mT4_P12ihipStream_tbEUlT_E0_NS1_11comp_targetILNS1_3genE8ELNS1_11target_archE1030ELNS1_3gpuE2ELNS1_3repE0EEENS1_30default_config_static_selectorELNS0_4arch9wavefront6targetE1EEEvSK_
		.amdhsa_group_segment_fixed_size 0
		.amdhsa_private_segment_fixed_size 0
		.amdhsa_kernarg_size 56
		.amdhsa_user_sgpr_count 2
		.amdhsa_user_sgpr_dispatch_ptr 0
		.amdhsa_user_sgpr_queue_ptr 0
		.amdhsa_user_sgpr_kernarg_segment_ptr 1
		.amdhsa_user_sgpr_dispatch_id 0
		.amdhsa_user_sgpr_kernarg_preload_length 0
		.amdhsa_user_sgpr_kernarg_preload_offset 0
		.amdhsa_user_sgpr_private_segment_size 0
		.amdhsa_uses_dynamic_stack 0
		.amdhsa_enable_private_segment 0
		.amdhsa_system_sgpr_workgroup_id_x 1
		.amdhsa_system_sgpr_workgroup_id_y 0
		.amdhsa_system_sgpr_workgroup_id_z 0
		.amdhsa_system_sgpr_workgroup_info 0
		.amdhsa_system_vgpr_workitem_id 0
		.amdhsa_next_free_vgpr 1
		.amdhsa_next_free_sgpr 0
		.amdhsa_accum_offset 4
		.amdhsa_reserve_vcc 0
		.amdhsa_float_round_mode_32 0
		.amdhsa_float_round_mode_16_64 0
		.amdhsa_float_denorm_mode_32 3
		.amdhsa_float_denorm_mode_16_64 3
		.amdhsa_dx10_clamp 1
		.amdhsa_ieee_mode 1
		.amdhsa_fp16_overflow 0
		.amdhsa_tg_split 0
		.amdhsa_exception_fp_ieee_invalid_op 0
		.amdhsa_exception_fp_denorm_src 0
		.amdhsa_exception_fp_ieee_div_zero 0
		.amdhsa_exception_fp_ieee_overflow 0
		.amdhsa_exception_fp_ieee_underflow 0
		.amdhsa_exception_fp_ieee_inexact 0
		.amdhsa_exception_int_div_zero 0
	.end_amdhsa_kernel
	.section	.text._ZN7rocprim17ROCPRIM_400000_NS6detail17trampoline_kernelINS0_14default_configENS1_22reduce_config_selectorIiEEZNS1_11reduce_implILb1ES3_N6thrust23THRUST_200600_302600_NS17counting_iteratorIiNS8_11hip_rocprim3tagENS8_11use_defaultESC_EEPiiNS8_4plusIiEEEE10hipError_tPvRmT1_T2_T3_mT4_P12ihipStream_tbEUlT_E0_NS1_11comp_targetILNS1_3genE8ELNS1_11target_archE1030ELNS1_3gpuE2ELNS1_3repE0EEENS1_30default_config_static_selectorELNS0_4arch9wavefront6targetE1EEEvSK_,"axG",@progbits,_ZN7rocprim17ROCPRIM_400000_NS6detail17trampoline_kernelINS0_14default_configENS1_22reduce_config_selectorIiEEZNS1_11reduce_implILb1ES3_N6thrust23THRUST_200600_302600_NS17counting_iteratorIiNS8_11hip_rocprim3tagENS8_11use_defaultESC_EEPiiNS8_4plusIiEEEE10hipError_tPvRmT1_T2_T3_mT4_P12ihipStream_tbEUlT_E0_NS1_11comp_targetILNS1_3genE8ELNS1_11target_archE1030ELNS1_3gpuE2ELNS1_3repE0EEENS1_30default_config_static_selectorELNS0_4arch9wavefront6targetE1EEEvSK_,comdat
.Lfunc_end1099:
	.size	_ZN7rocprim17ROCPRIM_400000_NS6detail17trampoline_kernelINS0_14default_configENS1_22reduce_config_selectorIiEEZNS1_11reduce_implILb1ES3_N6thrust23THRUST_200600_302600_NS17counting_iteratorIiNS8_11hip_rocprim3tagENS8_11use_defaultESC_EEPiiNS8_4plusIiEEEE10hipError_tPvRmT1_T2_T3_mT4_P12ihipStream_tbEUlT_E0_NS1_11comp_targetILNS1_3genE8ELNS1_11target_archE1030ELNS1_3gpuE2ELNS1_3repE0EEENS1_30default_config_static_selectorELNS0_4arch9wavefront6targetE1EEEvSK_, .Lfunc_end1099-_ZN7rocprim17ROCPRIM_400000_NS6detail17trampoline_kernelINS0_14default_configENS1_22reduce_config_selectorIiEEZNS1_11reduce_implILb1ES3_N6thrust23THRUST_200600_302600_NS17counting_iteratorIiNS8_11hip_rocprim3tagENS8_11use_defaultESC_EEPiiNS8_4plusIiEEEE10hipError_tPvRmT1_T2_T3_mT4_P12ihipStream_tbEUlT_E0_NS1_11comp_targetILNS1_3genE8ELNS1_11target_archE1030ELNS1_3gpuE2ELNS1_3repE0EEENS1_30default_config_static_selectorELNS0_4arch9wavefront6targetE1EEEvSK_
                                        ; -- End function
	.set _ZN7rocprim17ROCPRIM_400000_NS6detail17trampoline_kernelINS0_14default_configENS1_22reduce_config_selectorIiEEZNS1_11reduce_implILb1ES3_N6thrust23THRUST_200600_302600_NS17counting_iteratorIiNS8_11hip_rocprim3tagENS8_11use_defaultESC_EEPiiNS8_4plusIiEEEE10hipError_tPvRmT1_T2_T3_mT4_P12ihipStream_tbEUlT_E0_NS1_11comp_targetILNS1_3genE8ELNS1_11target_archE1030ELNS1_3gpuE2ELNS1_3repE0EEENS1_30default_config_static_selectorELNS0_4arch9wavefront6targetE1EEEvSK_.num_vgpr, 0
	.set _ZN7rocprim17ROCPRIM_400000_NS6detail17trampoline_kernelINS0_14default_configENS1_22reduce_config_selectorIiEEZNS1_11reduce_implILb1ES3_N6thrust23THRUST_200600_302600_NS17counting_iteratorIiNS8_11hip_rocprim3tagENS8_11use_defaultESC_EEPiiNS8_4plusIiEEEE10hipError_tPvRmT1_T2_T3_mT4_P12ihipStream_tbEUlT_E0_NS1_11comp_targetILNS1_3genE8ELNS1_11target_archE1030ELNS1_3gpuE2ELNS1_3repE0EEENS1_30default_config_static_selectorELNS0_4arch9wavefront6targetE1EEEvSK_.num_agpr, 0
	.set _ZN7rocprim17ROCPRIM_400000_NS6detail17trampoline_kernelINS0_14default_configENS1_22reduce_config_selectorIiEEZNS1_11reduce_implILb1ES3_N6thrust23THRUST_200600_302600_NS17counting_iteratorIiNS8_11hip_rocprim3tagENS8_11use_defaultESC_EEPiiNS8_4plusIiEEEE10hipError_tPvRmT1_T2_T3_mT4_P12ihipStream_tbEUlT_E0_NS1_11comp_targetILNS1_3genE8ELNS1_11target_archE1030ELNS1_3gpuE2ELNS1_3repE0EEENS1_30default_config_static_selectorELNS0_4arch9wavefront6targetE1EEEvSK_.numbered_sgpr, 0
	.set _ZN7rocprim17ROCPRIM_400000_NS6detail17trampoline_kernelINS0_14default_configENS1_22reduce_config_selectorIiEEZNS1_11reduce_implILb1ES3_N6thrust23THRUST_200600_302600_NS17counting_iteratorIiNS8_11hip_rocprim3tagENS8_11use_defaultESC_EEPiiNS8_4plusIiEEEE10hipError_tPvRmT1_T2_T3_mT4_P12ihipStream_tbEUlT_E0_NS1_11comp_targetILNS1_3genE8ELNS1_11target_archE1030ELNS1_3gpuE2ELNS1_3repE0EEENS1_30default_config_static_selectorELNS0_4arch9wavefront6targetE1EEEvSK_.num_named_barrier, 0
	.set _ZN7rocprim17ROCPRIM_400000_NS6detail17trampoline_kernelINS0_14default_configENS1_22reduce_config_selectorIiEEZNS1_11reduce_implILb1ES3_N6thrust23THRUST_200600_302600_NS17counting_iteratorIiNS8_11hip_rocprim3tagENS8_11use_defaultESC_EEPiiNS8_4plusIiEEEE10hipError_tPvRmT1_T2_T3_mT4_P12ihipStream_tbEUlT_E0_NS1_11comp_targetILNS1_3genE8ELNS1_11target_archE1030ELNS1_3gpuE2ELNS1_3repE0EEENS1_30default_config_static_selectorELNS0_4arch9wavefront6targetE1EEEvSK_.private_seg_size, 0
	.set _ZN7rocprim17ROCPRIM_400000_NS6detail17trampoline_kernelINS0_14default_configENS1_22reduce_config_selectorIiEEZNS1_11reduce_implILb1ES3_N6thrust23THRUST_200600_302600_NS17counting_iteratorIiNS8_11hip_rocprim3tagENS8_11use_defaultESC_EEPiiNS8_4plusIiEEEE10hipError_tPvRmT1_T2_T3_mT4_P12ihipStream_tbEUlT_E0_NS1_11comp_targetILNS1_3genE8ELNS1_11target_archE1030ELNS1_3gpuE2ELNS1_3repE0EEENS1_30default_config_static_selectorELNS0_4arch9wavefront6targetE1EEEvSK_.uses_vcc, 0
	.set _ZN7rocprim17ROCPRIM_400000_NS6detail17trampoline_kernelINS0_14default_configENS1_22reduce_config_selectorIiEEZNS1_11reduce_implILb1ES3_N6thrust23THRUST_200600_302600_NS17counting_iteratorIiNS8_11hip_rocprim3tagENS8_11use_defaultESC_EEPiiNS8_4plusIiEEEE10hipError_tPvRmT1_T2_T3_mT4_P12ihipStream_tbEUlT_E0_NS1_11comp_targetILNS1_3genE8ELNS1_11target_archE1030ELNS1_3gpuE2ELNS1_3repE0EEENS1_30default_config_static_selectorELNS0_4arch9wavefront6targetE1EEEvSK_.uses_flat_scratch, 0
	.set _ZN7rocprim17ROCPRIM_400000_NS6detail17trampoline_kernelINS0_14default_configENS1_22reduce_config_selectorIiEEZNS1_11reduce_implILb1ES3_N6thrust23THRUST_200600_302600_NS17counting_iteratorIiNS8_11hip_rocprim3tagENS8_11use_defaultESC_EEPiiNS8_4plusIiEEEE10hipError_tPvRmT1_T2_T3_mT4_P12ihipStream_tbEUlT_E0_NS1_11comp_targetILNS1_3genE8ELNS1_11target_archE1030ELNS1_3gpuE2ELNS1_3repE0EEENS1_30default_config_static_selectorELNS0_4arch9wavefront6targetE1EEEvSK_.has_dyn_sized_stack, 0
	.set _ZN7rocprim17ROCPRIM_400000_NS6detail17trampoline_kernelINS0_14default_configENS1_22reduce_config_selectorIiEEZNS1_11reduce_implILb1ES3_N6thrust23THRUST_200600_302600_NS17counting_iteratorIiNS8_11hip_rocprim3tagENS8_11use_defaultESC_EEPiiNS8_4plusIiEEEE10hipError_tPvRmT1_T2_T3_mT4_P12ihipStream_tbEUlT_E0_NS1_11comp_targetILNS1_3genE8ELNS1_11target_archE1030ELNS1_3gpuE2ELNS1_3repE0EEENS1_30default_config_static_selectorELNS0_4arch9wavefront6targetE1EEEvSK_.has_recursion, 0
	.set _ZN7rocprim17ROCPRIM_400000_NS6detail17trampoline_kernelINS0_14default_configENS1_22reduce_config_selectorIiEEZNS1_11reduce_implILb1ES3_N6thrust23THRUST_200600_302600_NS17counting_iteratorIiNS8_11hip_rocprim3tagENS8_11use_defaultESC_EEPiiNS8_4plusIiEEEE10hipError_tPvRmT1_T2_T3_mT4_P12ihipStream_tbEUlT_E0_NS1_11comp_targetILNS1_3genE8ELNS1_11target_archE1030ELNS1_3gpuE2ELNS1_3repE0EEENS1_30default_config_static_selectorELNS0_4arch9wavefront6targetE1EEEvSK_.has_indirect_call, 0
	.section	.AMDGPU.csdata,"",@progbits
; Kernel info:
; codeLenInByte = 0
; TotalNumSgprs: 6
; NumVgprs: 0
; NumAgprs: 0
; TotalNumVgprs: 0
; ScratchSize: 0
; MemoryBound: 0
; FloatMode: 240
; IeeeMode: 1
; LDSByteSize: 0 bytes/workgroup (compile time only)
; SGPRBlocks: 0
; VGPRBlocks: 0
; NumSGPRsForWavesPerEU: 6
; NumVGPRsForWavesPerEU: 1
; AccumOffset: 4
; Occupancy: 8
; WaveLimiterHint : 0
; COMPUTE_PGM_RSRC2:SCRATCH_EN: 0
; COMPUTE_PGM_RSRC2:USER_SGPR: 2
; COMPUTE_PGM_RSRC2:TRAP_HANDLER: 0
; COMPUTE_PGM_RSRC2:TGID_X_EN: 1
; COMPUTE_PGM_RSRC2:TGID_Y_EN: 0
; COMPUTE_PGM_RSRC2:TGID_Z_EN: 0
; COMPUTE_PGM_RSRC2:TIDIG_COMP_CNT: 0
; COMPUTE_PGM_RSRC3_GFX90A:ACCUM_OFFSET: 0
; COMPUTE_PGM_RSRC3_GFX90A:TG_SPLIT: 0
	.section	.text._ZN7rocprim17ROCPRIM_400000_NS6detail17trampoline_kernelINS0_14default_configENS1_22reduce_config_selectorIiEEZNS1_11reduce_implILb1ES3_N6thrust23THRUST_200600_302600_NS17counting_iteratorIiNS8_11hip_rocprim3tagENS8_11use_defaultESC_EEPiiNS8_4plusIiEEEE10hipError_tPvRmT1_T2_T3_mT4_P12ihipStream_tbEUlT_E1_NS1_11comp_targetILNS1_3genE0ELNS1_11target_archE4294967295ELNS1_3gpuE0ELNS1_3repE0EEENS1_30default_config_static_selectorELNS0_4arch9wavefront6targetE1EEEvSK_,"axG",@progbits,_ZN7rocprim17ROCPRIM_400000_NS6detail17trampoline_kernelINS0_14default_configENS1_22reduce_config_selectorIiEEZNS1_11reduce_implILb1ES3_N6thrust23THRUST_200600_302600_NS17counting_iteratorIiNS8_11hip_rocprim3tagENS8_11use_defaultESC_EEPiiNS8_4plusIiEEEE10hipError_tPvRmT1_T2_T3_mT4_P12ihipStream_tbEUlT_E1_NS1_11comp_targetILNS1_3genE0ELNS1_11target_archE4294967295ELNS1_3gpuE0ELNS1_3repE0EEENS1_30default_config_static_selectorELNS0_4arch9wavefront6targetE1EEEvSK_,comdat
	.protected	_ZN7rocprim17ROCPRIM_400000_NS6detail17trampoline_kernelINS0_14default_configENS1_22reduce_config_selectorIiEEZNS1_11reduce_implILb1ES3_N6thrust23THRUST_200600_302600_NS17counting_iteratorIiNS8_11hip_rocprim3tagENS8_11use_defaultESC_EEPiiNS8_4plusIiEEEE10hipError_tPvRmT1_T2_T3_mT4_P12ihipStream_tbEUlT_E1_NS1_11comp_targetILNS1_3genE0ELNS1_11target_archE4294967295ELNS1_3gpuE0ELNS1_3repE0EEENS1_30default_config_static_selectorELNS0_4arch9wavefront6targetE1EEEvSK_ ; -- Begin function _ZN7rocprim17ROCPRIM_400000_NS6detail17trampoline_kernelINS0_14default_configENS1_22reduce_config_selectorIiEEZNS1_11reduce_implILb1ES3_N6thrust23THRUST_200600_302600_NS17counting_iteratorIiNS8_11hip_rocprim3tagENS8_11use_defaultESC_EEPiiNS8_4plusIiEEEE10hipError_tPvRmT1_T2_T3_mT4_P12ihipStream_tbEUlT_E1_NS1_11comp_targetILNS1_3genE0ELNS1_11target_archE4294967295ELNS1_3gpuE0ELNS1_3repE0EEENS1_30default_config_static_selectorELNS0_4arch9wavefront6targetE1EEEvSK_
	.globl	_ZN7rocprim17ROCPRIM_400000_NS6detail17trampoline_kernelINS0_14default_configENS1_22reduce_config_selectorIiEEZNS1_11reduce_implILb1ES3_N6thrust23THRUST_200600_302600_NS17counting_iteratorIiNS8_11hip_rocprim3tagENS8_11use_defaultESC_EEPiiNS8_4plusIiEEEE10hipError_tPvRmT1_T2_T3_mT4_P12ihipStream_tbEUlT_E1_NS1_11comp_targetILNS1_3genE0ELNS1_11target_archE4294967295ELNS1_3gpuE0ELNS1_3repE0EEENS1_30default_config_static_selectorELNS0_4arch9wavefront6targetE1EEEvSK_
	.p2align	8
	.type	_ZN7rocprim17ROCPRIM_400000_NS6detail17trampoline_kernelINS0_14default_configENS1_22reduce_config_selectorIiEEZNS1_11reduce_implILb1ES3_N6thrust23THRUST_200600_302600_NS17counting_iteratorIiNS8_11hip_rocprim3tagENS8_11use_defaultESC_EEPiiNS8_4plusIiEEEE10hipError_tPvRmT1_T2_T3_mT4_P12ihipStream_tbEUlT_E1_NS1_11comp_targetILNS1_3genE0ELNS1_11target_archE4294967295ELNS1_3gpuE0ELNS1_3repE0EEENS1_30default_config_static_selectorELNS0_4arch9wavefront6targetE1EEEvSK_,@function
_ZN7rocprim17ROCPRIM_400000_NS6detail17trampoline_kernelINS0_14default_configENS1_22reduce_config_selectorIiEEZNS1_11reduce_implILb1ES3_N6thrust23THRUST_200600_302600_NS17counting_iteratorIiNS8_11hip_rocprim3tagENS8_11use_defaultESC_EEPiiNS8_4plusIiEEEE10hipError_tPvRmT1_T2_T3_mT4_P12ihipStream_tbEUlT_E1_NS1_11comp_targetILNS1_3genE0ELNS1_11target_archE4294967295ELNS1_3gpuE0ELNS1_3repE0EEENS1_30default_config_static_selectorELNS0_4arch9wavefront6targetE1EEEvSK_: ; @_ZN7rocprim17ROCPRIM_400000_NS6detail17trampoline_kernelINS0_14default_configENS1_22reduce_config_selectorIiEEZNS1_11reduce_implILb1ES3_N6thrust23THRUST_200600_302600_NS17counting_iteratorIiNS8_11hip_rocprim3tagENS8_11use_defaultESC_EEPiiNS8_4plusIiEEEE10hipError_tPvRmT1_T2_T3_mT4_P12ihipStream_tbEUlT_E1_NS1_11comp_targetILNS1_3genE0ELNS1_11target_archE4294967295ELNS1_3gpuE0ELNS1_3repE0EEENS1_30default_config_static_selectorELNS0_4arch9wavefront6targetE1EEEvSK_
; %bb.0:
	s_load_dwordx2 s[10:11], s[0:1], 0x4
	s_load_dwordx4 s[12:15], s[0:1], 0x10
	s_waitcnt lgkmcnt(0)
	s_cmp_lt_i32 s10, 8
	s_cbranch_scc1 .LBB1100_11
; %bb.1:
	s_cmp_gt_i32 s10, 15
	s_cbranch_scc0 .LBB1100_12
; %bb.2:
	s_cmp_gt_i32 s10, 31
	s_cbranch_scc0 .LBB1100_13
; %bb.3:
	s_cmp_eq_u32 s10, 32
	s_mov_b64 s[16:17], 0
	s_cbranch_scc0 .LBB1100_14
; %bb.4:
	s_lshl_b32 s6, s2, 13
	s_mov_b32 s3, 0
	s_lshr_b64 s[4:5], s[12:13], 13
	s_add_i32 s18, s11, s6
	s_cmp_lg_u64 s[4:5], s[2:3]
	v_add_u32_e32 v2, s18, v0
	s_cbranch_scc0 .LBB1100_23
; %bb.5:
	v_mov_b32_e32 v1, 0x1f000
	v_lshl_add_u32 v1, v2, 5, v1
	v_mbcnt_lo_u32_b32 v3, -1, 0
	v_mbcnt_hi_u32_b32 v3, -1, v3
	v_add_u32_dpp v1, v1, v1 quad_perm:[1,0,3,2] row_mask:0xf bank_mask:0xf bound_ctrl:1
	v_lshlrev_b32_e32 v4, 2, v3
	v_or_b32_e32 v5, 0xfc, v4
	v_add_u32_dpp v1, v1, v1 quad_perm:[2,3,0,1] row_mask:0xf bank_mask:0xf bound_ctrl:1
	v_cmp_eq_u32_e32 vcc, 0, v3
	s_nop 0
	v_add_u32_dpp v1, v1, v1 row_ror:4 row_mask:0xf bank_mask:0xf bound_ctrl:1
	s_nop 1
	v_add_u32_dpp v1, v1, v1 row_ror:8 row_mask:0xf bank_mask:0xf bound_ctrl:1
	s_nop 1
	v_add_u32_dpp v1, v1, v1 row_bcast:15 row_mask:0xf bank_mask:0xf bound_ctrl:1
	s_nop 1
	v_add_u32_dpp v1, v1, v1 row_bcast:31 row_mask:0xf bank_mask:0xf bound_ctrl:1
	ds_bpermute_b32 v1, v5, v1
	s_and_saveexec_b64 s[4:5], vcc
	s_cbranch_execz .LBB1100_7
; %bb.6:
	v_lshrrev_b32_e32 v5, 4, v0
	v_and_b32_e32 v5, 12, v5
	s_waitcnt lgkmcnt(0)
	ds_write_b32 v5, v1 offset:48
.LBB1100_7:
	s_or_b64 exec, exec, s[4:5]
	v_cmp_gt_u32_e32 vcc, 64, v0
	s_waitcnt lgkmcnt(0)
	s_barrier
	s_and_saveexec_b64 s[4:5], vcc
	s_cbranch_execz .LBB1100_9
; %bb.8:
	v_and_b32_e32 v1, 3, v3
	v_lshlrev_b32_e32 v5, 2, v1
	ds_read_b32 v5, v5 offset:48
	v_cmp_ne_u32_e32 vcc, 3, v1
	s_nop 1
	v_addc_co_u32_e32 v1, vcc, 0, v3, vcc
	v_lshlrev_b32_e32 v1, 2, v1
	s_waitcnt lgkmcnt(0)
	ds_bpermute_b32 v1, v1, v5
	v_or_b32_e32 v3, 8, v4
	s_waitcnt lgkmcnt(0)
	v_add_u32_e32 v1, v1, v5
	ds_bpermute_b32 v3, v3, v1
	s_waitcnt lgkmcnt(0)
	v_add_u32_e32 v1, v3, v1
.LBB1100_9:
	s_or_b64 exec, exec, s[4:5]
.LBB1100_10:
	v_cmp_eq_u32_e64 s[4:5], 0, v0
	s_and_b64 vcc, exec, s[16:17]
	s_cbranch_vccnz .LBB1100_15
	s_branch .LBB1100_29
.LBB1100_11:
	s_mov_b64 s[4:5], 0
                                        ; implicit-def: $vgpr1
	s_cbranch_execnz .LBB1100_54
	s_branch .LBB1100_100
.LBB1100_12:
	s_mov_b64 s[4:5], 0
                                        ; implicit-def: $vgpr1
	s_cbranch_execnz .LBB1100_38
	s_branch .LBB1100_46
.LBB1100_13:
	s_mov_b64 s[16:17], -1
.LBB1100_14:
	s_mov_b64 s[4:5], 0
                                        ; implicit-def: $vgpr1
	s_and_b64 vcc, exec, s[16:17]
	s_cbranch_vccz .LBB1100_29
.LBB1100_15:
	s_cmp_eq_u32 s10, 16
	s_cbranch_scc0 .LBB1100_22
; %bb.16:
	s_mov_b32 s3, 0
	s_lshl_b32 s6, s2, 12
	s_lshr_b64 s[4:5], s[12:13], 12
	s_cmp_lg_u64 s[4:5], s[2:3]
	s_cbranch_scc0 .LBB1100_30
; %bb.17:
	v_or_b32_e32 v1, s6, v0
	v_add_u32_e32 v1, s11, v1
	v_mov_b32_e32 v2, 0x7800
	v_lshl_add_u32 v1, v1, 4, v2
	v_mbcnt_lo_u32_b32 v2, -1, 0
	v_mbcnt_hi_u32_b32 v2, -1, v2
	v_add_u32_dpp v1, v1, v1 quad_perm:[1,0,3,2] row_mask:0xf bank_mask:0xf bound_ctrl:1
	v_lshlrev_b32_e32 v3, 2, v2
	v_or_b32_e32 v4, 0xfc, v3
	v_add_u32_dpp v1, v1, v1 quad_perm:[2,3,0,1] row_mask:0xf bank_mask:0xf bound_ctrl:1
	v_cmp_eq_u32_e32 vcc, 0, v2
	s_nop 0
	v_add_u32_dpp v1, v1, v1 row_ror:4 row_mask:0xf bank_mask:0xf bound_ctrl:1
	s_nop 1
	v_add_u32_dpp v1, v1, v1 row_ror:8 row_mask:0xf bank_mask:0xf bound_ctrl:1
	s_nop 1
	v_add_u32_dpp v1, v1, v1 row_bcast:15 row_mask:0xf bank_mask:0xf bound_ctrl:1
	s_nop 1
	v_add_u32_dpp v1, v1, v1 row_bcast:31 row_mask:0xf bank_mask:0xf bound_ctrl:1
	ds_bpermute_b32 v1, v4, v1
	s_and_saveexec_b64 s[4:5], vcc
	s_cbranch_execz .LBB1100_19
; %bb.18:
	v_lshrrev_b32_e32 v4, 4, v0
	v_and_b32_e32 v4, 12, v4
	s_waitcnt lgkmcnt(0)
	ds_write_b32 v4, v1
.LBB1100_19:
	s_or_b64 exec, exec, s[4:5]
	v_cmp_gt_u32_e32 vcc, 64, v0
	s_waitcnt lgkmcnt(0)
	s_barrier
	s_and_saveexec_b64 s[4:5], vcc
	s_cbranch_execz .LBB1100_21
; %bb.20:
	v_and_b32_e32 v1, 3, v2
	v_lshlrev_b32_e32 v4, 2, v1
	ds_read_b32 v4, v4
	v_cmp_ne_u32_e32 vcc, 3, v1
	s_nop 1
	v_addc_co_u32_e32 v1, vcc, 0, v2, vcc
	v_lshlrev_b32_e32 v1, 2, v1
	s_waitcnt lgkmcnt(0)
	ds_bpermute_b32 v1, v1, v4
	v_or_b32_e32 v2, 8, v3
	s_waitcnt lgkmcnt(0)
	v_add_u32_e32 v1, v1, v4
	ds_bpermute_b32 v2, v2, v1
	s_waitcnt lgkmcnt(0)
	v_add_u32_e32 v1, v2, v1
.LBB1100_21:
	s_or_b64 exec, exec, s[4:5]
	s_mov_b64 s[4:5], 0
	s_branch .LBB1100_31
.LBB1100_22:
                                        ; implicit-def: $vgpr1
	s_branch .LBB1100_46
.LBB1100_23:
                                        ; implicit-def: $vgpr1
	s_cbranch_execz .LBB1100_10
; %bb.24:
	s_sub_i32 s19, s12, s6
	v_cmp_gt_u32_e32 vcc, s19, v0
	v_or_b32_e32 v8, 0x600, v0
	v_add_u32_e32 v9, s18, v8
	v_cndmask_b32_e32 v1, 0, v2, vcc
	v_or_b32_e32 v2, 0x100, v0
	v_add_u32_e32 v3, s18, v2
	v_cmp_gt_u32_e32 vcc, s19, v2
	v_or_b32_e32 v2, 0x200, v0
	v_add_u32_e32 v4, s18, v2
	v_cmp_gt_u32_e64 s[4:5], s19, v2
	v_or_b32_e32 v2, 0x300, v0
	v_add_u32_e32 v5, s18, v2
	v_cmp_gt_u32_e64 s[6:7], s19, v2
	;; [unrolled: 3-line block ×3, first 2 shown]
	v_or_b32_e32 v2, 0x500, v0
	v_add_u32_e32 v7, s18, v2
	v_cndmask_b32_e32 v3, 0, v3, vcc
	v_cmp_gt_u32_e32 vcc, s19, v2
	v_or_b32_e32 v10, 0x700, v0
	v_add_u32_e32 v11, s18, v10
	v_cndmask_b32_e32 v2, 0, v7, vcc
	v_cmp_gt_u32_e32 vcc, s19, v8
	;; [unrolled: 4-line block ×26, first 2 shown]
	v_cndmask_b32_e64 v4, 0, v4, s[4:5]
	v_cndmask_b32_e64 v5, 0, v5, s[6:7]
	v_cndmask_b32_e32 v31, 0, v57, vcc
	v_cmp_gt_u32_e32 vcc, s19, v58
	v_add_u32_e32 v30, v31, v30
	v_cndmask_b32_e64 v6, 0, v6, s[8:9]
	v_cndmask_b32_e32 v32, 0, v59, vcc
	v_add3_u32 v27, v30, v32, v27
	v_add3_u32 v27, v27, v28, v29
	;; [unrolled: 1-line block ×10, first 2 shown]
	v_mbcnt_lo_u32_b32 v2, -1, 0
	v_add3_u32 v1, v1, v11, v12
	v_mbcnt_hi_u32_b32 v2, -1, v2
	v_add3_u32 v1, v1, v13, v14
	v_and_b32_e32 v4, 63, v2
	v_add3_u32 v1, v1, v15, v16
	v_cmp_ne_u32_e32 vcc, 63, v4
	v_add3_u32 v1, v1, v17, v18
	v_add3_u32 v1, v1, v19, v20
	v_addc_co_u32_e32 v3, vcc, 0, v2, vcc
	v_lshlrev_b32_e32 v3, 2, v3
	ds_bpermute_b32 v3, v3, v1
	s_min_u32 s6, s19, 0x100
	v_and_b32_e32 v5, 0xc0, v0
	v_sub_u32_e64 v5, s6, v5 clamp
	v_add_u32_e32 v6, 1, v4
	v_cmp_lt_u32_e32 vcc, v6, v5
	v_add_u32_e32 v6, 2, v4
	s_waitcnt lgkmcnt(0)
	v_cndmask_b32_e32 v3, 0, v3, vcc
	v_cmp_gt_u32_e32 vcc, 62, v4
	v_add_u32_e32 v1, v3, v1
	s_nop 0
	v_cndmask_b32_e64 v3, 0, 2, vcc
	v_add_lshl_u32 v3, v3, v2, 2
	ds_bpermute_b32 v3, v3, v1
	v_cmp_lt_u32_e32 vcc, v6, v5
	v_add_u32_e32 v6, 4, v4
	s_waitcnt lgkmcnt(0)
	v_cndmask_b32_e32 v3, 0, v3, vcc
	v_cmp_gt_u32_e32 vcc, 60, v4
	v_add_u32_e32 v1, v1, v3
	s_nop 0
	v_cndmask_b32_e64 v3, 0, 4, vcc
	v_add_lshl_u32 v3, v3, v2, 2
	ds_bpermute_b32 v3, v3, v1
	;; [unrolled: 10-line block ×3, first 2 shown]
	v_cmp_lt_u32_e32 vcc, v6, v5
	v_add_u32_e32 v6, 16, v4
	s_waitcnt lgkmcnt(0)
	v_cndmask_b32_e32 v3, 0, v3, vcc
	v_cmp_gt_u32_e32 vcc, 48, v4
	v_add_u32_e32 v1, v1, v3
	v_add_u32_e32 v4, 32, v4
	v_cndmask_b32_e64 v3, 0, 16, vcc
	v_add_lshl_u32 v3, v3, v2, 2
	ds_bpermute_b32 v3, v3, v1
	v_cmp_lt_u32_e32 vcc, v6, v5
	s_waitcnt lgkmcnt(0)
	s_nop 0
	v_cndmask_b32_e32 v3, 0, v3, vcc
	v_add_u32_e32 v1, v1, v3
	v_lshlrev_b32_e32 v3, 2, v2
	v_or_b32_e32 v6, 0x80, v3
	ds_bpermute_b32 v6, v6, v1
	v_cmp_lt_u32_e32 vcc, v4, v5
	s_waitcnt lgkmcnt(0)
	s_nop 0
	v_cndmask_b32_e32 v4, 0, v6, vcc
	v_add_u32_e32 v1, v1, v4
	v_cmp_eq_u32_e32 vcc, 0, v2
	s_and_saveexec_b64 s[4:5], vcc
; %bb.25:
	v_lshrrev_b32_e32 v4, 4, v0
	v_and_b32_e32 v4, 12, v4
	ds_write_b32 v4, v1 offset:96
; %bb.26:
	s_or_b64 exec, exec, s[4:5]
	v_cmp_gt_u32_e32 vcc, 4, v0
	s_waitcnt lgkmcnt(0)
	s_barrier
	s_and_saveexec_b64 s[4:5], vcc
	s_cbranch_execz .LBB1100_28
; %bb.27:
	ds_read_b32 v1, v3 offset:96
	v_and_b32_e32 v4, 3, v2
	v_cmp_ne_u32_e32 vcc, 3, v4
	s_add_i32 s6, s6, 63
	s_lshr_b32 s6, s6, 6
	v_addc_co_u32_e32 v2, vcc, 0, v2, vcc
	v_lshlrev_b32_e32 v2, 2, v2
	s_waitcnt lgkmcnt(0)
	ds_bpermute_b32 v2, v2, v1
	v_add_u32_e32 v5, 1, v4
	v_cmp_gt_u32_e32 vcc, s6, v5
	s_waitcnt lgkmcnt(0)
	s_nop 0
	v_cndmask_b32_e32 v2, 0, v2, vcc
	v_add_u32_e32 v1, v2, v1
	v_or_b32_e32 v2, 8, v3
	ds_bpermute_b32 v2, v2, v1
	v_add_u32_e32 v3, 2, v4
	v_cmp_gt_u32_e32 vcc, s6, v3
	s_waitcnt lgkmcnt(0)
	s_nop 0
	v_cndmask_b32_e32 v2, 0, v2, vcc
	v_add_u32_e32 v1, v1, v2
.LBB1100_28:
	s_or_b64 exec, exec, s[4:5]
	v_cmp_eq_u32_e64 s[4:5], 0, v0
	s_and_b64 vcc, exec, s[16:17]
	s_cbranch_vccnz .LBB1100_15
.LBB1100_29:
	s_branch .LBB1100_46
.LBB1100_30:
	s_mov_b64 s[4:5], -1
                                        ; implicit-def: $vgpr1
.LBB1100_31:
	s_and_b64 vcc, exec, s[4:5]
	s_cbranch_vccz .LBB1100_37
; %bb.32:
	s_sub_i32 s4, s12, s6
	s_add_i32 s5, s11, s6
	v_add_u32_e32 v1, s5, v0
	v_cmp_gt_u32_e32 vcc, s4, v0
	v_or_b32_e32 v2, 0x100, v0
	v_add_u32_e32 v3, s5, v2
	v_cndmask_b32_e32 v1, 0, v1, vcc
	v_or_b32_e32 v4, 0x200, v0
	v_cmp_gt_u32_e32 vcc, s4, v2
	v_add_u32_e32 v5, s5, v4
	v_or_b32_e32 v6, 0x300, v0
	v_cndmask_b32_e32 v2, 0, v3, vcc
	v_cmp_gt_u32_e32 vcc, s4, v4
	v_add_u32_e32 v7, s5, v6
	v_or_b32_e32 v8, 0x400, v0
	v_cndmask_b32_e32 v3, 0, v5, vcc
	;; [unrolled: 4-line block ×13, first 2 shown]
	v_cmp_gt_u32_e32 vcc, s4, v28
	v_add_u32_e32 v31, s5, v30
	s_min_u32 s6, s4, 0x100
	v_cndmask_b32_e32 v15, 0, v29, vcc
	v_cmp_gt_u32_e32 vcc, s4, v30
	s_nop 1
	v_cndmask_b32_e32 v16, 0, v31, vcc
	v_add_u32_e32 v15, v16, v15
	v_add3_u32 v13, v15, v13, v14
	v_add3_u32 v11, v13, v11, v12
	;; [unrolled: 1-line block ×5, first 2 shown]
	v_mbcnt_lo_u32_b32 v2, -1, 0
	v_mbcnt_hi_u32_b32 v2, -1, v2
	v_add3_u32 v1, v1, v3, v4
	v_and_b32_e32 v4, 63, v2
	v_cmp_ne_u32_e32 vcc, 63, v4
	v_add3_u32 v1, v1, v5, v6
	v_and_b32_e32 v5, 0xc0, v0
	v_addc_co_u32_e32 v3, vcc, 0, v2, vcc
	v_lshlrev_b32_e32 v3, 2, v3
	ds_bpermute_b32 v3, v3, v1
	v_sub_u32_e64 v5, s6, v5 clamp
	v_add_u32_e32 v6, 1, v4
	v_cmp_lt_u32_e32 vcc, v6, v5
	v_add_u32_e32 v6, 2, v4
	s_waitcnt lgkmcnt(0)
	v_cndmask_b32_e32 v3, 0, v3, vcc
	v_cmp_gt_u32_e32 vcc, 62, v4
	v_add_u32_e32 v1, v3, v1
	s_nop 0
	v_cndmask_b32_e64 v3, 0, 2, vcc
	v_add_lshl_u32 v3, v3, v2, 2
	ds_bpermute_b32 v3, v3, v1
	v_cmp_lt_u32_e32 vcc, v6, v5
	v_add_u32_e32 v6, 4, v4
	s_waitcnt lgkmcnt(0)
	v_cndmask_b32_e32 v3, 0, v3, vcc
	v_cmp_gt_u32_e32 vcc, 60, v4
	v_add_u32_e32 v1, v1, v3
	s_nop 0
	v_cndmask_b32_e64 v3, 0, 4, vcc
	v_add_lshl_u32 v3, v3, v2, 2
	ds_bpermute_b32 v3, v3, v1
	;; [unrolled: 10-line block ×3, first 2 shown]
	v_cmp_lt_u32_e32 vcc, v6, v5
	v_add_u32_e32 v6, 16, v4
	s_waitcnt lgkmcnt(0)
	v_cndmask_b32_e32 v3, 0, v3, vcc
	v_cmp_gt_u32_e32 vcc, 48, v4
	v_add_u32_e32 v1, v1, v3
	v_add_u32_e32 v4, 32, v4
	v_cndmask_b32_e64 v3, 0, 16, vcc
	v_add_lshl_u32 v3, v3, v2, 2
	ds_bpermute_b32 v3, v3, v1
	v_cmp_lt_u32_e32 vcc, v6, v5
	s_waitcnt lgkmcnt(0)
	s_nop 0
	v_cndmask_b32_e32 v3, 0, v3, vcc
	v_add_u32_e32 v1, v1, v3
	v_lshlrev_b32_e32 v3, 2, v2
	v_or_b32_e32 v6, 0x80, v3
	ds_bpermute_b32 v6, v6, v1
	v_cmp_lt_u32_e32 vcc, v4, v5
	s_waitcnt lgkmcnt(0)
	s_nop 0
	v_cndmask_b32_e32 v4, 0, v6, vcc
	v_add_u32_e32 v1, v1, v4
	v_cmp_eq_u32_e32 vcc, 0, v2
	s_and_saveexec_b64 s[4:5], vcc
; %bb.33:
	v_lshrrev_b32_e32 v4, 4, v0
	v_and_b32_e32 v4, 12, v4
	ds_write_b32 v4, v1 offset:96
; %bb.34:
	s_or_b64 exec, exec, s[4:5]
	v_cmp_gt_u32_e32 vcc, 4, v0
	s_waitcnt lgkmcnt(0)
	s_barrier
	s_and_saveexec_b64 s[4:5], vcc
	s_cbranch_execz .LBB1100_36
; %bb.35:
	ds_read_b32 v1, v3 offset:96
	v_and_b32_e32 v4, 3, v2
	v_cmp_ne_u32_e32 vcc, 3, v4
	s_add_i32 s6, s6, 63
	s_lshr_b32 s6, s6, 6
	v_addc_co_u32_e32 v2, vcc, 0, v2, vcc
	v_lshlrev_b32_e32 v2, 2, v2
	s_waitcnt lgkmcnt(0)
	ds_bpermute_b32 v2, v2, v1
	v_add_u32_e32 v5, 1, v4
	v_cmp_gt_u32_e32 vcc, s6, v5
	s_waitcnt lgkmcnt(0)
	s_nop 0
	v_cndmask_b32_e32 v2, 0, v2, vcc
	v_add_u32_e32 v1, v2, v1
	v_or_b32_e32 v2, 8, v3
	ds_bpermute_b32 v2, v2, v1
	v_add_u32_e32 v3, 2, v4
	v_cmp_gt_u32_e32 vcc, s6, v3
	s_waitcnt lgkmcnt(0)
	s_nop 0
	v_cndmask_b32_e32 v2, 0, v2, vcc
	v_add_u32_e32 v1, v1, v2
.LBB1100_36:
	s_or_b64 exec, exec, s[4:5]
.LBB1100_37:
	v_cmp_eq_u32_e64 s[4:5], 0, v0
	s_branch .LBB1100_46
.LBB1100_38:
	s_cmp_eq_u32 s10, 8
	s_cbranch_scc0 .LBB1100_45
; %bb.39:
	s_mov_b32 s3, 0
	s_lshl_b32 s6, s2, 11
	s_lshr_b64 s[4:5], s[12:13], 11
	s_cmp_lg_u64 s[4:5], s[2:3]
	s_cbranch_scc0 .LBB1100_47
; %bb.40:
	v_or_b32_e32 v1, s6, v0
	v_add_u32_e32 v1, s11, v1
	v_mov_b32_e32 v2, 0x1c00
	v_lshl_add_u32 v1, v1, 3, v2
	v_mbcnt_lo_u32_b32 v2, -1, 0
	v_mbcnt_hi_u32_b32 v2, -1, v2
	v_add_u32_dpp v1, v1, v1 quad_perm:[1,0,3,2] row_mask:0xf bank_mask:0xf bound_ctrl:1
	v_lshlrev_b32_e32 v3, 2, v2
	v_or_b32_e32 v4, 0xfc, v3
	v_add_u32_dpp v1, v1, v1 quad_perm:[2,3,0,1] row_mask:0xf bank_mask:0xf bound_ctrl:1
	v_cmp_eq_u32_e32 vcc, 0, v2
	s_nop 0
	v_add_u32_dpp v1, v1, v1 row_ror:4 row_mask:0xf bank_mask:0xf bound_ctrl:1
	s_nop 1
	v_add_u32_dpp v1, v1, v1 row_ror:8 row_mask:0xf bank_mask:0xf bound_ctrl:1
	s_nop 1
	v_add_u32_dpp v1, v1, v1 row_bcast:15 row_mask:0xf bank_mask:0xf bound_ctrl:1
	s_nop 1
	v_add_u32_dpp v1, v1, v1 row_bcast:31 row_mask:0xf bank_mask:0xf bound_ctrl:1
	ds_bpermute_b32 v1, v4, v1
	s_and_saveexec_b64 s[4:5], vcc
	s_cbranch_execz .LBB1100_42
; %bb.41:
	v_lshrrev_b32_e32 v4, 4, v0
	v_and_b32_e32 v4, 12, v4
	s_waitcnt lgkmcnt(0)
	ds_write_b32 v4, v1 offset:80
.LBB1100_42:
	s_or_b64 exec, exec, s[4:5]
	v_cmp_gt_u32_e32 vcc, 64, v0
	s_waitcnt lgkmcnt(0)
	s_barrier
	s_and_saveexec_b64 s[4:5], vcc
	s_cbranch_execz .LBB1100_44
; %bb.43:
	v_and_b32_e32 v1, 3, v2
	v_lshlrev_b32_e32 v4, 2, v1
	ds_read_b32 v4, v4 offset:80
	v_cmp_ne_u32_e32 vcc, 3, v1
	s_nop 1
	v_addc_co_u32_e32 v1, vcc, 0, v2, vcc
	v_lshlrev_b32_e32 v1, 2, v1
	s_waitcnt lgkmcnt(0)
	ds_bpermute_b32 v1, v1, v4
	v_or_b32_e32 v2, 8, v3
	s_waitcnt lgkmcnt(0)
	v_add_u32_e32 v1, v1, v4
	ds_bpermute_b32 v2, v2, v1
	s_waitcnt lgkmcnt(0)
	v_add_u32_e32 v1, v2, v1
.LBB1100_44:
	s_or_b64 exec, exec, s[4:5]
	s_branch .LBB1100_53
.LBB1100_45:
                                        ; implicit-def: $vgpr1
.LBB1100_46:
	s_branch .LBB1100_100
.LBB1100_47:
                                        ; implicit-def: $vgpr1
	s_cbranch_execz .LBB1100_53
; %bb.48:
	s_sub_i32 s4, s12, s6
	s_add_i32 s5, s11, s6
	v_add_u32_e32 v1, s5, v0
	v_or_b32_e32 v2, 0x100, v0
	v_cmp_gt_u32_e32 vcc, s4, v0
	v_add_u32_e32 v3, s5, v2
	v_or_b32_e32 v4, 0x200, v0
	v_cndmask_b32_e32 v1, 0, v1, vcc
	v_cmp_gt_u32_e32 vcc, s4, v2
	v_add_u32_e32 v5, s5, v4
	v_or_b32_e32 v6, 0x300, v0
	v_cndmask_b32_e32 v2, 0, v3, vcc
	;; [unrolled: 4-line block ×6, first 2 shown]
	v_cmp_gt_u32_e32 vcc, s4, v12
	v_add_u32_e32 v15, s5, v14
	s_min_u32 s6, s4, 0x100
	v_cndmask_b32_e32 v7, 0, v13, vcc
	v_cmp_gt_u32_e32 vcc, s4, v14
	s_nop 1
	v_cndmask_b32_e32 v8, 0, v15, vcc
	v_add_u32_e32 v7, v8, v7
	v_add3_u32 v5, v7, v5, v6
	v_add3_u32 v3, v5, v3, v4
	v_add3_u32 v1, v3, v1, v2
	v_mbcnt_lo_u32_b32 v2, -1, 0
	v_mbcnt_hi_u32_b32 v2, -1, v2
	v_and_b32_e32 v4, 63, v2
	v_cmp_ne_u32_e32 vcc, 63, v4
	v_and_b32_e32 v5, 0xc0, v0
	v_sub_u32_e64 v5, s6, v5 clamp
	v_addc_co_u32_e32 v3, vcc, 0, v2, vcc
	v_lshlrev_b32_e32 v3, 2, v3
	ds_bpermute_b32 v3, v3, v1
	v_add_u32_e32 v6, 1, v4
	v_cmp_lt_u32_e32 vcc, v6, v5
	v_add_u32_e32 v6, 2, v4
	s_waitcnt lgkmcnt(0)
	v_cndmask_b32_e32 v3, 0, v3, vcc
	v_cmp_gt_u32_e32 vcc, 62, v4
	v_add_u32_e32 v1, v3, v1
	s_nop 0
	v_cndmask_b32_e64 v3, 0, 2, vcc
	v_add_lshl_u32 v3, v3, v2, 2
	ds_bpermute_b32 v3, v3, v1
	v_cmp_lt_u32_e32 vcc, v6, v5
	v_add_u32_e32 v6, 4, v4
	s_waitcnt lgkmcnt(0)
	v_cndmask_b32_e32 v3, 0, v3, vcc
	v_cmp_gt_u32_e32 vcc, 60, v4
	v_add_u32_e32 v1, v1, v3
	s_nop 0
	v_cndmask_b32_e64 v3, 0, 4, vcc
	v_add_lshl_u32 v3, v3, v2, 2
	ds_bpermute_b32 v3, v3, v1
	;; [unrolled: 10-line block ×3, first 2 shown]
	v_cmp_lt_u32_e32 vcc, v6, v5
	v_add_u32_e32 v6, 16, v4
	s_waitcnt lgkmcnt(0)
	v_cndmask_b32_e32 v3, 0, v3, vcc
	v_cmp_gt_u32_e32 vcc, 48, v4
	v_add_u32_e32 v1, v1, v3
	v_add_u32_e32 v4, 32, v4
	v_cndmask_b32_e64 v3, 0, 16, vcc
	v_add_lshl_u32 v3, v3, v2, 2
	ds_bpermute_b32 v3, v3, v1
	v_cmp_lt_u32_e32 vcc, v6, v5
	s_waitcnt lgkmcnt(0)
	s_nop 0
	v_cndmask_b32_e32 v3, 0, v3, vcc
	v_add_u32_e32 v1, v1, v3
	v_lshlrev_b32_e32 v3, 2, v2
	v_or_b32_e32 v6, 0x80, v3
	ds_bpermute_b32 v6, v6, v1
	v_cmp_lt_u32_e32 vcc, v4, v5
	s_waitcnt lgkmcnt(0)
	s_nop 0
	v_cndmask_b32_e32 v4, 0, v6, vcc
	v_add_u32_e32 v1, v1, v4
	v_cmp_eq_u32_e32 vcc, 0, v2
	s_and_saveexec_b64 s[4:5], vcc
; %bb.49:
	v_lshrrev_b32_e32 v4, 4, v0
	v_and_b32_e32 v4, 12, v4
	ds_write_b32 v4, v1 offset:96
; %bb.50:
	s_or_b64 exec, exec, s[4:5]
	v_cmp_gt_u32_e32 vcc, 4, v0
	s_waitcnt lgkmcnt(0)
	s_barrier
	s_and_saveexec_b64 s[4:5], vcc
	s_cbranch_execz .LBB1100_52
; %bb.51:
	ds_read_b32 v1, v3 offset:96
	v_and_b32_e32 v4, 3, v2
	v_cmp_ne_u32_e32 vcc, 3, v4
	s_add_i32 s6, s6, 63
	s_lshr_b32 s6, s6, 6
	v_addc_co_u32_e32 v2, vcc, 0, v2, vcc
	v_lshlrev_b32_e32 v2, 2, v2
	s_waitcnt lgkmcnt(0)
	ds_bpermute_b32 v2, v2, v1
	v_add_u32_e32 v5, 1, v4
	v_cmp_gt_u32_e32 vcc, s6, v5
	s_waitcnt lgkmcnt(0)
	s_nop 0
	v_cndmask_b32_e32 v2, 0, v2, vcc
	v_add_u32_e32 v1, v2, v1
	v_or_b32_e32 v2, 8, v3
	ds_bpermute_b32 v2, v2, v1
	v_add_u32_e32 v3, 2, v4
	v_cmp_gt_u32_e32 vcc, s6, v3
	s_waitcnt lgkmcnt(0)
	s_nop 0
	v_cndmask_b32_e32 v2, 0, v2, vcc
	v_add_u32_e32 v1, v1, v2
.LBB1100_52:
	s_or_b64 exec, exec, s[4:5]
.LBB1100_53:
	v_cmp_eq_u32_e64 s[4:5], 0, v0
	s_branch .LBB1100_100
.LBB1100_54:
	s_cmp_gt_i32 s10, 1
	s_cbranch_scc0 .LBB1100_63
; %bb.55:
	s_cmp_gt_i32 s10, 3
	s_cbranch_scc0 .LBB1100_64
; %bb.56:
	s_cmp_eq_u32 s10, 4
	s_cbranch_scc0 .LBB1100_65
; %bb.57:
	s_mov_b32 s3, 0
	s_lshl_b32 s6, s2, 10
	s_lshr_b64 s[4:5], s[12:13], 10
	s_cmp_lg_u64 s[4:5], s[2:3]
	s_cbranch_scc0 .LBB1100_67
; %bb.58:
	v_or_b32_e32 v1, s6, v0
	v_add_u32_e32 v1, s11, v1
	v_mov_b32_e32 v2, 0x600
	v_lshl_add_u32 v1, v1, 2, v2
	v_mbcnt_lo_u32_b32 v2, -1, 0
	v_mbcnt_hi_u32_b32 v2, -1, v2
	v_add_u32_dpp v1, v1, v1 quad_perm:[1,0,3,2] row_mask:0xf bank_mask:0xf bound_ctrl:1
	v_lshlrev_b32_e32 v3, 2, v2
	v_or_b32_e32 v4, 0xfc, v3
	v_add_u32_dpp v1, v1, v1 quad_perm:[2,3,0,1] row_mask:0xf bank_mask:0xf bound_ctrl:1
	v_cmp_eq_u32_e32 vcc, 0, v2
	s_nop 0
	v_add_u32_dpp v1, v1, v1 row_ror:4 row_mask:0xf bank_mask:0xf bound_ctrl:1
	s_nop 1
	v_add_u32_dpp v1, v1, v1 row_ror:8 row_mask:0xf bank_mask:0xf bound_ctrl:1
	s_nop 1
	v_add_u32_dpp v1, v1, v1 row_bcast:15 row_mask:0xf bank_mask:0xf bound_ctrl:1
	s_nop 1
	v_add_u32_dpp v1, v1, v1 row_bcast:31 row_mask:0xf bank_mask:0xf bound_ctrl:1
	ds_bpermute_b32 v1, v4, v1
	s_and_saveexec_b64 s[4:5], vcc
	s_cbranch_execz .LBB1100_60
; %bb.59:
	v_lshrrev_b32_e32 v4, 4, v0
	v_and_b32_e32 v4, 12, v4
	s_waitcnt lgkmcnt(0)
	ds_write_b32 v4, v1 offset:64
.LBB1100_60:
	s_or_b64 exec, exec, s[4:5]
	v_cmp_gt_u32_e32 vcc, 64, v0
	s_waitcnt lgkmcnt(0)
	s_barrier
	s_and_saveexec_b64 s[4:5], vcc
	s_cbranch_execz .LBB1100_62
; %bb.61:
	v_and_b32_e32 v1, 3, v2
	v_lshlrev_b32_e32 v4, 2, v1
	ds_read_b32 v4, v4 offset:64
	v_cmp_ne_u32_e32 vcc, 3, v1
	s_nop 1
	v_addc_co_u32_e32 v1, vcc, 0, v2, vcc
	v_lshlrev_b32_e32 v1, 2, v1
	s_waitcnt lgkmcnt(0)
	ds_bpermute_b32 v1, v1, v4
	v_or_b32_e32 v2, 8, v3
	s_waitcnt lgkmcnt(0)
	v_add_u32_e32 v1, v1, v4
	ds_bpermute_b32 v2, v2, v1
	s_waitcnt lgkmcnt(0)
	v_add_u32_e32 v1, v2, v1
.LBB1100_62:
	s_or_b64 exec, exec, s[4:5]
	s_mov_b64 s[4:5], 0
	s_branch .LBB1100_68
.LBB1100_63:
                                        ; implicit-def: $vgpr1
	s_cbranch_execnz .LBB1100_91
	s_branch .LBB1100_100
.LBB1100_64:
                                        ; implicit-def: $vgpr1
	s_cbranch_execz .LBB1100_66
	s_branch .LBB1100_75
.LBB1100_65:
                                        ; implicit-def: $vgpr1
.LBB1100_66:
	s_branch .LBB1100_100
.LBB1100_67:
	s_mov_b64 s[4:5], -1
                                        ; implicit-def: $vgpr1
.LBB1100_68:
	s_and_b64 vcc, exec, s[4:5]
	s_cbranch_vccz .LBB1100_74
; %bb.69:
	s_sub_i32 s4, s12, s6
	s_add_i32 s5, s11, s6
	v_add_u32_e32 v1, s5, v0
	v_or_b32_e32 v2, 0x100, v0
	v_cmp_gt_u32_e32 vcc, s4, v0
	v_add_u32_e32 v3, s5, v2
	v_or_b32_e32 v4, 0x200, v0
	v_cndmask_b32_e32 v1, 0, v1, vcc
	v_cmp_gt_u32_e32 vcc, s4, v2
	v_add_u32_e32 v5, s5, v4
	v_or_b32_e32 v6, 0x300, v0
	v_cndmask_b32_e32 v2, 0, v3, vcc
	v_cmp_gt_u32_e32 vcc, s4, v4
	v_add_u32_e32 v7, s5, v6
	s_min_u32 s6, s4, 0x100
	v_cndmask_b32_e32 v3, 0, v5, vcc
	v_cmp_gt_u32_e32 vcc, s4, v6
	v_and_b32_e32 v5, 0xc0, v0
	v_sub_u32_e64 v5, s6, v5 clamp
	v_cndmask_b32_e32 v4, 0, v7, vcc
	v_add_u32_e32 v3, v4, v3
	v_add3_u32 v1, v3, v1, v2
	v_mbcnt_lo_u32_b32 v2, -1, 0
	v_mbcnt_hi_u32_b32 v2, -1, v2
	v_and_b32_e32 v4, 63, v2
	v_cmp_ne_u32_e32 vcc, 63, v4
	v_add_u32_e32 v6, 1, v4
	s_nop 0
	v_addc_co_u32_e32 v3, vcc, 0, v2, vcc
	v_lshlrev_b32_e32 v3, 2, v3
	ds_bpermute_b32 v3, v3, v1
	v_cmp_lt_u32_e32 vcc, v6, v5
	v_add_u32_e32 v6, 2, v4
	s_waitcnt lgkmcnt(0)
	v_cndmask_b32_e32 v3, 0, v3, vcc
	v_cmp_gt_u32_e32 vcc, 62, v4
	v_add_u32_e32 v1, v3, v1
	s_nop 0
	v_cndmask_b32_e64 v3, 0, 2, vcc
	v_add_lshl_u32 v3, v3, v2, 2
	ds_bpermute_b32 v3, v3, v1
	v_cmp_lt_u32_e32 vcc, v6, v5
	v_add_u32_e32 v6, 4, v4
	s_waitcnt lgkmcnt(0)
	v_cndmask_b32_e32 v3, 0, v3, vcc
	v_cmp_gt_u32_e32 vcc, 60, v4
	v_add_u32_e32 v1, v1, v3
	s_nop 0
	v_cndmask_b32_e64 v3, 0, 4, vcc
	v_add_lshl_u32 v3, v3, v2, 2
	;; [unrolled: 10-line block ×3, first 2 shown]
	ds_bpermute_b32 v3, v3, v1
	v_cmp_lt_u32_e32 vcc, v6, v5
	v_add_u32_e32 v6, 16, v4
	s_waitcnt lgkmcnt(0)
	v_cndmask_b32_e32 v3, 0, v3, vcc
	v_cmp_gt_u32_e32 vcc, 48, v4
	v_add_u32_e32 v1, v1, v3
	v_add_u32_e32 v4, 32, v4
	v_cndmask_b32_e64 v3, 0, 16, vcc
	v_add_lshl_u32 v3, v3, v2, 2
	ds_bpermute_b32 v3, v3, v1
	v_cmp_lt_u32_e32 vcc, v6, v5
	s_waitcnt lgkmcnt(0)
	s_nop 0
	v_cndmask_b32_e32 v3, 0, v3, vcc
	v_add_u32_e32 v1, v1, v3
	v_lshlrev_b32_e32 v3, 2, v2
	v_or_b32_e32 v6, 0x80, v3
	ds_bpermute_b32 v6, v6, v1
	v_cmp_lt_u32_e32 vcc, v4, v5
	s_waitcnt lgkmcnt(0)
	s_nop 0
	v_cndmask_b32_e32 v4, 0, v6, vcc
	v_add_u32_e32 v1, v1, v4
	v_cmp_eq_u32_e32 vcc, 0, v2
	s_and_saveexec_b64 s[4:5], vcc
; %bb.70:
	v_lshrrev_b32_e32 v4, 4, v0
	v_and_b32_e32 v4, 12, v4
	ds_write_b32 v4, v1 offset:96
; %bb.71:
	s_or_b64 exec, exec, s[4:5]
	v_cmp_gt_u32_e32 vcc, 4, v0
	s_waitcnt lgkmcnt(0)
	s_barrier
	s_and_saveexec_b64 s[4:5], vcc
	s_cbranch_execz .LBB1100_73
; %bb.72:
	ds_read_b32 v1, v3 offset:96
	v_and_b32_e32 v4, 3, v2
	v_cmp_ne_u32_e32 vcc, 3, v4
	s_add_i32 s6, s6, 63
	s_lshr_b32 s6, s6, 6
	v_addc_co_u32_e32 v2, vcc, 0, v2, vcc
	v_lshlrev_b32_e32 v2, 2, v2
	s_waitcnt lgkmcnt(0)
	ds_bpermute_b32 v2, v2, v1
	v_add_u32_e32 v5, 1, v4
	v_cmp_gt_u32_e32 vcc, s6, v5
	s_waitcnt lgkmcnt(0)
	s_nop 0
	v_cndmask_b32_e32 v2, 0, v2, vcc
	v_add_u32_e32 v1, v2, v1
	v_or_b32_e32 v2, 8, v3
	ds_bpermute_b32 v2, v2, v1
	v_add_u32_e32 v3, 2, v4
	v_cmp_gt_u32_e32 vcc, s6, v3
	s_waitcnt lgkmcnt(0)
	s_nop 0
	v_cndmask_b32_e32 v2, 0, v2, vcc
	v_add_u32_e32 v1, v1, v2
.LBB1100_73:
	s_or_b64 exec, exec, s[4:5]
.LBB1100_74:
	v_cmp_eq_u32_e64 s[4:5], 0, v0
	s_branch .LBB1100_66
.LBB1100_75:
	s_cmp_eq_u32 s10, 2
	s_cbranch_scc0 .LBB1100_82
; %bb.76:
	s_mov_b32 s3, 0
	s_lshl_b32 s6, s2, 9
	s_lshr_b64 s[4:5], s[12:13], 9
	s_cmp_lg_u64 s[4:5], s[2:3]
	s_cbranch_scc0 .LBB1100_83
; %bb.77:
	s_add_i32 s4, s11, s6
	v_add_u32_e32 v1, s4, v0
	v_mov_b32_e32 v2, 0x100
	v_lshl_add_u32 v1, v1, 1, v2
	v_mbcnt_lo_u32_b32 v2, -1, 0
	v_mbcnt_hi_u32_b32 v2, -1, v2
	v_add_u32_dpp v1, v1, v1 quad_perm:[1,0,3,2] row_mask:0xf bank_mask:0xf bound_ctrl:1
	v_lshlrev_b32_e32 v3, 2, v2
	v_or_b32_e32 v4, 0xfc, v3
	v_add_u32_dpp v1, v1, v1 quad_perm:[2,3,0,1] row_mask:0xf bank_mask:0xf bound_ctrl:1
	v_cmp_eq_u32_e32 vcc, 0, v2
	s_nop 0
	v_add_u32_dpp v1, v1, v1 row_ror:4 row_mask:0xf bank_mask:0xf bound_ctrl:1
	s_nop 1
	v_add_u32_dpp v1, v1, v1 row_ror:8 row_mask:0xf bank_mask:0xf bound_ctrl:1
	s_nop 1
	v_add_u32_dpp v1, v1, v1 row_bcast:15 row_mask:0xf bank_mask:0xf bound_ctrl:1
	s_nop 1
	v_add_u32_dpp v1, v1, v1 row_bcast:31 row_mask:0xf bank_mask:0xf bound_ctrl:1
	ds_bpermute_b32 v1, v4, v1
	s_and_saveexec_b64 s[4:5], vcc
	s_cbranch_execz .LBB1100_79
; %bb.78:
	v_lshrrev_b32_e32 v4, 4, v0
	v_and_b32_e32 v4, 12, v4
	s_waitcnt lgkmcnt(0)
	ds_write_b32 v4, v1 offset:32
.LBB1100_79:
	s_or_b64 exec, exec, s[4:5]
	v_cmp_gt_u32_e32 vcc, 64, v0
	s_waitcnt lgkmcnt(0)
	s_barrier
	s_and_saveexec_b64 s[4:5], vcc
	s_cbranch_execz .LBB1100_81
; %bb.80:
	v_and_b32_e32 v1, 3, v2
	v_lshlrev_b32_e32 v4, 2, v1
	ds_read_b32 v4, v4 offset:32
	v_cmp_ne_u32_e32 vcc, 3, v1
	s_nop 1
	v_addc_co_u32_e32 v1, vcc, 0, v2, vcc
	v_lshlrev_b32_e32 v1, 2, v1
	s_waitcnt lgkmcnt(0)
	ds_bpermute_b32 v1, v1, v4
	v_or_b32_e32 v2, 8, v3
	s_waitcnt lgkmcnt(0)
	v_add_u32_e32 v1, v1, v4
	ds_bpermute_b32 v2, v2, v1
	s_waitcnt lgkmcnt(0)
	v_add_u32_e32 v1, v2, v1
.LBB1100_81:
	s_or_b64 exec, exec, s[4:5]
	s_mov_b64 s[4:5], 0
	s_branch .LBB1100_84
.LBB1100_82:
                                        ; implicit-def: $vgpr1
	s_branch .LBB1100_100
.LBB1100_83:
	s_mov_b64 s[4:5], -1
                                        ; implicit-def: $vgpr1
.LBB1100_84:
	s_and_b64 vcc, exec, s[4:5]
	s_cbranch_vccz .LBB1100_90
; %bb.85:
	s_sub_i32 s4, s12, s6
	s_add_i32 s5, s11, s6
	v_add_u32_e32 v1, s5, v0
	v_or_b32_e32 v2, 0x100, v0
	v_cmp_gt_u32_e32 vcc, s4, v0
	v_add_u32_e32 v3, s5, v2
	s_min_u32 s6, s4, 0x100
	v_cndmask_b32_e32 v1, 0, v1, vcc
	v_cmp_gt_u32_e32 vcc, s4, v2
	v_and_b32_e32 v5, 0xc0, v0
	v_sub_u32_e64 v5, s6, v5 clamp
	v_cndmask_b32_e32 v2, 0, v3, vcc
	v_add_u32_e32 v1, v1, v2
	v_mbcnt_lo_u32_b32 v2, -1, 0
	v_mbcnt_hi_u32_b32 v2, -1, v2
	v_and_b32_e32 v4, 63, v2
	v_cmp_ne_u32_e32 vcc, 63, v4
	v_add_u32_e32 v6, 1, v4
	s_nop 0
	v_addc_co_u32_e32 v3, vcc, 0, v2, vcc
	v_lshlrev_b32_e32 v3, 2, v3
	ds_bpermute_b32 v3, v3, v1
	v_cmp_lt_u32_e32 vcc, v6, v5
	v_add_u32_e32 v6, 2, v4
	s_waitcnt lgkmcnt(0)
	v_cndmask_b32_e32 v3, 0, v3, vcc
	v_cmp_gt_u32_e32 vcc, 62, v4
	v_add_u32_e32 v1, v3, v1
	s_nop 0
	v_cndmask_b32_e64 v3, 0, 2, vcc
	v_add_lshl_u32 v3, v3, v2, 2
	ds_bpermute_b32 v3, v3, v1
	v_cmp_lt_u32_e32 vcc, v6, v5
	v_add_u32_e32 v6, 4, v4
	s_waitcnt lgkmcnt(0)
	v_cndmask_b32_e32 v3, 0, v3, vcc
	v_cmp_gt_u32_e32 vcc, 60, v4
	v_add_u32_e32 v1, v1, v3
	s_nop 0
	v_cndmask_b32_e64 v3, 0, 4, vcc
	v_add_lshl_u32 v3, v3, v2, 2
	;; [unrolled: 10-line block ×3, first 2 shown]
	ds_bpermute_b32 v3, v3, v1
	v_cmp_lt_u32_e32 vcc, v6, v5
	v_add_u32_e32 v6, 16, v4
	s_waitcnt lgkmcnt(0)
	v_cndmask_b32_e32 v3, 0, v3, vcc
	v_cmp_gt_u32_e32 vcc, 48, v4
	v_add_u32_e32 v1, v1, v3
	v_add_u32_e32 v4, 32, v4
	v_cndmask_b32_e64 v3, 0, 16, vcc
	v_add_lshl_u32 v3, v3, v2, 2
	ds_bpermute_b32 v3, v3, v1
	v_cmp_lt_u32_e32 vcc, v6, v5
	s_waitcnt lgkmcnt(0)
	s_nop 0
	v_cndmask_b32_e32 v3, 0, v3, vcc
	v_add_u32_e32 v1, v1, v3
	v_lshlrev_b32_e32 v3, 2, v2
	v_or_b32_e32 v6, 0x80, v3
	ds_bpermute_b32 v6, v6, v1
	v_cmp_lt_u32_e32 vcc, v4, v5
	s_waitcnt lgkmcnt(0)
	s_nop 0
	v_cndmask_b32_e32 v4, 0, v6, vcc
	v_add_u32_e32 v1, v1, v4
	v_cmp_eq_u32_e32 vcc, 0, v2
	s_and_saveexec_b64 s[4:5], vcc
; %bb.86:
	v_lshrrev_b32_e32 v4, 4, v0
	v_and_b32_e32 v4, 12, v4
	ds_write_b32 v4, v1 offset:96
; %bb.87:
	s_or_b64 exec, exec, s[4:5]
	v_cmp_gt_u32_e32 vcc, 4, v0
	s_waitcnt lgkmcnt(0)
	s_barrier
	s_and_saveexec_b64 s[4:5], vcc
	s_cbranch_execz .LBB1100_89
; %bb.88:
	ds_read_b32 v1, v3 offset:96
	v_and_b32_e32 v4, 3, v2
	v_cmp_ne_u32_e32 vcc, 3, v4
	s_add_i32 s6, s6, 63
	s_lshr_b32 s6, s6, 6
	v_addc_co_u32_e32 v2, vcc, 0, v2, vcc
	v_lshlrev_b32_e32 v2, 2, v2
	s_waitcnt lgkmcnt(0)
	ds_bpermute_b32 v2, v2, v1
	v_add_u32_e32 v5, 1, v4
	v_cmp_gt_u32_e32 vcc, s6, v5
	s_waitcnt lgkmcnt(0)
	s_nop 0
	v_cndmask_b32_e32 v2, 0, v2, vcc
	v_add_u32_e32 v1, v2, v1
	v_or_b32_e32 v2, 8, v3
	ds_bpermute_b32 v2, v2, v1
	v_add_u32_e32 v3, 2, v4
	v_cmp_gt_u32_e32 vcc, s6, v3
	s_waitcnt lgkmcnt(0)
	s_nop 0
	v_cndmask_b32_e32 v2, 0, v2, vcc
	v_add_u32_e32 v1, v1, v2
.LBB1100_89:
	s_or_b64 exec, exec, s[4:5]
.LBB1100_90:
	v_cmp_eq_u32_e64 s[4:5], 0, v0
	s_branch .LBB1100_100
.LBB1100_91:
	s_cmp_eq_u32 s10, 1
	s_cbranch_scc0 .LBB1100_99
; %bb.92:
	s_lshl_b32 s6, s2, 8
	s_mov_b32 s3, 0
	s_lshr_b64 s[4:5], s[12:13], 8
	s_cmp_lg_u64 s[4:5], s[2:3]
	v_mbcnt_lo_u32_b32 v2, -1, 0
	s_cbranch_scc0 .LBB1100_103
; %bb.93:
	s_add_i32 s4, s11, s6
	v_add_u32_e32 v1, s4, v0
	v_mbcnt_hi_u32_b32 v3, -1, v2
	v_lshlrev_b32_e32 v4, 2, v3
	v_add_u32_dpp v1, v1, v1 quad_perm:[1,0,3,2] row_mask:0xf bank_mask:0xf bound_ctrl:1
	v_or_b32_e32 v5, 0xfc, v4
	v_cmp_eq_u32_e32 vcc, 0, v3
	v_add_u32_dpp v1, v1, v1 quad_perm:[2,3,0,1] row_mask:0xf bank_mask:0xf bound_ctrl:1
	s_nop 1
	v_add_u32_dpp v1, v1, v1 row_ror:4 row_mask:0xf bank_mask:0xf bound_ctrl:1
	s_nop 1
	v_add_u32_dpp v1, v1, v1 row_ror:8 row_mask:0xf bank_mask:0xf bound_ctrl:1
	s_nop 1
	v_add_u32_dpp v1, v1, v1 row_bcast:15 row_mask:0xf bank_mask:0xf bound_ctrl:1
	s_nop 1
	v_add_u32_dpp v1, v1, v1 row_bcast:31 row_mask:0xf bank_mask:0xf bound_ctrl:1
	ds_bpermute_b32 v1, v5, v1
	s_and_saveexec_b64 s[4:5], vcc
	s_cbranch_execz .LBB1100_95
; %bb.94:
	v_lshrrev_b32_e32 v5, 4, v0
	v_and_b32_e32 v5, 12, v5
	s_waitcnt lgkmcnt(0)
	ds_write_b32 v5, v1 offset:16
.LBB1100_95:
	s_or_b64 exec, exec, s[4:5]
	v_cmp_gt_u32_e32 vcc, 64, v0
	s_waitcnt lgkmcnt(0)
	s_barrier
	s_and_saveexec_b64 s[4:5], vcc
	s_cbranch_execz .LBB1100_97
; %bb.96:
	v_and_b32_e32 v1, 3, v3
	v_lshlrev_b32_e32 v5, 2, v1
	ds_read_b32 v5, v5 offset:16
	v_cmp_ne_u32_e32 vcc, 3, v1
	s_nop 1
	v_addc_co_u32_e32 v1, vcc, 0, v3, vcc
	v_lshlrev_b32_e32 v1, 2, v1
	s_waitcnt lgkmcnt(0)
	ds_bpermute_b32 v1, v1, v5
	v_or_b32_e32 v3, 8, v4
	s_waitcnt lgkmcnt(0)
	v_add_u32_e32 v1, v1, v5
	ds_bpermute_b32 v3, v3, v1
	s_waitcnt lgkmcnt(0)
	v_add_u32_e32 v1, v3, v1
.LBB1100_97:
	s_or_b64 exec, exec, s[4:5]
.LBB1100_98:
	v_cmp_eq_u32_e64 s[4:5], 0, v0
	s_and_saveexec_b64 s[6:7], s[4:5]
	s_cbranch_execnz .LBB1100_101
	s_branch .LBB1100_102
.LBB1100_99:
                                        ; implicit-def: $vgpr1
                                        ; implicit-def: $sgpr2_sgpr3
.LBB1100_100:
	s_and_saveexec_b64 s[6:7], s[4:5]
	s_cbranch_execz .LBB1100_102
.LBB1100_101:
	s_load_dword s4, s[0:1], 0x20
	s_lshl_b64 s[0:1], s[2:3], 2
	s_add_u32 s0, s14, s0
	s_addc_u32 s1, s15, s1
	s_cmp_lg_u64 s[12:13], 0
	s_cselect_b64 vcc, -1, 0
	v_cndmask_b32_e32 v1, 0, v1, vcc
	v_mov_b32_e32 v0, 0
	s_waitcnt lgkmcnt(0)
	v_add_u32_e32 v1, s4, v1
	global_store_dword v0, v1, s[0:1]
.LBB1100_102:
	s_endpgm
.LBB1100_103:
                                        ; implicit-def: $vgpr1
	s_cbranch_execz .LBB1100_98
; %bb.104:
	v_mbcnt_hi_u32_b32 v2, -1, v2
	v_and_b32_e32 v4, 63, v2
	v_cmp_ne_u32_e32 vcc, 63, v4
	s_add_i32 s5, s11, s6
	v_add_u32_e32 v1, s5, v0
	v_addc_co_u32_e32 v3, vcc, 0, v2, vcc
	v_lshlrev_b32_e32 v3, 2, v3
	ds_bpermute_b32 v3, v3, v1
	s_sub_i32 s4, s12, s6
	s_min_u32 s6, s4, 0x100
	v_and_b32_e32 v5, 0xc0, v0
	v_sub_u32_e64 v5, s6, v5 clamp
	v_add_u32_e32 v6, 1, v4
	v_cmp_lt_u32_e32 vcc, v6, v5
	v_add_u32_e32 v6, 2, v4
	s_waitcnt lgkmcnt(0)
	v_cndmask_b32_e32 v3, 0, v3, vcc
	v_cmp_gt_u32_e32 vcc, 62, v4
	v_add_u32_e32 v1, v3, v1
	s_nop 0
	v_cndmask_b32_e64 v3, 0, 2, vcc
	v_add_lshl_u32 v3, v3, v2, 2
	ds_bpermute_b32 v3, v3, v1
	v_cmp_lt_u32_e32 vcc, v6, v5
	v_add_u32_e32 v6, 4, v4
	s_waitcnt lgkmcnt(0)
	v_cndmask_b32_e32 v3, 0, v3, vcc
	v_cmp_gt_u32_e32 vcc, 60, v4
	v_add_u32_e32 v1, v1, v3
	s_nop 0
	v_cndmask_b32_e64 v3, 0, 4, vcc
	v_add_lshl_u32 v3, v3, v2, 2
	ds_bpermute_b32 v3, v3, v1
	;; [unrolled: 10-line block ×3, first 2 shown]
	v_cmp_lt_u32_e32 vcc, v6, v5
	v_add_u32_e32 v6, 16, v4
	s_waitcnt lgkmcnt(0)
	v_cndmask_b32_e32 v3, 0, v3, vcc
	v_cmp_gt_u32_e32 vcc, 48, v4
	v_add_u32_e32 v1, v1, v3
	v_add_u32_e32 v4, 32, v4
	v_cndmask_b32_e64 v3, 0, 16, vcc
	v_add_lshl_u32 v3, v3, v2, 2
	ds_bpermute_b32 v3, v3, v1
	v_cmp_lt_u32_e32 vcc, v6, v5
	s_waitcnt lgkmcnt(0)
	s_nop 0
	v_cndmask_b32_e32 v3, 0, v3, vcc
	v_add_u32_e32 v1, v1, v3
	v_lshlrev_b32_e32 v3, 2, v2
	v_or_b32_e32 v6, 0x80, v3
	ds_bpermute_b32 v6, v6, v1
	v_cmp_lt_u32_e32 vcc, v4, v5
	s_waitcnt lgkmcnt(0)
	s_nop 0
	v_cndmask_b32_e32 v4, 0, v6, vcc
	v_add_u32_e32 v1, v1, v4
	v_cmp_eq_u32_e32 vcc, 0, v2
	s_and_saveexec_b64 s[4:5], vcc
; %bb.105:
	v_lshrrev_b32_e32 v4, 4, v0
	v_and_b32_e32 v4, 12, v4
	ds_write_b32 v4, v1 offset:96
; %bb.106:
	s_or_b64 exec, exec, s[4:5]
	v_cmp_gt_u32_e32 vcc, 4, v0
	s_waitcnt lgkmcnt(0)
	s_barrier
	s_and_saveexec_b64 s[4:5], vcc
	s_cbranch_execz .LBB1100_108
; %bb.107:
	ds_read_b32 v1, v3 offset:96
	v_and_b32_e32 v4, 3, v2
	v_cmp_ne_u32_e32 vcc, 3, v4
	s_add_i32 s6, s6, 63
	s_lshr_b32 s6, s6, 6
	v_addc_co_u32_e32 v2, vcc, 0, v2, vcc
	v_lshlrev_b32_e32 v2, 2, v2
	s_waitcnt lgkmcnt(0)
	ds_bpermute_b32 v2, v2, v1
	v_add_u32_e32 v5, 1, v4
	v_cmp_gt_u32_e32 vcc, s6, v5
	s_waitcnt lgkmcnt(0)
	s_nop 0
	v_cndmask_b32_e32 v2, 0, v2, vcc
	v_add_u32_e32 v1, v2, v1
	v_or_b32_e32 v2, 8, v3
	ds_bpermute_b32 v2, v2, v1
	v_add_u32_e32 v3, 2, v4
	v_cmp_gt_u32_e32 vcc, s6, v3
	s_waitcnt lgkmcnt(0)
	s_nop 0
	v_cndmask_b32_e32 v2, 0, v2, vcc
	v_add_u32_e32 v1, v1, v2
.LBB1100_108:
	s_or_b64 exec, exec, s[4:5]
	v_cmp_eq_u32_e64 s[4:5], 0, v0
	s_and_saveexec_b64 s[6:7], s[4:5]
	s_cbranch_execnz .LBB1100_101
	s_branch .LBB1100_102
	.section	.rodata,"a",@progbits
	.p2align	6, 0x0
	.amdhsa_kernel _ZN7rocprim17ROCPRIM_400000_NS6detail17trampoline_kernelINS0_14default_configENS1_22reduce_config_selectorIiEEZNS1_11reduce_implILb1ES3_N6thrust23THRUST_200600_302600_NS17counting_iteratorIiNS8_11hip_rocprim3tagENS8_11use_defaultESC_EEPiiNS8_4plusIiEEEE10hipError_tPvRmT1_T2_T3_mT4_P12ihipStream_tbEUlT_E1_NS1_11comp_targetILNS1_3genE0ELNS1_11target_archE4294967295ELNS1_3gpuE0ELNS1_3repE0EEENS1_30default_config_static_selectorELNS0_4arch9wavefront6targetE1EEEvSK_
		.amdhsa_group_segment_fixed_size 112
		.amdhsa_private_segment_fixed_size 0
		.amdhsa_kernarg_size 40
		.amdhsa_user_sgpr_count 2
		.amdhsa_user_sgpr_dispatch_ptr 0
		.amdhsa_user_sgpr_queue_ptr 0
		.amdhsa_user_sgpr_kernarg_segment_ptr 1
		.amdhsa_user_sgpr_dispatch_id 0
		.amdhsa_user_sgpr_kernarg_preload_length 0
		.amdhsa_user_sgpr_kernarg_preload_offset 0
		.amdhsa_user_sgpr_private_segment_size 0
		.amdhsa_uses_dynamic_stack 0
		.amdhsa_enable_private_segment 0
		.amdhsa_system_sgpr_workgroup_id_x 1
		.amdhsa_system_sgpr_workgroup_id_y 0
		.amdhsa_system_sgpr_workgroup_id_z 0
		.amdhsa_system_sgpr_workgroup_info 0
		.amdhsa_system_vgpr_workitem_id 0
		.amdhsa_next_free_vgpr 60
		.amdhsa_next_free_sgpr 20
		.amdhsa_accum_offset 60
		.amdhsa_reserve_vcc 1
		.amdhsa_float_round_mode_32 0
		.amdhsa_float_round_mode_16_64 0
		.amdhsa_float_denorm_mode_32 3
		.amdhsa_float_denorm_mode_16_64 3
		.amdhsa_dx10_clamp 1
		.amdhsa_ieee_mode 1
		.amdhsa_fp16_overflow 0
		.amdhsa_tg_split 0
		.amdhsa_exception_fp_ieee_invalid_op 0
		.amdhsa_exception_fp_denorm_src 0
		.amdhsa_exception_fp_ieee_div_zero 0
		.amdhsa_exception_fp_ieee_overflow 0
		.amdhsa_exception_fp_ieee_underflow 0
		.amdhsa_exception_fp_ieee_inexact 0
		.amdhsa_exception_int_div_zero 0
	.end_amdhsa_kernel
	.section	.text._ZN7rocprim17ROCPRIM_400000_NS6detail17trampoline_kernelINS0_14default_configENS1_22reduce_config_selectorIiEEZNS1_11reduce_implILb1ES3_N6thrust23THRUST_200600_302600_NS17counting_iteratorIiNS8_11hip_rocprim3tagENS8_11use_defaultESC_EEPiiNS8_4plusIiEEEE10hipError_tPvRmT1_T2_T3_mT4_P12ihipStream_tbEUlT_E1_NS1_11comp_targetILNS1_3genE0ELNS1_11target_archE4294967295ELNS1_3gpuE0ELNS1_3repE0EEENS1_30default_config_static_selectorELNS0_4arch9wavefront6targetE1EEEvSK_,"axG",@progbits,_ZN7rocprim17ROCPRIM_400000_NS6detail17trampoline_kernelINS0_14default_configENS1_22reduce_config_selectorIiEEZNS1_11reduce_implILb1ES3_N6thrust23THRUST_200600_302600_NS17counting_iteratorIiNS8_11hip_rocprim3tagENS8_11use_defaultESC_EEPiiNS8_4plusIiEEEE10hipError_tPvRmT1_T2_T3_mT4_P12ihipStream_tbEUlT_E1_NS1_11comp_targetILNS1_3genE0ELNS1_11target_archE4294967295ELNS1_3gpuE0ELNS1_3repE0EEENS1_30default_config_static_selectorELNS0_4arch9wavefront6targetE1EEEvSK_,comdat
.Lfunc_end1100:
	.size	_ZN7rocprim17ROCPRIM_400000_NS6detail17trampoline_kernelINS0_14default_configENS1_22reduce_config_selectorIiEEZNS1_11reduce_implILb1ES3_N6thrust23THRUST_200600_302600_NS17counting_iteratorIiNS8_11hip_rocprim3tagENS8_11use_defaultESC_EEPiiNS8_4plusIiEEEE10hipError_tPvRmT1_T2_T3_mT4_P12ihipStream_tbEUlT_E1_NS1_11comp_targetILNS1_3genE0ELNS1_11target_archE4294967295ELNS1_3gpuE0ELNS1_3repE0EEENS1_30default_config_static_selectorELNS0_4arch9wavefront6targetE1EEEvSK_, .Lfunc_end1100-_ZN7rocprim17ROCPRIM_400000_NS6detail17trampoline_kernelINS0_14default_configENS1_22reduce_config_selectorIiEEZNS1_11reduce_implILb1ES3_N6thrust23THRUST_200600_302600_NS17counting_iteratorIiNS8_11hip_rocprim3tagENS8_11use_defaultESC_EEPiiNS8_4plusIiEEEE10hipError_tPvRmT1_T2_T3_mT4_P12ihipStream_tbEUlT_E1_NS1_11comp_targetILNS1_3genE0ELNS1_11target_archE4294967295ELNS1_3gpuE0ELNS1_3repE0EEENS1_30default_config_static_selectorELNS0_4arch9wavefront6targetE1EEEvSK_
                                        ; -- End function
	.set _ZN7rocprim17ROCPRIM_400000_NS6detail17trampoline_kernelINS0_14default_configENS1_22reduce_config_selectorIiEEZNS1_11reduce_implILb1ES3_N6thrust23THRUST_200600_302600_NS17counting_iteratorIiNS8_11hip_rocprim3tagENS8_11use_defaultESC_EEPiiNS8_4plusIiEEEE10hipError_tPvRmT1_T2_T3_mT4_P12ihipStream_tbEUlT_E1_NS1_11comp_targetILNS1_3genE0ELNS1_11target_archE4294967295ELNS1_3gpuE0ELNS1_3repE0EEENS1_30default_config_static_selectorELNS0_4arch9wavefront6targetE1EEEvSK_.num_vgpr, 60
	.set _ZN7rocprim17ROCPRIM_400000_NS6detail17trampoline_kernelINS0_14default_configENS1_22reduce_config_selectorIiEEZNS1_11reduce_implILb1ES3_N6thrust23THRUST_200600_302600_NS17counting_iteratorIiNS8_11hip_rocprim3tagENS8_11use_defaultESC_EEPiiNS8_4plusIiEEEE10hipError_tPvRmT1_T2_T3_mT4_P12ihipStream_tbEUlT_E1_NS1_11comp_targetILNS1_3genE0ELNS1_11target_archE4294967295ELNS1_3gpuE0ELNS1_3repE0EEENS1_30default_config_static_selectorELNS0_4arch9wavefront6targetE1EEEvSK_.num_agpr, 0
	.set _ZN7rocprim17ROCPRIM_400000_NS6detail17trampoline_kernelINS0_14default_configENS1_22reduce_config_selectorIiEEZNS1_11reduce_implILb1ES3_N6thrust23THRUST_200600_302600_NS17counting_iteratorIiNS8_11hip_rocprim3tagENS8_11use_defaultESC_EEPiiNS8_4plusIiEEEE10hipError_tPvRmT1_T2_T3_mT4_P12ihipStream_tbEUlT_E1_NS1_11comp_targetILNS1_3genE0ELNS1_11target_archE4294967295ELNS1_3gpuE0ELNS1_3repE0EEENS1_30default_config_static_selectorELNS0_4arch9wavefront6targetE1EEEvSK_.numbered_sgpr, 20
	.set _ZN7rocprim17ROCPRIM_400000_NS6detail17trampoline_kernelINS0_14default_configENS1_22reduce_config_selectorIiEEZNS1_11reduce_implILb1ES3_N6thrust23THRUST_200600_302600_NS17counting_iteratorIiNS8_11hip_rocprim3tagENS8_11use_defaultESC_EEPiiNS8_4plusIiEEEE10hipError_tPvRmT1_T2_T3_mT4_P12ihipStream_tbEUlT_E1_NS1_11comp_targetILNS1_3genE0ELNS1_11target_archE4294967295ELNS1_3gpuE0ELNS1_3repE0EEENS1_30default_config_static_selectorELNS0_4arch9wavefront6targetE1EEEvSK_.num_named_barrier, 0
	.set _ZN7rocprim17ROCPRIM_400000_NS6detail17trampoline_kernelINS0_14default_configENS1_22reduce_config_selectorIiEEZNS1_11reduce_implILb1ES3_N6thrust23THRUST_200600_302600_NS17counting_iteratorIiNS8_11hip_rocprim3tagENS8_11use_defaultESC_EEPiiNS8_4plusIiEEEE10hipError_tPvRmT1_T2_T3_mT4_P12ihipStream_tbEUlT_E1_NS1_11comp_targetILNS1_3genE0ELNS1_11target_archE4294967295ELNS1_3gpuE0ELNS1_3repE0EEENS1_30default_config_static_selectorELNS0_4arch9wavefront6targetE1EEEvSK_.private_seg_size, 0
	.set _ZN7rocprim17ROCPRIM_400000_NS6detail17trampoline_kernelINS0_14default_configENS1_22reduce_config_selectorIiEEZNS1_11reduce_implILb1ES3_N6thrust23THRUST_200600_302600_NS17counting_iteratorIiNS8_11hip_rocprim3tagENS8_11use_defaultESC_EEPiiNS8_4plusIiEEEE10hipError_tPvRmT1_T2_T3_mT4_P12ihipStream_tbEUlT_E1_NS1_11comp_targetILNS1_3genE0ELNS1_11target_archE4294967295ELNS1_3gpuE0ELNS1_3repE0EEENS1_30default_config_static_selectorELNS0_4arch9wavefront6targetE1EEEvSK_.uses_vcc, 1
	.set _ZN7rocprim17ROCPRIM_400000_NS6detail17trampoline_kernelINS0_14default_configENS1_22reduce_config_selectorIiEEZNS1_11reduce_implILb1ES3_N6thrust23THRUST_200600_302600_NS17counting_iteratorIiNS8_11hip_rocprim3tagENS8_11use_defaultESC_EEPiiNS8_4plusIiEEEE10hipError_tPvRmT1_T2_T3_mT4_P12ihipStream_tbEUlT_E1_NS1_11comp_targetILNS1_3genE0ELNS1_11target_archE4294967295ELNS1_3gpuE0ELNS1_3repE0EEENS1_30default_config_static_selectorELNS0_4arch9wavefront6targetE1EEEvSK_.uses_flat_scratch, 0
	.set _ZN7rocprim17ROCPRIM_400000_NS6detail17trampoline_kernelINS0_14default_configENS1_22reduce_config_selectorIiEEZNS1_11reduce_implILb1ES3_N6thrust23THRUST_200600_302600_NS17counting_iteratorIiNS8_11hip_rocprim3tagENS8_11use_defaultESC_EEPiiNS8_4plusIiEEEE10hipError_tPvRmT1_T2_T3_mT4_P12ihipStream_tbEUlT_E1_NS1_11comp_targetILNS1_3genE0ELNS1_11target_archE4294967295ELNS1_3gpuE0ELNS1_3repE0EEENS1_30default_config_static_selectorELNS0_4arch9wavefront6targetE1EEEvSK_.has_dyn_sized_stack, 0
	.set _ZN7rocprim17ROCPRIM_400000_NS6detail17trampoline_kernelINS0_14default_configENS1_22reduce_config_selectorIiEEZNS1_11reduce_implILb1ES3_N6thrust23THRUST_200600_302600_NS17counting_iteratorIiNS8_11hip_rocprim3tagENS8_11use_defaultESC_EEPiiNS8_4plusIiEEEE10hipError_tPvRmT1_T2_T3_mT4_P12ihipStream_tbEUlT_E1_NS1_11comp_targetILNS1_3genE0ELNS1_11target_archE4294967295ELNS1_3gpuE0ELNS1_3repE0EEENS1_30default_config_static_selectorELNS0_4arch9wavefront6targetE1EEEvSK_.has_recursion, 0
	.set _ZN7rocprim17ROCPRIM_400000_NS6detail17trampoline_kernelINS0_14default_configENS1_22reduce_config_selectorIiEEZNS1_11reduce_implILb1ES3_N6thrust23THRUST_200600_302600_NS17counting_iteratorIiNS8_11hip_rocprim3tagENS8_11use_defaultESC_EEPiiNS8_4plusIiEEEE10hipError_tPvRmT1_T2_T3_mT4_P12ihipStream_tbEUlT_E1_NS1_11comp_targetILNS1_3genE0ELNS1_11target_archE4294967295ELNS1_3gpuE0ELNS1_3repE0EEENS1_30default_config_static_selectorELNS0_4arch9wavefront6targetE1EEEvSK_.has_indirect_call, 0
	.section	.AMDGPU.csdata,"",@progbits
; Kernel info:
; codeLenInByte = 6548
; TotalNumSgprs: 26
; NumVgprs: 60
; NumAgprs: 0
; TotalNumVgprs: 60
; ScratchSize: 0
; MemoryBound: 0
; FloatMode: 240
; IeeeMode: 1
; LDSByteSize: 112 bytes/workgroup (compile time only)
; SGPRBlocks: 3
; VGPRBlocks: 7
; NumSGPRsForWavesPerEU: 26
; NumVGPRsForWavesPerEU: 60
; AccumOffset: 60
; Occupancy: 8
; WaveLimiterHint : 0
; COMPUTE_PGM_RSRC2:SCRATCH_EN: 0
; COMPUTE_PGM_RSRC2:USER_SGPR: 2
; COMPUTE_PGM_RSRC2:TRAP_HANDLER: 0
; COMPUTE_PGM_RSRC2:TGID_X_EN: 1
; COMPUTE_PGM_RSRC2:TGID_Y_EN: 0
; COMPUTE_PGM_RSRC2:TGID_Z_EN: 0
; COMPUTE_PGM_RSRC2:TIDIG_COMP_CNT: 0
; COMPUTE_PGM_RSRC3_GFX90A:ACCUM_OFFSET: 14
; COMPUTE_PGM_RSRC3_GFX90A:TG_SPLIT: 0
	.section	.text._ZN7rocprim17ROCPRIM_400000_NS6detail17trampoline_kernelINS0_14default_configENS1_22reduce_config_selectorIiEEZNS1_11reduce_implILb1ES3_N6thrust23THRUST_200600_302600_NS17counting_iteratorIiNS8_11hip_rocprim3tagENS8_11use_defaultESC_EEPiiNS8_4plusIiEEEE10hipError_tPvRmT1_T2_T3_mT4_P12ihipStream_tbEUlT_E1_NS1_11comp_targetILNS1_3genE5ELNS1_11target_archE942ELNS1_3gpuE9ELNS1_3repE0EEENS1_30default_config_static_selectorELNS0_4arch9wavefront6targetE1EEEvSK_,"axG",@progbits,_ZN7rocprim17ROCPRIM_400000_NS6detail17trampoline_kernelINS0_14default_configENS1_22reduce_config_selectorIiEEZNS1_11reduce_implILb1ES3_N6thrust23THRUST_200600_302600_NS17counting_iteratorIiNS8_11hip_rocprim3tagENS8_11use_defaultESC_EEPiiNS8_4plusIiEEEE10hipError_tPvRmT1_T2_T3_mT4_P12ihipStream_tbEUlT_E1_NS1_11comp_targetILNS1_3genE5ELNS1_11target_archE942ELNS1_3gpuE9ELNS1_3repE0EEENS1_30default_config_static_selectorELNS0_4arch9wavefront6targetE1EEEvSK_,comdat
	.protected	_ZN7rocprim17ROCPRIM_400000_NS6detail17trampoline_kernelINS0_14default_configENS1_22reduce_config_selectorIiEEZNS1_11reduce_implILb1ES3_N6thrust23THRUST_200600_302600_NS17counting_iteratorIiNS8_11hip_rocprim3tagENS8_11use_defaultESC_EEPiiNS8_4plusIiEEEE10hipError_tPvRmT1_T2_T3_mT4_P12ihipStream_tbEUlT_E1_NS1_11comp_targetILNS1_3genE5ELNS1_11target_archE942ELNS1_3gpuE9ELNS1_3repE0EEENS1_30default_config_static_selectorELNS0_4arch9wavefront6targetE1EEEvSK_ ; -- Begin function _ZN7rocprim17ROCPRIM_400000_NS6detail17trampoline_kernelINS0_14default_configENS1_22reduce_config_selectorIiEEZNS1_11reduce_implILb1ES3_N6thrust23THRUST_200600_302600_NS17counting_iteratorIiNS8_11hip_rocprim3tagENS8_11use_defaultESC_EEPiiNS8_4plusIiEEEE10hipError_tPvRmT1_T2_T3_mT4_P12ihipStream_tbEUlT_E1_NS1_11comp_targetILNS1_3genE5ELNS1_11target_archE942ELNS1_3gpuE9ELNS1_3repE0EEENS1_30default_config_static_selectorELNS0_4arch9wavefront6targetE1EEEvSK_
	.globl	_ZN7rocprim17ROCPRIM_400000_NS6detail17trampoline_kernelINS0_14default_configENS1_22reduce_config_selectorIiEEZNS1_11reduce_implILb1ES3_N6thrust23THRUST_200600_302600_NS17counting_iteratorIiNS8_11hip_rocprim3tagENS8_11use_defaultESC_EEPiiNS8_4plusIiEEEE10hipError_tPvRmT1_T2_T3_mT4_P12ihipStream_tbEUlT_E1_NS1_11comp_targetILNS1_3genE5ELNS1_11target_archE942ELNS1_3gpuE9ELNS1_3repE0EEENS1_30default_config_static_selectorELNS0_4arch9wavefront6targetE1EEEvSK_
	.p2align	8
	.type	_ZN7rocprim17ROCPRIM_400000_NS6detail17trampoline_kernelINS0_14default_configENS1_22reduce_config_selectorIiEEZNS1_11reduce_implILb1ES3_N6thrust23THRUST_200600_302600_NS17counting_iteratorIiNS8_11hip_rocprim3tagENS8_11use_defaultESC_EEPiiNS8_4plusIiEEEE10hipError_tPvRmT1_T2_T3_mT4_P12ihipStream_tbEUlT_E1_NS1_11comp_targetILNS1_3genE5ELNS1_11target_archE942ELNS1_3gpuE9ELNS1_3repE0EEENS1_30default_config_static_selectorELNS0_4arch9wavefront6targetE1EEEvSK_,@function
_ZN7rocprim17ROCPRIM_400000_NS6detail17trampoline_kernelINS0_14default_configENS1_22reduce_config_selectorIiEEZNS1_11reduce_implILb1ES3_N6thrust23THRUST_200600_302600_NS17counting_iteratorIiNS8_11hip_rocprim3tagENS8_11use_defaultESC_EEPiiNS8_4plusIiEEEE10hipError_tPvRmT1_T2_T3_mT4_P12ihipStream_tbEUlT_E1_NS1_11comp_targetILNS1_3genE5ELNS1_11target_archE942ELNS1_3gpuE9ELNS1_3repE0EEENS1_30default_config_static_selectorELNS0_4arch9wavefront6targetE1EEEvSK_: ; @_ZN7rocprim17ROCPRIM_400000_NS6detail17trampoline_kernelINS0_14default_configENS1_22reduce_config_selectorIiEEZNS1_11reduce_implILb1ES3_N6thrust23THRUST_200600_302600_NS17counting_iteratorIiNS8_11hip_rocprim3tagENS8_11use_defaultESC_EEPiiNS8_4plusIiEEEE10hipError_tPvRmT1_T2_T3_mT4_P12ihipStream_tbEUlT_E1_NS1_11comp_targetILNS1_3genE5ELNS1_11target_archE942ELNS1_3gpuE9ELNS1_3repE0EEENS1_30default_config_static_selectorELNS0_4arch9wavefront6targetE1EEEvSK_
; %bb.0:
	.section	.rodata,"a",@progbits
	.p2align	6, 0x0
	.amdhsa_kernel _ZN7rocprim17ROCPRIM_400000_NS6detail17trampoline_kernelINS0_14default_configENS1_22reduce_config_selectorIiEEZNS1_11reduce_implILb1ES3_N6thrust23THRUST_200600_302600_NS17counting_iteratorIiNS8_11hip_rocprim3tagENS8_11use_defaultESC_EEPiiNS8_4plusIiEEEE10hipError_tPvRmT1_T2_T3_mT4_P12ihipStream_tbEUlT_E1_NS1_11comp_targetILNS1_3genE5ELNS1_11target_archE942ELNS1_3gpuE9ELNS1_3repE0EEENS1_30default_config_static_selectorELNS0_4arch9wavefront6targetE1EEEvSK_
		.amdhsa_group_segment_fixed_size 0
		.amdhsa_private_segment_fixed_size 0
		.amdhsa_kernarg_size 40
		.amdhsa_user_sgpr_count 2
		.amdhsa_user_sgpr_dispatch_ptr 0
		.amdhsa_user_sgpr_queue_ptr 0
		.amdhsa_user_sgpr_kernarg_segment_ptr 1
		.amdhsa_user_sgpr_dispatch_id 0
		.amdhsa_user_sgpr_kernarg_preload_length 0
		.amdhsa_user_sgpr_kernarg_preload_offset 0
		.amdhsa_user_sgpr_private_segment_size 0
		.amdhsa_uses_dynamic_stack 0
		.amdhsa_enable_private_segment 0
		.amdhsa_system_sgpr_workgroup_id_x 1
		.amdhsa_system_sgpr_workgroup_id_y 0
		.amdhsa_system_sgpr_workgroup_id_z 0
		.amdhsa_system_sgpr_workgroup_info 0
		.amdhsa_system_vgpr_workitem_id 0
		.amdhsa_next_free_vgpr 1
		.amdhsa_next_free_sgpr 0
		.amdhsa_accum_offset 4
		.amdhsa_reserve_vcc 0
		.amdhsa_float_round_mode_32 0
		.amdhsa_float_round_mode_16_64 0
		.amdhsa_float_denorm_mode_32 3
		.amdhsa_float_denorm_mode_16_64 3
		.amdhsa_dx10_clamp 1
		.amdhsa_ieee_mode 1
		.amdhsa_fp16_overflow 0
		.amdhsa_tg_split 0
		.amdhsa_exception_fp_ieee_invalid_op 0
		.amdhsa_exception_fp_denorm_src 0
		.amdhsa_exception_fp_ieee_div_zero 0
		.amdhsa_exception_fp_ieee_overflow 0
		.amdhsa_exception_fp_ieee_underflow 0
		.amdhsa_exception_fp_ieee_inexact 0
		.amdhsa_exception_int_div_zero 0
	.end_amdhsa_kernel
	.section	.text._ZN7rocprim17ROCPRIM_400000_NS6detail17trampoline_kernelINS0_14default_configENS1_22reduce_config_selectorIiEEZNS1_11reduce_implILb1ES3_N6thrust23THRUST_200600_302600_NS17counting_iteratorIiNS8_11hip_rocprim3tagENS8_11use_defaultESC_EEPiiNS8_4plusIiEEEE10hipError_tPvRmT1_T2_T3_mT4_P12ihipStream_tbEUlT_E1_NS1_11comp_targetILNS1_3genE5ELNS1_11target_archE942ELNS1_3gpuE9ELNS1_3repE0EEENS1_30default_config_static_selectorELNS0_4arch9wavefront6targetE1EEEvSK_,"axG",@progbits,_ZN7rocprim17ROCPRIM_400000_NS6detail17trampoline_kernelINS0_14default_configENS1_22reduce_config_selectorIiEEZNS1_11reduce_implILb1ES3_N6thrust23THRUST_200600_302600_NS17counting_iteratorIiNS8_11hip_rocprim3tagENS8_11use_defaultESC_EEPiiNS8_4plusIiEEEE10hipError_tPvRmT1_T2_T3_mT4_P12ihipStream_tbEUlT_E1_NS1_11comp_targetILNS1_3genE5ELNS1_11target_archE942ELNS1_3gpuE9ELNS1_3repE0EEENS1_30default_config_static_selectorELNS0_4arch9wavefront6targetE1EEEvSK_,comdat
.Lfunc_end1101:
	.size	_ZN7rocprim17ROCPRIM_400000_NS6detail17trampoline_kernelINS0_14default_configENS1_22reduce_config_selectorIiEEZNS1_11reduce_implILb1ES3_N6thrust23THRUST_200600_302600_NS17counting_iteratorIiNS8_11hip_rocprim3tagENS8_11use_defaultESC_EEPiiNS8_4plusIiEEEE10hipError_tPvRmT1_T2_T3_mT4_P12ihipStream_tbEUlT_E1_NS1_11comp_targetILNS1_3genE5ELNS1_11target_archE942ELNS1_3gpuE9ELNS1_3repE0EEENS1_30default_config_static_selectorELNS0_4arch9wavefront6targetE1EEEvSK_, .Lfunc_end1101-_ZN7rocprim17ROCPRIM_400000_NS6detail17trampoline_kernelINS0_14default_configENS1_22reduce_config_selectorIiEEZNS1_11reduce_implILb1ES3_N6thrust23THRUST_200600_302600_NS17counting_iteratorIiNS8_11hip_rocprim3tagENS8_11use_defaultESC_EEPiiNS8_4plusIiEEEE10hipError_tPvRmT1_T2_T3_mT4_P12ihipStream_tbEUlT_E1_NS1_11comp_targetILNS1_3genE5ELNS1_11target_archE942ELNS1_3gpuE9ELNS1_3repE0EEENS1_30default_config_static_selectorELNS0_4arch9wavefront6targetE1EEEvSK_
                                        ; -- End function
	.set _ZN7rocprim17ROCPRIM_400000_NS6detail17trampoline_kernelINS0_14default_configENS1_22reduce_config_selectorIiEEZNS1_11reduce_implILb1ES3_N6thrust23THRUST_200600_302600_NS17counting_iteratorIiNS8_11hip_rocprim3tagENS8_11use_defaultESC_EEPiiNS8_4plusIiEEEE10hipError_tPvRmT1_T2_T3_mT4_P12ihipStream_tbEUlT_E1_NS1_11comp_targetILNS1_3genE5ELNS1_11target_archE942ELNS1_3gpuE9ELNS1_3repE0EEENS1_30default_config_static_selectorELNS0_4arch9wavefront6targetE1EEEvSK_.num_vgpr, 0
	.set _ZN7rocprim17ROCPRIM_400000_NS6detail17trampoline_kernelINS0_14default_configENS1_22reduce_config_selectorIiEEZNS1_11reduce_implILb1ES3_N6thrust23THRUST_200600_302600_NS17counting_iteratorIiNS8_11hip_rocprim3tagENS8_11use_defaultESC_EEPiiNS8_4plusIiEEEE10hipError_tPvRmT1_T2_T3_mT4_P12ihipStream_tbEUlT_E1_NS1_11comp_targetILNS1_3genE5ELNS1_11target_archE942ELNS1_3gpuE9ELNS1_3repE0EEENS1_30default_config_static_selectorELNS0_4arch9wavefront6targetE1EEEvSK_.num_agpr, 0
	.set _ZN7rocprim17ROCPRIM_400000_NS6detail17trampoline_kernelINS0_14default_configENS1_22reduce_config_selectorIiEEZNS1_11reduce_implILb1ES3_N6thrust23THRUST_200600_302600_NS17counting_iteratorIiNS8_11hip_rocprim3tagENS8_11use_defaultESC_EEPiiNS8_4plusIiEEEE10hipError_tPvRmT1_T2_T3_mT4_P12ihipStream_tbEUlT_E1_NS1_11comp_targetILNS1_3genE5ELNS1_11target_archE942ELNS1_3gpuE9ELNS1_3repE0EEENS1_30default_config_static_selectorELNS0_4arch9wavefront6targetE1EEEvSK_.numbered_sgpr, 0
	.set _ZN7rocprim17ROCPRIM_400000_NS6detail17trampoline_kernelINS0_14default_configENS1_22reduce_config_selectorIiEEZNS1_11reduce_implILb1ES3_N6thrust23THRUST_200600_302600_NS17counting_iteratorIiNS8_11hip_rocprim3tagENS8_11use_defaultESC_EEPiiNS8_4plusIiEEEE10hipError_tPvRmT1_T2_T3_mT4_P12ihipStream_tbEUlT_E1_NS1_11comp_targetILNS1_3genE5ELNS1_11target_archE942ELNS1_3gpuE9ELNS1_3repE0EEENS1_30default_config_static_selectorELNS0_4arch9wavefront6targetE1EEEvSK_.num_named_barrier, 0
	.set _ZN7rocprim17ROCPRIM_400000_NS6detail17trampoline_kernelINS0_14default_configENS1_22reduce_config_selectorIiEEZNS1_11reduce_implILb1ES3_N6thrust23THRUST_200600_302600_NS17counting_iteratorIiNS8_11hip_rocprim3tagENS8_11use_defaultESC_EEPiiNS8_4plusIiEEEE10hipError_tPvRmT1_T2_T3_mT4_P12ihipStream_tbEUlT_E1_NS1_11comp_targetILNS1_3genE5ELNS1_11target_archE942ELNS1_3gpuE9ELNS1_3repE0EEENS1_30default_config_static_selectorELNS0_4arch9wavefront6targetE1EEEvSK_.private_seg_size, 0
	.set _ZN7rocprim17ROCPRIM_400000_NS6detail17trampoline_kernelINS0_14default_configENS1_22reduce_config_selectorIiEEZNS1_11reduce_implILb1ES3_N6thrust23THRUST_200600_302600_NS17counting_iteratorIiNS8_11hip_rocprim3tagENS8_11use_defaultESC_EEPiiNS8_4plusIiEEEE10hipError_tPvRmT1_T2_T3_mT4_P12ihipStream_tbEUlT_E1_NS1_11comp_targetILNS1_3genE5ELNS1_11target_archE942ELNS1_3gpuE9ELNS1_3repE0EEENS1_30default_config_static_selectorELNS0_4arch9wavefront6targetE1EEEvSK_.uses_vcc, 0
	.set _ZN7rocprim17ROCPRIM_400000_NS6detail17trampoline_kernelINS0_14default_configENS1_22reduce_config_selectorIiEEZNS1_11reduce_implILb1ES3_N6thrust23THRUST_200600_302600_NS17counting_iteratorIiNS8_11hip_rocprim3tagENS8_11use_defaultESC_EEPiiNS8_4plusIiEEEE10hipError_tPvRmT1_T2_T3_mT4_P12ihipStream_tbEUlT_E1_NS1_11comp_targetILNS1_3genE5ELNS1_11target_archE942ELNS1_3gpuE9ELNS1_3repE0EEENS1_30default_config_static_selectorELNS0_4arch9wavefront6targetE1EEEvSK_.uses_flat_scratch, 0
	.set _ZN7rocprim17ROCPRIM_400000_NS6detail17trampoline_kernelINS0_14default_configENS1_22reduce_config_selectorIiEEZNS1_11reduce_implILb1ES3_N6thrust23THRUST_200600_302600_NS17counting_iteratorIiNS8_11hip_rocprim3tagENS8_11use_defaultESC_EEPiiNS8_4plusIiEEEE10hipError_tPvRmT1_T2_T3_mT4_P12ihipStream_tbEUlT_E1_NS1_11comp_targetILNS1_3genE5ELNS1_11target_archE942ELNS1_3gpuE9ELNS1_3repE0EEENS1_30default_config_static_selectorELNS0_4arch9wavefront6targetE1EEEvSK_.has_dyn_sized_stack, 0
	.set _ZN7rocprim17ROCPRIM_400000_NS6detail17trampoline_kernelINS0_14default_configENS1_22reduce_config_selectorIiEEZNS1_11reduce_implILb1ES3_N6thrust23THRUST_200600_302600_NS17counting_iteratorIiNS8_11hip_rocprim3tagENS8_11use_defaultESC_EEPiiNS8_4plusIiEEEE10hipError_tPvRmT1_T2_T3_mT4_P12ihipStream_tbEUlT_E1_NS1_11comp_targetILNS1_3genE5ELNS1_11target_archE942ELNS1_3gpuE9ELNS1_3repE0EEENS1_30default_config_static_selectorELNS0_4arch9wavefront6targetE1EEEvSK_.has_recursion, 0
	.set _ZN7rocprim17ROCPRIM_400000_NS6detail17trampoline_kernelINS0_14default_configENS1_22reduce_config_selectorIiEEZNS1_11reduce_implILb1ES3_N6thrust23THRUST_200600_302600_NS17counting_iteratorIiNS8_11hip_rocprim3tagENS8_11use_defaultESC_EEPiiNS8_4plusIiEEEE10hipError_tPvRmT1_T2_T3_mT4_P12ihipStream_tbEUlT_E1_NS1_11comp_targetILNS1_3genE5ELNS1_11target_archE942ELNS1_3gpuE9ELNS1_3repE0EEENS1_30default_config_static_selectorELNS0_4arch9wavefront6targetE1EEEvSK_.has_indirect_call, 0
	.section	.AMDGPU.csdata,"",@progbits
; Kernel info:
; codeLenInByte = 0
; TotalNumSgprs: 6
; NumVgprs: 0
; NumAgprs: 0
; TotalNumVgprs: 0
; ScratchSize: 0
; MemoryBound: 0
; FloatMode: 240
; IeeeMode: 1
; LDSByteSize: 0 bytes/workgroup (compile time only)
; SGPRBlocks: 0
; VGPRBlocks: 0
; NumSGPRsForWavesPerEU: 6
; NumVGPRsForWavesPerEU: 1
; AccumOffset: 4
; Occupancy: 8
; WaveLimiterHint : 0
; COMPUTE_PGM_RSRC2:SCRATCH_EN: 0
; COMPUTE_PGM_RSRC2:USER_SGPR: 2
; COMPUTE_PGM_RSRC2:TRAP_HANDLER: 0
; COMPUTE_PGM_RSRC2:TGID_X_EN: 1
; COMPUTE_PGM_RSRC2:TGID_Y_EN: 0
; COMPUTE_PGM_RSRC2:TGID_Z_EN: 0
; COMPUTE_PGM_RSRC2:TIDIG_COMP_CNT: 0
; COMPUTE_PGM_RSRC3_GFX90A:ACCUM_OFFSET: 0
; COMPUTE_PGM_RSRC3_GFX90A:TG_SPLIT: 0
	.section	.text._ZN7rocprim17ROCPRIM_400000_NS6detail17trampoline_kernelINS0_14default_configENS1_22reduce_config_selectorIiEEZNS1_11reduce_implILb1ES3_N6thrust23THRUST_200600_302600_NS17counting_iteratorIiNS8_11hip_rocprim3tagENS8_11use_defaultESC_EEPiiNS8_4plusIiEEEE10hipError_tPvRmT1_T2_T3_mT4_P12ihipStream_tbEUlT_E1_NS1_11comp_targetILNS1_3genE4ELNS1_11target_archE910ELNS1_3gpuE8ELNS1_3repE0EEENS1_30default_config_static_selectorELNS0_4arch9wavefront6targetE1EEEvSK_,"axG",@progbits,_ZN7rocprim17ROCPRIM_400000_NS6detail17trampoline_kernelINS0_14default_configENS1_22reduce_config_selectorIiEEZNS1_11reduce_implILb1ES3_N6thrust23THRUST_200600_302600_NS17counting_iteratorIiNS8_11hip_rocprim3tagENS8_11use_defaultESC_EEPiiNS8_4plusIiEEEE10hipError_tPvRmT1_T2_T3_mT4_P12ihipStream_tbEUlT_E1_NS1_11comp_targetILNS1_3genE4ELNS1_11target_archE910ELNS1_3gpuE8ELNS1_3repE0EEENS1_30default_config_static_selectorELNS0_4arch9wavefront6targetE1EEEvSK_,comdat
	.protected	_ZN7rocprim17ROCPRIM_400000_NS6detail17trampoline_kernelINS0_14default_configENS1_22reduce_config_selectorIiEEZNS1_11reduce_implILb1ES3_N6thrust23THRUST_200600_302600_NS17counting_iteratorIiNS8_11hip_rocprim3tagENS8_11use_defaultESC_EEPiiNS8_4plusIiEEEE10hipError_tPvRmT1_T2_T3_mT4_P12ihipStream_tbEUlT_E1_NS1_11comp_targetILNS1_3genE4ELNS1_11target_archE910ELNS1_3gpuE8ELNS1_3repE0EEENS1_30default_config_static_selectorELNS0_4arch9wavefront6targetE1EEEvSK_ ; -- Begin function _ZN7rocprim17ROCPRIM_400000_NS6detail17trampoline_kernelINS0_14default_configENS1_22reduce_config_selectorIiEEZNS1_11reduce_implILb1ES3_N6thrust23THRUST_200600_302600_NS17counting_iteratorIiNS8_11hip_rocprim3tagENS8_11use_defaultESC_EEPiiNS8_4plusIiEEEE10hipError_tPvRmT1_T2_T3_mT4_P12ihipStream_tbEUlT_E1_NS1_11comp_targetILNS1_3genE4ELNS1_11target_archE910ELNS1_3gpuE8ELNS1_3repE0EEENS1_30default_config_static_selectorELNS0_4arch9wavefront6targetE1EEEvSK_
	.globl	_ZN7rocprim17ROCPRIM_400000_NS6detail17trampoline_kernelINS0_14default_configENS1_22reduce_config_selectorIiEEZNS1_11reduce_implILb1ES3_N6thrust23THRUST_200600_302600_NS17counting_iteratorIiNS8_11hip_rocprim3tagENS8_11use_defaultESC_EEPiiNS8_4plusIiEEEE10hipError_tPvRmT1_T2_T3_mT4_P12ihipStream_tbEUlT_E1_NS1_11comp_targetILNS1_3genE4ELNS1_11target_archE910ELNS1_3gpuE8ELNS1_3repE0EEENS1_30default_config_static_selectorELNS0_4arch9wavefront6targetE1EEEvSK_
	.p2align	8
	.type	_ZN7rocprim17ROCPRIM_400000_NS6detail17trampoline_kernelINS0_14default_configENS1_22reduce_config_selectorIiEEZNS1_11reduce_implILb1ES3_N6thrust23THRUST_200600_302600_NS17counting_iteratorIiNS8_11hip_rocprim3tagENS8_11use_defaultESC_EEPiiNS8_4plusIiEEEE10hipError_tPvRmT1_T2_T3_mT4_P12ihipStream_tbEUlT_E1_NS1_11comp_targetILNS1_3genE4ELNS1_11target_archE910ELNS1_3gpuE8ELNS1_3repE0EEENS1_30default_config_static_selectorELNS0_4arch9wavefront6targetE1EEEvSK_,@function
_ZN7rocprim17ROCPRIM_400000_NS6detail17trampoline_kernelINS0_14default_configENS1_22reduce_config_selectorIiEEZNS1_11reduce_implILb1ES3_N6thrust23THRUST_200600_302600_NS17counting_iteratorIiNS8_11hip_rocprim3tagENS8_11use_defaultESC_EEPiiNS8_4plusIiEEEE10hipError_tPvRmT1_T2_T3_mT4_P12ihipStream_tbEUlT_E1_NS1_11comp_targetILNS1_3genE4ELNS1_11target_archE910ELNS1_3gpuE8ELNS1_3repE0EEENS1_30default_config_static_selectorELNS0_4arch9wavefront6targetE1EEEvSK_: ; @_ZN7rocprim17ROCPRIM_400000_NS6detail17trampoline_kernelINS0_14default_configENS1_22reduce_config_selectorIiEEZNS1_11reduce_implILb1ES3_N6thrust23THRUST_200600_302600_NS17counting_iteratorIiNS8_11hip_rocprim3tagENS8_11use_defaultESC_EEPiiNS8_4plusIiEEEE10hipError_tPvRmT1_T2_T3_mT4_P12ihipStream_tbEUlT_E1_NS1_11comp_targetILNS1_3genE4ELNS1_11target_archE910ELNS1_3gpuE8ELNS1_3repE0EEENS1_30default_config_static_selectorELNS0_4arch9wavefront6targetE1EEEvSK_
; %bb.0:
	.section	.rodata,"a",@progbits
	.p2align	6, 0x0
	.amdhsa_kernel _ZN7rocprim17ROCPRIM_400000_NS6detail17trampoline_kernelINS0_14default_configENS1_22reduce_config_selectorIiEEZNS1_11reduce_implILb1ES3_N6thrust23THRUST_200600_302600_NS17counting_iteratorIiNS8_11hip_rocprim3tagENS8_11use_defaultESC_EEPiiNS8_4plusIiEEEE10hipError_tPvRmT1_T2_T3_mT4_P12ihipStream_tbEUlT_E1_NS1_11comp_targetILNS1_3genE4ELNS1_11target_archE910ELNS1_3gpuE8ELNS1_3repE0EEENS1_30default_config_static_selectorELNS0_4arch9wavefront6targetE1EEEvSK_
		.amdhsa_group_segment_fixed_size 0
		.amdhsa_private_segment_fixed_size 0
		.amdhsa_kernarg_size 40
		.amdhsa_user_sgpr_count 2
		.amdhsa_user_sgpr_dispatch_ptr 0
		.amdhsa_user_sgpr_queue_ptr 0
		.amdhsa_user_sgpr_kernarg_segment_ptr 1
		.amdhsa_user_sgpr_dispatch_id 0
		.amdhsa_user_sgpr_kernarg_preload_length 0
		.amdhsa_user_sgpr_kernarg_preload_offset 0
		.amdhsa_user_sgpr_private_segment_size 0
		.amdhsa_uses_dynamic_stack 0
		.amdhsa_enable_private_segment 0
		.amdhsa_system_sgpr_workgroup_id_x 1
		.amdhsa_system_sgpr_workgroup_id_y 0
		.amdhsa_system_sgpr_workgroup_id_z 0
		.amdhsa_system_sgpr_workgroup_info 0
		.amdhsa_system_vgpr_workitem_id 0
		.amdhsa_next_free_vgpr 1
		.amdhsa_next_free_sgpr 0
		.amdhsa_accum_offset 4
		.amdhsa_reserve_vcc 0
		.amdhsa_float_round_mode_32 0
		.amdhsa_float_round_mode_16_64 0
		.amdhsa_float_denorm_mode_32 3
		.amdhsa_float_denorm_mode_16_64 3
		.amdhsa_dx10_clamp 1
		.amdhsa_ieee_mode 1
		.amdhsa_fp16_overflow 0
		.amdhsa_tg_split 0
		.amdhsa_exception_fp_ieee_invalid_op 0
		.amdhsa_exception_fp_denorm_src 0
		.amdhsa_exception_fp_ieee_div_zero 0
		.amdhsa_exception_fp_ieee_overflow 0
		.amdhsa_exception_fp_ieee_underflow 0
		.amdhsa_exception_fp_ieee_inexact 0
		.amdhsa_exception_int_div_zero 0
	.end_amdhsa_kernel
	.section	.text._ZN7rocprim17ROCPRIM_400000_NS6detail17trampoline_kernelINS0_14default_configENS1_22reduce_config_selectorIiEEZNS1_11reduce_implILb1ES3_N6thrust23THRUST_200600_302600_NS17counting_iteratorIiNS8_11hip_rocprim3tagENS8_11use_defaultESC_EEPiiNS8_4plusIiEEEE10hipError_tPvRmT1_T2_T3_mT4_P12ihipStream_tbEUlT_E1_NS1_11comp_targetILNS1_3genE4ELNS1_11target_archE910ELNS1_3gpuE8ELNS1_3repE0EEENS1_30default_config_static_selectorELNS0_4arch9wavefront6targetE1EEEvSK_,"axG",@progbits,_ZN7rocprim17ROCPRIM_400000_NS6detail17trampoline_kernelINS0_14default_configENS1_22reduce_config_selectorIiEEZNS1_11reduce_implILb1ES3_N6thrust23THRUST_200600_302600_NS17counting_iteratorIiNS8_11hip_rocprim3tagENS8_11use_defaultESC_EEPiiNS8_4plusIiEEEE10hipError_tPvRmT1_T2_T3_mT4_P12ihipStream_tbEUlT_E1_NS1_11comp_targetILNS1_3genE4ELNS1_11target_archE910ELNS1_3gpuE8ELNS1_3repE0EEENS1_30default_config_static_selectorELNS0_4arch9wavefront6targetE1EEEvSK_,comdat
.Lfunc_end1102:
	.size	_ZN7rocprim17ROCPRIM_400000_NS6detail17trampoline_kernelINS0_14default_configENS1_22reduce_config_selectorIiEEZNS1_11reduce_implILb1ES3_N6thrust23THRUST_200600_302600_NS17counting_iteratorIiNS8_11hip_rocprim3tagENS8_11use_defaultESC_EEPiiNS8_4plusIiEEEE10hipError_tPvRmT1_T2_T3_mT4_P12ihipStream_tbEUlT_E1_NS1_11comp_targetILNS1_3genE4ELNS1_11target_archE910ELNS1_3gpuE8ELNS1_3repE0EEENS1_30default_config_static_selectorELNS0_4arch9wavefront6targetE1EEEvSK_, .Lfunc_end1102-_ZN7rocprim17ROCPRIM_400000_NS6detail17trampoline_kernelINS0_14default_configENS1_22reduce_config_selectorIiEEZNS1_11reduce_implILb1ES3_N6thrust23THRUST_200600_302600_NS17counting_iteratorIiNS8_11hip_rocprim3tagENS8_11use_defaultESC_EEPiiNS8_4plusIiEEEE10hipError_tPvRmT1_T2_T3_mT4_P12ihipStream_tbEUlT_E1_NS1_11comp_targetILNS1_3genE4ELNS1_11target_archE910ELNS1_3gpuE8ELNS1_3repE0EEENS1_30default_config_static_selectorELNS0_4arch9wavefront6targetE1EEEvSK_
                                        ; -- End function
	.set _ZN7rocprim17ROCPRIM_400000_NS6detail17trampoline_kernelINS0_14default_configENS1_22reduce_config_selectorIiEEZNS1_11reduce_implILb1ES3_N6thrust23THRUST_200600_302600_NS17counting_iteratorIiNS8_11hip_rocprim3tagENS8_11use_defaultESC_EEPiiNS8_4plusIiEEEE10hipError_tPvRmT1_T2_T3_mT4_P12ihipStream_tbEUlT_E1_NS1_11comp_targetILNS1_3genE4ELNS1_11target_archE910ELNS1_3gpuE8ELNS1_3repE0EEENS1_30default_config_static_selectorELNS0_4arch9wavefront6targetE1EEEvSK_.num_vgpr, 0
	.set _ZN7rocprim17ROCPRIM_400000_NS6detail17trampoline_kernelINS0_14default_configENS1_22reduce_config_selectorIiEEZNS1_11reduce_implILb1ES3_N6thrust23THRUST_200600_302600_NS17counting_iteratorIiNS8_11hip_rocprim3tagENS8_11use_defaultESC_EEPiiNS8_4plusIiEEEE10hipError_tPvRmT1_T2_T3_mT4_P12ihipStream_tbEUlT_E1_NS1_11comp_targetILNS1_3genE4ELNS1_11target_archE910ELNS1_3gpuE8ELNS1_3repE0EEENS1_30default_config_static_selectorELNS0_4arch9wavefront6targetE1EEEvSK_.num_agpr, 0
	.set _ZN7rocprim17ROCPRIM_400000_NS6detail17trampoline_kernelINS0_14default_configENS1_22reduce_config_selectorIiEEZNS1_11reduce_implILb1ES3_N6thrust23THRUST_200600_302600_NS17counting_iteratorIiNS8_11hip_rocprim3tagENS8_11use_defaultESC_EEPiiNS8_4plusIiEEEE10hipError_tPvRmT1_T2_T3_mT4_P12ihipStream_tbEUlT_E1_NS1_11comp_targetILNS1_3genE4ELNS1_11target_archE910ELNS1_3gpuE8ELNS1_3repE0EEENS1_30default_config_static_selectorELNS0_4arch9wavefront6targetE1EEEvSK_.numbered_sgpr, 0
	.set _ZN7rocprim17ROCPRIM_400000_NS6detail17trampoline_kernelINS0_14default_configENS1_22reduce_config_selectorIiEEZNS1_11reduce_implILb1ES3_N6thrust23THRUST_200600_302600_NS17counting_iteratorIiNS8_11hip_rocprim3tagENS8_11use_defaultESC_EEPiiNS8_4plusIiEEEE10hipError_tPvRmT1_T2_T3_mT4_P12ihipStream_tbEUlT_E1_NS1_11comp_targetILNS1_3genE4ELNS1_11target_archE910ELNS1_3gpuE8ELNS1_3repE0EEENS1_30default_config_static_selectorELNS0_4arch9wavefront6targetE1EEEvSK_.num_named_barrier, 0
	.set _ZN7rocprim17ROCPRIM_400000_NS6detail17trampoline_kernelINS0_14default_configENS1_22reduce_config_selectorIiEEZNS1_11reduce_implILb1ES3_N6thrust23THRUST_200600_302600_NS17counting_iteratorIiNS8_11hip_rocprim3tagENS8_11use_defaultESC_EEPiiNS8_4plusIiEEEE10hipError_tPvRmT1_T2_T3_mT4_P12ihipStream_tbEUlT_E1_NS1_11comp_targetILNS1_3genE4ELNS1_11target_archE910ELNS1_3gpuE8ELNS1_3repE0EEENS1_30default_config_static_selectorELNS0_4arch9wavefront6targetE1EEEvSK_.private_seg_size, 0
	.set _ZN7rocprim17ROCPRIM_400000_NS6detail17trampoline_kernelINS0_14default_configENS1_22reduce_config_selectorIiEEZNS1_11reduce_implILb1ES3_N6thrust23THRUST_200600_302600_NS17counting_iteratorIiNS8_11hip_rocprim3tagENS8_11use_defaultESC_EEPiiNS8_4plusIiEEEE10hipError_tPvRmT1_T2_T3_mT4_P12ihipStream_tbEUlT_E1_NS1_11comp_targetILNS1_3genE4ELNS1_11target_archE910ELNS1_3gpuE8ELNS1_3repE0EEENS1_30default_config_static_selectorELNS0_4arch9wavefront6targetE1EEEvSK_.uses_vcc, 0
	.set _ZN7rocprim17ROCPRIM_400000_NS6detail17trampoline_kernelINS0_14default_configENS1_22reduce_config_selectorIiEEZNS1_11reduce_implILb1ES3_N6thrust23THRUST_200600_302600_NS17counting_iteratorIiNS8_11hip_rocprim3tagENS8_11use_defaultESC_EEPiiNS8_4plusIiEEEE10hipError_tPvRmT1_T2_T3_mT4_P12ihipStream_tbEUlT_E1_NS1_11comp_targetILNS1_3genE4ELNS1_11target_archE910ELNS1_3gpuE8ELNS1_3repE0EEENS1_30default_config_static_selectorELNS0_4arch9wavefront6targetE1EEEvSK_.uses_flat_scratch, 0
	.set _ZN7rocprim17ROCPRIM_400000_NS6detail17trampoline_kernelINS0_14default_configENS1_22reduce_config_selectorIiEEZNS1_11reduce_implILb1ES3_N6thrust23THRUST_200600_302600_NS17counting_iteratorIiNS8_11hip_rocprim3tagENS8_11use_defaultESC_EEPiiNS8_4plusIiEEEE10hipError_tPvRmT1_T2_T3_mT4_P12ihipStream_tbEUlT_E1_NS1_11comp_targetILNS1_3genE4ELNS1_11target_archE910ELNS1_3gpuE8ELNS1_3repE0EEENS1_30default_config_static_selectorELNS0_4arch9wavefront6targetE1EEEvSK_.has_dyn_sized_stack, 0
	.set _ZN7rocprim17ROCPRIM_400000_NS6detail17trampoline_kernelINS0_14default_configENS1_22reduce_config_selectorIiEEZNS1_11reduce_implILb1ES3_N6thrust23THRUST_200600_302600_NS17counting_iteratorIiNS8_11hip_rocprim3tagENS8_11use_defaultESC_EEPiiNS8_4plusIiEEEE10hipError_tPvRmT1_T2_T3_mT4_P12ihipStream_tbEUlT_E1_NS1_11comp_targetILNS1_3genE4ELNS1_11target_archE910ELNS1_3gpuE8ELNS1_3repE0EEENS1_30default_config_static_selectorELNS0_4arch9wavefront6targetE1EEEvSK_.has_recursion, 0
	.set _ZN7rocprim17ROCPRIM_400000_NS6detail17trampoline_kernelINS0_14default_configENS1_22reduce_config_selectorIiEEZNS1_11reduce_implILb1ES3_N6thrust23THRUST_200600_302600_NS17counting_iteratorIiNS8_11hip_rocprim3tagENS8_11use_defaultESC_EEPiiNS8_4plusIiEEEE10hipError_tPvRmT1_T2_T3_mT4_P12ihipStream_tbEUlT_E1_NS1_11comp_targetILNS1_3genE4ELNS1_11target_archE910ELNS1_3gpuE8ELNS1_3repE0EEENS1_30default_config_static_selectorELNS0_4arch9wavefront6targetE1EEEvSK_.has_indirect_call, 0
	.section	.AMDGPU.csdata,"",@progbits
; Kernel info:
; codeLenInByte = 0
; TotalNumSgprs: 6
; NumVgprs: 0
; NumAgprs: 0
; TotalNumVgprs: 0
; ScratchSize: 0
; MemoryBound: 0
; FloatMode: 240
; IeeeMode: 1
; LDSByteSize: 0 bytes/workgroup (compile time only)
; SGPRBlocks: 0
; VGPRBlocks: 0
; NumSGPRsForWavesPerEU: 6
; NumVGPRsForWavesPerEU: 1
; AccumOffset: 4
; Occupancy: 8
; WaveLimiterHint : 0
; COMPUTE_PGM_RSRC2:SCRATCH_EN: 0
; COMPUTE_PGM_RSRC2:USER_SGPR: 2
; COMPUTE_PGM_RSRC2:TRAP_HANDLER: 0
; COMPUTE_PGM_RSRC2:TGID_X_EN: 1
; COMPUTE_PGM_RSRC2:TGID_Y_EN: 0
; COMPUTE_PGM_RSRC2:TGID_Z_EN: 0
; COMPUTE_PGM_RSRC2:TIDIG_COMP_CNT: 0
; COMPUTE_PGM_RSRC3_GFX90A:ACCUM_OFFSET: 0
; COMPUTE_PGM_RSRC3_GFX90A:TG_SPLIT: 0
	.section	.text._ZN7rocprim17ROCPRIM_400000_NS6detail17trampoline_kernelINS0_14default_configENS1_22reduce_config_selectorIiEEZNS1_11reduce_implILb1ES3_N6thrust23THRUST_200600_302600_NS17counting_iteratorIiNS8_11hip_rocprim3tagENS8_11use_defaultESC_EEPiiNS8_4plusIiEEEE10hipError_tPvRmT1_T2_T3_mT4_P12ihipStream_tbEUlT_E1_NS1_11comp_targetILNS1_3genE3ELNS1_11target_archE908ELNS1_3gpuE7ELNS1_3repE0EEENS1_30default_config_static_selectorELNS0_4arch9wavefront6targetE1EEEvSK_,"axG",@progbits,_ZN7rocprim17ROCPRIM_400000_NS6detail17trampoline_kernelINS0_14default_configENS1_22reduce_config_selectorIiEEZNS1_11reduce_implILb1ES3_N6thrust23THRUST_200600_302600_NS17counting_iteratorIiNS8_11hip_rocprim3tagENS8_11use_defaultESC_EEPiiNS8_4plusIiEEEE10hipError_tPvRmT1_T2_T3_mT4_P12ihipStream_tbEUlT_E1_NS1_11comp_targetILNS1_3genE3ELNS1_11target_archE908ELNS1_3gpuE7ELNS1_3repE0EEENS1_30default_config_static_selectorELNS0_4arch9wavefront6targetE1EEEvSK_,comdat
	.protected	_ZN7rocprim17ROCPRIM_400000_NS6detail17trampoline_kernelINS0_14default_configENS1_22reduce_config_selectorIiEEZNS1_11reduce_implILb1ES3_N6thrust23THRUST_200600_302600_NS17counting_iteratorIiNS8_11hip_rocprim3tagENS8_11use_defaultESC_EEPiiNS8_4plusIiEEEE10hipError_tPvRmT1_T2_T3_mT4_P12ihipStream_tbEUlT_E1_NS1_11comp_targetILNS1_3genE3ELNS1_11target_archE908ELNS1_3gpuE7ELNS1_3repE0EEENS1_30default_config_static_selectorELNS0_4arch9wavefront6targetE1EEEvSK_ ; -- Begin function _ZN7rocprim17ROCPRIM_400000_NS6detail17trampoline_kernelINS0_14default_configENS1_22reduce_config_selectorIiEEZNS1_11reduce_implILb1ES3_N6thrust23THRUST_200600_302600_NS17counting_iteratorIiNS8_11hip_rocprim3tagENS8_11use_defaultESC_EEPiiNS8_4plusIiEEEE10hipError_tPvRmT1_T2_T3_mT4_P12ihipStream_tbEUlT_E1_NS1_11comp_targetILNS1_3genE3ELNS1_11target_archE908ELNS1_3gpuE7ELNS1_3repE0EEENS1_30default_config_static_selectorELNS0_4arch9wavefront6targetE1EEEvSK_
	.globl	_ZN7rocprim17ROCPRIM_400000_NS6detail17trampoline_kernelINS0_14default_configENS1_22reduce_config_selectorIiEEZNS1_11reduce_implILb1ES3_N6thrust23THRUST_200600_302600_NS17counting_iteratorIiNS8_11hip_rocprim3tagENS8_11use_defaultESC_EEPiiNS8_4plusIiEEEE10hipError_tPvRmT1_T2_T3_mT4_P12ihipStream_tbEUlT_E1_NS1_11comp_targetILNS1_3genE3ELNS1_11target_archE908ELNS1_3gpuE7ELNS1_3repE0EEENS1_30default_config_static_selectorELNS0_4arch9wavefront6targetE1EEEvSK_
	.p2align	8
	.type	_ZN7rocprim17ROCPRIM_400000_NS6detail17trampoline_kernelINS0_14default_configENS1_22reduce_config_selectorIiEEZNS1_11reduce_implILb1ES3_N6thrust23THRUST_200600_302600_NS17counting_iteratorIiNS8_11hip_rocprim3tagENS8_11use_defaultESC_EEPiiNS8_4plusIiEEEE10hipError_tPvRmT1_T2_T3_mT4_P12ihipStream_tbEUlT_E1_NS1_11comp_targetILNS1_3genE3ELNS1_11target_archE908ELNS1_3gpuE7ELNS1_3repE0EEENS1_30default_config_static_selectorELNS0_4arch9wavefront6targetE1EEEvSK_,@function
_ZN7rocprim17ROCPRIM_400000_NS6detail17trampoline_kernelINS0_14default_configENS1_22reduce_config_selectorIiEEZNS1_11reduce_implILb1ES3_N6thrust23THRUST_200600_302600_NS17counting_iteratorIiNS8_11hip_rocprim3tagENS8_11use_defaultESC_EEPiiNS8_4plusIiEEEE10hipError_tPvRmT1_T2_T3_mT4_P12ihipStream_tbEUlT_E1_NS1_11comp_targetILNS1_3genE3ELNS1_11target_archE908ELNS1_3gpuE7ELNS1_3repE0EEENS1_30default_config_static_selectorELNS0_4arch9wavefront6targetE1EEEvSK_: ; @_ZN7rocprim17ROCPRIM_400000_NS6detail17trampoline_kernelINS0_14default_configENS1_22reduce_config_selectorIiEEZNS1_11reduce_implILb1ES3_N6thrust23THRUST_200600_302600_NS17counting_iteratorIiNS8_11hip_rocprim3tagENS8_11use_defaultESC_EEPiiNS8_4plusIiEEEE10hipError_tPvRmT1_T2_T3_mT4_P12ihipStream_tbEUlT_E1_NS1_11comp_targetILNS1_3genE3ELNS1_11target_archE908ELNS1_3gpuE7ELNS1_3repE0EEENS1_30default_config_static_selectorELNS0_4arch9wavefront6targetE1EEEvSK_
; %bb.0:
	.section	.rodata,"a",@progbits
	.p2align	6, 0x0
	.amdhsa_kernel _ZN7rocprim17ROCPRIM_400000_NS6detail17trampoline_kernelINS0_14default_configENS1_22reduce_config_selectorIiEEZNS1_11reduce_implILb1ES3_N6thrust23THRUST_200600_302600_NS17counting_iteratorIiNS8_11hip_rocprim3tagENS8_11use_defaultESC_EEPiiNS8_4plusIiEEEE10hipError_tPvRmT1_T2_T3_mT4_P12ihipStream_tbEUlT_E1_NS1_11comp_targetILNS1_3genE3ELNS1_11target_archE908ELNS1_3gpuE7ELNS1_3repE0EEENS1_30default_config_static_selectorELNS0_4arch9wavefront6targetE1EEEvSK_
		.amdhsa_group_segment_fixed_size 0
		.amdhsa_private_segment_fixed_size 0
		.amdhsa_kernarg_size 40
		.amdhsa_user_sgpr_count 2
		.amdhsa_user_sgpr_dispatch_ptr 0
		.amdhsa_user_sgpr_queue_ptr 0
		.amdhsa_user_sgpr_kernarg_segment_ptr 1
		.amdhsa_user_sgpr_dispatch_id 0
		.amdhsa_user_sgpr_kernarg_preload_length 0
		.amdhsa_user_sgpr_kernarg_preload_offset 0
		.amdhsa_user_sgpr_private_segment_size 0
		.amdhsa_uses_dynamic_stack 0
		.amdhsa_enable_private_segment 0
		.amdhsa_system_sgpr_workgroup_id_x 1
		.amdhsa_system_sgpr_workgroup_id_y 0
		.amdhsa_system_sgpr_workgroup_id_z 0
		.amdhsa_system_sgpr_workgroup_info 0
		.amdhsa_system_vgpr_workitem_id 0
		.amdhsa_next_free_vgpr 1
		.amdhsa_next_free_sgpr 0
		.amdhsa_accum_offset 4
		.amdhsa_reserve_vcc 0
		.amdhsa_float_round_mode_32 0
		.amdhsa_float_round_mode_16_64 0
		.amdhsa_float_denorm_mode_32 3
		.amdhsa_float_denorm_mode_16_64 3
		.amdhsa_dx10_clamp 1
		.amdhsa_ieee_mode 1
		.amdhsa_fp16_overflow 0
		.amdhsa_tg_split 0
		.amdhsa_exception_fp_ieee_invalid_op 0
		.amdhsa_exception_fp_denorm_src 0
		.amdhsa_exception_fp_ieee_div_zero 0
		.amdhsa_exception_fp_ieee_overflow 0
		.amdhsa_exception_fp_ieee_underflow 0
		.amdhsa_exception_fp_ieee_inexact 0
		.amdhsa_exception_int_div_zero 0
	.end_amdhsa_kernel
	.section	.text._ZN7rocprim17ROCPRIM_400000_NS6detail17trampoline_kernelINS0_14default_configENS1_22reduce_config_selectorIiEEZNS1_11reduce_implILb1ES3_N6thrust23THRUST_200600_302600_NS17counting_iteratorIiNS8_11hip_rocprim3tagENS8_11use_defaultESC_EEPiiNS8_4plusIiEEEE10hipError_tPvRmT1_T2_T3_mT4_P12ihipStream_tbEUlT_E1_NS1_11comp_targetILNS1_3genE3ELNS1_11target_archE908ELNS1_3gpuE7ELNS1_3repE0EEENS1_30default_config_static_selectorELNS0_4arch9wavefront6targetE1EEEvSK_,"axG",@progbits,_ZN7rocprim17ROCPRIM_400000_NS6detail17trampoline_kernelINS0_14default_configENS1_22reduce_config_selectorIiEEZNS1_11reduce_implILb1ES3_N6thrust23THRUST_200600_302600_NS17counting_iteratorIiNS8_11hip_rocprim3tagENS8_11use_defaultESC_EEPiiNS8_4plusIiEEEE10hipError_tPvRmT1_T2_T3_mT4_P12ihipStream_tbEUlT_E1_NS1_11comp_targetILNS1_3genE3ELNS1_11target_archE908ELNS1_3gpuE7ELNS1_3repE0EEENS1_30default_config_static_selectorELNS0_4arch9wavefront6targetE1EEEvSK_,comdat
.Lfunc_end1103:
	.size	_ZN7rocprim17ROCPRIM_400000_NS6detail17trampoline_kernelINS0_14default_configENS1_22reduce_config_selectorIiEEZNS1_11reduce_implILb1ES3_N6thrust23THRUST_200600_302600_NS17counting_iteratorIiNS8_11hip_rocprim3tagENS8_11use_defaultESC_EEPiiNS8_4plusIiEEEE10hipError_tPvRmT1_T2_T3_mT4_P12ihipStream_tbEUlT_E1_NS1_11comp_targetILNS1_3genE3ELNS1_11target_archE908ELNS1_3gpuE7ELNS1_3repE0EEENS1_30default_config_static_selectorELNS0_4arch9wavefront6targetE1EEEvSK_, .Lfunc_end1103-_ZN7rocprim17ROCPRIM_400000_NS6detail17trampoline_kernelINS0_14default_configENS1_22reduce_config_selectorIiEEZNS1_11reduce_implILb1ES3_N6thrust23THRUST_200600_302600_NS17counting_iteratorIiNS8_11hip_rocprim3tagENS8_11use_defaultESC_EEPiiNS8_4plusIiEEEE10hipError_tPvRmT1_T2_T3_mT4_P12ihipStream_tbEUlT_E1_NS1_11comp_targetILNS1_3genE3ELNS1_11target_archE908ELNS1_3gpuE7ELNS1_3repE0EEENS1_30default_config_static_selectorELNS0_4arch9wavefront6targetE1EEEvSK_
                                        ; -- End function
	.set _ZN7rocprim17ROCPRIM_400000_NS6detail17trampoline_kernelINS0_14default_configENS1_22reduce_config_selectorIiEEZNS1_11reduce_implILb1ES3_N6thrust23THRUST_200600_302600_NS17counting_iteratorIiNS8_11hip_rocprim3tagENS8_11use_defaultESC_EEPiiNS8_4plusIiEEEE10hipError_tPvRmT1_T2_T3_mT4_P12ihipStream_tbEUlT_E1_NS1_11comp_targetILNS1_3genE3ELNS1_11target_archE908ELNS1_3gpuE7ELNS1_3repE0EEENS1_30default_config_static_selectorELNS0_4arch9wavefront6targetE1EEEvSK_.num_vgpr, 0
	.set _ZN7rocprim17ROCPRIM_400000_NS6detail17trampoline_kernelINS0_14default_configENS1_22reduce_config_selectorIiEEZNS1_11reduce_implILb1ES3_N6thrust23THRUST_200600_302600_NS17counting_iteratorIiNS8_11hip_rocprim3tagENS8_11use_defaultESC_EEPiiNS8_4plusIiEEEE10hipError_tPvRmT1_T2_T3_mT4_P12ihipStream_tbEUlT_E1_NS1_11comp_targetILNS1_3genE3ELNS1_11target_archE908ELNS1_3gpuE7ELNS1_3repE0EEENS1_30default_config_static_selectorELNS0_4arch9wavefront6targetE1EEEvSK_.num_agpr, 0
	.set _ZN7rocprim17ROCPRIM_400000_NS6detail17trampoline_kernelINS0_14default_configENS1_22reduce_config_selectorIiEEZNS1_11reduce_implILb1ES3_N6thrust23THRUST_200600_302600_NS17counting_iteratorIiNS8_11hip_rocprim3tagENS8_11use_defaultESC_EEPiiNS8_4plusIiEEEE10hipError_tPvRmT1_T2_T3_mT4_P12ihipStream_tbEUlT_E1_NS1_11comp_targetILNS1_3genE3ELNS1_11target_archE908ELNS1_3gpuE7ELNS1_3repE0EEENS1_30default_config_static_selectorELNS0_4arch9wavefront6targetE1EEEvSK_.numbered_sgpr, 0
	.set _ZN7rocprim17ROCPRIM_400000_NS6detail17trampoline_kernelINS0_14default_configENS1_22reduce_config_selectorIiEEZNS1_11reduce_implILb1ES3_N6thrust23THRUST_200600_302600_NS17counting_iteratorIiNS8_11hip_rocprim3tagENS8_11use_defaultESC_EEPiiNS8_4plusIiEEEE10hipError_tPvRmT1_T2_T3_mT4_P12ihipStream_tbEUlT_E1_NS1_11comp_targetILNS1_3genE3ELNS1_11target_archE908ELNS1_3gpuE7ELNS1_3repE0EEENS1_30default_config_static_selectorELNS0_4arch9wavefront6targetE1EEEvSK_.num_named_barrier, 0
	.set _ZN7rocprim17ROCPRIM_400000_NS6detail17trampoline_kernelINS0_14default_configENS1_22reduce_config_selectorIiEEZNS1_11reduce_implILb1ES3_N6thrust23THRUST_200600_302600_NS17counting_iteratorIiNS8_11hip_rocprim3tagENS8_11use_defaultESC_EEPiiNS8_4plusIiEEEE10hipError_tPvRmT1_T2_T3_mT4_P12ihipStream_tbEUlT_E1_NS1_11comp_targetILNS1_3genE3ELNS1_11target_archE908ELNS1_3gpuE7ELNS1_3repE0EEENS1_30default_config_static_selectorELNS0_4arch9wavefront6targetE1EEEvSK_.private_seg_size, 0
	.set _ZN7rocprim17ROCPRIM_400000_NS6detail17trampoline_kernelINS0_14default_configENS1_22reduce_config_selectorIiEEZNS1_11reduce_implILb1ES3_N6thrust23THRUST_200600_302600_NS17counting_iteratorIiNS8_11hip_rocprim3tagENS8_11use_defaultESC_EEPiiNS8_4plusIiEEEE10hipError_tPvRmT1_T2_T3_mT4_P12ihipStream_tbEUlT_E1_NS1_11comp_targetILNS1_3genE3ELNS1_11target_archE908ELNS1_3gpuE7ELNS1_3repE0EEENS1_30default_config_static_selectorELNS0_4arch9wavefront6targetE1EEEvSK_.uses_vcc, 0
	.set _ZN7rocprim17ROCPRIM_400000_NS6detail17trampoline_kernelINS0_14default_configENS1_22reduce_config_selectorIiEEZNS1_11reduce_implILb1ES3_N6thrust23THRUST_200600_302600_NS17counting_iteratorIiNS8_11hip_rocprim3tagENS8_11use_defaultESC_EEPiiNS8_4plusIiEEEE10hipError_tPvRmT1_T2_T3_mT4_P12ihipStream_tbEUlT_E1_NS1_11comp_targetILNS1_3genE3ELNS1_11target_archE908ELNS1_3gpuE7ELNS1_3repE0EEENS1_30default_config_static_selectorELNS0_4arch9wavefront6targetE1EEEvSK_.uses_flat_scratch, 0
	.set _ZN7rocprim17ROCPRIM_400000_NS6detail17trampoline_kernelINS0_14default_configENS1_22reduce_config_selectorIiEEZNS1_11reduce_implILb1ES3_N6thrust23THRUST_200600_302600_NS17counting_iteratorIiNS8_11hip_rocprim3tagENS8_11use_defaultESC_EEPiiNS8_4plusIiEEEE10hipError_tPvRmT1_T2_T3_mT4_P12ihipStream_tbEUlT_E1_NS1_11comp_targetILNS1_3genE3ELNS1_11target_archE908ELNS1_3gpuE7ELNS1_3repE0EEENS1_30default_config_static_selectorELNS0_4arch9wavefront6targetE1EEEvSK_.has_dyn_sized_stack, 0
	.set _ZN7rocprim17ROCPRIM_400000_NS6detail17trampoline_kernelINS0_14default_configENS1_22reduce_config_selectorIiEEZNS1_11reduce_implILb1ES3_N6thrust23THRUST_200600_302600_NS17counting_iteratorIiNS8_11hip_rocprim3tagENS8_11use_defaultESC_EEPiiNS8_4plusIiEEEE10hipError_tPvRmT1_T2_T3_mT4_P12ihipStream_tbEUlT_E1_NS1_11comp_targetILNS1_3genE3ELNS1_11target_archE908ELNS1_3gpuE7ELNS1_3repE0EEENS1_30default_config_static_selectorELNS0_4arch9wavefront6targetE1EEEvSK_.has_recursion, 0
	.set _ZN7rocprim17ROCPRIM_400000_NS6detail17trampoline_kernelINS0_14default_configENS1_22reduce_config_selectorIiEEZNS1_11reduce_implILb1ES3_N6thrust23THRUST_200600_302600_NS17counting_iteratorIiNS8_11hip_rocprim3tagENS8_11use_defaultESC_EEPiiNS8_4plusIiEEEE10hipError_tPvRmT1_T2_T3_mT4_P12ihipStream_tbEUlT_E1_NS1_11comp_targetILNS1_3genE3ELNS1_11target_archE908ELNS1_3gpuE7ELNS1_3repE0EEENS1_30default_config_static_selectorELNS0_4arch9wavefront6targetE1EEEvSK_.has_indirect_call, 0
	.section	.AMDGPU.csdata,"",@progbits
; Kernel info:
; codeLenInByte = 0
; TotalNumSgprs: 6
; NumVgprs: 0
; NumAgprs: 0
; TotalNumVgprs: 0
; ScratchSize: 0
; MemoryBound: 0
; FloatMode: 240
; IeeeMode: 1
; LDSByteSize: 0 bytes/workgroup (compile time only)
; SGPRBlocks: 0
; VGPRBlocks: 0
; NumSGPRsForWavesPerEU: 6
; NumVGPRsForWavesPerEU: 1
; AccumOffset: 4
; Occupancy: 8
; WaveLimiterHint : 0
; COMPUTE_PGM_RSRC2:SCRATCH_EN: 0
; COMPUTE_PGM_RSRC2:USER_SGPR: 2
; COMPUTE_PGM_RSRC2:TRAP_HANDLER: 0
; COMPUTE_PGM_RSRC2:TGID_X_EN: 1
; COMPUTE_PGM_RSRC2:TGID_Y_EN: 0
; COMPUTE_PGM_RSRC2:TGID_Z_EN: 0
; COMPUTE_PGM_RSRC2:TIDIG_COMP_CNT: 0
; COMPUTE_PGM_RSRC3_GFX90A:ACCUM_OFFSET: 0
; COMPUTE_PGM_RSRC3_GFX90A:TG_SPLIT: 0
	.section	.text._ZN7rocprim17ROCPRIM_400000_NS6detail17trampoline_kernelINS0_14default_configENS1_22reduce_config_selectorIiEEZNS1_11reduce_implILb1ES3_N6thrust23THRUST_200600_302600_NS17counting_iteratorIiNS8_11hip_rocprim3tagENS8_11use_defaultESC_EEPiiNS8_4plusIiEEEE10hipError_tPvRmT1_T2_T3_mT4_P12ihipStream_tbEUlT_E1_NS1_11comp_targetILNS1_3genE2ELNS1_11target_archE906ELNS1_3gpuE6ELNS1_3repE0EEENS1_30default_config_static_selectorELNS0_4arch9wavefront6targetE1EEEvSK_,"axG",@progbits,_ZN7rocprim17ROCPRIM_400000_NS6detail17trampoline_kernelINS0_14default_configENS1_22reduce_config_selectorIiEEZNS1_11reduce_implILb1ES3_N6thrust23THRUST_200600_302600_NS17counting_iteratorIiNS8_11hip_rocprim3tagENS8_11use_defaultESC_EEPiiNS8_4plusIiEEEE10hipError_tPvRmT1_T2_T3_mT4_P12ihipStream_tbEUlT_E1_NS1_11comp_targetILNS1_3genE2ELNS1_11target_archE906ELNS1_3gpuE6ELNS1_3repE0EEENS1_30default_config_static_selectorELNS0_4arch9wavefront6targetE1EEEvSK_,comdat
	.protected	_ZN7rocprim17ROCPRIM_400000_NS6detail17trampoline_kernelINS0_14default_configENS1_22reduce_config_selectorIiEEZNS1_11reduce_implILb1ES3_N6thrust23THRUST_200600_302600_NS17counting_iteratorIiNS8_11hip_rocprim3tagENS8_11use_defaultESC_EEPiiNS8_4plusIiEEEE10hipError_tPvRmT1_T2_T3_mT4_P12ihipStream_tbEUlT_E1_NS1_11comp_targetILNS1_3genE2ELNS1_11target_archE906ELNS1_3gpuE6ELNS1_3repE0EEENS1_30default_config_static_selectorELNS0_4arch9wavefront6targetE1EEEvSK_ ; -- Begin function _ZN7rocprim17ROCPRIM_400000_NS6detail17trampoline_kernelINS0_14default_configENS1_22reduce_config_selectorIiEEZNS1_11reduce_implILb1ES3_N6thrust23THRUST_200600_302600_NS17counting_iteratorIiNS8_11hip_rocprim3tagENS8_11use_defaultESC_EEPiiNS8_4plusIiEEEE10hipError_tPvRmT1_T2_T3_mT4_P12ihipStream_tbEUlT_E1_NS1_11comp_targetILNS1_3genE2ELNS1_11target_archE906ELNS1_3gpuE6ELNS1_3repE0EEENS1_30default_config_static_selectorELNS0_4arch9wavefront6targetE1EEEvSK_
	.globl	_ZN7rocprim17ROCPRIM_400000_NS6detail17trampoline_kernelINS0_14default_configENS1_22reduce_config_selectorIiEEZNS1_11reduce_implILb1ES3_N6thrust23THRUST_200600_302600_NS17counting_iteratorIiNS8_11hip_rocprim3tagENS8_11use_defaultESC_EEPiiNS8_4plusIiEEEE10hipError_tPvRmT1_T2_T3_mT4_P12ihipStream_tbEUlT_E1_NS1_11comp_targetILNS1_3genE2ELNS1_11target_archE906ELNS1_3gpuE6ELNS1_3repE0EEENS1_30default_config_static_selectorELNS0_4arch9wavefront6targetE1EEEvSK_
	.p2align	8
	.type	_ZN7rocprim17ROCPRIM_400000_NS6detail17trampoline_kernelINS0_14default_configENS1_22reduce_config_selectorIiEEZNS1_11reduce_implILb1ES3_N6thrust23THRUST_200600_302600_NS17counting_iteratorIiNS8_11hip_rocprim3tagENS8_11use_defaultESC_EEPiiNS8_4plusIiEEEE10hipError_tPvRmT1_T2_T3_mT4_P12ihipStream_tbEUlT_E1_NS1_11comp_targetILNS1_3genE2ELNS1_11target_archE906ELNS1_3gpuE6ELNS1_3repE0EEENS1_30default_config_static_selectorELNS0_4arch9wavefront6targetE1EEEvSK_,@function
_ZN7rocprim17ROCPRIM_400000_NS6detail17trampoline_kernelINS0_14default_configENS1_22reduce_config_selectorIiEEZNS1_11reduce_implILb1ES3_N6thrust23THRUST_200600_302600_NS17counting_iteratorIiNS8_11hip_rocprim3tagENS8_11use_defaultESC_EEPiiNS8_4plusIiEEEE10hipError_tPvRmT1_T2_T3_mT4_P12ihipStream_tbEUlT_E1_NS1_11comp_targetILNS1_3genE2ELNS1_11target_archE906ELNS1_3gpuE6ELNS1_3repE0EEENS1_30default_config_static_selectorELNS0_4arch9wavefront6targetE1EEEvSK_: ; @_ZN7rocprim17ROCPRIM_400000_NS6detail17trampoline_kernelINS0_14default_configENS1_22reduce_config_selectorIiEEZNS1_11reduce_implILb1ES3_N6thrust23THRUST_200600_302600_NS17counting_iteratorIiNS8_11hip_rocprim3tagENS8_11use_defaultESC_EEPiiNS8_4plusIiEEEE10hipError_tPvRmT1_T2_T3_mT4_P12ihipStream_tbEUlT_E1_NS1_11comp_targetILNS1_3genE2ELNS1_11target_archE906ELNS1_3gpuE6ELNS1_3repE0EEENS1_30default_config_static_selectorELNS0_4arch9wavefront6targetE1EEEvSK_
; %bb.0:
	.section	.rodata,"a",@progbits
	.p2align	6, 0x0
	.amdhsa_kernel _ZN7rocprim17ROCPRIM_400000_NS6detail17trampoline_kernelINS0_14default_configENS1_22reduce_config_selectorIiEEZNS1_11reduce_implILb1ES3_N6thrust23THRUST_200600_302600_NS17counting_iteratorIiNS8_11hip_rocprim3tagENS8_11use_defaultESC_EEPiiNS8_4plusIiEEEE10hipError_tPvRmT1_T2_T3_mT4_P12ihipStream_tbEUlT_E1_NS1_11comp_targetILNS1_3genE2ELNS1_11target_archE906ELNS1_3gpuE6ELNS1_3repE0EEENS1_30default_config_static_selectorELNS0_4arch9wavefront6targetE1EEEvSK_
		.amdhsa_group_segment_fixed_size 0
		.amdhsa_private_segment_fixed_size 0
		.amdhsa_kernarg_size 40
		.amdhsa_user_sgpr_count 2
		.amdhsa_user_sgpr_dispatch_ptr 0
		.amdhsa_user_sgpr_queue_ptr 0
		.amdhsa_user_sgpr_kernarg_segment_ptr 1
		.amdhsa_user_sgpr_dispatch_id 0
		.amdhsa_user_sgpr_kernarg_preload_length 0
		.amdhsa_user_sgpr_kernarg_preload_offset 0
		.amdhsa_user_sgpr_private_segment_size 0
		.amdhsa_uses_dynamic_stack 0
		.amdhsa_enable_private_segment 0
		.amdhsa_system_sgpr_workgroup_id_x 1
		.amdhsa_system_sgpr_workgroup_id_y 0
		.amdhsa_system_sgpr_workgroup_id_z 0
		.amdhsa_system_sgpr_workgroup_info 0
		.amdhsa_system_vgpr_workitem_id 0
		.amdhsa_next_free_vgpr 1
		.amdhsa_next_free_sgpr 0
		.amdhsa_accum_offset 4
		.amdhsa_reserve_vcc 0
		.amdhsa_float_round_mode_32 0
		.amdhsa_float_round_mode_16_64 0
		.amdhsa_float_denorm_mode_32 3
		.amdhsa_float_denorm_mode_16_64 3
		.amdhsa_dx10_clamp 1
		.amdhsa_ieee_mode 1
		.amdhsa_fp16_overflow 0
		.amdhsa_tg_split 0
		.amdhsa_exception_fp_ieee_invalid_op 0
		.amdhsa_exception_fp_denorm_src 0
		.amdhsa_exception_fp_ieee_div_zero 0
		.amdhsa_exception_fp_ieee_overflow 0
		.amdhsa_exception_fp_ieee_underflow 0
		.amdhsa_exception_fp_ieee_inexact 0
		.amdhsa_exception_int_div_zero 0
	.end_amdhsa_kernel
	.section	.text._ZN7rocprim17ROCPRIM_400000_NS6detail17trampoline_kernelINS0_14default_configENS1_22reduce_config_selectorIiEEZNS1_11reduce_implILb1ES3_N6thrust23THRUST_200600_302600_NS17counting_iteratorIiNS8_11hip_rocprim3tagENS8_11use_defaultESC_EEPiiNS8_4plusIiEEEE10hipError_tPvRmT1_T2_T3_mT4_P12ihipStream_tbEUlT_E1_NS1_11comp_targetILNS1_3genE2ELNS1_11target_archE906ELNS1_3gpuE6ELNS1_3repE0EEENS1_30default_config_static_selectorELNS0_4arch9wavefront6targetE1EEEvSK_,"axG",@progbits,_ZN7rocprim17ROCPRIM_400000_NS6detail17trampoline_kernelINS0_14default_configENS1_22reduce_config_selectorIiEEZNS1_11reduce_implILb1ES3_N6thrust23THRUST_200600_302600_NS17counting_iteratorIiNS8_11hip_rocprim3tagENS8_11use_defaultESC_EEPiiNS8_4plusIiEEEE10hipError_tPvRmT1_T2_T3_mT4_P12ihipStream_tbEUlT_E1_NS1_11comp_targetILNS1_3genE2ELNS1_11target_archE906ELNS1_3gpuE6ELNS1_3repE0EEENS1_30default_config_static_selectorELNS0_4arch9wavefront6targetE1EEEvSK_,comdat
.Lfunc_end1104:
	.size	_ZN7rocprim17ROCPRIM_400000_NS6detail17trampoline_kernelINS0_14default_configENS1_22reduce_config_selectorIiEEZNS1_11reduce_implILb1ES3_N6thrust23THRUST_200600_302600_NS17counting_iteratorIiNS8_11hip_rocprim3tagENS8_11use_defaultESC_EEPiiNS8_4plusIiEEEE10hipError_tPvRmT1_T2_T3_mT4_P12ihipStream_tbEUlT_E1_NS1_11comp_targetILNS1_3genE2ELNS1_11target_archE906ELNS1_3gpuE6ELNS1_3repE0EEENS1_30default_config_static_selectorELNS0_4arch9wavefront6targetE1EEEvSK_, .Lfunc_end1104-_ZN7rocprim17ROCPRIM_400000_NS6detail17trampoline_kernelINS0_14default_configENS1_22reduce_config_selectorIiEEZNS1_11reduce_implILb1ES3_N6thrust23THRUST_200600_302600_NS17counting_iteratorIiNS8_11hip_rocprim3tagENS8_11use_defaultESC_EEPiiNS8_4plusIiEEEE10hipError_tPvRmT1_T2_T3_mT4_P12ihipStream_tbEUlT_E1_NS1_11comp_targetILNS1_3genE2ELNS1_11target_archE906ELNS1_3gpuE6ELNS1_3repE0EEENS1_30default_config_static_selectorELNS0_4arch9wavefront6targetE1EEEvSK_
                                        ; -- End function
	.set _ZN7rocprim17ROCPRIM_400000_NS6detail17trampoline_kernelINS0_14default_configENS1_22reduce_config_selectorIiEEZNS1_11reduce_implILb1ES3_N6thrust23THRUST_200600_302600_NS17counting_iteratorIiNS8_11hip_rocprim3tagENS8_11use_defaultESC_EEPiiNS8_4plusIiEEEE10hipError_tPvRmT1_T2_T3_mT4_P12ihipStream_tbEUlT_E1_NS1_11comp_targetILNS1_3genE2ELNS1_11target_archE906ELNS1_3gpuE6ELNS1_3repE0EEENS1_30default_config_static_selectorELNS0_4arch9wavefront6targetE1EEEvSK_.num_vgpr, 0
	.set _ZN7rocprim17ROCPRIM_400000_NS6detail17trampoline_kernelINS0_14default_configENS1_22reduce_config_selectorIiEEZNS1_11reduce_implILb1ES3_N6thrust23THRUST_200600_302600_NS17counting_iteratorIiNS8_11hip_rocprim3tagENS8_11use_defaultESC_EEPiiNS8_4plusIiEEEE10hipError_tPvRmT1_T2_T3_mT4_P12ihipStream_tbEUlT_E1_NS1_11comp_targetILNS1_3genE2ELNS1_11target_archE906ELNS1_3gpuE6ELNS1_3repE0EEENS1_30default_config_static_selectorELNS0_4arch9wavefront6targetE1EEEvSK_.num_agpr, 0
	.set _ZN7rocprim17ROCPRIM_400000_NS6detail17trampoline_kernelINS0_14default_configENS1_22reduce_config_selectorIiEEZNS1_11reduce_implILb1ES3_N6thrust23THRUST_200600_302600_NS17counting_iteratorIiNS8_11hip_rocprim3tagENS8_11use_defaultESC_EEPiiNS8_4plusIiEEEE10hipError_tPvRmT1_T2_T3_mT4_P12ihipStream_tbEUlT_E1_NS1_11comp_targetILNS1_3genE2ELNS1_11target_archE906ELNS1_3gpuE6ELNS1_3repE0EEENS1_30default_config_static_selectorELNS0_4arch9wavefront6targetE1EEEvSK_.numbered_sgpr, 0
	.set _ZN7rocprim17ROCPRIM_400000_NS6detail17trampoline_kernelINS0_14default_configENS1_22reduce_config_selectorIiEEZNS1_11reduce_implILb1ES3_N6thrust23THRUST_200600_302600_NS17counting_iteratorIiNS8_11hip_rocprim3tagENS8_11use_defaultESC_EEPiiNS8_4plusIiEEEE10hipError_tPvRmT1_T2_T3_mT4_P12ihipStream_tbEUlT_E1_NS1_11comp_targetILNS1_3genE2ELNS1_11target_archE906ELNS1_3gpuE6ELNS1_3repE0EEENS1_30default_config_static_selectorELNS0_4arch9wavefront6targetE1EEEvSK_.num_named_barrier, 0
	.set _ZN7rocprim17ROCPRIM_400000_NS6detail17trampoline_kernelINS0_14default_configENS1_22reduce_config_selectorIiEEZNS1_11reduce_implILb1ES3_N6thrust23THRUST_200600_302600_NS17counting_iteratorIiNS8_11hip_rocprim3tagENS8_11use_defaultESC_EEPiiNS8_4plusIiEEEE10hipError_tPvRmT1_T2_T3_mT4_P12ihipStream_tbEUlT_E1_NS1_11comp_targetILNS1_3genE2ELNS1_11target_archE906ELNS1_3gpuE6ELNS1_3repE0EEENS1_30default_config_static_selectorELNS0_4arch9wavefront6targetE1EEEvSK_.private_seg_size, 0
	.set _ZN7rocprim17ROCPRIM_400000_NS6detail17trampoline_kernelINS0_14default_configENS1_22reduce_config_selectorIiEEZNS1_11reduce_implILb1ES3_N6thrust23THRUST_200600_302600_NS17counting_iteratorIiNS8_11hip_rocprim3tagENS8_11use_defaultESC_EEPiiNS8_4plusIiEEEE10hipError_tPvRmT1_T2_T3_mT4_P12ihipStream_tbEUlT_E1_NS1_11comp_targetILNS1_3genE2ELNS1_11target_archE906ELNS1_3gpuE6ELNS1_3repE0EEENS1_30default_config_static_selectorELNS0_4arch9wavefront6targetE1EEEvSK_.uses_vcc, 0
	.set _ZN7rocprim17ROCPRIM_400000_NS6detail17trampoline_kernelINS0_14default_configENS1_22reduce_config_selectorIiEEZNS1_11reduce_implILb1ES3_N6thrust23THRUST_200600_302600_NS17counting_iteratorIiNS8_11hip_rocprim3tagENS8_11use_defaultESC_EEPiiNS8_4plusIiEEEE10hipError_tPvRmT1_T2_T3_mT4_P12ihipStream_tbEUlT_E1_NS1_11comp_targetILNS1_3genE2ELNS1_11target_archE906ELNS1_3gpuE6ELNS1_3repE0EEENS1_30default_config_static_selectorELNS0_4arch9wavefront6targetE1EEEvSK_.uses_flat_scratch, 0
	.set _ZN7rocprim17ROCPRIM_400000_NS6detail17trampoline_kernelINS0_14default_configENS1_22reduce_config_selectorIiEEZNS1_11reduce_implILb1ES3_N6thrust23THRUST_200600_302600_NS17counting_iteratorIiNS8_11hip_rocprim3tagENS8_11use_defaultESC_EEPiiNS8_4plusIiEEEE10hipError_tPvRmT1_T2_T3_mT4_P12ihipStream_tbEUlT_E1_NS1_11comp_targetILNS1_3genE2ELNS1_11target_archE906ELNS1_3gpuE6ELNS1_3repE0EEENS1_30default_config_static_selectorELNS0_4arch9wavefront6targetE1EEEvSK_.has_dyn_sized_stack, 0
	.set _ZN7rocprim17ROCPRIM_400000_NS6detail17trampoline_kernelINS0_14default_configENS1_22reduce_config_selectorIiEEZNS1_11reduce_implILb1ES3_N6thrust23THRUST_200600_302600_NS17counting_iteratorIiNS8_11hip_rocprim3tagENS8_11use_defaultESC_EEPiiNS8_4plusIiEEEE10hipError_tPvRmT1_T2_T3_mT4_P12ihipStream_tbEUlT_E1_NS1_11comp_targetILNS1_3genE2ELNS1_11target_archE906ELNS1_3gpuE6ELNS1_3repE0EEENS1_30default_config_static_selectorELNS0_4arch9wavefront6targetE1EEEvSK_.has_recursion, 0
	.set _ZN7rocprim17ROCPRIM_400000_NS6detail17trampoline_kernelINS0_14default_configENS1_22reduce_config_selectorIiEEZNS1_11reduce_implILb1ES3_N6thrust23THRUST_200600_302600_NS17counting_iteratorIiNS8_11hip_rocprim3tagENS8_11use_defaultESC_EEPiiNS8_4plusIiEEEE10hipError_tPvRmT1_T2_T3_mT4_P12ihipStream_tbEUlT_E1_NS1_11comp_targetILNS1_3genE2ELNS1_11target_archE906ELNS1_3gpuE6ELNS1_3repE0EEENS1_30default_config_static_selectorELNS0_4arch9wavefront6targetE1EEEvSK_.has_indirect_call, 0
	.section	.AMDGPU.csdata,"",@progbits
; Kernel info:
; codeLenInByte = 0
; TotalNumSgprs: 6
; NumVgprs: 0
; NumAgprs: 0
; TotalNumVgprs: 0
; ScratchSize: 0
; MemoryBound: 0
; FloatMode: 240
; IeeeMode: 1
; LDSByteSize: 0 bytes/workgroup (compile time only)
; SGPRBlocks: 0
; VGPRBlocks: 0
; NumSGPRsForWavesPerEU: 6
; NumVGPRsForWavesPerEU: 1
; AccumOffset: 4
; Occupancy: 8
; WaveLimiterHint : 0
; COMPUTE_PGM_RSRC2:SCRATCH_EN: 0
; COMPUTE_PGM_RSRC2:USER_SGPR: 2
; COMPUTE_PGM_RSRC2:TRAP_HANDLER: 0
; COMPUTE_PGM_RSRC2:TGID_X_EN: 1
; COMPUTE_PGM_RSRC2:TGID_Y_EN: 0
; COMPUTE_PGM_RSRC2:TGID_Z_EN: 0
; COMPUTE_PGM_RSRC2:TIDIG_COMP_CNT: 0
; COMPUTE_PGM_RSRC3_GFX90A:ACCUM_OFFSET: 0
; COMPUTE_PGM_RSRC3_GFX90A:TG_SPLIT: 0
	.section	.text._ZN7rocprim17ROCPRIM_400000_NS6detail17trampoline_kernelINS0_14default_configENS1_22reduce_config_selectorIiEEZNS1_11reduce_implILb1ES3_N6thrust23THRUST_200600_302600_NS17counting_iteratorIiNS8_11hip_rocprim3tagENS8_11use_defaultESC_EEPiiNS8_4plusIiEEEE10hipError_tPvRmT1_T2_T3_mT4_P12ihipStream_tbEUlT_E1_NS1_11comp_targetILNS1_3genE10ELNS1_11target_archE1201ELNS1_3gpuE5ELNS1_3repE0EEENS1_30default_config_static_selectorELNS0_4arch9wavefront6targetE1EEEvSK_,"axG",@progbits,_ZN7rocprim17ROCPRIM_400000_NS6detail17trampoline_kernelINS0_14default_configENS1_22reduce_config_selectorIiEEZNS1_11reduce_implILb1ES3_N6thrust23THRUST_200600_302600_NS17counting_iteratorIiNS8_11hip_rocprim3tagENS8_11use_defaultESC_EEPiiNS8_4plusIiEEEE10hipError_tPvRmT1_T2_T3_mT4_P12ihipStream_tbEUlT_E1_NS1_11comp_targetILNS1_3genE10ELNS1_11target_archE1201ELNS1_3gpuE5ELNS1_3repE0EEENS1_30default_config_static_selectorELNS0_4arch9wavefront6targetE1EEEvSK_,comdat
	.protected	_ZN7rocprim17ROCPRIM_400000_NS6detail17trampoline_kernelINS0_14default_configENS1_22reduce_config_selectorIiEEZNS1_11reduce_implILb1ES3_N6thrust23THRUST_200600_302600_NS17counting_iteratorIiNS8_11hip_rocprim3tagENS8_11use_defaultESC_EEPiiNS8_4plusIiEEEE10hipError_tPvRmT1_T2_T3_mT4_P12ihipStream_tbEUlT_E1_NS1_11comp_targetILNS1_3genE10ELNS1_11target_archE1201ELNS1_3gpuE5ELNS1_3repE0EEENS1_30default_config_static_selectorELNS0_4arch9wavefront6targetE1EEEvSK_ ; -- Begin function _ZN7rocprim17ROCPRIM_400000_NS6detail17trampoline_kernelINS0_14default_configENS1_22reduce_config_selectorIiEEZNS1_11reduce_implILb1ES3_N6thrust23THRUST_200600_302600_NS17counting_iteratorIiNS8_11hip_rocprim3tagENS8_11use_defaultESC_EEPiiNS8_4plusIiEEEE10hipError_tPvRmT1_T2_T3_mT4_P12ihipStream_tbEUlT_E1_NS1_11comp_targetILNS1_3genE10ELNS1_11target_archE1201ELNS1_3gpuE5ELNS1_3repE0EEENS1_30default_config_static_selectorELNS0_4arch9wavefront6targetE1EEEvSK_
	.globl	_ZN7rocprim17ROCPRIM_400000_NS6detail17trampoline_kernelINS0_14default_configENS1_22reduce_config_selectorIiEEZNS1_11reduce_implILb1ES3_N6thrust23THRUST_200600_302600_NS17counting_iteratorIiNS8_11hip_rocprim3tagENS8_11use_defaultESC_EEPiiNS8_4plusIiEEEE10hipError_tPvRmT1_T2_T3_mT4_P12ihipStream_tbEUlT_E1_NS1_11comp_targetILNS1_3genE10ELNS1_11target_archE1201ELNS1_3gpuE5ELNS1_3repE0EEENS1_30default_config_static_selectorELNS0_4arch9wavefront6targetE1EEEvSK_
	.p2align	8
	.type	_ZN7rocprim17ROCPRIM_400000_NS6detail17trampoline_kernelINS0_14default_configENS1_22reduce_config_selectorIiEEZNS1_11reduce_implILb1ES3_N6thrust23THRUST_200600_302600_NS17counting_iteratorIiNS8_11hip_rocprim3tagENS8_11use_defaultESC_EEPiiNS8_4plusIiEEEE10hipError_tPvRmT1_T2_T3_mT4_P12ihipStream_tbEUlT_E1_NS1_11comp_targetILNS1_3genE10ELNS1_11target_archE1201ELNS1_3gpuE5ELNS1_3repE0EEENS1_30default_config_static_selectorELNS0_4arch9wavefront6targetE1EEEvSK_,@function
_ZN7rocprim17ROCPRIM_400000_NS6detail17trampoline_kernelINS0_14default_configENS1_22reduce_config_selectorIiEEZNS1_11reduce_implILb1ES3_N6thrust23THRUST_200600_302600_NS17counting_iteratorIiNS8_11hip_rocprim3tagENS8_11use_defaultESC_EEPiiNS8_4plusIiEEEE10hipError_tPvRmT1_T2_T3_mT4_P12ihipStream_tbEUlT_E1_NS1_11comp_targetILNS1_3genE10ELNS1_11target_archE1201ELNS1_3gpuE5ELNS1_3repE0EEENS1_30default_config_static_selectorELNS0_4arch9wavefront6targetE1EEEvSK_: ; @_ZN7rocprim17ROCPRIM_400000_NS6detail17trampoline_kernelINS0_14default_configENS1_22reduce_config_selectorIiEEZNS1_11reduce_implILb1ES3_N6thrust23THRUST_200600_302600_NS17counting_iteratorIiNS8_11hip_rocprim3tagENS8_11use_defaultESC_EEPiiNS8_4plusIiEEEE10hipError_tPvRmT1_T2_T3_mT4_P12ihipStream_tbEUlT_E1_NS1_11comp_targetILNS1_3genE10ELNS1_11target_archE1201ELNS1_3gpuE5ELNS1_3repE0EEENS1_30default_config_static_selectorELNS0_4arch9wavefront6targetE1EEEvSK_
; %bb.0:
	.section	.rodata,"a",@progbits
	.p2align	6, 0x0
	.amdhsa_kernel _ZN7rocprim17ROCPRIM_400000_NS6detail17trampoline_kernelINS0_14default_configENS1_22reduce_config_selectorIiEEZNS1_11reduce_implILb1ES3_N6thrust23THRUST_200600_302600_NS17counting_iteratorIiNS8_11hip_rocprim3tagENS8_11use_defaultESC_EEPiiNS8_4plusIiEEEE10hipError_tPvRmT1_T2_T3_mT4_P12ihipStream_tbEUlT_E1_NS1_11comp_targetILNS1_3genE10ELNS1_11target_archE1201ELNS1_3gpuE5ELNS1_3repE0EEENS1_30default_config_static_selectorELNS0_4arch9wavefront6targetE1EEEvSK_
		.amdhsa_group_segment_fixed_size 0
		.amdhsa_private_segment_fixed_size 0
		.amdhsa_kernarg_size 40
		.amdhsa_user_sgpr_count 2
		.amdhsa_user_sgpr_dispatch_ptr 0
		.amdhsa_user_sgpr_queue_ptr 0
		.amdhsa_user_sgpr_kernarg_segment_ptr 1
		.amdhsa_user_sgpr_dispatch_id 0
		.amdhsa_user_sgpr_kernarg_preload_length 0
		.amdhsa_user_sgpr_kernarg_preload_offset 0
		.amdhsa_user_sgpr_private_segment_size 0
		.amdhsa_uses_dynamic_stack 0
		.amdhsa_enable_private_segment 0
		.amdhsa_system_sgpr_workgroup_id_x 1
		.amdhsa_system_sgpr_workgroup_id_y 0
		.amdhsa_system_sgpr_workgroup_id_z 0
		.amdhsa_system_sgpr_workgroup_info 0
		.amdhsa_system_vgpr_workitem_id 0
		.amdhsa_next_free_vgpr 1
		.amdhsa_next_free_sgpr 0
		.amdhsa_accum_offset 4
		.amdhsa_reserve_vcc 0
		.amdhsa_float_round_mode_32 0
		.amdhsa_float_round_mode_16_64 0
		.amdhsa_float_denorm_mode_32 3
		.amdhsa_float_denorm_mode_16_64 3
		.amdhsa_dx10_clamp 1
		.amdhsa_ieee_mode 1
		.amdhsa_fp16_overflow 0
		.amdhsa_tg_split 0
		.amdhsa_exception_fp_ieee_invalid_op 0
		.amdhsa_exception_fp_denorm_src 0
		.amdhsa_exception_fp_ieee_div_zero 0
		.amdhsa_exception_fp_ieee_overflow 0
		.amdhsa_exception_fp_ieee_underflow 0
		.amdhsa_exception_fp_ieee_inexact 0
		.amdhsa_exception_int_div_zero 0
	.end_amdhsa_kernel
	.section	.text._ZN7rocprim17ROCPRIM_400000_NS6detail17trampoline_kernelINS0_14default_configENS1_22reduce_config_selectorIiEEZNS1_11reduce_implILb1ES3_N6thrust23THRUST_200600_302600_NS17counting_iteratorIiNS8_11hip_rocprim3tagENS8_11use_defaultESC_EEPiiNS8_4plusIiEEEE10hipError_tPvRmT1_T2_T3_mT4_P12ihipStream_tbEUlT_E1_NS1_11comp_targetILNS1_3genE10ELNS1_11target_archE1201ELNS1_3gpuE5ELNS1_3repE0EEENS1_30default_config_static_selectorELNS0_4arch9wavefront6targetE1EEEvSK_,"axG",@progbits,_ZN7rocprim17ROCPRIM_400000_NS6detail17trampoline_kernelINS0_14default_configENS1_22reduce_config_selectorIiEEZNS1_11reduce_implILb1ES3_N6thrust23THRUST_200600_302600_NS17counting_iteratorIiNS8_11hip_rocprim3tagENS8_11use_defaultESC_EEPiiNS8_4plusIiEEEE10hipError_tPvRmT1_T2_T3_mT4_P12ihipStream_tbEUlT_E1_NS1_11comp_targetILNS1_3genE10ELNS1_11target_archE1201ELNS1_3gpuE5ELNS1_3repE0EEENS1_30default_config_static_selectorELNS0_4arch9wavefront6targetE1EEEvSK_,comdat
.Lfunc_end1105:
	.size	_ZN7rocprim17ROCPRIM_400000_NS6detail17trampoline_kernelINS0_14default_configENS1_22reduce_config_selectorIiEEZNS1_11reduce_implILb1ES3_N6thrust23THRUST_200600_302600_NS17counting_iteratorIiNS8_11hip_rocprim3tagENS8_11use_defaultESC_EEPiiNS8_4plusIiEEEE10hipError_tPvRmT1_T2_T3_mT4_P12ihipStream_tbEUlT_E1_NS1_11comp_targetILNS1_3genE10ELNS1_11target_archE1201ELNS1_3gpuE5ELNS1_3repE0EEENS1_30default_config_static_selectorELNS0_4arch9wavefront6targetE1EEEvSK_, .Lfunc_end1105-_ZN7rocprim17ROCPRIM_400000_NS6detail17trampoline_kernelINS0_14default_configENS1_22reduce_config_selectorIiEEZNS1_11reduce_implILb1ES3_N6thrust23THRUST_200600_302600_NS17counting_iteratorIiNS8_11hip_rocprim3tagENS8_11use_defaultESC_EEPiiNS8_4plusIiEEEE10hipError_tPvRmT1_T2_T3_mT4_P12ihipStream_tbEUlT_E1_NS1_11comp_targetILNS1_3genE10ELNS1_11target_archE1201ELNS1_3gpuE5ELNS1_3repE0EEENS1_30default_config_static_selectorELNS0_4arch9wavefront6targetE1EEEvSK_
                                        ; -- End function
	.set _ZN7rocprim17ROCPRIM_400000_NS6detail17trampoline_kernelINS0_14default_configENS1_22reduce_config_selectorIiEEZNS1_11reduce_implILb1ES3_N6thrust23THRUST_200600_302600_NS17counting_iteratorIiNS8_11hip_rocprim3tagENS8_11use_defaultESC_EEPiiNS8_4plusIiEEEE10hipError_tPvRmT1_T2_T3_mT4_P12ihipStream_tbEUlT_E1_NS1_11comp_targetILNS1_3genE10ELNS1_11target_archE1201ELNS1_3gpuE5ELNS1_3repE0EEENS1_30default_config_static_selectorELNS0_4arch9wavefront6targetE1EEEvSK_.num_vgpr, 0
	.set _ZN7rocprim17ROCPRIM_400000_NS6detail17trampoline_kernelINS0_14default_configENS1_22reduce_config_selectorIiEEZNS1_11reduce_implILb1ES3_N6thrust23THRUST_200600_302600_NS17counting_iteratorIiNS8_11hip_rocprim3tagENS8_11use_defaultESC_EEPiiNS8_4plusIiEEEE10hipError_tPvRmT1_T2_T3_mT4_P12ihipStream_tbEUlT_E1_NS1_11comp_targetILNS1_3genE10ELNS1_11target_archE1201ELNS1_3gpuE5ELNS1_3repE0EEENS1_30default_config_static_selectorELNS0_4arch9wavefront6targetE1EEEvSK_.num_agpr, 0
	.set _ZN7rocprim17ROCPRIM_400000_NS6detail17trampoline_kernelINS0_14default_configENS1_22reduce_config_selectorIiEEZNS1_11reduce_implILb1ES3_N6thrust23THRUST_200600_302600_NS17counting_iteratorIiNS8_11hip_rocprim3tagENS8_11use_defaultESC_EEPiiNS8_4plusIiEEEE10hipError_tPvRmT1_T2_T3_mT4_P12ihipStream_tbEUlT_E1_NS1_11comp_targetILNS1_3genE10ELNS1_11target_archE1201ELNS1_3gpuE5ELNS1_3repE0EEENS1_30default_config_static_selectorELNS0_4arch9wavefront6targetE1EEEvSK_.numbered_sgpr, 0
	.set _ZN7rocprim17ROCPRIM_400000_NS6detail17trampoline_kernelINS0_14default_configENS1_22reduce_config_selectorIiEEZNS1_11reduce_implILb1ES3_N6thrust23THRUST_200600_302600_NS17counting_iteratorIiNS8_11hip_rocprim3tagENS8_11use_defaultESC_EEPiiNS8_4plusIiEEEE10hipError_tPvRmT1_T2_T3_mT4_P12ihipStream_tbEUlT_E1_NS1_11comp_targetILNS1_3genE10ELNS1_11target_archE1201ELNS1_3gpuE5ELNS1_3repE0EEENS1_30default_config_static_selectorELNS0_4arch9wavefront6targetE1EEEvSK_.num_named_barrier, 0
	.set _ZN7rocprim17ROCPRIM_400000_NS6detail17trampoline_kernelINS0_14default_configENS1_22reduce_config_selectorIiEEZNS1_11reduce_implILb1ES3_N6thrust23THRUST_200600_302600_NS17counting_iteratorIiNS8_11hip_rocprim3tagENS8_11use_defaultESC_EEPiiNS8_4plusIiEEEE10hipError_tPvRmT1_T2_T3_mT4_P12ihipStream_tbEUlT_E1_NS1_11comp_targetILNS1_3genE10ELNS1_11target_archE1201ELNS1_3gpuE5ELNS1_3repE0EEENS1_30default_config_static_selectorELNS0_4arch9wavefront6targetE1EEEvSK_.private_seg_size, 0
	.set _ZN7rocprim17ROCPRIM_400000_NS6detail17trampoline_kernelINS0_14default_configENS1_22reduce_config_selectorIiEEZNS1_11reduce_implILb1ES3_N6thrust23THRUST_200600_302600_NS17counting_iteratorIiNS8_11hip_rocprim3tagENS8_11use_defaultESC_EEPiiNS8_4plusIiEEEE10hipError_tPvRmT1_T2_T3_mT4_P12ihipStream_tbEUlT_E1_NS1_11comp_targetILNS1_3genE10ELNS1_11target_archE1201ELNS1_3gpuE5ELNS1_3repE0EEENS1_30default_config_static_selectorELNS0_4arch9wavefront6targetE1EEEvSK_.uses_vcc, 0
	.set _ZN7rocprim17ROCPRIM_400000_NS6detail17trampoline_kernelINS0_14default_configENS1_22reduce_config_selectorIiEEZNS1_11reduce_implILb1ES3_N6thrust23THRUST_200600_302600_NS17counting_iteratorIiNS8_11hip_rocprim3tagENS8_11use_defaultESC_EEPiiNS8_4plusIiEEEE10hipError_tPvRmT1_T2_T3_mT4_P12ihipStream_tbEUlT_E1_NS1_11comp_targetILNS1_3genE10ELNS1_11target_archE1201ELNS1_3gpuE5ELNS1_3repE0EEENS1_30default_config_static_selectorELNS0_4arch9wavefront6targetE1EEEvSK_.uses_flat_scratch, 0
	.set _ZN7rocprim17ROCPRIM_400000_NS6detail17trampoline_kernelINS0_14default_configENS1_22reduce_config_selectorIiEEZNS1_11reduce_implILb1ES3_N6thrust23THRUST_200600_302600_NS17counting_iteratorIiNS8_11hip_rocprim3tagENS8_11use_defaultESC_EEPiiNS8_4plusIiEEEE10hipError_tPvRmT1_T2_T3_mT4_P12ihipStream_tbEUlT_E1_NS1_11comp_targetILNS1_3genE10ELNS1_11target_archE1201ELNS1_3gpuE5ELNS1_3repE0EEENS1_30default_config_static_selectorELNS0_4arch9wavefront6targetE1EEEvSK_.has_dyn_sized_stack, 0
	.set _ZN7rocprim17ROCPRIM_400000_NS6detail17trampoline_kernelINS0_14default_configENS1_22reduce_config_selectorIiEEZNS1_11reduce_implILb1ES3_N6thrust23THRUST_200600_302600_NS17counting_iteratorIiNS8_11hip_rocprim3tagENS8_11use_defaultESC_EEPiiNS8_4plusIiEEEE10hipError_tPvRmT1_T2_T3_mT4_P12ihipStream_tbEUlT_E1_NS1_11comp_targetILNS1_3genE10ELNS1_11target_archE1201ELNS1_3gpuE5ELNS1_3repE0EEENS1_30default_config_static_selectorELNS0_4arch9wavefront6targetE1EEEvSK_.has_recursion, 0
	.set _ZN7rocprim17ROCPRIM_400000_NS6detail17trampoline_kernelINS0_14default_configENS1_22reduce_config_selectorIiEEZNS1_11reduce_implILb1ES3_N6thrust23THRUST_200600_302600_NS17counting_iteratorIiNS8_11hip_rocprim3tagENS8_11use_defaultESC_EEPiiNS8_4plusIiEEEE10hipError_tPvRmT1_T2_T3_mT4_P12ihipStream_tbEUlT_E1_NS1_11comp_targetILNS1_3genE10ELNS1_11target_archE1201ELNS1_3gpuE5ELNS1_3repE0EEENS1_30default_config_static_selectorELNS0_4arch9wavefront6targetE1EEEvSK_.has_indirect_call, 0
	.section	.AMDGPU.csdata,"",@progbits
; Kernel info:
; codeLenInByte = 0
; TotalNumSgprs: 6
; NumVgprs: 0
; NumAgprs: 0
; TotalNumVgprs: 0
; ScratchSize: 0
; MemoryBound: 0
; FloatMode: 240
; IeeeMode: 1
; LDSByteSize: 0 bytes/workgroup (compile time only)
; SGPRBlocks: 0
; VGPRBlocks: 0
; NumSGPRsForWavesPerEU: 6
; NumVGPRsForWavesPerEU: 1
; AccumOffset: 4
; Occupancy: 8
; WaveLimiterHint : 0
; COMPUTE_PGM_RSRC2:SCRATCH_EN: 0
; COMPUTE_PGM_RSRC2:USER_SGPR: 2
; COMPUTE_PGM_RSRC2:TRAP_HANDLER: 0
; COMPUTE_PGM_RSRC2:TGID_X_EN: 1
; COMPUTE_PGM_RSRC2:TGID_Y_EN: 0
; COMPUTE_PGM_RSRC2:TGID_Z_EN: 0
; COMPUTE_PGM_RSRC2:TIDIG_COMP_CNT: 0
; COMPUTE_PGM_RSRC3_GFX90A:ACCUM_OFFSET: 0
; COMPUTE_PGM_RSRC3_GFX90A:TG_SPLIT: 0
	.section	.text._ZN7rocprim17ROCPRIM_400000_NS6detail17trampoline_kernelINS0_14default_configENS1_22reduce_config_selectorIiEEZNS1_11reduce_implILb1ES3_N6thrust23THRUST_200600_302600_NS17counting_iteratorIiNS8_11hip_rocprim3tagENS8_11use_defaultESC_EEPiiNS8_4plusIiEEEE10hipError_tPvRmT1_T2_T3_mT4_P12ihipStream_tbEUlT_E1_NS1_11comp_targetILNS1_3genE10ELNS1_11target_archE1200ELNS1_3gpuE4ELNS1_3repE0EEENS1_30default_config_static_selectorELNS0_4arch9wavefront6targetE1EEEvSK_,"axG",@progbits,_ZN7rocprim17ROCPRIM_400000_NS6detail17trampoline_kernelINS0_14default_configENS1_22reduce_config_selectorIiEEZNS1_11reduce_implILb1ES3_N6thrust23THRUST_200600_302600_NS17counting_iteratorIiNS8_11hip_rocprim3tagENS8_11use_defaultESC_EEPiiNS8_4plusIiEEEE10hipError_tPvRmT1_T2_T3_mT4_P12ihipStream_tbEUlT_E1_NS1_11comp_targetILNS1_3genE10ELNS1_11target_archE1200ELNS1_3gpuE4ELNS1_3repE0EEENS1_30default_config_static_selectorELNS0_4arch9wavefront6targetE1EEEvSK_,comdat
	.protected	_ZN7rocprim17ROCPRIM_400000_NS6detail17trampoline_kernelINS0_14default_configENS1_22reduce_config_selectorIiEEZNS1_11reduce_implILb1ES3_N6thrust23THRUST_200600_302600_NS17counting_iteratorIiNS8_11hip_rocprim3tagENS8_11use_defaultESC_EEPiiNS8_4plusIiEEEE10hipError_tPvRmT1_T2_T3_mT4_P12ihipStream_tbEUlT_E1_NS1_11comp_targetILNS1_3genE10ELNS1_11target_archE1200ELNS1_3gpuE4ELNS1_3repE0EEENS1_30default_config_static_selectorELNS0_4arch9wavefront6targetE1EEEvSK_ ; -- Begin function _ZN7rocprim17ROCPRIM_400000_NS6detail17trampoline_kernelINS0_14default_configENS1_22reduce_config_selectorIiEEZNS1_11reduce_implILb1ES3_N6thrust23THRUST_200600_302600_NS17counting_iteratorIiNS8_11hip_rocprim3tagENS8_11use_defaultESC_EEPiiNS8_4plusIiEEEE10hipError_tPvRmT1_T2_T3_mT4_P12ihipStream_tbEUlT_E1_NS1_11comp_targetILNS1_3genE10ELNS1_11target_archE1200ELNS1_3gpuE4ELNS1_3repE0EEENS1_30default_config_static_selectorELNS0_4arch9wavefront6targetE1EEEvSK_
	.globl	_ZN7rocprim17ROCPRIM_400000_NS6detail17trampoline_kernelINS0_14default_configENS1_22reduce_config_selectorIiEEZNS1_11reduce_implILb1ES3_N6thrust23THRUST_200600_302600_NS17counting_iteratorIiNS8_11hip_rocprim3tagENS8_11use_defaultESC_EEPiiNS8_4plusIiEEEE10hipError_tPvRmT1_T2_T3_mT4_P12ihipStream_tbEUlT_E1_NS1_11comp_targetILNS1_3genE10ELNS1_11target_archE1200ELNS1_3gpuE4ELNS1_3repE0EEENS1_30default_config_static_selectorELNS0_4arch9wavefront6targetE1EEEvSK_
	.p2align	8
	.type	_ZN7rocprim17ROCPRIM_400000_NS6detail17trampoline_kernelINS0_14default_configENS1_22reduce_config_selectorIiEEZNS1_11reduce_implILb1ES3_N6thrust23THRUST_200600_302600_NS17counting_iteratorIiNS8_11hip_rocprim3tagENS8_11use_defaultESC_EEPiiNS8_4plusIiEEEE10hipError_tPvRmT1_T2_T3_mT4_P12ihipStream_tbEUlT_E1_NS1_11comp_targetILNS1_3genE10ELNS1_11target_archE1200ELNS1_3gpuE4ELNS1_3repE0EEENS1_30default_config_static_selectorELNS0_4arch9wavefront6targetE1EEEvSK_,@function
_ZN7rocprim17ROCPRIM_400000_NS6detail17trampoline_kernelINS0_14default_configENS1_22reduce_config_selectorIiEEZNS1_11reduce_implILb1ES3_N6thrust23THRUST_200600_302600_NS17counting_iteratorIiNS8_11hip_rocprim3tagENS8_11use_defaultESC_EEPiiNS8_4plusIiEEEE10hipError_tPvRmT1_T2_T3_mT4_P12ihipStream_tbEUlT_E1_NS1_11comp_targetILNS1_3genE10ELNS1_11target_archE1200ELNS1_3gpuE4ELNS1_3repE0EEENS1_30default_config_static_selectorELNS0_4arch9wavefront6targetE1EEEvSK_: ; @_ZN7rocprim17ROCPRIM_400000_NS6detail17trampoline_kernelINS0_14default_configENS1_22reduce_config_selectorIiEEZNS1_11reduce_implILb1ES3_N6thrust23THRUST_200600_302600_NS17counting_iteratorIiNS8_11hip_rocprim3tagENS8_11use_defaultESC_EEPiiNS8_4plusIiEEEE10hipError_tPvRmT1_T2_T3_mT4_P12ihipStream_tbEUlT_E1_NS1_11comp_targetILNS1_3genE10ELNS1_11target_archE1200ELNS1_3gpuE4ELNS1_3repE0EEENS1_30default_config_static_selectorELNS0_4arch9wavefront6targetE1EEEvSK_
; %bb.0:
	.section	.rodata,"a",@progbits
	.p2align	6, 0x0
	.amdhsa_kernel _ZN7rocprim17ROCPRIM_400000_NS6detail17trampoline_kernelINS0_14default_configENS1_22reduce_config_selectorIiEEZNS1_11reduce_implILb1ES3_N6thrust23THRUST_200600_302600_NS17counting_iteratorIiNS8_11hip_rocprim3tagENS8_11use_defaultESC_EEPiiNS8_4plusIiEEEE10hipError_tPvRmT1_T2_T3_mT4_P12ihipStream_tbEUlT_E1_NS1_11comp_targetILNS1_3genE10ELNS1_11target_archE1200ELNS1_3gpuE4ELNS1_3repE0EEENS1_30default_config_static_selectorELNS0_4arch9wavefront6targetE1EEEvSK_
		.amdhsa_group_segment_fixed_size 0
		.amdhsa_private_segment_fixed_size 0
		.amdhsa_kernarg_size 40
		.amdhsa_user_sgpr_count 2
		.amdhsa_user_sgpr_dispatch_ptr 0
		.amdhsa_user_sgpr_queue_ptr 0
		.amdhsa_user_sgpr_kernarg_segment_ptr 1
		.amdhsa_user_sgpr_dispatch_id 0
		.amdhsa_user_sgpr_kernarg_preload_length 0
		.amdhsa_user_sgpr_kernarg_preload_offset 0
		.amdhsa_user_sgpr_private_segment_size 0
		.amdhsa_uses_dynamic_stack 0
		.amdhsa_enable_private_segment 0
		.amdhsa_system_sgpr_workgroup_id_x 1
		.amdhsa_system_sgpr_workgroup_id_y 0
		.amdhsa_system_sgpr_workgroup_id_z 0
		.amdhsa_system_sgpr_workgroup_info 0
		.amdhsa_system_vgpr_workitem_id 0
		.amdhsa_next_free_vgpr 1
		.amdhsa_next_free_sgpr 0
		.amdhsa_accum_offset 4
		.amdhsa_reserve_vcc 0
		.amdhsa_float_round_mode_32 0
		.amdhsa_float_round_mode_16_64 0
		.amdhsa_float_denorm_mode_32 3
		.amdhsa_float_denorm_mode_16_64 3
		.amdhsa_dx10_clamp 1
		.amdhsa_ieee_mode 1
		.amdhsa_fp16_overflow 0
		.amdhsa_tg_split 0
		.amdhsa_exception_fp_ieee_invalid_op 0
		.amdhsa_exception_fp_denorm_src 0
		.amdhsa_exception_fp_ieee_div_zero 0
		.amdhsa_exception_fp_ieee_overflow 0
		.amdhsa_exception_fp_ieee_underflow 0
		.amdhsa_exception_fp_ieee_inexact 0
		.amdhsa_exception_int_div_zero 0
	.end_amdhsa_kernel
	.section	.text._ZN7rocprim17ROCPRIM_400000_NS6detail17trampoline_kernelINS0_14default_configENS1_22reduce_config_selectorIiEEZNS1_11reduce_implILb1ES3_N6thrust23THRUST_200600_302600_NS17counting_iteratorIiNS8_11hip_rocprim3tagENS8_11use_defaultESC_EEPiiNS8_4plusIiEEEE10hipError_tPvRmT1_T2_T3_mT4_P12ihipStream_tbEUlT_E1_NS1_11comp_targetILNS1_3genE10ELNS1_11target_archE1200ELNS1_3gpuE4ELNS1_3repE0EEENS1_30default_config_static_selectorELNS0_4arch9wavefront6targetE1EEEvSK_,"axG",@progbits,_ZN7rocprim17ROCPRIM_400000_NS6detail17trampoline_kernelINS0_14default_configENS1_22reduce_config_selectorIiEEZNS1_11reduce_implILb1ES3_N6thrust23THRUST_200600_302600_NS17counting_iteratorIiNS8_11hip_rocprim3tagENS8_11use_defaultESC_EEPiiNS8_4plusIiEEEE10hipError_tPvRmT1_T2_T3_mT4_P12ihipStream_tbEUlT_E1_NS1_11comp_targetILNS1_3genE10ELNS1_11target_archE1200ELNS1_3gpuE4ELNS1_3repE0EEENS1_30default_config_static_selectorELNS0_4arch9wavefront6targetE1EEEvSK_,comdat
.Lfunc_end1106:
	.size	_ZN7rocprim17ROCPRIM_400000_NS6detail17trampoline_kernelINS0_14default_configENS1_22reduce_config_selectorIiEEZNS1_11reduce_implILb1ES3_N6thrust23THRUST_200600_302600_NS17counting_iteratorIiNS8_11hip_rocprim3tagENS8_11use_defaultESC_EEPiiNS8_4plusIiEEEE10hipError_tPvRmT1_T2_T3_mT4_P12ihipStream_tbEUlT_E1_NS1_11comp_targetILNS1_3genE10ELNS1_11target_archE1200ELNS1_3gpuE4ELNS1_3repE0EEENS1_30default_config_static_selectorELNS0_4arch9wavefront6targetE1EEEvSK_, .Lfunc_end1106-_ZN7rocprim17ROCPRIM_400000_NS6detail17trampoline_kernelINS0_14default_configENS1_22reduce_config_selectorIiEEZNS1_11reduce_implILb1ES3_N6thrust23THRUST_200600_302600_NS17counting_iteratorIiNS8_11hip_rocprim3tagENS8_11use_defaultESC_EEPiiNS8_4plusIiEEEE10hipError_tPvRmT1_T2_T3_mT4_P12ihipStream_tbEUlT_E1_NS1_11comp_targetILNS1_3genE10ELNS1_11target_archE1200ELNS1_3gpuE4ELNS1_3repE0EEENS1_30default_config_static_selectorELNS0_4arch9wavefront6targetE1EEEvSK_
                                        ; -- End function
	.set _ZN7rocprim17ROCPRIM_400000_NS6detail17trampoline_kernelINS0_14default_configENS1_22reduce_config_selectorIiEEZNS1_11reduce_implILb1ES3_N6thrust23THRUST_200600_302600_NS17counting_iteratorIiNS8_11hip_rocprim3tagENS8_11use_defaultESC_EEPiiNS8_4plusIiEEEE10hipError_tPvRmT1_T2_T3_mT4_P12ihipStream_tbEUlT_E1_NS1_11comp_targetILNS1_3genE10ELNS1_11target_archE1200ELNS1_3gpuE4ELNS1_3repE0EEENS1_30default_config_static_selectorELNS0_4arch9wavefront6targetE1EEEvSK_.num_vgpr, 0
	.set _ZN7rocprim17ROCPRIM_400000_NS6detail17trampoline_kernelINS0_14default_configENS1_22reduce_config_selectorIiEEZNS1_11reduce_implILb1ES3_N6thrust23THRUST_200600_302600_NS17counting_iteratorIiNS8_11hip_rocprim3tagENS8_11use_defaultESC_EEPiiNS8_4plusIiEEEE10hipError_tPvRmT1_T2_T3_mT4_P12ihipStream_tbEUlT_E1_NS1_11comp_targetILNS1_3genE10ELNS1_11target_archE1200ELNS1_3gpuE4ELNS1_3repE0EEENS1_30default_config_static_selectorELNS0_4arch9wavefront6targetE1EEEvSK_.num_agpr, 0
	.set _ZN7rocprim17ROCPRIM_400000_NS6detail17trampoline_kernelINS0_14default_configENS1_22reduce_config_selectorIiEEZNS1_11reduce_implILb1ES3_N6thrust23THRUST_200600_302600_NS17counting_iteratorIiNS8_11hip_rocprim3tagENS8_11use_defaultESC_EEPiiNS8_4plusIiEEEE10hipError_tPvRmT1_T2_T3_mT4_P12ihipStream_tbEUlT_E1_NS1_11comp_targetILNS1_3genE10ELNS1_11target_archE1200ELNS1_3gpuE4ELNS1_3repE0EEENS1_30default_config_static_selectorELNS0_4arch9wavefront6targetE1EEEvSK_.numbered_sgpr, 0
	.set _ZN7rocprim17ROCPRIM_400000_NS6detail17trampoline_kernelINS0_14default_configENS1_22reduce_config_selectorIiEEZNS1_11reduce_implILb1ES3_N6thrust23THRUST_200600_302600_NS17counting_iteratorIiNS8_11hip_rocprim3tagENS8_11use_defaultESC_EEPiiNS8_4plusIiEEEE10hipError_tPvRmT1_T2_T3_mT4_P12ihipStream_tbEUlT_E1_NS1_11comp_targetILNS1_3genE10ELNS1_11target_archE1200ELNS1_3gpuE4ELNS1_3repE0EEENS1_30default_config_static_selectorELNS0_4arch9wavefront6targetE1EEEvSK_.num_named_barrier, 0
	.set _ZN7rocprim17ROCPRIM_400000_NS6detail17trampoline_kernelINS0_14default_configENS1_22reduce_config_selectorIiEEZNS1_11reduce_implILb1ES3_N6thrust23THRUST_200600_302600_NS17counting_iteratorIiNS8_11hip_rocprim3tagENS8_11use_defaultESC_EEPiiNS8_4plusIiEEEE10hipError_tPvRmT1_T2_T3_mT4_P12ihipStream_tbEUlT_E1_NS1_11comp_targetILNS1_3genE10ELNS1_11target_archE1200ELNS1_3gpuE4ELNS1_3repE0EEENS1_30default_config_static_selectorELNS0_4arch9wavefront6targetE1EEEvSK_.private_seg_size, 0
	.set _ZN7rocprim17ROCPRIM_400000_NS6detail17trampoline_kernelINS0_14default_configENS1_22reduce_config_selectorIiEEZNS1_11reduce_implILb1ES3_N6thrust23THRUST_200600_302600_NS17counting_iteratorIiNS8_11hip_rocprim3tagENS8_11use_defaultESC_EEPiiNS8_4plusIiEEEE10hipError_tPvRmT1_T2_T3_mT4_P12ihipStream_tbEUlT_E1_NS1_11comp_targetILNS1_3genE10ELNS1_11target_archE1200ELNS1_3gpuE4ELNS1_3repE0EEENS1_30default_config_static_selectorELNS0_4arch9wavefront6targetE1EEEvSK_.uses_vcc, 0
	.set _ZN7rocprim17ROCPRIM_400000_NS6detail17trampoline_kernelINS0_14default_configENS1_22reduce_config_selectorIiEEZNS1_11reduce_implILb1ES3_N6thrust23THRUST_200600_302600_NS17counting_iteratorIiNS8_11hip_rocprim3tagENS8_11use_defaultESC_EEPiiNS8_4plusIiEEEE10hipError_tPvRmT1_T2_T3_mT4_P12ihipStream_tbEUlT_E1_NS1_11comp_targetILNS1_3genE10ELNS1_11target_archE1200ELNS1_3gpuE4ELNS1_3repE0EEENS1_30default_config_static_selectorELNS0_4arch9wavefront6targetE1EEEvSK_.uses_flat_scratch, 0
	.set _ZN7rocprim17ROCPRIM_400000_NS6detail17trampoline_kernelINS0_14default_configENS1_22reduce_config_selectorIiEEZNS1_11reduce_implILb1ES3_N6thrust23THRUST_200600_302600_NS17counting_iteratorIiNS8_11hip_rocprim3tagENS8_11use_defaultESC_EEPiiNS8_4plusIiEEEE10hipError_tPvRmT1_T2_T3_mT4_P12ihipStream_tbEUlT_E1_NS1_11comp_targetILNS1_3genE10ELNS1_11target_archE1200ELNS1_3gpuE4ELNS1_3repE0EEENS1_30default_config_static_selectorELNS0_4arch9wavefront6targetE1EEEvSK_.has_dyn_sized_stack, 0
	.set _ZN7rocprim17ROCPRIM_400000_NS6detail17trampoline_kernelINS0_14default_configENS1_22reduce_config_selectorIiEEZNS1_11reduce_implILb1ES3_N6thrust23THRUST_200600_302600_NS17counting_iteratorIiNS8_11hip_rocprim3tagENS8_11use_defaultESC_EEPiiNS8_4plusIiEEEE10hipError_tPvRmT1_T2_T3_mT4_P12ihipStream_tbEUlT_E1_NS1_11comp_targetILNS1_3genE10ELNS1_11target_archE1200ELNS1_3gpuE4ELNS1_3repE0EEENS1_30default_config_static_selectorELNS0_4arch9wavefront6targetE1EEEvSK_.has_recursion, 0
	.set _ZN7rocprim17ROCPRIM_400000_NS6detail17trampoline_kernelINS0_14default_configENS1_22reduce_config_selectorIiEEZNS1_11reduce_implILb1ES3_N6thrust23THRUST_200600_302600_NS17counting_iteratorIiNS8_11hip_rocprim3tagENS8_11use_defaultESC_EEPiiNS8_4plusIiEEEE10hipError_tPvRmT1_T2_T3_mT4_P12ihipStream_tbEUlT_E1_NS1_11comp_targetILNS1_3genE10ELNS1_11target_archE1200ELNS1_3gpuE4ELNS1_3repE0EEENS1_30default_config_static_selectorELNS0_4arch9wavefront6targetE1EEEvSK_.has_indirect_call, 0
	.section	.AMDGPU.csdata,"",@progbits
; Kernel info:
; codeLenInByte = 0
; TotalNumSgprs: 6
; NumVgprs: 0
; NumAgprs: 0
; TotalNumVgprs: 0
; ScratchSize: 0
; MemoryBound: 0
; FloatMode: 240
; IeeeMode: 1
; LDSByteSize: 0 bytes/workgroup (compile time only)
; SGPRBlocks: 0
; VGPRBlocks: 0
; NumSGPRsForWavesPerEU: 6
; NumVGPRsForWavesPerEU: 1
; AccumOffset: 4
; Occupancy: 8
; WaveLimiterHint : 0
; COMPUTE_PGM_RSRC2:SCRATCH_EN: 0
; COMPUTE_PGM_RSRC2:USER_SGPR: 2
; COMPUTE_PGM_RSRC2:TRAP_HANDLER: 0
; COMPUTE_PGM_RSRC2:TGID_X_EN: 1
; COMPUTE_PGM_RSRC2:TGID_Y_EN: 0
; COMPUTE_PGM_RSRC2:TGID_Z_EN: 0
; COMPUTE_PGM_RSRC2:TIDIG_COMP_CNT: 0
; COMPUTE_PGM_RSRC3_GFX90A:ACCUM_OFFSET: 0
; COMPUTE_PGM_RSRC3_GFX90A:TG_SPLIT: 0
	.section	.text._ZN7rocprim17ROCPRIM_400000_NS6detail17trampoline_kernelINS0_14default_configENS1_22reduce_config_selectorIiEEZNS1_11reduce_implILb1ES3_N6thrust23THRUST_200600_302600_NS17counting_iteratorIiNS8_11hip_rocprim3tagENS8_11use_defaultESC_EEPiiNS8_4plusIiEEEE10hipError_tPvRmT1_T2_T3_mT4_P12ihipStream_tbEUlT_E1_NS1_11comp_targetILNS1_3genE9ELNS1_11target_archE1100ELNS1_3gpuE3ELNS1_3repE0EEENS1_30default_config_static_selectorELNS0_4arch9wavefront6targetE1EEEvSK_,"axG",@progbits,_ZN7rocprim17ROCPRIM_400000_NS6detail17trampoline_kernelINS0_14default_configENS1_22reduce_config_selectorIiEEZNS1_11reduce_implILb1ES3_N6thrust23THRUST_200600_302600_NS17counting_iteratorIiNS8_11hip_rocprim3tagENS8_11use_defaultESC_EEPiiNS8_4plusIiEEEE10hipError_tPvRmT1_T2_T3_mT4_P12ihipStream_tbEUlT_E1_NS1_11comp_targetILNS1_3genE9ELNS1_11target_archE1100ELNS1_3gpuE3ELNS1_3repE0EEENS1_30default_config_static_selectorELNS0_4arch9wavefront6targetE1EEEvSK_,comdat
	.protected	_ZN7rocprim17ROCPRIM_400000_NS6detail17trampoline_kernelINS0_14default_configENS1_22reduce_config_selectorIiEEZNS1_11reduce_implILb1ES3_N6thrust23THRUST_200600_302600_NS17counting_iteratorIiNS8_11hip_rocprim3tagENS8_11use_defaultESC_EEPiiNS8_4plusIiEEEE10hipError_tPvRmT1_T2_T3_mT4_P12ihipStream_tbEUlT_E1_NS1_11comp_targetILNS1_3genE9ELNS1_11target_archE1100ELNS1_3gpuE3ELNS1_3repE0EEENS1_30default_config_static_selectorELNS0_4arch9wavefront6targetE1EEEvSK_ ; -- Begin function _ZN7rocprim17ROCPRIM_400000_NS6detail17trampoline_kernelINS0_14default_configENS1_22reduce_config_selectorIiEEZNS1_11reduce_implILb1ES3_N6thrust23THRUST_200600_302600_NS17counting_iteratorIiNS8_11hip_rocprim3tagENS8_11use_defaultESC_EEPiiNS8_4plusIiEEEE10hipError_tPvRmT1_T2_T3_mT4_P12ihipStream_tbEUlT_E1_NS1_11comp_targetILNS1_3genE9ELNS1_11target_archE1100ELNS1_3gpuE3ELNS1_3repE0EEENS1_30default_config_static_selectorELNS0_4arch9wavefront6targetE1EEEvSK_
	.globl	_ZN7rocprim17ROCPRIM_400000_NS6detail17trampoline_kernelINS0_14default_configENS1_22reduce_config_selectorIiEEZNS1_11reduce_implILb1ES3_N6thrust23THRUST_200600_302600_NS17counting_iteratorIiNS8_11hip_rocprim3tagENS8_11use_defaultESC_EEPiiNS8_4plusIiEEEE10hipError_tPvRmT1_T2_T3_mT4_P12ihipStream_tbEUlT_E1_NS1_11comp_targetILNS1_3genE9ELNS1_11target_archE1100ELNS1_3gpuE3ELNS1_3repE0EEENS1_30default_config_static_selectorELNS0_4arch9wavefront6targetE1EEEvSK_
	.p2align	8
	.type	_ZN7rocprim17ROCPRIM_400000_NS6detail17trampoline_kernelINS0_14default_configENS1_22reduce_config_selectorIiEEZNS1_11reduce_implILb1ES3_N6thrust23THRUST_200600_302600_NS17counting_iteratorIiNS8_11hip_rocprim3tagENS8_11use_defaultESC_EEPiiNS8_4plusIiEEEE10hipError_tPvRmT1_T2_T3_mT4_P12ihipStream_tbEUlT_E1_NS1_11comp_targetILNS1_3genE9ELNS1_11target_archE1100ELNS1_3gpuE3ELNS1_3repE0EEENS1_30default_config_static_selectorELNS0_4arch9wavefront6targetE1EEEvSK_,@function
_ZN7rocprim17ROCPRIM_400000_NS6detail17trampoline_kernelINS0_14default_configENS1_22reduce_config_selectorIiEEZNS1_11reduce_implILb1ES3_N6thrust23THRUST_200600_302600_NS17counting_iteratorIiNS8_11hip_rocprim3tagENS8_11use_defaultESC_EEPiiNS8_4plusIiEEEE10hipError_tPvRmT1_T2_T3_mT4_P12ihipStream_tbEUlT_E1_NS1_11comp_targetILNS1_3genE9ELNS1_11target_archE1100ELNS1_3gpuE3ELNS1_3repE0EEENS1_30default_config_static_selectorELNS0_4arch9wavefront6targetE1EEEvSK_: ; @_ZN7rocprim17ROCPRIM_400000_NS6detail17trampoline_kernelINS0_14default_configENS1_22reduce_config_selectorIiEEZNS1_11reduce_implILb1ES3_N6thrust23THRUST_200600_302600_NS17counting_iteratorIiNS8_11hip_rocprim3tagENS8_11use_defaultESC_EEPiiNS8_4plusIiEEEE10hipError_tPvRmT1_T2_T3_mT4_P12ihipStream_tbEUlT_E1_NS1_11comp_targetILNS1_3genE9ELNS1_11target_archE1100ELNS1_3gpuE3ELNS1_3repE0EEENS1_30default_config_static_selectorELNS0_4arch9wavefront6targetE1EEEvSK_
; %bb.0:
	.section	.rodata,"a",@progbits
	.p2align	6, 0x0
	.amdhsa_kernel _ZN7rocprim17ROCPRIM_400000_NS6detail17trampoline_kernelINS0_14default_configENS1_22reduce_config_selectorIiEEZNS1_11reduce_implILb1ES3_N6thrust23THRUST_200600_302600_NS17counting_iteratorIiNS8_11hip_rocprim3tagENS8_11use_defaultESC_EEPiiNS8_4plusIiEEEE10hipError_tPvRmT1_T2_T3_mT4_P12ihipStream_tbEUlT_E1_NS1_11comp_targetILNS1_3genE9ELNS1_11target_archE1100ELNS1_3gpuE3ELNS1_3repE0EEENS1_30default_config_static_selectorELNS0_4arch9wavefront6targetE1EEEvSK_
		.amdhsa_group_segment_fixed_size 0
		.amdhsa_private_segment_fixed_size 0
		.amdhsa_kernarg_size 40
		.amdhsa_user_sgpr_count 2
		.amdhsa_user_sgpr_dispatch_ptr 0
		.amdhsa_user_sgpr_queue_ptr 0
		.amdhsa_user_sgpr_kernarg_segment_ptr 1
		.amdhsa_user_sgpr_dispatch_id 0
		.amdhsa_user_sgpr_kernarg_preload_length 0
		.amdhsa_user_sgpr_kernarg_preload_offset 0
		.amdhsa_user_sgpr_private_segment_size 0
		.amdhsa_uses_dynamic_stack 0
		.amdhsa_enable_private_segment 0
		.amdhsa_system_sgpr_workgroup_id_x 1
		.amdhsa_system_sgpr_workgroup_id_y 0
		.amdhsa_system_sgpr_workgroup_id_z 0
		.amdhsa_system_sgpr_workgroup_info 0
		.amdhsa_system_vgpr_workitem_id 0
		.amdhsa_next_free_vgpr 1
		.amdhsa_next_free_sgpr 0
		.amdhsa_accum_offset 4
		.amdhsa_reserve_vcc 0
		.amdhsa_float_round_mode_32 0
		.amdhsa_float_round_mode_16_64 0
		.amdhsa_float_denorm_mode_32 3
		.amdhsa_float_denorm_mode_16_64 3
		.amdhsa_dx10_clamp 1
		.amdhsa_ieee_mode 1
		.amdhsa_fp16_overflow 0
		.amdhsa_tg_split 0
		.amdhsa_exception_fp_ieee_invalid_op 0
		.amdhsa_exception_fp_denorm_src 0
		.amdhsa_exception_fp_ieee_div_zero 0
		.amdhsa_exception_fp_ieee_overflow 0
		.amdhsa_exception_fp_ieee_underflow 0
		.amdhsa_exception_fp_ieee_inexact 0
		.amdhsa_exception_int_div_zero 0
	.end_amdhsa_kernel
	.section	.text._ZN7rocprim17ROCPRIM_400000_NS6detail17trampoline_kernelINS0_14default_configENS1_22reduce_config_selectorIiEEZNS1_11reduce_implILb1ES3_N6thrust23THRUST_200600_302600_NS17counting_iteratorIiNS8_11hip_rocprim3tagENS8_11use_defaultESC_EEPiiNS8_4plusIiEEEE10hipError_tPvRmT1_T2_T3_mT4_P12ihipStream_tbEUlT_E1_NS1_11comp_targetILNS1_3genE9ELNS1_11target_archE1100ELNS1_3gpuE3ELNS1_3repE0EEENS1_30default_config_static_selectorELNS0_4arch9wavefront6targetE1EEEvSK_,"axG",@progbits,_ZN7rocprim17ROCPRIM_400000_NS6detail17trampoline_kernelINS0_14default_configENS1_22reduce_config_selectorIiEEZNS1_11reduce_implILb1ES3_N6thrust23THRUST_200600_302600_NS17counting_iteratorIiNS8_11hip_rocprim3tagENS8_11use_defaultESC_EEPiiNS8_4plusIiEEEE10hipError_tPvRmT1_T2_T3_mT4_P12ihipStream_tbEUlT_E1_NS1_11comp_targetILNS1_3genE9ELNS1_11target_archE1100ELNS1_3gpuE3ELNS1_3repE0EEENS1_30default_config_static_selectorELNS0_4arch9wavefront6targetE1EEEvSK_,comdat
.Lfunc_end1107:
	.size	_ZN7rocprim17ROCPRIM_400000_NS6detail17trampoline_kernelINS0_14default_configENS1_22reduce_config_selectorIiEEZNS1_11reduce_implILb1ES3_N6thrust23THRUST_200600_302600_NS17counting_iteratorIiNS8_11hip_rocprim3tagENS8_11use_defaultESC_EEPiiNS8_4plusIiEEEE10hipError_tPvRmT1_T2_T3_mT4_P12ihipStream_tbEUlT_E1_NS1_11comp_targetILNS1_3genE9ELNS1_11target_archE1100ELNS1_3gpuE3ELNS1_3repE0EEENS1_30default_config_static_selectorELNS0_4arch9wavefront6targetE1EEEvSK_, .Lfunc_end1107-_ZN7rocprim17ROCPRIM_400000_NS6detail17trampoline_kernelINS0_14default_configENS1_22reduce_config_selectorIiEEZNS1_11reduce_implILb1ES3_N6thrust23THRUST_200600_302600_NS17counting_iteratorIiNS8_11hip_rocprim3tagENS8_11use_defaultESC_EEPiiNS8_4plusIiEEEE10hipError_tPvRmT1_T2_T3_mT4_P12ihipStream_tbEUlT_E1_NS1_11comp_targetILNS1_3genE9ELNS1_11target_archE1100ELNS1_3gpuE3ELNS1_3repE0EEENS1_30default_config_static_selectorELNS0_4arch9wavefront6targetE1EEEvSK_
                                        ; -- End function
	.set _ZN7rocprim17ROCPRIM_400000_NS6detail17trampoline_kernelINS0_14default_configENS1_22reduce_config_selectorIiEEZNS1_11reduce_implILb1ES3_N6thrust23THRUST_200600_302600_NS17counting_iteratorIiNS8_11hip_rocprim3tagENS8_11use_defaultESC_EEPiiNS8_4plusIiEEEE10hipError_tPvRmT1_T2_T3_mT4_P12ihipStream_tbEUlT_E1_NS1_11comp_targetILNS1_3genE9ELNS1_11target_archE1100ELNS1_3gpuE3ELNS1_3repE0EEENS1_30default_config_static_selectorELNS0_4arch9wavefront6targetE1EEEvSK_.num_vgpr, 0
	.set _ZN7rocprim17ROCPRIM_400000_NS6detail17trampoline_kernelINS0_14default_configENS1_22reduce_config_selectorIiEEZNS1_11reduce_implILb1ES3_N6thrust23THRUST_200600_302600_NS17counting_iteratorIiNS8_11hip_rocprim3tagENS8_11use_defaultESC_EEPiiNS8_4plusIiEEEE10hipError_tPvRmT1_T2_T3_mT4_P12ihipStream_tbEUlT_E1_NS1_11comp_targetILNS1_3genE9ELNS1_11target_archE1100ELNS1_3gpuE3ELNS1_3repE0EEENS1_30default_config_static_selectorELNS0_4arch9wavefront6targetE1EEEvSK_.num_agpr, 0
	.set _ZN7rocprim17ROCPRIM_400000_NS6detail17trampoline_kernelINS0_14default_configENS1_22reduce_config_selectorIiEEZNS1_11reduce_implILb1ES3_N6thrust23THRUST_200600_302600_NS17counting_iteratorIiNS8_11hip_rocprim3tagENS8_11use_defaultESC_EEPiiNS8_4plusIiEEEE10hipError_tPvRmT1_T2_T3_mT4_P12ihipStream_tbEUlT_E1_NS1_11comp_targetILNS1_3genE9ELNS1_11target_archE1100ELNS1_3gpuE3ELNS1_3repE0EEENS1_30default_config_static_selectorELNS0_4arch9wavefront6targetE1EEEvSK_.numbered_sgpr, 0
	.set _ZN7rocprim17ROCPRIM_400000_NS6detail17trampoline_kernelINS0_14default_configENS1_22reduce_config_selectorIiEEZNS1_11reduce_implILb1ES3_N6thrust23THRUST_200600_302600_NS17counting_iteratorIiNS8_11hip_rocprim3tagENS8_11use_defaultESC_EEPiiNS8_4plusIiEEEE10hipError_tPvRmT1_T2_T3_mT4_P12ihipStream_tbEUlT_E1_NS1_11comp_targetILNS1_3genE9ELNS1_11target_archE1100ELNS1_3gpuE3ELNS1_3repE0EEENS1_30default_config_static_selectorELNS0_4arch9wavefront6targetE1EEEvSK_.num_named_barrier, 0
	.set _ZN7rocprim17ROCPRIM_400000_NS6detail17trampoline_kernelINS0_14default_configENS1_22reduce_config_selectorIiEEZNS1_11reduce_implILb1ES3_N6thrust23THRUST_200600_302600_NS17counting_iteratorIiNS8_11hip_rocprim3tagENS8_11use_defaultESC_EEPiiNS8_4plusIiEEEE10hipError_tPvRmT1_T2_T3_mT4_P12ihipStream_tbEUlT_E1_NS1_11comp_targetILNS1_3genE9ELNS1_11target_archE1100ELNS1_3gpuE3ELNS1_3repE0EEENS1_30default_config_static_selectorELNS0_4arch9wavefront6targetE1EEEvSK_.private_seg_size, 0
	.set _ZN7rocprim17ROCPRIM_400000_NS6detail17trampoline_kernelINS0_14default_configENS1_22reduce_config_selectorIiEEZNS1_11reduce_implILb1ES3_N6thrust23THRUST_200600_302600_NS17counting_iteratorIiNS8_11hip_rocprim3tagENS8_11use_defaultESC_EEPiiNS8_4plusIiEEEE10hipError_tPvRmT1_T2_T3_mT4_P12ihipStream_tbEUlT_E1_NS1_11comp_targetILNS1_3genE9ELNS1_11target_archE1100ELNS1_3gpuE3ELNS1_3repE0EEENS1_30default_config_static_selectorELNS0_4arch9wavefront6targetE1EEEvSK_.uses_vcc, 0
	.set _ZN7rocprim17ROCPRIM_400000_NS6detail17trampoline_kernelINS0_14default_configENS1_22reduce_config_selectorIiEEZNS1_11reduce_implILb1ES3_N6thrust23THRUST_200600_302600_NS17counting_iteratorIiNS8_11hip_rocprim3tagENS8_11use_defaultESC_EEPiiNS8_4plusIiEEEE10hipError_tPvRmT1_T2_T3_mT4_P12ihipStream_tbEUlT_E1_NS1_11comp_targetILNS1_3genE9ELNS1_11target_archE1100ELNS1_3gpuE3ELNS1_3repE0EEENS1_30default_config_static_selectorELNS0_4arch9wavefront6targetE1EEEvSK_.uses_flat_scratch, 0
	.set _ZN7rocprim17ROCPRIM_400000_NS6detail17trampoline_kernelINS0_14default_configENS1_22reduce_config_selectorIiEEZNS1_11reduce_implILb1ES3_N6thrust23THRUST_200600_302600_NS17counting_iteratorIiNS8_11hip_rocprim3tagENS8_11use_defaultESC_EEPiiNS8_4plusIiEEEE10hipError_tPvRmT1_T2_T3_mT4_P12ihipStream_tbEUlT_E1_NS1_11comp_targetILNS1_3genE9ELNS1_11target_archE1100ELNS1_3gpuE3ELNS1_3repE0EEENS1_30default_config_static_selectorELNS0_4arch9wavefront6targetE1EEEvSK_.has_dyn_sized_stack, 0
	.set _ZN7rocprim17ROCPRIM_400000_NS6detail17trampoline_kernelINS0_14default_configENS1_22reduce_config_selectorIiEEZNS1_11reduce_implILb1ES3_N6thrust23THRUST_200600_302600_NS17counting_iteratorIiNS8_11hip_rocprim3tagENS8_11use_defaultESC_EEPiiNS8_4plusIiEEEE10hipError_tPvRmT1_T2_T3_mT4_P12ihipStream_tbEUlT_E1_NS1_11comp_targetILNS1_3genE9ELNS1_11target_archE1100ELNS1_3gpuE3ELNS1_3repE0EEENS1_30default_config_static_selectorELNS0_4arch9wavefront6targetE1EEEvSK_.has_recursion, 0
	.set _ZN7rocprim17ROCPRIM_400000_NS6detail17trampoline_kernelINS0_14default_configENS1_22reduce_config_selectorIiEEZNS1_11reduce_implILb1ES3_N6thrust23THRUST_200600_302600_NS17counting_iteratorIiNS8_11hip_rocprim3tagENS8_11use_defaultESC_EEPiiNS8_4plusIiEEEE10hipError_tPvRmT1_T2_T3_mT4_P12ihipStream_tbEUlT_E1_NS1_11comp_targetILNS1_3genE9ELNS1_11target_archE1100ELNS1_3gpuE3ELNS1_3repE0EEENS1_30default_config_static_selectorELNS0_4arch9wavefront6targetE1EEEvSK_.has_indirect_call, 0
	.section	.AMDGPU.csdata,"",@progbits
; Kernel info:
; codeLenInByte = 0
; TotalNumSgprs: 6
; NumVgprs: 0
; NumAgprs: 0
; TotalNumVgprs: 0
; ScratchSize: 0
; MemoryBound: 0
; FloatMode: 240
; IeeeMode: 1
; LDSByteSize: 0 bytes/workgroup (compile time only)
; SGPRBlocks: 0
; VGPRBlocks: 0
; NumSGPRsForWavesPerEU: 6
; NumVGPRsForWavesPerEU: 1
; AccumOffset: 4
; Occupancy: 8
; WaveLimiterHint : 0
; COMPUTE_PGM_RSRC2:SCRATCH_EN: 0
; COMPUTE_PGM_RSRC2:USER_SGPR: 2
; COMPUTE_PGM_RSRC2:TRAP_HANDLER: 0
; COMPUTE_PGM_RSRC2:TGID_X_EN: 1
; COMPUTE_PGM_RSRC2:TGID_Y_EN: 0
; COMPUTE_PGM_RSRC2:TGID_Z_EN: 0
; COMPUTE_PGM_RSRC2:TIDIG_COMP_CNT: 0
; COMPUTE_PGM_RSRC3_GFX90A:ACCUM_OFFSET: 0
; COMPUTE_PGM_RSRC3_GFX90A:TG_SPLIT: 0
	.section	.text._ZN7rocprim17ROCPRIM_400000_NS6detail17trampoline_kernelINS0_14default_configENS1_22reduce_config_selectorIiEEZNS1_11reduce_implILb1ES3_N6thrust23THRUST_200600_302600_NS17counting_iteratorIiNS8_11hip_rocprim3tagENS8_11use_defaultESC_EEPiiNS8_4plusIiEEEE10hipError_tPvRmT1_T2_T3_mT4_P12ihipStream_tbEUlT_E1_NS1_11comp_targetILNS1_3genE8ELNS1_11target_archE1030ELNS1_3gpuE2ELNS1_3repE0EEENS1_30default_config_static_selectorELNS0_4arch9wavefront6targetE1EEEvSK_,"axG",@progbits,_ZN7rocprim17ROCPRIM_400000_NS6detail17trampoline_kernelINS0_14default_configENS1_22reduce_config_selectorIiEEZNS1_11reduce_implILb1ES3_N6thrust23THRUST_200600_302600_NS17counting_iteratorIiNS8_11hip_rocprim3tagENS8_11use_defaultESC_EEPiiNS8_4plusIiEEEE10hipError_tPvRmT1_T2_T3_mT4_P12ihipStream_tbEUlT_E1_NS1_11comp_targetILNS1_3genE8ELNS1_11target_archE1030ELNS1_3gpuE2ELNS1_3repE0EEENS1_30default_config_static_selectorELNS0_4arch9wavefront6targetE1EEEvSK_,comdat
	.protected	_ZN7rocprim17ROCPRIM_400000_NS6detail17trampoline_kernelINS0_14default_configENS1_22reduce_config_selectorIiEEZNS1_11reduce_implILb1ES3_N6thrust23THRUST_200600_302600_NS17counting_iteratorIiNS8_11hip_rocprim3tagENS8_11use_defaultESC_EEPiiNS8_4plusIiEEEE10hipError_tPvRmT1_T2_T3_mT4_P12ihipStream_tbEUlT_E1_NS1_11comp_targetILNS1_3genE8ELNS1_11target_archE1030ELNS1_3gpuE2ELNS1_3repE0EEENS1_30default_config_static_selectorELNS0_4arch9wavefront6targetE1EEEvSK_ ; -- Begin function _ZN7rocprim17ROCPRIM_400000_NS6detail17trampoline_kernelINS0_14default_configENS1_22reduce_config_selectorIiEEZNS1_11reduce_implILb1ES3_N6thrust23THRUST_200600_302600_NS17counting_iteratorIiNS8_11hip_rocprim3tagENS8_11use_defaultESC_EEPiiNS8_4plusIiEEEE10hipError_tPvRmT1_T2_T3_mT4_P12ihipStream_tbEUlT_E1_NS1_11comp_targetILNS1_3genE8ELNS1_11target_archE1030ELNS1_3gpuE2ELNS1_3repE0EEENS1_30default_config_static_selectorELNS0_4arch9wavefront6targetE1EEEvSK_
	.globl	_ZN7rocprim17ROCPRIM_400000_NS6detail17trampoline_kernelINS0_14default_configENS1_22reduce_config_selectorIiEEZNS1_11reduce_implILb1ES3_N6thrust23THRUST_200600_302600_NS17counting_iteratorIiNS8_11hip_rocprim3tagENS8_11use_defaultESC_EEPiiNS8_4plusIiEEEE10hipError_tPvRmT1_T2_T3_mT4_P12ihipStream_tbEUlT_E1_NS1_11comp_targetILNS1_3genE8ELNS1_11target_archE1030ELNS1_3gpuE2ELNS1_3repE0EEENS1_30default_config_static_selectorELNS0_4arch9wavefront6targetE1EEEvSK_
	.p2align	8
	.type	_ZN7rocprim17ROCPRIM_400000_NS6detail17trampoline_kernelINS0_14default_configENS1_22reduce_config_selectorIiEEZNS1_11reduce_implILb1ES3_N6thrust23THRUST_200600_302600_NS17counting_iteratorIiNS8_11hip_rocprim3tagENS8_11use_defaultESC_EEPiiNS8_4plusIiEEEE10hipError_tPvRmT1_T2_T3_mT4_P12ihipStream_tbEUlT_E1_NS1_11comp_targetILNS1_3genE8ELNS1_11target_archE1030ELNS1_3gpuE2ELNS1_3repE0EEENS1_30default_config_static_selectorELNS0_4arch9wavefront6targetE1EEEvSK_,@function
_ZN7rocprim17ROCPRIM_400000_NS6detail17trampoline_kernelINS0_14default_configENS1_22reduce_config_selectorIiEEZNS1_11reduce_implILb1ES3_N6thrust23THRUST_200600_302600_NS17counting_iteratorIiNS8_11hip_rocprim3tagENS8_11use_defaultESC_EEPiiNS8_4plusIiEEEE10hipError_tPvRmT1_T2_T3_mT4_P12ihipStream_tbEUlT_E1_NS1_11comp_targetILNS1_3genE8ELNS1_11target_archE1030ELNS1_3gpuE2ELNS1_3repE0EEENS1_30default_config_static_selectorELNS0_4arch9wavefront6targetE1EEEvSK_: ; @_ZN7rocprim17ROCPRIM_400000_NS6detail17trampoline_kernelINS0_14default_configENS1_22reduce_config_selectorIiEEZNS1_11reduce_implILb1ES3_N6thrust23THRUST_200600_302600_NS17counting_iteratorIiNS8_11hip_rocprim3tagENS8_11use_defaultESC_EEPiiNS8_4plusIiEEEE10hipError_tPvRmT1_T2_T3_mT4_P12ihipStream_tbEUlT_E1_NS1_11comp_targetILNS1_3genE8ELNS1_11target_archE1030ELNS1_3gpuE2ELNS1_3repE0EEENS1_30default_config_static_selectorELNS0_4arch9wavefront6targetE1EEEvSK_
; %bb.0:
	.section	.rodata,"a",@progbits
	.p2align	6, 0x0
	.amdhsa_kernel _ZN7rocprim17ROCPRIM_400000_NS6detail17trampoline_kernelINS0_14default_configENS1_22reduce_config_selectorIiEEZNS1_11reduce_implILb1ES3_N6thrust23THRUST_200600_302600_NS17counting_iteratorIiNS8_11hip_rocprim3tagENS8_11use_defaultESC_EEPiiNS8_4plusIiEEEE10hipError_tPvRmT1_T2_T3_mT4_P12ihipStream_tbEUlT_E1_NS1_11comp_targetILNS1_3genE8ELNS1_11target_archE1030ELNS1_3gpuE2ELNS1_3repE0EEENS1_30default_config_static_selectorELNS0_4arch9wavefront6targetE1EEEvSK_
		.amdhsa_group_segment_fixed_size 0
		.amdhsa_private_segment_fixed_size 0
		.amdhsa_kernarg_size 40
		.amdhsa_user_sgpr_count 2
		.amdhsa_user_sgpr_dispatch_ptr 0
		.amdhsa_user_sgpr_queue_ptr 0
		.amdhsa_user_sgpr_kernarg_segment_ptr 1
		.amdhsa_user_sgpr_dispatch_id 0
		.amdhsa_user_sgpr_kernarg_preload_length 0
		.amdhsa_user_sgpr_kernarg_preload_offset 0
		.amdhsa_user_sgpr_private_segment_size 0
		.amdhsa_uses_dynamic_stack 0
		.amdhsa_enable_private_segment 0
		.amdhsa_system_sgpr_workgroup_id_x 1
		.amdhsa_system_sgpr_workgroup_id_y 0
		.amdhsa_system_sgpr_workgroup_id_z 0
		.amdhsa_system_sgpr_workgroup_info 0
		.amdhsa_system_vgpr_workitem_id 0
		.amdhsa_next_free_vgpr 1
		.amdhsa_next_free_sgpr 0
		.amdhsa_accum_offset 4
		.amdhsa_reserve_vcc 0
		.amdhsa_float_round_mode_32 0
		.amdhsa_float_round_mode_16_64 0
		.amdhsa_float_denorm_mode_32 3
		.amdhsa_float_denorm_mode_16_64 3
		.amdhsa_dx10_clamp 1
		.amdhsa_ieee_mode 1
		.amdhsa_fp16_overflow 0
		.amdhsa_tg_split 0
		.amdhsa_exception_fp_ieee_invalid_op 0
		.amdhsa_exception_fp_denorm_src 0
		.amdhsa_exception_fp_ieee_div_zero 0
		.amdhsa_exception_fp_ieee_overflow 0
		.amdhsa_exception_fp_ieee_underflow 0
		.amdhsa_exception_fp_ieee_inexact 0
		.amdhsa_exception_int_div_zero 0
	.end_amdhsa_kernel
	.section	.text._ZN7rocprim17ROCPRIM_400000_NS6detail17trampoline_kernelINS0_14default_configENS1_22reduce_config_selectorIiEEZNS1_11reduce_implILb1ES3_N6thrust23THRUST_200600_302600_NS17counting_iteratorIiNS8_11hip_rocprim3tagENS8_11use_defaultESC_EEPiiNS8_4plusIiEEEE10hipError_tPvRmT1_T2_T3_mT4_P12ihipStream_tbEUlT_E1_NS1_11comp_targetILNS1_3genE8ELNS1_11target_archE1030ELNS1_3gpuE2ELNS1_3repE0EEENS1_30default_config_static_selectorELNS0_4arch9wavefront6targetE1EEEvSK_,"axG",@progbits,_ZN7rocprim17ROCPRIM_400000_NS6detail17trampoline_kernelINS0_14default_configENS1_22reduce_config_selectorIiEEZNS1_11reduce_implILb1ES3_N6thrust23THRUST_200600_302600_NS17counting_iteratorIiNS8_11hip_rocprim3tagENS8_11use_defaultESC_EEPiiNS8_4plusIiEEEE10hipError_tPvRmT1_T2_T3_mT4_P12ihipStream_tbEUlT_E1_NS1_11comp_targetILNS1_3genE8ELNS1_11target_archE1030ELNS1_3gpuE2ELNS1_3repE0EEENS1_30default_config_static_selectorELNS0_4arch9wavefront6targetE1EEEvSK_,comdat
.Lfunc_end1108:
	.size	_ZN7rocprim17ROCPRIM_400000_NS6detail17trampoline_kernelINS0_14default_configENS1_22reduce_config_selectorIiEEZNS1_11reduce_implILb1ES3_N6thrust23THRUST_200600_302600_NS17counting_iteratorIiNS8_11hip_rocprim3tagENS8_11use_defaultESC_EEPiiNS8_4plusIiEEEE10hipError_tPvRmT1_T2_T3_mT4_P12ihipStream_tbEUlT_E1_NS1_11comp_targetILNS1_3genE8ELNS1_11target_archE1030ELNS1_3gpuE2ELNS1_3repE0EEENS1_30default_config_static_selectorELNS0_4arch9wavefront6targetE1EEEvSK_, .Lfunc_end1108-_ZN7rocprim17ROCPRIM_400000_NS6detail17trampoline_kernelINS0_14default_configENS1_22reduce_config_selectorIiEEZNS1_11reduce_implILb1ES3_N6thrust23THRUST_200600_302600_NS17counting_iteratorIiNS8_11hip_rocprim3tagENS8_11use_defaultESC_EEPiiNS8_4plusIiEEEE10hipError_tPvRmT1_T2_T3_mT4_P12ihipStream_tbEUlT_E1_NS1_11comp_targetILNS1_3genE8ELNS1_11target_archE1030ELNS1_3gpuE2ELNS1_3repE0EEENS1_30default_config_static_selectorELNS0_4arch9wavefront6targetE1EEEvSK_
                                        ; -- End function
	.set _ZN7rocprim17ROCPRIM_400000_NS6detail17trampoline_kernelINS0_14default_configENS1_22reduce_config_selectorIiEEZNS1_11reduce_implILb1ES3_N6thrust23THRUST_200600_302600_NS17counting_iteratorIiNS8_11hip_rocprim3tagENS8_11use_defaultESC_EEPiiNS8_4plusIiEEEE10hipError_tPvRmT1_T2_T3_mT4_P12ihipStream_tbEUlT_E1_NS1_11comp_targetILNS1_3genE8ELNS1_11target_archE1030ELNS1_3gpuE2ELNS1_3repE0EEENS1_30default_config_static_selectorELNS0_4arch9wavefront6targetE1EEEvSK_.num_vgpr, 0
	.set _ZN7rocprim17ROCPRIM_400000_NS6detail17trampoline_kernelINS0_14default_configENS1_22reduce_config_selectorIiEEZNS1_11reduce_implILb1ES3_N6thrust23THRUST_200600_302600_NS17counting_iteratorIiNS8_11hip_rocprim3tagENS8_11use_defaultESC_EEPiiNS8_4plusIiEEEE10hipError_tPvRmT1_T2_T3_mT4_P12ihipStream_tbEUlT_E1_NS1_11comp_targetILNS1_3genE8ELNS1_11target_archE1030ELNS1_3gpuE2ELNS1_3repE0EEENS1_30default_config_static_selectorELNS0_4arch9wavefront6targetE1EEEvSK_.num_agpr, 0
	.set _ZN7rocprim17ROCPRIM_400000_NS6detail17trampoline_kernelINS0_14default_configENS1_22reduce_config_selectorIiEEZNS1_11reduce_implILb1ES3_N6thrust23THRUST_200600_302600_NS17counting_iteratorIiNS8_11hip_rocprim3tagENS8_11use_defaultESC_EEPiiNS8_4plusIiEEEE10hipError_tPvRmT1_T2_T3_mT4_P12ihipStream_tbEUlT_E1_NS1_11comp_targetILNS1_3genE8ELNS1_11target_archE1030ELNS1_3gpuE2ELNS1_3repE0EEENS1_30default_config_static_selectorELNS0_4arch9wavefront6targetE1EEEvSK_.numbered_sgpr, 0
	.set _ZN7rocprim17ROCPRIM_400000_NS6detail17trampoline_kernelINS0_14default_configENS1_22reduce_config_selectorIiEEZNS1_11reduce_implILb1ES3_N6thrust23THRUST_200600_302600_NS17counting_iteratorIiNS8_11hip_rocprim3tagENS8_11use_defaultESC_EEPiiNS8_4plusIiEEEE10hipError_tPvRmT1_T2_T3_mT4_P12ihipStream_tbEUlT_E1_NS1_11comp_targetILNS1_3genE8ELNS1_11target_archE1030ELNS1_3gpuE2ELNS1_3repE0EEENS1_30default_config_static_selectorELNS0_4arch9wavefront6targetE1EEEvSK_.num_named_barrier, 0
	.set _ZN7rocprim17ROCPRIM_400000_NS6detail17trampoline_kernelINS0_14default_configENS1_22reduce_config_selectorIiEEZNS1_11reduce_implILb1ES3_N6thrust23THRUST_200600_302600_NS17counting_iteratorIiNS8_11hip_rocprim3tagENS8_11use_defaultESC_EEPiiNS8_4plusIiEEEE10hipError_tPvRmT1_T2_T3_mT4_P12ihipStream_tbEUlT_E1_NS1_11comp_targetILNS1_3genE8ELNS1_11target_archE1030ELNS1_3gpuE2ELNS1_3repE0EEENS1_30default_config_static_selectorELNS0_4arch9wavefront6targetE1EEEvSK_.private_seg_size, 0
	.set _ZN7rocprim17ROCPRIM_400000_NS6detail17trampoline_kernelINS0_14default_configENS1_22reduce_config_selectorIiEEZNS1_11reduce_implILb1ES3_N6thrust23THRUST_200600_302600_NS17counting_iteratorIiNS8_11hip_rocprim3tagENS8_11use_defaultESC_EEPiiNS8_4plusIiEEEE10hipError_tPvRmT1_T2_T3_mT4_P12ihipStream_tbEUlT_E1_NS1_11comp_targetILNS1_3genE8ELNS1_11target_archE1030ELNS1_3gpuE2ELNS1_3repE0EEENS1_30default_config_static_selectorELNS0_4arch9wavefront6targetE1EEEvSK_.uses_vcc, 0
	.set _ZN7rocprim17ROCPRIM_400000_NS6detail17trampoline_kernelINS0_14default_configENS1_22reduce_config_selectorIiEEZNS1_11reduce_implILb1ES3_N6thrust23THRUST_200600_302600_NS17counting_iteratorIiNS8_11hip_rocprim3tagENS8_11use_defaultESC_EEPiiNS8_4plusIiEEEE10hipError_tPvRmT1_T2_T3_mT4_P12ihipStream_tbEUlT_E1_NS1_11comp_targetILNS1_3genE8ELNS1_11target_archE1030ELNS1_3gpuE2ELNS1_3repE0EEENS1_30default_config_static_selectorELNS0_4arch9wavefront6targetE1EEEvSK_.uses_flat_scratch, 0
	.set _ZN7rocprim17ROCPRIM_400000_NS6detail17trampoline_kernelINS0_14default_configENS1_22reduce_config_selectorIiEEZNS1_11reduce_implILb1ES3_N6thrust23THRUST_200600_302600_NS17counting_iteratorIiNS8_11hip_rocprim3tagENS8_11use_defaultESC_EEPiiNS8_4plusIiEEEE10hipError_tPvRmT1_T2_T3_mT4_P12ihipStream_tbEUlT_E1_NS1_11comp_targetILNS1_3genE8ELNS1_11target_archE1030ELNS1_3gpuE2ELNS1_3repE0EEENS1_30default_config_static_selectorELNS0_4arch9wavefront6targetE1EEEvSK_.has_dyn_sized_stack, 0
	.set _ZN7rocprim17ROCPRIM_400000_NS6detail17trampoline_kernelINS0_14default_configENS1_22reduce_config_selectorIiEEZNS1_11reduce_implILb1ES3_N6thrust23THRUST_200600_302600_NS17counting_iteratorIiNS8_11hip_rocprim3tagENS8_11use_defaultESC_EEPiiNS8_4plusIiEEEE10hipError_tPvRmT1_T2_T3_mT4_P12ihipStream_tbEUlT_E1_NS1_11comp_targetILNS1_3genE8ELNS1_11target_archE1030ELNS1_3gpuE2ELNS1_3repE0EEENS1_30default_config_static_selectorELNS0_4arch9wavefront6targetE1EEEvSK_.has_recursion, 0
	.set _ZN7rocprim17ROCPRIM_400000_NS6detail17trampoline_kernelINS0_14default_configENS1_22reduce_config_selectorIiEEZNS1_11reduce_implILb1ES3_N6thrust23THRUST_200600_302600_NS17counting_iteratorIiNS8_11hip_rocprim3tagENS8_11use_defaultESC_EEPiiNS8_4plusIiEEEE10hipError_tPvRmT1_T2_T3_mT4_P12ihipStream_tbEUlT_E1_NS1_11comp_targetILNS1_3genE8ELNS1_11target_archE1030ELNS1_3gpuE2ELNS1_3repE0EEENS1_30default_config_static_selectorELNS0_4arch9wavefront6targetE1EEEvSK_.has_indirect_call, 0
	.section	.AMDGPU.csdata,"",@progbits
; Kernel info:
; codeLenInByte = 0
; TotalNumSgprs: 6
; NumVgprs: 0
; NumAgprs: 0
; TotalNumVgprs: 0
; ScratchSize: 0
; MemoryBound: 0
; FloatMode: 240
; IeeeMode: 1
; LDSByteSize: 0 bytes/workgroup (compile time only)
; SGPRBlocks: 0
; VGPRBlocks: 0
; NumSGPRsForWavesPerEU: 6
; NumVGPRsForWavesPerEU: 1
; AccumOffset: 4
; Occupancy: 8
; WaveLimiterHint : 0
; COMPUTE_PGM_RSRC2:SCRATCH_EN: 0
; COMPUTE_PGM_RSRC2:USER_SGPR: 2
; COMPUTE_PGM_RSRC2:TRAP_HANDLER: 0
; COMPUTE_PGM_RSRC2:TGID_X_EN: 1
; COMPUTE_PGM_RSRC2:TGID_Y_EN: 0
; COMPUTE_PGM_RSRC2:TGID_Z_EN: 0
; COMPUTE_PGM_RSRC2:TIDIG_COMP_CNT: 0
; COMPUTE_PGM_RSRC3_GFX90A:ACCUM_OFFSET: 0
; COMPUTE_PGM_RSRC3_GFX90A:TG_SPLIT: 0
	.section	.text._ZN7rocprim17ROCPRIM_400000_NS6detail17trampoline_kernelINS0_14default_configENS1_22reduce_config_selectorIsEEZNS1_11reduce_implILb1ES3_N6thrust23THRUST_200600_302600_NS17counting_iteratorIsNS8_11hip_rocprim3tagENS8_11use_defaultESC_EEPssNS8_4plusIsEEEE10hipError_tPvRmT1_T2_T3_mT4_P12ihipStream_tbEUlT_E0_NS1_11comp_targetILNS1_3genE0ELNS1_11target_archE4294967295ELNS1_3gpuE0ELNS1_3repE0EEENS1_30default_config_static_selectorELNS0_4arch9wavefront6targetE1EEEvSK_,"axG",@progbits,_ZN7rocprim17ROCPRIM_400000_NS6detail17trampoline_kernelINS0_14default_configENS1_22reduce_config_selectorIsEEZNS1_11reduce_implILb1ES3_N6thrust23THRUST_200600_302600_NS17counting_iteratorIsNS8_11hip_rocprim3tagENS8_11use_defaultESC_EEPssNS8_4plusIsEEEE10hipError_tPvRmT1_T2_T3_mT4_P12ihipStream_tbEUlT_E0_NS1_11comp_targetILNS1_3genE0ELNS1_11target_archE4294967295ELNS1_3gpuE0ELNS1_3repE0EEENS1_30default_config_static_selectorELNS0_4arch9wavefront6targetE1EEEvSK_,comdat
	.protected	_ZN7rocprim17ROCPRIM_400000_NS6detail17trampoline_kernelINS0_14default_configENS1_22reduce_config_selectorIsEEZNS1_11reduce_implILb1ES3_N6thrust23THRUST_200600_302600_NS17counting_iteratorIsNS8_11hip_rocprim3tagENS8_11use_defaultESC_EEPssNS8_4plusIsEEEE10hipError_tPvRmT1_T2_T3_mT4_P12ihipStream_tbEUlT_E0_NS1_11comp_targetILNS1_3genE0ELNS1_11target_archE4294967295ELNS1_3gpuE0ELNS1_3repE0EEENS1_30default_config_static_selectorELNS0_4arch9wavefront6targetE1EEEvSK_ ; -- Begin function _ZN7rocprim17ROCPRIM_400000_NS6detail17trampoline_kernelINS0_14default_configENS1_22reduce_config_selectorIsEEZNS1_11reduce_implILb1ES3_N6thrust23THRUST_200600_302600_NS17counting_iteratorIsNS8_11hip_rocprim3tagENS8_11use_defaultESC_EEPssNS8_4plusIsEEEE10hipError_tPvRmT1_T2_T3_mT4_P12ihipStream_tbEUlT_E0_NS1_11comp_targetILNS1_3genE0ELNS1_11target_archE4294967295ELNS1_3gpuE0ELNS1_3repE0EEENS1_30default_config_static_selectorELNS0_4arch9wavefront6targetE1EEEvSK_
	.globl	_ZN7rocprim17ROCPRIM_400000_NS6detail17trampoline_kernelINS0_14default_configENS1_22reduce_config_selectorIsEEZNS1_11reduce_implILb1ES3_N6thrust23THRUST_200600_302600_NS17counting_iteratorIsNS8_11hip_rocprim3tagENS8_11use_defaultESC_EEPssNS8_4plusIsEEEE10hipError_tPvRmT1_T2_T3_mT4_P12ihipStream_tbEUlT_E0_NS1_11comp_targetILNS1_3genE0ELNS1_11target_archE4294967295ELNS1_3gpuE0ELNS1_3repE0EEENS1_30default_config_static_selectorELNS0_4arch9wavefront6targetE1EEEvSK_
	.p2align	8
	.type	_ZN7rocprim17ROCPRIM_400000_NS6detail17trampoline_kernelINS0_14default_configENS1_22reduce_config_selectorIsEEZNS1_11reduce_implILb1ES3_N6thrust23THRUST_200600_302600_NS17counting_iteratorIsNS8_11hip_rocprim3tagENS8_11use_defaultESC_EEPssNS8_4plusIsEEEE10hipError_tPvRmT1_T2_T3_mT4_P12ihipStream_tbEUlT_E0_NS1_11comp_targetILNS1_3genE0ELNS1_11target_archE4294967295ELNS1_3gpuE0ELNS1_3repE0EEENS1_30default_config_static_selectorELNS0_4arch9wavefront6targetE1EEEvSK_,@function
_ZN7rocprim17ROCPRIM_400000_NS6detail17trampoline_kernelINS0_14default_configENS1_22reduce_config_selectorIsEEZNS1_11reduce_implILb1ES3_N6thrust23THRUST_200600_302600_NS17counting_iteratorIsNS8_11hip_rocprim3tagENS8_11use_defaultESC_EEPssNS8_4plusIsEEEE10hipError_tPvRmT1_T2_T3_mT4_P12ihipStream_tbEUlT_E0_NS1_11comp_targetILNS1_3genE0ELNS1_11target_archE4294967295ELNS1_3gpuE0ELNS1_3repE0EEENS1_30default_config_static_selectorELNS0_4arch9wavefront6targetE1EEEvSK_: ; @_ZN7rocprim17ROCPRIM_400000_NS6detail17trampoline_kernelINS0_14default_configENS1_22reduce_config_selectorIsEEZNS1_11reduce_implILb1ES3_N6thrust23THRUST_200600_302600_NS17counting_iteratorIsNS8_11hip_rocprim3tagENS8_11use_defaultESC_EEPssNS8_4plusIsEEEE10hipError_tPvRmT1_T2_T3_mT4_P12ihipStream_tbEUlT_E0_NS1_11comp_targetILNS1_3genE0ELNS1_11target_archE4294967295ELNS1_3gpuE0ELNS1_3repE0EEENS1_30default_config_static_selectorELNS0_4arch9wavefront6targetE1EEEvSK_
; %bb.0:
	s_load_dword s15, s[0:1], 0x0
	s_load_dwordx8 s[4:11], s[0:1], 0x8
	s_load_dwordx2 s[12:13], s[0:1], 0x28
	s_lshl_b32 s16, s2, 10
	s_mov_b32 s3, 0
	v_mbcnt_lo_u32_b32 v1, -1, 0
	s_waitcnt lgkmcnt(0)
	s_add_i32 s15, s15, s4
	s_lshr_b64 s[4:5], s[6:7], 10
	s_cmp_lg_u64 s[4:5], s[2:3]
	s_cbranch_scc0 .LBB1109_6
; %bb.1:
	v_or_b32_e32 v2, s16, v0
	v_add_u16_e32 v2, s15, v2
	v_lshlrev_b16_e32 v2, 3, v2
	v_add_u16_e32 v2, 0xe00, v2
	v_mbcnt_hi_u32_b32 v3, -1, v1
	v_lshlrev_b32_e32 v4, 2, v3
	v_add_u16_dpp v2, v2, v2 quad_perm:[1,0,3,2] row_mask:0xf bank_mask:0xf bound_ctrl:1
	v_or_b32_e32 v5, 0xfc, v4
	v_cmp_eq_u32_e32 vcc, 0, v3
	v_add_u16_dpp v2, v2, v2 quad_perm:[2,3,0,1] row_mask:0xf bank_mask:0xf bound_ctrl:1
	s_nop 1
	v_add_u16_dpp v2, v2, v2 row_ror:4 row_mask:0xf bank_mask:0xf bound_ctrl:1
	s_nop 1
	v_add_u16_dpp v2, v2, v2 row_ror:8 row_mask:0xf bank_mask:0xf bound_ctrl:1
	s_nop 1
	v_add_u16_dpp v2, v2, v2 row_bcast:15 row_mask:0xf bank_mask:0xf bound_ctrl:1
	s_nop 1
	v_add_u16_dpp v2, v2, v2 row_bcast:31 row_mask:0xf bank_mask:0xf bound_ctrl:1
	ds_bpermute_b32 v2, v5, v2
	s_and_saveexec_b64 s[4:5], vcc
	s_cbranch_execz .LBB1109_3
; %bb.2:
	v_lshrrev_b32_e32 v5, 5, v0
	v_and_b32_e32 v5, 2, v5
	s_waitcnt lgkmcnt(0)
	ds_write_b16 v5, v2
.LBB1109_3:
	s_or_b64 exec, exec, s[4:5]
	v_cmp_gt_u32_e32 vcc, 64, v0
	s_waitcnt lgkmcnt(0)
	s_barrier
	s_and_saveexec_b64 s[4:5], vcc
	s_cbranch_execz .LBB1109_5
; %bb.4:
	v_and_b32_e32 v2, 1, v3
	v_lshlrev_b32_e32 v2, 1, v2
	ds_read_u16 v2, v2
	v_or_b32_e32 v3, 4, v4
	s_waitcnt lgkmcnt(0)
	v_and_b32_e32 v4, 0xffff, v2
	ds_bpermute_b32 v3, v3, v4
	s_waitcnt lgkmcnt(0)
	v_add_u16_e32 v2, v2, v3
.LBB1109_5:
	s_or_b64 exec, exec, s[4:5]
	s_load_dword s14, s[0:1], 0x30
	s_branch .LBB1109_12
.LBB1109_6:
                                        ; implicit-def: $vgpr2
	s_load_dword s14, s[0:1], 0x30
	s_cbranch_execz .LBB1109_12
; %bb.7:
	s_sub_i32 s0, s6, s16
	s_add_i32 s15, s15, s16
	v_add_u16_e32 v2, s15, v0
	v_or_b32_e32 v3, 0x80, v0
	v_cmp_gt_u32_e32 vcc, s0, v0
	v_add_u16_e32 v4, s15, v3
	v_or_b32_e32 v5, 0x100, v0
	v_cndmask_b32_e32 v2, 0, v2, vcc
	v_cmp_gt_u32_e32 vcc, s0, v3
	v_add_u16_e32 v6, s15, v5
	v_or_b32_e32 v7, 0x180, v0
	v_cndmask_b32_e32 v3, 0, v4, vcc
	;; [unrolled: 4-line block ×6, first 2 shown]
	v_cmp_gt_u32_e32 vcc, s0, v13
	v_add_u16_e32 v16, s15, v15
	v_mbcnt_hi_u32_b32 v1, -1, v1
	v_cndmask_b32_e32 v8, 0, v14, vcc
	v_cmp_gt_u32_e32 vcc, s0, v15
	s_min_u32 s4, s0, 0x80
	s_nop 0
	v_cndmask_b32_e32 v9, 0, v16, vcc
	v_add_u16_e32 v8, v9, v8
	v_add_u16_e32 v6, v8, v6
	;; [unrolled: 1-line block ×6, first 2 shown]
	v_and_b32_e32 v4, 63, v1
	v_cmp_ne_u32_e32 vcc, 63, v4
	v_add_u16_e32 v2, v2, v5
	v_and_b32_e32 v5, 64, v0
	v_addc_co_u32_e32 v3, vcc, 0, v1, vcc
	v_lshlrev_b32_e32 v3, 2, v3
	ds_bpermute_b32 v3, v3, v2
	v_sub_u32_e64 v5, s4, v5 clamp
	v_add_u32_e32 v6, 1, v4
	v_cmp_gt_u32_e64 s[0:1], 62, v4
	v_cmp_lt_u32_e32 vcc, v6, v5
	s_waitcnt lgkmcnt(0)
	v_add_u16_e32 v3, v2, v3
	v_cndmask_b32_e64 v6, 0, 2, s[0:1]
	v_cndmask_b32_e32 v3, v2, v3, vcc
	v_add_lshl_u32 v6, v6, v1, 2
	ds_bpermute_b32 v6, v6, v3
	v_add_u32_e32 v7, 2, v4
	v_cmp_lt_u32_e64 s[0:1], v7, v5
	v_add_u32_e32 v7, 4, v4
	s_waitcnt lgkmcnt(0)
	v_add_u16_e32 v6, v3, v6
	v_cndmask_b32_e64 v3, v3, v6, s[0:1]
	v_cmp_gt_u32_e64 s[0:1], 60, v4
	s_nop 1
	v_cndmask_b32_e64 v6, 0, 4, s[0:1]
	v_add_lshl_u32 v6, v6, v1, 2
	ds_bpermute_b32 v6, v6, v3
	v_cmp_lt_u32_e64 s[0:1], v7, v5
	v_add_u32_e32 v7, 8, v4
	s_waitcnt lgkmcnt(0)
	v_add_u16_e32 v6, v3, v6
	v_cndmask_b32_e64 v3, v3, v6, s[0:1]
	v_cmp_gt_u32_e64 s[0:1], 56, v4
	s_nop 1
	v_cndmask_b32_e64 v6, 0, 8, s[0:1]
	v_add_lshl_u32 v6, v6, v1, 2
	ds_bpermute_b32 v6, v6, v3
	v_cmp_lt_u32_e64 s[0:1], v7, v5
	v_add_u32_e32 v7, 16, v4
	s_waitcnt lgkmcnt(0)
	v_add_u16_e32 v6, v3, v6
	v_cndmask_b32_e64 v3, v3, v6, s[0:1]
	v_cmp_gt_u32_e64 s[0:1], 48, v4
	v_add_u32_e32 v4, 32, v4
	s_nop 0
	v_cndmask_b32_e64 v6, 0, 16, s[0:1]
	v_add_lshl_u32 v6, v6, v1, 2
	ds_bpermute_b32 v6, v6, v3
	v_cmp_lt_u32_e64 s[0:1], v7, v5
	s_waitcnt lgkmcnt(0)
	v_add_u16_e32 v6, v3, v6
	v_cndmask_b32_e64 v6, v3, v6, s[0:1]
	v_lshlrev_b32_e32 v3, 2, v1
	v_or_b32_e32 v7, 0x80, v3
	ds_bpermute_b32 v7, v7, v6
	v_cmp_lt_u32_e64 s[0:1], v4, v5
	s_waitcnt lgkmcnt(0)
	s_nop 0
	v_cndmask_b32_e64 v4, 0, v7, s[0:1]
	v_add_u16_e32 v4, v6, v4
	v_cndmask_b32_e32 v2, v2, v4, vcc
	v_cmp_eq_u32_e32 vcc, 0, v1
	s_and_saveexec_b64 s[0:1], vcc
; %bb.8:
	v_lshrrev_b32_e32 v4, 5, v0
	v_and_b32_e32 v4, 2, v4
	ds_write_b16 v4, v2 offset:4
; %bb.9:
	s_or_b64 exec, exec, s[0:1]
	v_cmp_gt_u32_e32 vcc, 2, v0
	s_waitcnt lgkmcnt(0)
	s_barrier
	s_and_saveexec_b64 s[0:1], vcc
	s_cbranch_execz .LBB1109_11
; %bb.10:
	v_lshlrev_b32_e32 v2, 1, v1
	ds_read_u16 v2, v2 offset:4
	v_or_b32_e32 v3, 4, v3
	s_add_i32 s4, s4, 63
	v_and_b32_e32 v1, 1, v1
	s_lshr_b32 s4, s4, 6
	s_waitcnt lgkmcnt(0)
	v_and_b32_e32 v4, 0xffff, v2
	ds_bpermute_b32 v3, v3, v4
	v_add_u32_e32 v1, 1, v1
	v_cmp_gt_u32_e32 vcc, s4, v1
	s_waitcnt lgkmcnt(0)
	s_nop 0
	v_cndmask_b32_e32 v1, 0, v3, vcc
	v_add_u16_e32 v2, v1, v2
.LBB1109_11:
	s_or_b64 exec, exec, s[0:1]
.LBB1109_12:
	v_cmp_eq_u32_e32 vcc, 0, v0
	s_and_saveexec_b64 s[0:1], vcc
	s_cbranch_execnz .LBB1109_14
; %bb.13:
	s_endpgm
.LBB1109_14:
	s_mul_i32 s0, s12, s11
	s_mul_hi_u32 s1, s12, s10
	s_add_i32 s0, s1, s0
	s_mul_i32 s1, s13, s10
	s_add_i32 s1, s0, s1
	s_mul_i32 s0, s12, s10
	s_lshl_b64 s[0:1], s[0:1], 1
	s_add_u32 s4, s8, s0
	s_addc_u32 s5, s9, s1
	s_cmp_eq_u64 s[6:7], 0
	s_cselect_b64 vcc, -1, 0
	s_lshl_b64 s[0:1], s[2:3], 1
	s_waitcnt lgkmcnt(0)
	v_mov_b32_e32 v0, s14
	s_add_u32 s0, s4, s0
	v_cndmask_b32_e32 v0, v2, v0, vcc
	s_addc_u32 s1, s5, s1
	v_mov_b32_e32 v1, 0
	global_store_short v1, v0, s[0:1]
	s_endpgm
	.section	.rodata,"a",@progbits
	.p2align	6, 0x0
	.amdhsa_kernel _ZN7rocprim17ROCPRIM_400000_NS6detail17trampoline_kernelINS0_14default_configENS1_22reduce_config_selectorIsEEZNS1_11reduce_implILb1ES3_N6thrust23THRUST_200600_302600_NS17counting_iteratorIsNS8_11hip_rocprim3tagENS8_11use_defaultESC_EEPssNS8_4plusIsEEEE10hipError_tPvRmT1_T2_T3_mT4_P12ihipStream_tbEUlT_E0_NS1_11comp_targetILNS1_3genE0ELNS1_11target_archE4294967295ELNS1_3gpuE0ELNS1_3repE0EEENS1_30default_config_static_selectorELNS0_4arch9wavefront6targetE1EEEvSK_
		.amdhsa_group_segment_fixed_size 8
		.amdhsa_private_segment_fixed_size 0
		.amdhsa_kernarg_size 56
		.amdhsa_user_sgpr_count 2
		.amdhsa_user_sgpr_dispatch_ptr 0
		.amdhsa_user_sgpr_queue_ptr 0
		.amdhsa_user_sgpr_kernarg_segment_ptr 1
		.amdhsa_user_sgpr_dispatch_id 0
		.amdhsa_user_sgpr_kernarg_preload_length 0
		.amdhsa_user_sgpr_kernarg_preload_offset 0
		.amdhsa_user_sgpr_private_segment_size 0
		.amdhsa_uses_dynamic_stack 0
		.amdhsa_enable_private_segment 0
		.amdhsa_system_sgpr_workgroup_id_x 1
		.amdhsa_system_sgpr_workgroup_id_y 0
		.amdhsa_system_sgpr_workgroup_id_z 0
		.amdhsa_system_sgpr_workgroup_info 0
		.amdhsa_system_vgpr_workitem_id 0
		.amdhsa_next_free_vgpr 17
		.amdhsa_next_free_sgpr 17
		.amdhsa_accum_offset 20
		.amdhsa_reserve_vcc 1
		.amdhsa_float_round_mode_32 0
		.amdhsa_float_round_mode_16_64 0
		.amdhsa_float_denorm_mode_32 3
		.amdhsa_float_denorm_mode_16_64 3
		.amdhsa_dx10_clamp 1
		.amdhsa_ieee_mode 1
		.amdhsa_fp16_overflow 0
		.amdhsa_tg_split 0
		.amdhsa_exception_fp_ieee_invalid_op 0
		.amdhsa_exception_fp_denorm_src 0
		.amdhsa_exception_fp_ieee_div_zero 0
		.amdhsa_exception_fp_ieee_overflow 0
		.amdhsa_exception_fp_ieee_underflow 0
		.amdhsa_exception_fp_ieee_inexact 0
		.amdhsa_exception_int_div_zero 0
	.end_amdhsa_kernel
	.section	.text._ZN7rocprim17ROCPRIM_400000_NS6detail17trampoline_kernelINS0_14default_configENS1_22reduce_config_selectorIsEEZNS1_11reduce_implILb1ES3_N6thrust23THRUST_200600_302600_NS17counting_iteratorIsNS8_11hip_rocprim3tagENS8_11use_defaultESC_EEPssNS8_4plusIsEEEE10hipError_tPvRmT1_T2_T3_mT4_P12ihipStream_tbEUlT_E0_NS1_11comp_targetILNS1_3genE0ELNS1_11target_archE4294967295ELNS1_3gpuE0ELNS1_3repE0EEENS1_30default_config_static_selectorELNS0_4arch9wavefront6targetE1EEEvSK_,"axG",@progbits,_ZN7rocprim17ROCPRIM_400000_NS6detail17trampoline_kernelINS0_14default_configENS1_22reduce_config_selectorIsEEZNS1_11reduce_implILb1ES3_N6thrust23THRUST_200600_302600_NS17counting_iteratorIsNS8_11hip_rocprim3tagENS8_11use_defaultESC_EEPssNS8_4plusIsEEEE10hipError_tPvRmT1_T2_T3_mT4_P12ihipStream_tbEUlT_E0_NS1_11comp_targetILNS1_3genE0ELNS1_11target_archE4294967295ELNS1_3gpuE0ELNS1_3repE0EEENS1_30default_config_static_selectorELNS0_4arch9wavefront6targetE1EEEvSK_,comdat
.Lfunc_end1109:
	.size	_ZN7rocprim17ROCPRIM_400000_NS6detail17trampoline_kernelINS0_14default_configENS1_22reduce_config_selectorIsEEZNS1_11reduce_implILb1ES3_N6thrust23THRUST_200600_302600_NS17counting_iteratorIsNS8_11hip_rocprim3tagENS8_11use_defaultESC_EEPssNS8_4plusIsEEEE10hipError_tPvRmT1_T2_T3_mT4_P12ihipStream_tbEUlT_E0_NS1_11comp_targetILNS1_3genE0ELNS1_11target_archE4294967295ELNS1_3gpuE0ELNS1_3repE0EEENS1_30default_config_static_selectorELNS0_4arch9wavefront6targetE1EEEvSK_, .Lfunc_end1109-_ZN7rocprim17ROCPRIM_400000_NS6detail17trampoline_kernelINS0_14default_configENS1_22reduce_config_selectorIsEEZNS1_11reduce_implILb1ES3_N6thrust23THRUST_200600_302600_NS17counting_iteratorIsNS8_11hip_rocprim3tagENS8_11use_defaultESC_EEPssNS8_4plusIsEEEE10hipError_tPvRmT1_T2_T3_mT4_P12ihipStream_tbEUlT_E0_NS1_11comp_targetILNS1_3genE0ELNS1_11target_archE4294967295ELNS1_3gpuE0ELNS1_3repE0EEENS1_30default_config_static_selectorELNS0_4arch9wavefront6targetE1EEEvSK_
                                        ; -- End function
	.set _ZN7rocprim17ROCPRIM_400000_NS6detail17trampoline_kernelINS0_14default_configENS1_22reduce_config_selectorIsEEZNS1_11reduce_implILb1ES3_N6thrust23THRUST_200600_302600_NS17counting_iteratorIsNS8_11hip_rocprim3tagENS8_11use_defaultESC_EEPssNS8_4plusIsEEEE10hipError_tPvRmT1_T2_T3_mT4_P12ihipStream_tbEUlT_E0_NS1_11comp_targetILNS1_3genE0ELNS1_11target_archE4294967295ELNS1_3gpuE0ELNS1_3repE0EEENS1_30default_config_static_selectorELNS0_4arch9wavefront6targetE1EEEvSK_.num_vgpr, 17
	.set _ZN7rocprim17ROCPRIM_400000_NS6detail17trampoline_kernelINS0_14default_configENS1_22reduce_config_selectorIsEEZNS1_11reduce_implILb1ES3_N6thrust23THRUST_200600_302600_NS17counting_iteratorIsNS8_11hip_rocprim3tagENS8_11use_defaultESC_EEPssNS8_4plusIsEEEE10hipError_tPvRmT1_T2_T3_mT4_P12ihipStream_tbEUlT_E0_NS1_11comp_targetILNS1_3genE0ELNS1_11target_archE4294967295ELNS1_3gpuE0ELNS1_3repE0EEENS1_30default_config_static_selectorELNS0_4arch9wavefront6targetE1EEEvSK_.num_agpr, 0
	.set _ZN7rocprim17ROCPRIM_400000_NS6detail17trampoline_kernelINS0_14default_configENS1_22reduce_config_selectorIsEEZNS1_11reduce_implILb1ES3_N6thrust23THRUST_200600_302600_NS17counting_iteratorIsNS8_11hip_rocprim3tagENS8_11use_defaultESC_EEPssNS8_4plusIsEEEE10hipError_tPvRmT1_T2_T3_mT4_P12ihipStream_tbEUlT_E0_NS1_11comp_targetILNS1_3genE0ELNS1_11target_archE4294967295ELNS1_3gpuE0ELNS1_3repE0EEENS1_30default_config_static_selectorELNS0_4arch9wavefront6targetE1EEEvSK_.numbered_sgpr, 17
	.set _ZN7rocprim17ROCPRIM_400000_NS6detail17trampoline_kernelINS0_14default_configENS1_22reduce_config_selectorIsEEZNS1_11reduce_implILb1ES3_N6thrust23THRUST_200600_302600_NS17counting_iteratorIsNS8_11hip_rocprim3tagENS8_11use_defaultESC_EEPssNS8_4plusIsEEEE10hipError_tPvRmT1_T2_T3_mT4_P12ihipStream_tbEUlT_E0_NS1_11comp_targetILNS1_3genE0ELNS1_11target_archE4294967295ELNS1_3gpuE0ELNS1_3repE0EEENS1_30default_config_static_selectorELNS0_4arch9wavefront6targetE1EEEvSK_.num_named_barrier, 0
	.set _ZN7rocprim17ROCPRIM_400000_NS6detail17trampoline_kernelINS0_14default_configENS1_22reduce_config_selectorIsEEZNS1_11reduce_implILb1ES3_N6thrust23THRUST_200600_302600_NS17counting_iteratorIsNS8_11hip_rocprim3tagENS8_11use_defaultESC_EEPssNS8_4plusIsEEEE10hipError_tPvRmT1_T2_T3_mT4_P12ihipStream_tbEUlT_E0_NS1_11comp_targetILNS1_3genE0ELNS1_11target_archE4294967295ELNS1_3gpuE0ELNS1_3repE0EEENS1_30default_config_static_selectorELNS0_4arch9wavefront6targetE1EEEvSK_.private_seg_size, 0
	.set _ZN7rocprim17ROCPRIM_400000_NS6detail17trampoline_kernelINS0_14default_configENS1_22reduce_config_selectorIsEEZNS1_11reduce_implILb1ES3_N6thrust23THRUST_200600_302600_NS17counting_iteratorIsNS8_11hip_rocprim3tagENS8_11use_defaultESC_EEPssNS8_4plusIsEEEE10hipError_tPvRmT1_T2_T3_mT4_P12ihipStream_tbEUlT_E0_NS1_11comp_targetILNS1_3genE0ELNS1_11target_archE4294967295ELNS1_3gpuE0ELNS1_3repE0EEENS1_30default_config_static_selectorELNS0_4arch9wavefront6targetE1EEEvSK_.uses_vcc, 1
	.set _ZN7rocprim17ROCPRIM_400000_NS6detail17trampoline_kernelINS0_14default_configENS1_22reduce_config_selectorIsEEZNS1_11reduce_implILb1ES3_N6thrust23THRUST_200600_302600_NS17counting_iteratorIsNS8_11hip_rocprim3tagENS8_11use_defaultESC_EEPssNS8_4plusIsEEEE10hipError_tPvRmT1_T2_T3_mT4_P12ihipStream_tbEUlT_E0_NS1_11comp_targetILNS1_3genE0ELNS1_11target_archE4294967295ELNS1_3gpuE0ELNS1_3repE0EEENS1_30default_config_static_selectorELNS0_4arch9wavefront6targetE1EEEvSK_.uses_flat_scratch, 0
	.set _ZN7rocprim17ROCPRIM_400000_NS6detail17trampoline_kernelINS0_14default_configENS1_22reduce_config_selectorIsEEZNS1_11reduce_implILb1ES3_N6thrust23THRUST_200600_302600_NS17counting_iteratorIsNS8_11hip_rocprim3tagENS8_11use_defaultESC_EEPssNS8_4plusIsEEEE10hipError_tPvRmT1_T2_T3_mT4_P12ihipStream_tbEUlT_E0_NS1_11comp_targetILNS1_3genE0ELNS1_11target_archE4294967295ELNS1_3gpuE0ELNS1_3repE0EEENS1_30default_config_static_selectorELNS0_4arch9wavefront6targetE1EEEvSK_.has_dyn_sized_stack, 0
	.set _ZN7rocprim17ROCPRIM_400000_NS6detail17trampoline_kernelINS0_14default_configENS1_22reduce_config_selectorIsEEZNS1_11reduce_implILb1ES3_N6thrust23THRUST_200600_302600_NS17counting_iteratorIsNS8_11hip_rocprim3tagENS8_11use_defaultESC_EEPssNS8_4plusIsEEEE10hipError_tPvRmT1_T2_T3_mT4_P12ihipStream_tbEUlT_E0_NS1_11comp_targetILNS1_3genE0ELNS1_11target_archE4294967295ELNS1_3gpuE0ELNS1_3repE0EEENS1_30default_config_static_selectorELNS0_4arch9wavefront6targetE1EEEvSK_.has_recursion, 0
	.set _ZN7rocprim17ROCPRIM_400000_NS6detail17trampoline_kernelINS0_14default_configENS1_22reduce_config_selectorIsEEZNS1_11reduce_implILb1ES3_N6thrust23THRUST_200600_302600_NS17counting_iteratorIsNS8_11hip_rocprim3tagENS8_11use_defaultESC_EEPssNS8_4plusIsEEEE10hipError_tPvRmT1_T2_T3_mT4_P12ihipStream_tbEUlT_E0_NS1_11comp_targetILNS1_3genE0ELNS1_11target_archE4294967295ELNS1_3gpuE0ELNS1_3repE0EEENS1_30default_config_static_selectorELNS0_4arch9wavefront6targetE1EEEvSK_.has_indirect_call, 0
	.section	.AMDGPU.csdata,"",@progbits
; Kernel info:
; codeLenInByte = 1100
; TotalNumSgprs: 23
; NumVgprs: 17
; NumAgprs: 0
; TotalNumVgprs: 17
; ScratchSize: 0
; MemoryBound: 0
; FloatMode: 240
; IeeeMode: 1
; LDSByteSize: 8 bytes/workgroup (compile time only)
; SGPRBlocks: 2
; VGPRBlocks: 2
; NumSGPRsForWavesPerEU: 23
; NumVGPRsForWavesPerEU: 17
; AccumOffset: 20
; Occupancy: 8
; WaveLimiterHint : 0
; COMPUTE_PGM_RSRC2:SCRATCH_EN: 0
; COMPUTE_PGM_RSRC2:USER_SGPR: 2
; COMPUTE_PGM_RSRC2:TRAP_HANDLER: 0
; COMPUTE_PGM_RSRC2:TGID_X_EN: 1
; COMPUTE_PGM_RSRC2:TGID_Y_EN: 0
; COMPUTE_PGM_RSRC2:TGID_Z_EN: 0
; COMPUTE_PGM_RSRC2:TIDIG_COMP_CNT: 0
; COMPUTE_PGM_RSRC3_GFX90A:ACCUM_OFFSET: 4
; COMPUTE_PGM_RSRC3_GFX90A:TG_SPLIT: 0
	.section	.text._ZN7rocprim17ROCPRIM_400000_NS6detail17trampoline_kernelINS0_14default_configENS1_22reduce_config_selectorIsEEZNS1_11reduce_implILb1ES3_N6thrust23THRUST_200600_302600_NS17counting_iteratorIsNS8_11hip_rocprim3tagENS8_11use_defaultESC_EEPssNS8_4plusIsEEEE10hipError_tPvRmT1_T2_T3_mT4_P12ihipStream_tbEUlT_E0_NS1_11comp_targetILNS1_3genE5ELNS1_11target_archE942ELNS1_3gpuE9ELNS1_3repE0EEENS1_30default_config_static_selectorELNS0_4arch9wavefront6targetE1EEEvSK_,"axG",@progbits,_ZN7rocprim17ROCPRIM_400000_NS6detail17trampoline_kernelINS0_14default_configENS1_22reduce_config_selectorIsEEZNS1_11reduce_implILb1ES3_N6thrust23THRUST_200600_302600_NS17counting_iteratorIsNS8_11hip_rocprim3tagENS8_11use_defaultESC_EEPssNS8_4plusIsEEEE10hipError_tPvRmT1_T2_T3_mT4_P12ihipStream_tbEUlT_E0_NS1_11comp_targetILNS1_3genE5ELNS1_11target_archE942ELNS1_3gpuE9ELNS1_3repE0EEENS1_30default_config_static_selectorELNS0_4arch9wavefront6targetE1EEEvSK_,comdat
	.protected	_ZN7rocprim17ROCPRIM_400000_NS6detail17trampoline_kernelINS0_14default_configENS1_22reduce_config_selectorIsEEZNS1_11reduce_implILb1ES3_N6thrust23THRUST_200600_302600_NS17counting_iteratorIsNS8_11hip_rocprim3tagENS8_11use_defaultESC_EEPssNS8_4plusIsEEEE10hipError_tPvRmT1_T2_T3_mT4_P12ihipStream_tbEUlT_E0_NS1_11comp_targetILNS1_3genE5ELNS1_11target_archE942ELNS1_3gpuE9ELNS1_3repE0EEENS1_30default_config_static_selectorELNS0_4arch9wavefront6targetE1EEEvSK_ ; -- Begin function _ZN7rocprim17ROCPRIM_400000_NS6detail17trampoline_kernelINS0_14default_configENS1_22reduce_config_selectorIsEEZNS1_11reduce_implILb1ES3_N6thrust23THRUST_200600_302600_NS17counting_iteratorIsNS8_11hip_rocprim3tagENS8_11use_defaultESC_EEPssNS8_4plusIsEEEE10hipError_tPvRmT1_T2_T3_mT4_P12ihipStream_tbEUlT_E0_NS1_11comp_targetILNS1_3genE5ELNS1_11target_archE942ELNS1_3gpuE9ELNS1_3repE0EEENS1_30default_config_static_selectorELNS0_4arch9wavefront6targetE1EEEvSK_
	.globl	_ZN7rocprim17ROCPRIM_400000_NS6detail17trampoline_kernelINS0_14default_configENS1_22reduce_config_selectorIsEEZNS1_11reduce_implILb1ES3_N6thrust23THRUST_200600_302600_NS17counting_iteratorIsNS8_11hip_rocprim3tagENS8_11use_defaultESC_EEPssNS8_4plusIsEEEE10hipError_tPvRmT1_T2_T3_mT4_P12ihipStream_tbEUlT_E0_NS1_11comp_targetILNS1_3genE5ELNS1_11target_archE942ELNS1_3gpuE9ELNS1_3repE0EEENS1_30default_config_static_selectorELNS0_4arch9wavefront6targetE1EEEvSK_
	.p2align	8
	.type	_ZN7rocprim17ROCPRIM_400000_NS6detail17trampoline_kernelINS0_14default_configENS1_22reduce_config_selectorIsEEZNS1_11reduce_implILb1ES3_N6thrust23THRUST_200600_302600_NS17counting_iteratorIsNS8_11hip_rocprim3tagENS8_11use_defaultESC_EEPssNS8_4plusIsEEEE10hipError_tPvRmT1_T2_T3_mT4_P12ihipStream_tbEUlT_E0_NS1_11comp_targetILNS1_3genE5ELNS1_11target_archE942ELNS1_3gpuE9ELNS1_3repE0EEENS1_30default_config_static_selectorELNS0_4arch9wavefront6targetE1EEEvSK_,@function
_ZN7rocprim17ROCPRIM_400000_NS6detail17trampoline_kernelINS0_14default_configENS1_22reduce_config_selectorIsEEZNS1_11reduce_implILb1ES3_N6thrust23THRUST_200600_302600_NS17counting_iteratorIsNS8_11hip_rocprim3tagENS8_11use_defaultESC_EEPssNS8_4plusIsEEEE10hipError_tPvRmT1_T2_T3_mT4_P12ihipStream_tbEUlT_E0_NS1_11comp_targetILNS1_3genE5ELNS1_11target_archE942ELNS1_3gpuE9ELNS1_3repE0EEENS1_30default_config_static_selectorELNS0_4arch9wavefront6targetE1EEEvSK_: ; @_ZN7rocprim17ROCPRIM_400000_NS6detail17trampoline_kernelINS0_14default_configENS1_22reduce_config_selectorIsEEZNS1_11reduce_implILb1ES3_N6thrust23THRUST_200600_302600_NS17counting_iteratorIsNS8_11hip_rocprim3tagENS8_11use_defaultESC_EEPssNS8_4plusIsEEEE10hipError_tPvRmT1_T2_T3_mT4_P12ihipStream_tbEUlT_E0_NS1_11comp_targetILNS1_3genE5ELNS1_11target_archE942ELNS1_3gpuE9ELNS1_3repE0EEENS1_30default_config_static_selectorELNS0_4arch9wavefront6targetE1EEEvSK_
; %bb.0:
	.section	.rodata,"a",@progbits
	.p2align	6, 0x0
	.amdhsa_kernel _ZN7rocprim17ROCPRIM_400000_NS6detail17trampoline_kernelINS0_14default_configENS1_22reduce_config_selectorIsEEZNS1_11reduce_implILb1ES3_N6thrust23THRUST_200600_302600_NS17counting_iteratorIsNS8_11hip_rocprim3tagENS8_11use_defaultESC_EEPssNS8_4plusIsEEEE10hipError_tPvRmT1_T2_T3_mT4_P12ihipStream_tbEUlT_E0_NS1_11comp_targetILNS1_3genE5ELNS1_11target_archE942ELNS1_3gpuE9ELNS1_3repE0EEENS1_30default_config_static_selectorELNS0_4arch9wavefront6targetE1EEEvSK_
		.amdhsa_group_segment_fixed_size 0
		.amdhsa_private_segment_fixed_size 0
		.amdhsa_kernarg_size 56
		.amdhsa_user_sgpr_count 2
		.amdhsa_user_sgpr_dispatch_ptr 0
		.amdhsa_user_sgpr_queue_ptr 0
		.amdhsa_user_sgpr_kernarg_segment_ptr 1
		.amdhsa_user_sgpr_dispatch_id 0
		.amdhsa_user_sgpr_kernarg_preload_length 0
		.amdhsa_user_sgpr_kernarg_preload_offset 0
		.amdhsa_user_sgpr_private_segment_size 0
		.amdhsa_uses_dynamic_stack 0
		.amdhsa_enable_private_segment 0
		.amdhsa_system_sgpr_workgroup_id_x 1
		.amdhsa_system_sgpr_workgroup_id_y 0
		.amdhsa_system_sgpr_workgroup_id_z 0
		.amdhsa_system_sgpr_workgroup_info 0
		.amdhsa_system_vgpr_workitem_id 0
		.amdhsa_next_free_vgpr 1
		.amdhsa_next_free_sgpr 0
		.amdhsa_accum_offset 4
		.amdhsa_reserve_vcc 0
		.amdhsa_float_round_mode_32 0
		.amdhsa_float_round_mode_16_64 0
		.amdhsa_float_denorm_mode_32 3
		.amdhsa_float_denorm_mode_16_64 3
		.amdhsa_dx10_clamp 1
		.amdhsa_ieee_mode 1
		.amdhsa_fp16_overflow 0
		.amdhsa_tg_split 0
		.amdhsa_exception_fp_ieee_invalid_op 0
		.amdhsa_exception_fp_denorm_src 0
		.amdhsa_exception_fp_ieee_div_zero 0
		.amdhsa_exception_fp_ieee_overflow 0
		.amdhsa_exception_fp_ieee_underflow 0
		.amdhsa_exception_fp_ieee_inexact 0
		.amdhsa_exception_int_div_zero 0
	.end_amdhsa_kernel
	.section	.text._ZN7rocprim17ROCPRIM_400000_NS6detail17trampoline_kernelINS0_14default_configENS1_22reduce_config_selectorIsEEZNS1_11reduce_implILb1ES3_N6thrust23THRUST_200600_302600_NS17counting_iteratorIsNS8_11hip_rocprim3tagENS8_11use_defaultESC_EEPssNS8_4plusIsEEEE10hipError_tPvRmT1_T2_T3_mT4_P12ihipStream_tbEUlT_E0_NS1_11comp_targetILNS1_3genE5ELNS1_11target_archE942ELNS1_3gpuE9ELNS1_3repE0EEENS1_30default_config_static_selectorELNS0_4arch9wavefront6targetE1EEEvSK_,"axG",@progbits,_ZN7rocprim17ROCPRIM_400000_NS6detail17trampoline_kernelINS0_14default_configENS1_22reduce_config_selectorIsEEZNS1_11reduce_implILb1ES3_N6thrust23THRUST_200600_302600_NS17counting_iteratorIsNS8_11hip_rocprim3tagENS8_11use_defaultESC_EEPssNS8_4plusIsEEEE10hipError_tPvRmT1_T2_T3_mT4_P12ihipStream_tbEUlT_E0_NS1_11comp_targetILNS1_3genE5ELNS1_11target_archE942ELNS1_3gpuE9ELNS1_3repE0EEENS1_30default_config_static_selectorELNS0_4arch9wavefront6targetE1EEEvSK_,comdat
.Lfunc_end1110:
	.size	_ZN7rocprim17ROCPRIM_400000_NS6detail17trampoline_kernelINS0_14default_configENS1_22reduce_config_selectorIsEEZNS1_11reduce_implILb1ES3_N6thrust23THRUST_200600_302600_NS17counting_iteratorIsNS8_11hip_rocprim3tagENS8_11use_defaultESC_EEPssNS8_4plusIsEEEE10hipError_tPvRmT1_T2_T3_mT4_P12ihipStream_tbEUlT_E0_NS1_11comp_targetILNS1_3genE5ELNS1_11target_archE942ELNS1_3gpuE9ELNS1_3repE0EEENS1_30default_config_static_selectorELNS0_4arch9wavefront6targetE1EEEvSK_, .Lfunc_end1110-_ZN7rocprim17ROCPRIM_400000_NS6detail17trampoline_kernelINS0_14default_configENS1_22reduce_config_selectorIsEEZNS1_11reduce_implILb1ES3_N6thrust23THRUST_200600_302600_NS17counting_iteratorIsNS8_11hip_rocprim3tagENS8_11use_defaultESC_EEPssNS8_4plusIsEEEE10hipError_tPvRmT1_T2_T3_mT4_P12ihipStream_tbEUlT_E0_NS1_11comp_targetILNS1_3genE5ELNS1_11target_archE942ELNS1_3gpuE9ELNS1_3repE0EEENS1_30default_config_static_selectorELNS0_4arch9wavefront6targetE1EEEvSK_
                                        ; -- End function
	.set _ZN7rocprim17ROCPRIM_400000_NS6detail17trampoline_kernelINS0_14default_configENS1_22reduce_config_selectorIsEEZNS1_11reduce_implILb1ES3_N6thrust23THRUST_200600_302600_NS17counting_iteratorIsNS8_11hip_rocprim3tagENS8_11use_defaultESC_EEPssNS8_4plusIsEEEE10hipError_tPvRmT1_T2_T3_mT4_P12ihipStream_tbEUlT_E0_NS1_11comp_targetILNS1_3genE5ELNS1_11target_archE942ELNS1_3gpuE9ELNS1_3repE0EEENS1_30default_config_static_selectorELNS0_4arch9wavefront6targetE1EEEvSK_.num_vgpr, 0
	.set _ZN7rocprim17ROCPRIM_400000_NS6detail17trampoline_kernelINS0_14default_configENS1_22reduce_config_selectorIsEEZNS1_11reduce_implILb1ES3_N6thrust23THRUST_200600_302600_NS17counting_iteratorIsNS8_11hip_rocprim3tagENS8_11use_defaultESC_EEPssNS8_4plusIsEEEE10hipError_tPvRmT1_T2_T3_mT4_P12ihipStream_tbEUlT_E0_NS1_11comp_targetILNS1_3genE5ELNS1_11target_archE942ELNS1_3gpuE9ELNS1_3repE0EEENS1_30default_config_static_selectorELNS0_4arch9wavefront6targetE1EEEvSK_.num_agpr, 0
	.set _ZN7rocprim17ROCPRIM_400000_NS6detail17trampoline_kernelINS0_14default_configENS1_22reduce_config_selectorIsEEZNS1_11reduce_implILb1ES3_N6thrust23THRUST_200600_302600_NS17counting_iteratorIsNS8_11hip_rocprim3tagENS8_11use_defaultESC_EEPssNS8_4plusIsEEEE10hipError_tPvRmT1_T2_T3_mT4_P12ihipStream_tbEUlT_E0_NS1_11comp_targetILNS1_3genE5ELNS1_11target_archE942ELNS1_3gpuE9ELNS1_3repE0EEENS1_30default_config_static_selectorELNS0_4arch9wavefront6targetE1EEEvSK_.numbered_sgpr, 0
	.set _ZN7rocprim17ROCPRIM_400000_NS6detail17trampoline_kernelINS0_14default_configENS1_22reduce_config_selectorIsEEZNS1_11reduce_implILb1ES3_N6thrust23THRUST_200600_302600_NS17counting_iteratorIsNS8_11hip_rocprim3tagENS8_11use_defaultESC_EEPssNS8_4plusIsEEEE10hipError_tPvRmT1_T2_T3_mT4_P12ihipStream_tbEUlT_E0_NS1_11comp_targetILNS1_3genE5ELNS1_11target_archE942ELNS1_3gpuE9ELNS1_3repE0EEENS1_30default_config_static_selectorELNS0_4arch9wavefront6targetE1EEEvSK_.num_named_barrier, 0
	.set _ZN7rocprim17ROCPRIM_400000_NS6detail17trampoline_kernelINS0_14default_configENS1_22reduce_config_selectorIsEEZNS1_11reduce_implILb1ES3_N6thrust23THRUST_200600_302600_NS17counting_iteratorIsNS8_11hip_rocprim3tagENS8_11use_defaultESC_EEPssNS8_4plusIsEEEE10hipError_tPvRmT1_T2_T3_mT4_P12ihipStream_tbEUlT_E0_NS1_11comp_targetILNS1_3genE5ELNS1_11target_archE942ELNS1_3gpuE9ELNS1_3repE0EEENS1_30default_config_static_selectorELNS0_4arch9wavefront6targetE1EEEvSK_.private_seg_size, 0
	.set _ZN7rocprim17ROCPRIM_400000_NS6detail17trampoline_kernelINS0_14default_configENS1_22reduce_config_selectorIsEEZNS1_11reduce_implILb1ES3_N6thrust23THRUST_200600_302600_NS17counting_iteratorIsNS8_11hip_rocprim3tagENS8_11use_defaultESC_EEPssNS8_4plusIsEEEE10hipError_tPvRmT1_T2_T3_mT4_P12ihipStream_tbEUlT_E0_NS1_11comp_targetILNS1_3genE5ELNS1_11target_archE942ELNS1_3gpuE9ELNS1_3repE0EEENS1_30default_config_static_selectorELNS0_4arch9wavefront6targetE1EEEvSK_.uses_vcc, 0
	.set _ZN7rocprim17ROCPRIM_400000_NS6detail17trampoline_kernelINS0_14default_configENS1_22reduce_config_selectorIsEEZNS1_11reduce_implILb1ES3_N6thrust23THRUST_200600_302600_NS17counting_iteratorIsNS8_11hip_rocprim3tagENS8_11use_defaultESC_EEPssNS8_4plusIsEEEE10hipError_tPvRmT1_T2_T3_mT4_P12ihipStream_tbEUlT_E0_NS1_11comp_targetILNS1_3genE5ELNS1_11target_archE942ELNS1_3gpuE9ELNS1_3repE0EEENS1_30default_config_static_selectorELNS0_4arch9wavefront6targetE1EEEvSK_.uses_flat_scratch, 0
	.set _ZN7rocprim17ROCPRIM_400000_NS6detail17trampoline_kernelINS0_14default_configENS1_22reduce_config_selectorIsEEZNS1_11reduce_implILb1ES3_N6thrust23THRUST_200600_302600_NS17counting_iteratorIsNS8_11hip_rocprim3tagENS8_11use_defaultESC_EEPssNS8_4plusIsEEEE10hipError_tPvRmT1_T2_T3_mT4_P12ihipStream_tbEUlT_E0_NS1_11comp_targetILNS1_3genE5ELNS1_11target_archE942ELNS1_3gpuE9ELNS1_3repE0EEENS1_30default_config_static_selectorELNS0_4arch9wavefront6targetE1EEEvSK_.has_dyn_sized_stack, 0
	.set _ZN7rocprim17ROCPRIM_400000_NS6detail17trampoline_kernelINS0_14default_configENS1_22reduce_config_selectorIsEEZNS1_11reduce_implILb1ES3_N6thrust23THRUST_200600_302600_NS17counting_iteratorIsNS8_11hip_rocprim3tagENS8_11use_defaultESC_EEPssNS8_4plusIsEEEE10hipError_tPvRmT1_T2_T3_mT4_P12ihipStream_tbEUlT_E0_NS1_11comp_targetILNS1_3genE5ELNS1_11target_archE942ELNS1_3gpuE9ELNS1_3repE0EEENS1_30default_config_static_selectorELNS0_4arch9wavefront6targetE1EEEvSK_.has_recursion, 0
	.set _ZN7rocprim17ROCPRIM_400000_NS6detail17trampoline_kernelINS0_14default_configENS1_22reduce_config_selectorIsEEZNS1_11reduce_implILb1ES3_N6thrust23THRUST_200600_302600_NS17counting_iteratorIsNS8_11hip_rocprim3tagENS8_11use_defaultESC_EEPssNS8_4plusIsEEEE10hipError_tPvRmT1_T2_T3_mT4_P12ihipStream_tbEUlT_E0_NS1_11comp_targetILNS1_3genE5ELNS1_11target_archE942ELNS1_3gpuE9ELNS1_3repE0EEENS1_30default_config_static_selectorELNS0_4arch9wavefront6targetE1EEEvSK_.has_indirect_call, 0
	.section	.AMDGPU.csdata,"",@progbits
; Kernel info:
; codeLenInByte = 0
; TotalNumSgprs: 6
; NumVgprs: 0
; NumAgprs: 0
; TotalNumVgprs: 0
; ScratchSize: 0
; MemoryBound: 0
; FloatMode: 240
; IeeeMode: 1
; LDSByteSize: 0 bytes/workgroup (compile time only)
; SGPRBlocks: 0
; VGPRBlocks: 0
; NumSGPRsForWavesPerEU: 6
; NumVGPRsForWavesPerEU: 1
; AccumOffset: 4
; Occupancy: 8
; WaveLimiterHint : 0
; COMPUTE_PGM_RSRC2:SCRATCH_EN: 0
; COMPUTE_PGM_RSRC2:USER_SGPR: 2
; COMPUTE_PGM_RSRC2:TRAP_HANDLER: 0
; COMPUTE_PGM_RSRC2:TGID_X_EN: 1
; COMPUTE_PGM_RSRC2:TGID_Y_EN: 0
; COMPUTE_PGM_RSRC2:TGID_Z_EN: 0
; COMPUTE_PGM_RSRC2:TIDIG_COMP_CNT: 0
; COMPUTE_PGM_RSRC3_GFX90A:ACCUM_OFFSET: 0
; COMPUTE_PGM_RSRC3_GFX90A:TG_SPLIT: 0
	.section	.text._ZN7rocprim17ROCPRIM_400000_NS6detail17trampoline_kernelINS0_14default_configENS1_22reduce_config_selectorIsEEZNS1_11reduce_implILb1ES3_N6thrust23THRUST_200600_302600_NS17counting_iteratorIsNS8_11hip_rocprim3tagENS8_11use_defaultESC_EEPssNS8_4plusIsEEEE10hipError_tPvRmT1_T2_T3_mT4_P12ihipStream_tbEUlT_E0_NS1_11comp_targetILNS1_3genE4ELNS1_11target_archE910ELNS1_3gpuE8ELNS1_3repE0EEENS1_30default_config_static_selectorELNS0_4arch9wavefront6targetE1EEEvSK_,"axG",@progbits,_ZN7rocprim17ROCPRIM_400000_NS6detail17trampoline_kernelINS0_14default_configENS1_22reduce_config_selectorIsEEZNS1_11reduce_implILb1ES3_N6thrust23THRUST_200600_302600_NS17counting_iteratorIsNS8_11hip_rocprim3tagENS8_11use_defaultESC_EEPssNS8_4plusIsEEEE10hipError_tPvRmT1_T2_T3_mT4_P12ihipStream_tbEUlT_E0_NS1_11comp_targetILNS1_3genE4ELNS1_11target_archE910ELNS1_3gpuE8ELNS1_3repE0EEENS1_30default_config_static_selectorELNS0_4arch9wavefront6targetE1EEEvSK_,comdat
	.protected	_ZN7rocprim17ROCPRIM_400000_NS6detail17trampoline_kernelINS0_14default_configENS1_22reduce_config_selectorIsEEZNS1_11reduce_implILb1ES3_N6thrust23THRUST_200600_302600_NS17counting_iteratorIsNS8_11hip_rocprim3tagENS8_11use_defaultESC_EEPssNS8_4plusIsEEEE10hipError_tPvRmT1_T2_T3_mT4_P12ihipStream_tbEUlT_E0_NS1_11comp_targetILNS1_3genE4ELNS1_11target_archE910ELNS1_3gpuE8ELNS1_3repE0EEENS1_30default_config_static_selectorELNS0_4arch9wavefront6targetE1EEEvSK_ ; -- Begin function _ZN7rocprim17ROCPRIM_400000_NS6detail17trampoline_kernelINS0_14default_configENS1_22reduce_config_selectorIsEEZNS1_11reduce_implILb1ES3_N6thrust23THRUST_200600_302600_NS17counting_iteratorIsNS8_11hip_rocprim3tagENS8_11use_defaultESC_EEPssNS8_4plusIsEEEE10hipError_tPvRmT1_T2_T3_mT4_P12ihipStream_tbEUlT_E0_NS1_11comp_targetILNS1_3genE4ELNS1_11target_archE910ELNS1_3gpuE8ELNS1_3repE0EEENS1_30default_config_static_selectorELNS0_4arch9wavefront6targetE1EEEvSK_
	.globl	_ZN7rocprim17ROCPRIM_400000_NS6detail17trampoline_kernelINS0_14default_configENS1_22reduce_config_selectorIsEEZNS1_11reduce_implILb1ES3_N6thrust23THRUST_200600_302600_NS17counting_iteratorIsNS8_11hip_rocprim3tagENS8_11use_defaultESC_EEPssNS8_4plusIsEEEE10hipError_tPvRmT1_T2_T3_mT4_P12ihipStream_tbEUlT_E0_NS1_11comp_targetILNS1_3genE4ELNS1_11target_archE910ELNS1_3gpuE8ELNS1_3repE0EEENS1_30default_config_static_selectorELNS0_4arch9wavefront6targetE1EEEvSK_
	.p2align	8
	.type	_ZN7rocprim17ROCPRIM_400000_NS6detail17trampoline_kernelINS0_14default_configENS1_22reduce_config_selectorIsEEZNS1_11reduce_implILb1ES3_N6thrust23THRUST_200600_302600_NS17counting_iteratorIsNS8_11hip_rocprim3tagENS8_11use_defaultESC_EEPssNS8_4plusIsEEEE10hipError_tPvRmT1_T2_T3_mT4_P12ihipStream_tbEUlT_E0_NS1_11comp_targetILNS1_3genE4ELNS1_11target_archE910ELNS1_3gpuE8ELNS1_3repE0EEENS1_30default_config_static_selectorELNS0_4arch9wavefront6targetE1EEEvSK_,@function
_ZN7rocprim17ROCPRIM_400000_NS6detail17trampoline_kernelINS0_14default_configENS1_22reduce_config_selectorIsEEZNS1_11reduce_implILb1ES3_N6thrust23THRUST_200600_302600_NS17counting_iteratorIsNS8_11hip_rocprim3tagENS8_11use_defaultESC_EEPssNS8_4plusIsEEEE10hipError_tPvRmT1_T2_T3_mT4_P12ihipStream_tbEUlT_E0_NS1_11comp_targetILNS1_3genE4ELNS1_11target_archE910ELNS1_3gpuE8ELNS1_3repE0EEENS1_30default_config_static_selectorELNS0_4arch9wavefront6targetE1EEEvSK_: ; @_ZN7rocprim17ROCPRIM_400000_NS6detail17trampoline_kernelINS0_14default_configENS1_22reduce_config_selectorIsEEZNS1_11reduce_implILb1ES3_N6thrust23THRUST_200600_302600_NS17counting_iteratorIsNS8_11hip_rocprim3tagENS8_11use_defaultESC_EEPssNS8_4plusIsEEEE10hipError_tPvRmT1_T2_T3_mT4_P12ihipStream_tbEUlT_E0_NS1_11comp_targetILNS1_3genE4ELNS1_11target_archE910ELNS1_3gpuE8ELNS1_3repE0EEENS1_30default_config_static_selectorELNS0_4arch9wavefront6targetE1EEEvSK_
; %bb.0:
	.section	.rodata,"a",@progbits
	.p2align	6, 0x0
	.amdhsa_kernel _ZN7rocprim17ROCPRIM_400000_NS6detail17trampoline_kernelINS0_14default_configENS1_22reduce_config_selectorIsEEZNS1_11reduce_implILb1ES3_N6thrust23THRUST_200600_302600_NS17counting_iteratorIsNS8_11hip_rocprim3tagENS8_11use_defaultESC_EEPssNS8_4plusIsEEEE10hipError_tPvRmT1_T2_T3_mT4_P12ihipStream_tbEUlT_E0_NS1_11comp_targetILNS1_3genE4ELNS1_11target_archE910ELNS1_3gpuE8ELNS1_3repE0EEENS1_30default_config_static_selectorELNS0_4arch9wavefront6targetE1EEEvSK_
		.amdhsa_group_segment_fixed_size 0
		.amdhsa_private_segment_fixed_size 0
		.amdhsa_kernarg_size 56
		.amdhsa_user_sgpr_count 2
		.amdhsa_user_sgpr_dispatch_ptr 0
		.amdhsa_user_sgpr_queue_ptr 0
		.amdhsa_user_sgpr_kernarg_segment_ptr 1
		.amdhsa_user_sgpr_dispatch_id 0
		.amdhsa_user_sgpr_kernarg_preload_length 0
		.amdhsa_user_sgpr_kernarg_preload_offset 0
		.amdhsa_user_sgpr_private_segment_size 0
		.amdhsa_uses_dynamic_stack 0
		.amdhsa_enable_private_segment 0
		.amdhsa_system_sgpr_workgroup_id_x 1
		.amdhsa_system_sgpr_workgroup_id_y 0
		.amdhsa_system_sgpr_workgroup_id_z 0
		.amdhsa_system_sgpr_workgroup_info 0
		.amdhsa_system_vgpr_workitem_id 0
		.amdhsa_next_free_vgpr 1
		.amdhsa_next_free_sgpr 0
		.amdhsa_accum_offset 4
		.amdhsa_reserve_vcc 0
		.amdhsa_float_round_mode_32 0
		.amdhsa_float_round_mode_16_64 0
		.amdhsa_float_denorm_mode_32 3
		.amdhsa_float_denorm_mode_16_64 3
		.amdhsa_dx10_clamp 1
		.amdhsa_ieee_mode 1
		.amdhsa_fp16_overflow 0
		.amdhsa_tg_split 0
		.amdhsa_exception_fp_ieee_invalid_op 0
		.amdhsa_exception_fp_denorm_src 0
		.amdhsa_exception_fp_ieee_div_zero 0
		.amdhsa_exception_fp_ieee_overflow 0
		.amdhsa_exception_fp_ieee_underflow 0
		.amdhsa_exception_fp_ieee_inexact 0
		.amdhsa_exception_int_div_zero 0
	.end_amdhsa_kernel
	.section	.text._ZN7rocprim17ROCPRIM_400000_NS6detail17trampoline_kernelINS0_14default_configENS1_22reduce_config_selectorIsEEZNS1_11reduce_implILb1ES3_N6thrust23THRUST_200600_302600_NS17counting_iteratorIsNS8_11hip_rocprim3tagENS8_11use_defaultESC_EEPssNS8_4plusIsEEEE10hipError_tPvRmT1_T2_T3_mT4_P12ihipStream_tbEUlT_E0_NS1_11comp_targetILNS1_3genE4ELNS1_11target_archE910ELNS1_3gpuE8ELNS1_3repE0EEENS1_30default_config_static_selectorELNS0_4arch9wavefront6targetE1EEEvSK_,"axG",@progbits,_ZN7rocprim17ROCPRIM_400000_NS6detail17trampoline_kernelINS0_14default_configENS1_22reduce_config_selectorIsEEZNS1_11reduce_implILb1ES3_N6thrust23THRUST_200600_302600_NS17counting_iteratorIsNS8_11hip_rocprim3tagENS8_11use_defaultESC_EEPssNS8_4plusIsEEEE10hipError_tPvRmT1_T2_T3_mT4_P12ihipStream_tbEUlT_E0_NS1_11comp_targetILNS1_3genE4ELNS1_11target_archE910ELNS1_3gpuE8ELNS1_3repE0EEENS1_30default_config_static_selectorELNS0_4arch9wavefront6targetE1EEEvSK_,comdat
.Lfunc_end1111:
	.size	_ZN7rocprim17ROCPRIM_400000_NS6detail17trampoline_kernelINS0_14default_configENS1_22reduce_config_selectorIsEEZNS1_11reduce_implILb1ES3_N6thrust23THRUST_200600_302600_NS17counting_iteratorIsNS8_11hip_rocprim3tagENS8_11use_defaultESC_EEPssNS8_4plusIsEEEE10hipError_tPvRmT1_T2_T3_mT4_P12ihipStream_tbEUlT_E0_NS1_11comp_targetILNS1_3genE4ELNS1_11target_archE910ELNS1_3gpuE8ELNS1_3repE0EEENS1_30default_config_static_selectorELNS0_4arch9wavefront6targetE1EEEvSK_, .Lfunc_end1111-_ZN7rocprim17ROCPRIM_400000_NS6detail17trampoline_kernelINS0_14default_configENS1_22reduce_config_selectorIsEEZNS1_11reduce_implILb1ES3_N6thrust23THRUST_200600_302600_NS17counting_iteratorIsNS8_11hip_rocprim3tagENS8_11use_defaultESC_EEPssNS8_4plusIsEEEE10hipError_tPvRmT1_T2_T3_mT4_P12ihipStream_tbEUlT_E0_NS1_11comp_targetILNS1_3genE4ELNS1_11target_archE910ELNS1_3gpuE8ELNS1_3repE0EEENS1_30default_config_static_selectorELNS0_4arch9wavefront6targetE1EEEvSK_
                                        ; -- End function
	.set _ZN7rocprim17ROCPRIM_400000_NS6detail17trampoline_kernelINS0_14default_configENS1_22reduce_config_selectorIsEEZNS1_11reduce_implILb1ES3_N6thrust23THRUST_200600_302600_NS17counting_iteratorIsNS8_11hip_rocprim3tagENS8_11use_defaultESC_EEPssNS8_4plusIsEEEE10hipError_tPvRmT1_T2_T3_mT4_P12ihipStream_tbEUlT_E0_NS1_11comp_targetILNS1_3genE4ELNS1_11target_archE910ELNS1_3gpuE8ELNS1_3repE0EEENS1_30default_config_static_selectorELNS0_4arch9wavefront6targetE1EEEvSK_.num_vgpr, 0
	.set _ZN7rocprim17ROCPRIM_400000_NS6detail17trampoline_kernelINS0_14default_configENS1_22reduce_config_selectorIsEEZNS1_11reduce_implILb1ES3_N6thrust23THRUST_200600_302600_NS17counting_iteratorIsNS8_11hip_rocprim3tagENS8_11use_defaultESC_EEPssNS8_4plusIsEEEE10hipError_tPvRmT1_T2_T3_mT4_P12ihipStream_tbEUlT_E0_NS1_11comp_targetILNS1_3genE4ELNS1_11target_archE910ELNS1_3gpuE8ELNS1_3repE0EEENS1_30default_config_static_selectorELNS0_4arch9wavefront6targetE1EEEvSK_.num_agpr, 0
	.set _ZN7rocprim17ROCPRIM_400000_NS6detail17trampoline_kernelINS0_14default_configENS1_22reduce_config_selectorIsEEZNS1_11reduce_implILb1ES3_N6thrust23THRUST_200600_302600_NS17counting_iteratorIsNS8_11hip_rocprim3tagENS8_11use_defaultESC_EEPssNS8_4plusIsEEEE10hipError_tPvRmT1_T2_T3_mT4_P12ihipStream_tbEUlT_E0_NS1_11comp_targetILNS1_3genE4ELNS1_11target_archE910ELNS1_3gpuE8ELNS1_3repE0EEENS1_30default_config_static_selectorELNS0_4arch9wavefront6targetE1EEEvSK_.numbered_sgpr, 0
	.set _ZN7rocprim17ROCPRIM_400000_NS6detail17trampoline_kernelINS0_14default_configENS1_22reduce_config_selectorIsEEZNS1_11reduce_implILb1ES3_N6thrust23THRUST_200600_302600_NS17counting_iteratorIsNS8_11hip_rocprim3tagENS8_11use_defaultESC_EEPssNS8_4plusIsEEEE10hipError_tPvRmT1_T2_T3_mT4_P12ihipStream_tbEUlT_E0_NS1_11comp_targetILNS1_3genE4ELNS1_11target_archE910ELNS1_3gpuE8ELNS1_3repE0EEENS1_30default_config_static_selectorELNS0_4arch9wavefront6targetE1EEEvSK_.num_named_barrier, 0
	.set _ZN7rocprim17ROCPRIM_400000_NS6detail17trampoline_kernelINS0_14default_configENS1_22reduce_config_selectorIsEEZNS1_11reduce_implILb1ES3_N6thrust23THRUST_200600_302600_NS17counting_iteratorIsNS8_11hip_rocprim3tagENS8_11use_defaultESC_EEPssNS8_4plusIsEEEE10hipError_tPvRmT1_T2_T3_mT4_P12ihipStream_tbEUlT_E0_NS1_11comp_targetILNS1_3genE4ELNS1_11target_archE910ELNS1_3gpuE8ELNS1_3repE0EEENS1_30default_config_static_selectorELNS0_4arch9wavefront6targetE1EEEvSK_.private_seg_size, 0
	.set _ZN7rocprim17ROCPRIM_400000_NS6detail17trampoline_kernelINS0_14default_configENS1_22reduce_config_selectorIsEEZNS1_11reduce_implILb1ES3_N6thrust23THRUST_200600_302600_NS17counting_iteratorIsNS8_11hip_rocprim3tagENS8_11use_defaultESC_EEPssNS8_4plusIsEEEE10hipError_tPvRmT1_T2_T3_mT4_P12ihipStream_tbEUlT_E0_NS1_11comp_targetILNS1_3genE4ELNS1_11target_archE910ELNS1_3gpuE8ELNS1_3repE0EEENS1_30default_config_static_selectorELNS0_4arch9wavefront6targetE1EEEvSK_.uses_vcc, 0
	.set _ZN7rocprim17ROCPRIM_400000_NS6detail17trampoline_kernelINS0_14default_configENS1_22reduce_config_selectorIsEEZNS1_11reduce_implILb1ES3_N6thrust23THRUST_200600_302600_NS17counting_iteratorIsNS8_11hip_rocprim3tagENS8_11use_defaultESC_EEPssNS8_4plusIsEEEE10hipError_tPvRmT1_T2_T3_mT4_P12ihipStream_tbEUlT_E0_NS1_11comp_targetILNS1_3genE4ELNS1_11target_archE910ELNS1_3gpuE8ELNS1_3repE0EEENS1_30default_config_static_selectorELNS0_4arch9wavefront6targetE1EEEvSK_.uses_flat_scratch, 0
	.set _ZN7rocprim17ROCPRIM_400000_NS6detail17trampoline_kernelINS0_14default_configENS1_22reduce_config_selectorIsEEZNS1_11reduce_implILb1ES3_N6thrust23THRUST_200600_302600_NS17counting_iteratorIsNS8_11hip_rocprim3tagENS8_11use_defaultESC_EEPssNS8_4plusIsEEEE10hipError_tPvRmT1_T2_T3_mT4_P12ihipStream_tbEUlT_E0_NS1_11comp_targetILNS1_3genE4ELNS1_11target_archE910ELNS1_3gpuE8ELNS1_3repE0EEENS1_30default_config_static_selectorELNS0_4arch9wavefront6targetE1EEEvSK_.has_dyn_sized_stack, 0
	.set _ZN7rocprim17ROCPRIM_400000_NS6detail17trampoline_kernelINS0_14default_configENS1_22reduce_config_selectorIsEEZNS1_11reduce_implILb1ES3_N6thrust23THRUST_200600_302600_NS17counting_iteratorIsNS8_11hip_rocprim3tagENS8_11use_defaultESC_EEPssNS8_4plusIsEEEE10hipError_tPvRmT1_T2_T3_mT4_P12ihipStream_tbEUlT_E0_NS1_11comp_targetILNS1_3genE4ELNS1_11target_archE910ELNS1_3gpuE8ELNS1_3repE0EEENS1_30default_config_static_selectorELNS0_4arch9wavefront6targetE1EEEvSK_.has_recursion, 0
	.set _ZN7rocprim17ROCPRIM_400000_NS6detail17trampoline_kernelINS0_14default_configENS1_22reduce_config_selectorIsEEZNS1_11reduce_implILb1ES3_N6thrust23THRUST_200600_302600_NS17counting_iteratorIsNS8_11hip_rocprim3tagENS8_11use_defaultESC_EEPssNS8_4plusIsEEEE10hipError_tPvRmT1_T2_T3_mT4_P12ihipStream_tbEUlT_E0_NS1_11comp_targetILNS1_3genE4ELNS1_11target_archE910ELNS1_3gpuE8ELNS1_3repE0EEENS1_30default_config_static_selectorELNS0_4arch9wavefront6targetE1EEEvSK_.has_indirect_call, 0
	.section	.AMDGPU.csdata,"",@progbits
; Kernel info:
; codeLenInByte = 0
; TotalNumSgprs: 6
; NumVgprs: 0
; NumAgprs: 0
; TotalNumVgprs: 0
; ScratchSize: 0
; MemoryBound: 0
; FloatMode: 240
; IeeeMode: 1
; LDSByteSize: 0 bytes/workgroup (compile time only)
; SGPRBlocks: 0
; VGPRBlocks: 0
; NumSGPRsForWavesPerEU: 6
; NumVGPRsForWavesPerEU: 1
; AccumOffset: 4
; Occupancy: 8
; WaveLimiterHint : 0
; COMPUTE_PGM_RSRC2:SCRATCH_EN: 0
; COMPUTE_PGM_RSRC2:USER_SGPR: 2
; COMPUTE_PGM_RSRC2:TRAP_HANDLER: 0
; COMPUTE_PGM_RSRC2:TGID_X_EN: 1
; COMPUTE_PGM_RSRC2:TGID_Y_EN: 0
; COMPUTE_PGM_RSRC2:TGID_Z_EN: 0
; COMPUTE_PGM_RSRC2:TIDIG_COMP_CNT: 0
; COMPUTE_PGM_RSRC3_GFX90A:ACCUM_OFFSET: 0
; COMPUTE_PGM_RSRC3_GFX90A:TG_SPLIT: 0
	.section	.text._ZN7rocprim17ROCPRIM_400000_NS6detail17trampoline_kernelINS0_14default_configENS1_22reduce_config_selectorIsEEZNS1_11reduce_implILb1ES3_N6thrust23THRUST_200600_302600_NS17counting_iteratorIsNS8_11hip_rocprim3tagENS8_11use_defaultESC_EEPssNS8_4plusIsEEEE10hipError_tPvRmT1_T2_T3_mT4_P12ihipStream_tbEUlT_E0_NS1_11comp_targetILNS1_3genE3ELNS1_11target_archE908ELNS1_3gpuE7ELNS1_3repE0EEENS1_30default_config_static_selectorELNS0_4arch9wavefront6targetE1EEEvSK_,"axG",@progbits,_ZN7rocprim17ROCPRIM_400000_NS6detail17trampoline_kernelINS0_14default_configENS1_22reduce_config_selectorIsEEZNS1_11reduce_implILb1ES3_N6thrust23THRUST_200600_302600_NS17counting_iteratorIsNS8_11hip_rocprim3tagENS8_11use_defaultESC_EEPssNS8_4plusIsEEEE10hipError_tPvRmT1_T2_T3_mT4_P12ihipStream_tbEUlT_E0_NS1_11comp_targetILNS1_3genE3ELNS1_11target_archE908ELNS1_3gpuE7ELNS1_3repE0EEENS1_30default_config_static_selectorELNS0_4arch9wavefront6targetE1EEEvSK_,comdat
	.protected	_ZN7rocprim17ROCPRIM_400000_NS6detail17trampoline_kernelINS0_14default_configENS1_22reduce_config_selectorIsEEZNS1_11reduce_implILb1ES3_N6thrust23THRUST_200600_302600_NS17counting_iteratorIsNS8_11hip_rocprim3tagENS8_11use_defaultESC_EEPssNS8_4plusIsEEEE10hipError_tPvRmT1_T2_T3_mT4_P12ihipStream_tbEUlT_E0_NS1_11comp_targetILNS1_3genE3ELNS1_11target_archE908ELNS1_3gpuE7ELNS1_3repE0EEENS1_30default_config_static_selectorELNS0_4arch9wavefront6targetE1EEEvSK_ ; -- Begin function _ZN7rocprim17ROCPRIM_400000_NS6detail17trampoline_kernelINS0_14default_configENS1_22reduce_config_selectorIsEEZNS1_11reduce_implILb1ES3_N6thrust23THRUST_200600_302600_NS17counting_iteratorIsNS8_11hip_rocprim3tagENS8_11use_defaultESC_EEPssNS8_4plusIsEEEE10hipError_tPvRmT1_T2_T3_mT4_P12ihipStream_tbEUlT_E0_NS1_11comp_targetILNS1_3genE3ELNS1_11target_archE908ELNS1_3gpuE7ELNS1_3repE0EEENS1_30default_config_static_selectorELNS0_4arch9wavefront6targetE1EEEvSK_
	.globl	_ZN7rocprim17ROCPRIM_400000_NS6detail17trampoline_kernelINS0_14default_configENS1_22reduce_config_selectorIsEEZNS1_11reduce_implILb1ES3_N6thrust23THRUST_200600_302600_NS17counting_iteratorIsNS8_11hip_rocprim3tagENS8_11use_defaultESC_EEPssNS8_4plusIsEEEE10hipError_tPvRmT1_T2_T3_mT4_P12ihipStream_tbEUlT_E0_NS1_11comp_targetILNS1_3genE3ELNS1_11target_archE908ELNS1_3gpuE7ELNS1_3repE0EEENS1_30default_config_static_selectorELNS0_4arch9wavefront6targetE1EEEvSK_
	.p2align	8
	.type	_ZN7rocprim17ROCPRIM_400000_NS6detail17trampoline_kernelINS0_14default_configENS1_22reduce_config_selectorIsEEZNS1_11reduce_implILb1ES3_N6thrust23THRUST_200600_302600_NS17counting_iteratorIsNS8_11hip_rocprim3tagENS8_11use_defaultESC_EEPssNS8_4plusIsEEEE10hipError_tPvRmT1_T2_T3_mT4_P12ihipStream_tbEUlT_E0_NS1_11comp_targetILNS1_3genE3ELNS1_11target_archE908ELNS1_3gpuE7ELNS1_3repE0EEENS1_30default_config_static_selectorELNS0_4arch9wavefront6targetE1EEEvSK_,@function
_ZN7rocprim17ROCPRIM_400000_NS6detail17trampoline_kernelINS0_14default_configENS1_22reduce_config_selectorIsEEZNS1_11reduce_implILb1ES3_N6thrust23THRUST_200600_302600_NS17counting_iteratorIsNS8_11hip_rocprim3tagENS8_11use_defaultESC_EEPssNS8_4plusIsEEEE10hipError_tPvRmT1_T2_T3_mT4_P12ihipStream_tbEUlT_E0_NS1_11comp_targetILNS1_3genE3ELNS1_11target_archE908ELNS1_3gpuE7ELNS1_3repE0EEENS1_30default_config_static_selectorELNS0_4arch9wavefront6targetE1EEEvSK_: ; @_ZN7rocprim17ROCPRIM_400000_NS6detail17trampoline_kernelINS0_14default_configENS1_22reduce_config_selectorIsEEZNS1_11reduce_implILb1ES3_N6thrust23THRUST_200600_302600_NS17counting_iteratorIsNS8_11hip_rocprim3tagENS8_11use_defaultESC_EEPssNS8_4plusIsEEEE10hipError_tPvRmT1_T2_T3_mT4_P12ihipStream_tbEUlT_E0_NS1_11comp_targetILNS1_3genE3ELNS1_11target_archE908ELNS1_3gpuE7ELNS1_3repE0EEENS1_30default_config_static_selectorELNS0_4arch9wavefront6targetE1EEEvSK_
; %bb.0:
	.section	.rodata,"a",@progbits
	.p2align	6, 0x0
	.amdhsa_kernel _ZN7rocprim17ROCPRIM_400000_NS6detail17trampoline_kernelINS0_14default_configENS1_22reduce_config_selectorIsEEZNS1_11reduce_implILb1ES3_N6thrust23THRUST_200600_302600_NS17counting_iteratorIsNS8_11hip_rocprim3tagENS8_11use_defaultESC_EEPssNS8_4plusIsEEEE10hipError_tPvRmT1_T2_T3_mT4_P12ihipStream_tbEUlT_E0_NS1_11comp_targetILNS1_3genE3ELNS1_11target_archE908ELNS1_3gpuE7ELNS1_3repE0EEENS1_30default_config_static_selectorELNS0_4arch9wavefront6targetE1EEEvSK_
		.amdhsa_group_segment_fixed_size 0
		.amdhsa_private_segment_fixed_size 0
		.amdhsa_kernarg_size 56
		.amdhsa_user_sgpr_count 2
		.amdhsa_user_sgpr_dispatch_ptr 0
		.amdhsa_user_sgpr_queue_ptr 0
		.amdhsa_user_sgpr_kernarg_segment_ptr 1
		.amdhsa_user_sgpr_dispatch_id 0
		.amdhsa_user_sgpr_kernarg_preload_length 0
		.amdhsa_user_sgpr_kernarg_preload_offset 0
		.amdhsa_user_sgpr_private_segment_size 0
		.amdhsa_uses_dynamic_stack 0
		.amdhsa_enable_private_segment 0
		.amdhsa_system_sgpr_workgroup_id_x 1
		.amdhsa_system_sgpr_workgroup_id_y 0
		.amdhsa_system_sgpr_workgroup_id_z 0
		.amdhsa_system_sgpr_workgroup_info 0
		.amdhsa_system_vgpr_workitem_id 0
		.amdhsa_next_free_vgpr 1
		.amdhsa_next_free_sgpr 0
		.amdhsa_accum_offset 4
		.amdhsa_reserve_vcc 0
		.amdhsa_float_round_mode_32 0
		.amdhsa_float_round_mode_16_64 0
		.amdhsa_float_denorm_mode_32 3
		.amdhsa_float_denorm_mode_16_64 3
		.amdhsa_dx10_clamp 1
		.amdhsa_ieee_mode 1
		.amdhsa_fp16_overflow 0
		.amdhsa_tg_split 0
		.amdhsa_exception_fp_ieee_invalid_op 0
		.amdhsa_exception_fp_denorm_src 0
		.amdhsa_exception_fp_ieee_div_zero 0
		.amdhsa_exception_fp_ieee_overflow 0
		.amdhsa_exception_fp_ieee_underflow 0
		.amdhsa_exception_fp_ieee_inexact 0
		.amdhsa_exception_int_div_zero 0
	.end_amdhsa_kernel
	.section	.text._ZN7rocprim17ROCPRIM_400000_NS6detail17trampoline_kernelINS0_14default_configENS1_22reduce_config_selectorIsEEZNS1_11reduce_implILb1ES3_N6thrust23THRUST_200600_302600_NS17counting_iteratorIsNS8_11hip_rocprim3tagENS8_11use_defaultESC_EEPssNS8_4plusIsEEEE10hipError_tPvRmT1_T2_T3_mT4_P12ihipStream_tbEUlT_E0_NS1_11comp_targetILNS1_3genE3ELNS1_11target_archE908ELNS1_3gpuE7ELNS1_3repE0EEENS1_30default_config_static_selectorELNS0_4arch9wavefront6targetE1EEEvSK_,"axG",@progbits,_ZN7rocprim17ROCPRIM_400000_NS6detail17trampoline_kernelINS0_14default_configENS1_22reduce_config_selectorIsEEZNS1_11reduce_implILb1ES3_N6thrust23THRUST_200600_302600_NS17counting_iteratorIsNS8_11hip_rocprim3tagENS8_11use_defaultESC_EEPssNS8_4plusIsEEEE10hipError_tPvRmT1_T2_T3_mT4_P12ihipStream_tbEUlT_E0_NS1_11comp_targetILNS1_3genE3ELNS1_11target_archE908ELNS1_3gpuE7ELNS1_3repE0EEENS1_30default_config_static_selectorELNS0_4arch9wavefront6targetE1EEEvSK_,comdat
.Lfunc_end1112:
	.size	_ZN7rocprim17ROCPRIM_400000_NS6detail17trampoline_kernelINS0_14default_configENS1_22reduce_config_selectorIsEEZNS1_11reduce_implILb1ES3_N6thrust23THRUST_200600_302600_NS17counting_iteratorIsNS8_11hip_rocprim3tagENS8_11use_defaultESC_EEPssNS8_4plusIsEEEE10hipError_tPvRmT1_T2_T3_mT4_P12ihipStream_tbEUlT_E0_NS1_11comp_targetILNS1_3genE3ELNS1_11target_archE908ELNS1_3gpuE7ELNS1_3repE0EEENS1_30default_config_static_selectorELNS0_4arch9wavefront6targetE1EEEvSK_, .Lfunc_end1112-_ZN7rocprim17ROCPRIM_400000_NS6detail17trampoline_kernelINS0_14default_configENS1_22reduce_config_selectorIsEEZNS1_11reduce_implILb1ES3_N6thrust23THRUST_200600_302600_NS17counting_iteratorIsNS8_11hip_rocprim3tagENS8_11use_defaultESC_EEPssNS8_4plusIsEEEE10hipError_tPvRmT1_T2_T3_mT4_P12ihipStream_tbEUlT_E0_NS1_11comp_targetILNS1_3genE3ELNS1_11target_archE908ELNS1_3gpuE7ELNS1_3repE0EEENS1_30default_config_static_selectorELNS0_4arch9wavefront6targetE1EEEvSK_
                                        ; -- End function
	.set _ZN7rocprim17ROCPRIM_400000_NS6detail17trampoline_kernelINS0_14default_configENS1_22reduce_config_selectorIsEEZNS1_11reduce_implILb1ES3_N6thrust23THRUST_200600_302600_NS17counting_iteratorIsNS8_11hip_rocprim3tagENS8_11use_defaultESC_EEPssNS8_4plusIsEEEE10hipError_tPvRmT1_T2_T3_mT4_P12ihipStream_tbEUlT_E0_NS1_11comp_targetILNS1_3genE3ELNS1_11target_archE908ELNS1_3gpuE7ELNS1_3repE0EEENS1_30default_config_static_selectorELNS0_4arch9wavefront6targetE1EEEvSK_.num_vgpr, 0
	.set _ZN7rocprim17ROCPRIM_400000_NS6detail17trampoline_kernelINS0_14default_configENS1_22reduce_config_selectorIsEEZNS1_11reduce_implILb1ES3_N6thrust23THRUST_200600_302600_NS17counting_iteratorIsNS8_11hip_rocprim3tagENS8_11use_defaultESC_EEPssNS8_4plusIsEEEE10hipError_tPvRmT1_T2_T3_mT4_P12ihipStream_tbEUlT_E0_NS1_11comp_targetILNS1_3genE3ELNS1_11target_archE908ELNS1_3gpuE7ELNS1_3repE0EEENS1_30default_config_static_selectorELNS0_4arch9wavefront6targetE1EEEvSK_.num_agpr, 0
	.set _ZN7rocprim17ROCPRIM_400000_NS6detail17trampoline_kernelINS0_14default_configENS1_22reduce_config_selectorIsEEZNS1_11reduce_implILb1ES3_N6thrust23THRUST_200600_302600_NS17counting_iteratorIsNS8_11hip_rocprim3tagENS8_11use_defaultESC_EEPssNS8_4plusIsEEEE10hipError_tPvRmT1_T2_T3_mT4_P12ihipStream_tbEUlT_E0_NS1_11comp_targetILNS1_3genE3ELNS1_11target_archE908ELNS1_3gpuE7ELNS1_3repE0EEENS1_30default_config_static_selectorELNS0_4arch9wavefront6targetE1EEEvSK_.numbered_sgpr, 0
	.set _ZN7rocprim17ROCPRIM_400000_NS6detail17trampoline_kernelINS0_14default_configENS1_22reduce_config_selectorIsEEZNS1_11reduce_implILb1ES3_N6thrust23THRUST_200600_302600_NS17counting_iteratorIsNS8_11hip_rocprim3tagENS8_11use_defaultESC_EEPssNS8_4plusIsEEEE10hipError_tPvRmT1_T2_T3_mT4_P12ihipStream_tbEUlT_E0_NS1_11comp_targetILNS1_3genE3ELNS1_11target_archE908ELNS1_3gpuE7ELNS1_3repE0EEENS1_30default_config_static_selectorELNS0_4arch9wavefront6targetE1EEEvSK_.num_named_barrier, 0
	.set _ZN7rocprim17ROCPRIM_400000_NS6detail17trampoline_kernelINS0_14default_configENS1_22reduce_config_selectorIsEEZNS1_11reduce_implILb1ES3_N6thrust23THRUST_200600_302600_NS17counting_iteratorIsNS8_11hip_rocprim3tagENS8_11use_defaultESC_EEPssNS8_4plusIsEEEE10hipError_tPvRmT1_T2_T3_mT4_P12ihipStream_tbEUlT_E0_NS1_11comp_targetILNS1_3genE3ELNS1_11target_archE908ELNS1_3gpuE7ELNS1_3repE0EEENS1_30default_config_static_selectorELNS0_4arch9wavefront6targetE1EEEvSK_.private_seg_size, 0
	.set _ZN7rocprim17ROCPRIM_400000_NS6detail17trampoline_kernelINS0_14default_configENS1_22reduce_config_selectorIsEEZNS1_11reduce_implILb1ES3_N6thrust23THRUST_200600_302600_NS17counting_iteratorIsNS8_11hip_rocprim3tagENS8_11use_defaultESC_EEPssNS8_4plusIsEEEE10hipError_tPvRmT1_T2_T3_mT4_P12ihipStream_tbEUlT_E0_NS1_11comp_targetILNS1_3genE3ELNS1_11target_archE908ELNS1_3gpuE7ELNS1_3repE0EEENS1_30default_config_static_selectorELNS0_4arch9wavefront6targetE1EEEvSK_.uses_vcc, 0
	.set _ZN7rocprim17ROCPRIM_400000_NS6detail17trampoline_kernelINS0_14default_configENS1_22reduce_config_selectorIsEEZNS1_11reduce_implILb1ES3_N6thrust23THRUST_200600_302600_NS17counting_iteratorIsNS8_11hip_rocprim3tagENS8_11use_defaultESC_EEPssNS8_4plusIsEEEE10hipError_tPvRmT1_T2_T3_mT4_P12ihipStream_tbEUlT_E0_NS1_11comp_targetILNS1_3genE3ELNS1_11target_archE908ELNS1_3gpuE7ELNS1_3repE0EEENS1_30default_config_static_selectorELNS0_4arch9wavefront6targetE1EEEvSK_.uses_flat_scratch, 0
	.set _ZN7rocprim17ROCPRIM_400000_NS6detail17trampoline_kernelINS0_14default_configENS1_22reduce_config_selectorIsEEZNS1_11reduce_implILb1ES3_N6thrust23THRUST_200600_302600_NS17counting_iteratorIsNS8_11hip_rocprim3tagENS8_11use_defaultESC_EEPssNS8_4plusIsEEEE10hipError_tPvRmT1_T2_T3_mT4_P12ihipStream_tbEUlT_E0_NS1_11comp_targetILNS1_3genE3ELNS1_11target_archE908ELNS1_3gpuE7ELNS1_3repE0EEENS1_30default_config_static_selectorELNS0_4arch9wavefront6targetE1EEEvSK_.has_dyn_sized_stack, 0
	.set _ZN7rocprim17ROCPRIM_400000_NS6detail17trampoline_kernelINS0_14default_configENS1_22reduce_config_selectorIsEEZNS1_11reduce_implILb1ES3_N6thrust23THRUST_200600_302600_NS17counting_iteratorIsNS8_11hip_rocprim3tagENS8_11use_defaultESC_EEPssNS8_4plusIsEEEE10hipError_tPvRmT1_T2_T3_mT4_P12ihipStream_tbEUlT_E0_NS1_11comp_targetILNS1_3genE3ELNS1_11target_archE908ELNS1_3gpuE7ELNS1_3repE0EEENS1_30default_config_static_selectorELNS0_4arch9wavefront6targetE1EEEvSK_.has_recursion, 0
	.set _ZN7rocprim17ROCPRIM_400000_NS6detail17trampoline_kernelINS0_14default_configENS1_22reduce_config_selectorIsEEZNS1_11reduce_implILb1ES3_N6thrust23THRUST_200600_302600_NS17counting_iteratorIsNS8_11hip_rocprim3tagENS8_11use_defaultESC_EEPssNS8_4plusIsEEEE10hipError_tPvRmT1_T2_T3_mT4_P12ihipStream_tbEUlT_E0_NS1_11comp_targetILNS1_3genE3ELNS1_11target_archE908ELNS1_3gpuE7ELNS1_3repE0EEENS1_30default_config_static_selectorELNS0_4arch9wavefront6targetE1EEEvSK_.has_indirect_call, 0
	.section	.AMDGPU.csdata,"",@progbits
; Kernel info:
; codeLenInByte = 0
; TotalNumSgprs: 6
; NumVgprs: 0
; NumAgprs: 0
; TotalNumVgprs: 0
; ScratchSize: 0
; MemoryBound: 0
; FloatMode: 240
; IeeeMode: 1
; LDSByteSize: 0 bytes/workgroup (compile time only)
; SGPRBlocks: 0
; VGPRBlocks: 0
; NumSGPRsForWavesPerEU: 6
; NumVGPRsForWavesPerEU: 1
; AccumOffset: 4
; Occupancy: 8
; WaveLimiterHint : 0
; COMPUTE_PGM_RSRC2:SCRATCH_EN: 0
; COMPUTE_PGM_RSRC2:USER_SGPR: 2
; COMPUTE_PGM_RSRC2:TRAP_HANDLER: 0
; COMPUTE_PGM_RSRC2:TGID_X_EN: 1
; COMPUTE_PGM_RSRC2:TGID_Y_EN: 0
; COMPUTE_PGM_RSRC2:TGID_Z_EN: 0
; COMPUTE_PGM_RSRC2:TIDIG_COMP_CNT: 0
; COMPUTE_PGM_RSRC3_GFX90A:ACCUM_OFFSET: 0
; COMPUTE_PGM_RSRC3_GFX90A:TG_SPLIT: 0
	.section	.text._ZN7rocprim17ROCPRIM_400000_NS6detail17trampoline_kernelINS0_14default_configENS1_22reduce_config_selectorIsEEZNS1_11reduce_implILb1ES3_N6thrust23THRUST_200600_302600_NS17counting_iteratorIsNS8_11hip_rocprim3tagENS8_11use_defaultESC_EEPssNS8_4plusIsEEEE10hipError_tPvRmT1_T2_T3_mT4_P12ihipStream_tbEUlT_E0_NS1_11comp_targetILNS1_3genE2ELNS1_11target_archE906ELNS1_3gpuE6ELNS1_3repE0EEENS1_30default_config_static_selectorELNS0_4arch9wavefront6targetE1EEEvSK_,"axG",@progbits,_ZN7rocprim17ROCPRIM_400000_NS6detail17trampoline_kernelINS0_14default_configENS1_22reduce_config_selectorIsEEZNS1_11reduce_implILb1ES3_N6thrust23THRUST_200600_302600_NS17counting_iteratorIsNS8_11hip_rocprim3tagENS8_11use_defaultESC_EEPssNS8_4plusIsEEEE10hipError_tPvRmT1_T2_T3_mT4_P12ihipStream_tbEUlT_E0_NS1_11comp_targetILNS1_3genE2ELNS1_11target_archE906ELNS1_3gpuE6ELNS1_3repE0EEENS1_30default_config_static_selectorELNS0_4arch9wavefront6targetE1EEEvSK_,comdat
	.protected	_ZN7rocprim17ROCPRIM_400000_NS6detail17trampoline_kernelINS0_14default_configENS1_22reduce_config_selectorIsEEZNS1_11reduce_implILb1ES3_N6thrust23THRUST_200600_302600_NS17counting_iteratorIsNS8_11hip_rocprim3tagENS8_11use_defaultESC_EEPssNS8_4plusIsEEEE10hipError_tPvRmT1_T2_T3_mT4_P12ihipStream_tbEUlT_E0_NS1_11comp_targetILNS1_3genE2ELNS1_11target_archE906ELNS1_3gpuE6ELNS1_3repE0EEENS1_30default_config_static_selectorELNS0_4arch9wavefront6targetE1EEEvSK_ ; -- Begin function _ZN7rocprim17ROCPRIM_400000_NS6detail17trampoline_kernelINS0_14default_configENS1_22reduce_config_selectorIsEEZNS1_11reduce_implILb1ES3_N6thrust23THRUST_200600_302600_NS17counting_iteratorIsNS8_11hip_rocprim3tagENS8_11use_defaultESC_EEPssNS8_4plusIsEEEE10hipError_tPvRmT1_T2_T3_mT4_P12ihipStream_tbEUlT_E0_NS1_11comp_targetILNS1_3genE2ELNS1_11target_archE906ELNS1_3gpuE6ELNS1_3repE0EEENS1_30default_config_static_selectorELNS0_4arch9wavefront6targetE1EEEvSK_
	.globl	_ZN7rocprim17ROCPRIM_400000_NS6detail17trampoline_kernelINS0_14default_configENS1_22reduce_config_selectorIsEEZNS1_11reduce_implILb1ES3_N6thrust23THRUST_200600_302600_NS17counting_iteratorIsNS8_11hip_rocprim3tagENS8_11use_defaultESC_EEPssNS8_4plusIsEEEE10hipError_tPvRmT1_T2_T3_mT4_P12ihipStream_tbEUlT_E0_NS1_11comp_targetILNS1_3genE2ELNS1_11target_archE906ELNS1_3gpuE6ELNS1_3repE0EEENS1_30default_config_static_selectorELNS0_4arch9wavefront6targetE1EEEvSK_
	.p2align	8
	.type	_ZN7rocprim17ROCPRIM_400000_NS6detail17trampoline_kernelINS0_14default_configENS1_22reduce_config_selectorIsEEZNS1_11reduce_implILb1ES3_N6thrust23THRUST_200600_302600_NS17counting_iteratorIsNS8_11hip_rocprim3tagENS8_11use_defaultESC_EEPssNS8_4plusIsEEEE10hipError_tPvRmT1_T2_T3_mT4_P12ihipStream_tbEUlT_E0_NS1_11comp_targetILNS1_3genE2ELNS1_11target_archE906ELNS1_3gpuE6ELNS1_3repE0EEENS1_30default_config_static_selectorELNS0_4arch9wavefront6targetE1EEEvSK_,@function
_ZN7rocprim17ROCPRIM_400000_NS6detail17trampoline_kernelINS0_14default_configENS1_22reduce_config_selectorIsEEZNS1_11reduce_implILb1ES3_N6thrust23THRUST_200600_302600_NS17counting_iteratorIsNS8_11hip_rocprim3tagENS8_11use_defaultESC_EEPssNS8_4plusIsEEEE10hipError_tPvRmT1_T2_T3_mT4_P12ihipStream_tbEUlT_E0_NS1_11comp_targetILNS1_3genE2ELNS1_11target_archE906ELNS1_3gpuE6ELNS1_3repE0EEENS1_30default_config_static_selectorELNS0_4arch9wavefront6targetE1EEEvSK_: ; @_ZN7rocprim17ROCPRIM_400000_NS6detail17trampoline_kernelINS0_14default_configENS1_22reduce_config_selectorIsEEZNS1_11reduce_implILb1ES3_N6thrust23THRUST_200600_302600_NS17counting_iteratorIsNS8_11hip_rocprim3tagENS8_11use_defaultESC_EEPssNS8_4plusIsEEEE10hipError_tPvRmT1_T2_T3_mT4_P12ihipStream_tbEUlT_E0_NS1_11comp_targetILNS1_3genE2ELNS1_11target_archE906ELNS1_3gpuE6ELNS1_3repE0EEENS1_30default_config_static_selectorELNS0_4arch9wavefront6targetE1EEEvSK_
; %bb.0:
	.section	.rodata,"a",@progbits
	.p2align	6, 0x0
	.amdhsa_kernel _ZN7rocprim17ROCPRIM_400000_NS6detail17trampoline_kernelINS0_14default_configENS1_22reduce_config_selectorIsEEZNS1_11reduce_implILb1ES3_N6thrust23THRUST_200600_302600_NS17counting_iteratorIsNS8_11hip_rocprim3tagENS8_11use_defaultESC_EEPssNS8_4plusIsEEEE10hipError_tPvRmT1_T2_T3_mT4_P12ihipStream_tbEUlT_E0_NS1_11comp_targetILNS1_3genE2ELNS1_11target_archE906ELNS1_3gpuE6ELNS1_3repE0EEENS1_30default_config_static_selectorELNS0_4arch9wavefront6targetE1EEEvSK_
		.amdhsa_group_segment_fixed_size 0
		.amdhsa_private_segment_fixed_size 0
		.amdhsa_kernarg_size 56
		.amdhsa_user_sgpr_count 2
		.amdhsa_user_sgpr_dispatch_ptr 0
		.amdhsa_user_sgpr_queue_ptr 0
		.amdhsa_user_sgpr_kernarg_segment_ptr 1
		.amdhsa_user_sgpr_dispatch_id 0
		.amdhsa_user_sgpr_kernarg_preload_length 0
		.amdhsa_user_sgpr_kernarg_preload_offset 0
		.amdhsa_user_sgpr_private_segment_size 0
		.amdhsa_uses_dynamic_stack 0
		.amdhsa_enable_private_segment 0
		.amdhsa_system_sgpr_workgroup_id_x 1
		.amdhsa_system_sgpr_workgroup_id_y 0
		.amdhsa_system_sgpr_workgroup_id_z 0
		.amdhsa_system_sgpr_workgroup_info 0
		.amdhsa_system_vgpr_workitem_id 0
		.amdhsa_next_free_vgpr 1
		.amdhsa_next_free_sgpr 0
		.amdhsa_accum_offset 4
		.amdhsa_reserve_vcc 0
		.amdhsa_float_round_mode_32 0
		.amdhsa_float_round_mode_16_64 0
		.amdhsa_float_denorm_mode_32 3
		.amdhsa_float_denorm_mode_16_64 3
		.amdhsa_dx10_clamp 1
		.amdhsa_ieee_mode 1
		.amdhsa_fp16_overflow 0
		.amdhsa_tg_split 0
		.amdhsa_exception_fp_ieee_invalid_op 0
		.amdhsa_exception_fp_denorm_src 0
		.amdhsa_exception_fp_ieee_div_zero 0
		.amdhsa_exception_fp_ieee_overflow 0
		.amdhsa_exception_fp_ieee_underflow 0
		.amdhsa_exception_fp_ieee_inexact 0
		.amdhsa_exception_int_div_zero 0
	.end_amdhsa_kernel
	.section	.text._ZN7rocprim17ROCPRIM_400000_NS6detail17trampoline_kernelINS0_14default_configENS1_22reduce_config_selectorIsEEZNS1_11reduce_implILb1ES3_N6thrust23THRUST_200600_302600_NS17counting_iteratorIsNS8_11hip_rocprim3tagENS8_11use_defaultESC_EEPssNS8_4plusIsEEEE10hipError_tPvRmT1_T2_T3_mT4_P12ihipStream_tbEUlT_E0_NS1_11comp_targetILNS1_3genE2ELNS1_11target_archE906ELNS1_3gpuE6ELNS1_3repE0EEENS1_30default_config_static_selectorELNS0_4arch9wavefront6targetE1EEEvSK_,"axG",@progbits,_ZN7rocprim17ROCPRIM_400000_NS6detail17trampoline_kernelINS0_14default_configENS1_22reduce_config_selectorIsEEZNS1_11reduce_implILb1ES3_N6thrust23THRUST_200600_302600_NS17counting_iteratorIsNS8_11hip_rocprim3tagENS8_11use_defaultESC_EEPssNS8_4plusIsEEEE10hipError_tPvRmT1_T2_T3_mT4_P12ihipStream_tbEUlT_E0_NS1_11comp_targetILNS1_3genE2ELNS1_11target_archE906ELNS1_3gpuE6ELNS1_3repE0EEENS1_30default_config_static_selectorELNS0_4arch9wavefront6targetE1EEEvSK_,comdat
.Lfunc_end1113:
	.size	_ZN7rocprim17ROCPRIM_400000_NS6detail17trampoline_kernelINS0_14default_configENS1_22reduce_config_selectorIsEEZNS1_11reduce_implILb1ES3_N6thrust23THRUST_200600_302600_NS17counting_iteratorIsNS8_11hip_rocprim3tagENS8_11use_defaultESC_EEPssNS8_4plusIsEEEE10hipError_tPvRmT1_T2_T3_mT4_P12ihipStream_tbEUlT_E0_NS1_11comp_targetILNS1_3genE2ELNS1_11target_archE906ELNS1_3gpuE6ELNS1_3repE0EEENS1_30default_config_static_selectorELNS0_4arch9wavefront6targetE1EEEvSK_, .Lfunc_end1113-_ZN7rocprim17ROCPRIM_400000_NS6detail17trampoline_kernelINS0_14default_configENS1_22reduce_config_selectorIsEEZNS1_11reduce_implILb1ES3_N6thrust23THRUST_200600_302600_NS17counting_iteratorIsNS8_11hip_rocprim3tagENS8_11use_defaultESC_EEPssNS8_4plusIsEEEE10hipError_tPvRmT1_T2_T3_mT4_P12ihipStream_tbEUlT_E0_NS1_11comp_targetILNS1_3genE2ELNS1_11target_archE906ELNS1_3gpuE6ELNS1_3repE0EEENS1_30default_config_static_selectorELNS0_4arch9wavefront6targetE1EEEvSK_
                                        ; -- End function
	.set _ZN7rocprim17ROCPRIM_400000_NS6detail17trampoline_kernelINS0_14default_configENS1_22reduce_config_selectorIsEEZNS1_11reduce_implILb1ES3_N6thrust23THRUST_200600_302600_NS17counting_iteratorIsNS8_11hip_rocprim3tagENS8_11use_defaultESC_EEPssNS8_4plusIsEEEE10hipError_tPvRmT1_T2_T3_mT4_P12ihipStream_tbEUlT_E0_NS1_11comp_targetILNS1_3genE2ELNS1_11target_archE906ELNS1_3gpuE6ELNS1_3repE0EEENS1_30default_config_static_selectorELNS0_4arch9wavefront6targetE1EEEvSK_.num_vgpr, 0
	.set _ZN7rocprim17ROCPRIM_400000_NS6detail17trampoline_kernelINS0_14default_configENS1_22reduce_config_selectorIsEEZNS1_11reduce_implILb1ES3_N6thrust23THRUST_200600_302600_NS17counting_iteratorIsNS8_11hip_rocprim3tagENS8_11use_defaultESC_EEPssNS8_4plusIsEEEE10hipError_tPvRmT1_T2_T3_mT4_P12ihipStream_tbEUlT_E0_NS1_11comp_targetILNS1_3genE2ELNS1_11target_archE906ELNS1_3gpuE6ELNS1_3repE0EEENS1_30default_config_static_selectorELNS0_4arch9wavefront6targetE1EEEvSK_.num_agpr, 0
	.set _ZN7rocprim17ROCPRIM_400000_NS6detail17trampoline_kernelINS0_14default_configENS1_22reduce_config_selectorIsEEZNS1_11reduce_implILb1ES3_N6thrust23THRUST_200600_302600_NS17counting_iteratorIsNS8_11hip_rocprim3tagENS8_11use_defaultESC_EEPssNS8_4plusIsEEEE10hipError_tPvRmT1_T2_T3_mT4_P12ihipStream_tbEUlT_E0_NS1_11comp_targetILNS1_3genE2ELNS1_11target_archE906ELNS1_3gpuE6ELNS1_3repE0EEENS1_30default_config_static_selectorELNS0_4arch9wavefront6targetE1EEEvSK_.numbered_sgpr, 0
	.set _ZN7rocprim17ROCPRIM_400000_NS6detail17trampoline_kernelINS0_14default_configENS1_22reduce_config_selectorIsEEZNS1_11reduce_implILb1ES3_N6thrust23THRUST_200600_302600_NS17counting_iteratorIsNS8_11hip_rocprim3tagENS8_11use_defaultESC_EEPssNS8_4plusIsEEEE10hipError_tPvRmT1_T2_T3_mT4_P12ihipStream_tbEUlT_E0_NS1_11comp_targetILNS1_3genE2ELNS1_11target_archE906ELNS1_3gpuE6ELNS1_3repE0EEENS1_30default_config_static_selectorELNS0_4arch9wavefront6targetE1EEEvSK_.num_named_barrier, 0
	.set _ZN7rocprim17ROCPRIM_400000_NS6detail17trampoline_kernelINS0_14default_configENS1_22reduce_config_selectorIsEEZNS1_11reduce_implILb1ES3_N6thrust23THRUST_200600_302600_NS17counting_iteratorIsNS8_11hip_rocprim3tagENS8_11use_defaultESC_EEPssNS8_4plusIsEEEE10hipError_tPvRmT1_T2_T3_mT4_P12ihipStream_tbEUlT_E0_NS1_11comp_targetILNS1_3genE2ELNS1_11target_archE906ELNS1_3gpuE6ELNS1_3repE0EEENS1_30default_config_static_selectorELNS0_4arch9wavefront6targetE1EEEvSK_.private_seg_size, 0
	.set _ZN7rocprim17ROCPRIM_400000_NS6detail17trampoline_kernelINS0_14default_configENS1_22reduce_config_selectorIsEEZNS1_11reduce_implILb1ES3_N6thrust23THRUST_200600_302600_NS17counting_iteratorIsNS8_11hip_rocprim3tagENS8_11use_defaultESC_EEPssNS8_4plusIsEEEE10hipError_tPvRmT1_T2_T3_mT4_P12ihipStream_tbEUlT_E0_NS1_11comp_targetILNS1_3genE2ELNS1_11target_archE906ELNS1_3gpuE6ELNS1_3repE0EEENS1_30default_config_static_selectorELNS0_4arch9wavefront6targetE1EEEvSK_.uses_vcc, 0
	.set _ZN7rocprim17ROCPRIM_400000_NS6detail17trampoline_kernelINS0_14default_configENS1_22reduce_config_selectorIsEEZNS1_11reduce_implILb1ES3_N6thrust23THRUST_200600_302600_NS17counting_iteratorIsNS8_11hip_rocprim3tagENS8_11use_defaultESC_EEPssNS8_4plusIsEEEE10hipError_tPvRmT1_T2_T3_mT4_P12ihipStream_tbEUlT_E0_NS1_11comp_targetILNS1_3genE2ELNS1_11target_archE906ELNS1_3gpuE6ELNS1_3repE0EEENS1_30default_config_static_selectorELNS0_4arch9wavefront6targetE1EEEvSK_.uses_flat_scratch, 0
	.set _ZN7rocprim17ROCPRIM_400000_NS6detail17trampoline_kernelINS0_14default_configENS1_22reduce_config_selectorIsEEZNS1_11reduce_implILb1ES3_N6thrust23THRUST_200600_302600_NS17counting_iteratorIsNS8_11hip_rocprim3tagENS8_11use_defaultESC_EEPssNS8_4plusIsEEEE10hipError_tPvRmT1_T2_T3_mT4_P12ihipStream_tbEUlT_E0_NS1_11comp_targetILNS1_3genE2ELNS1_11target_archE906ELNS1_3gpuE6ELNS1_3repE0EEENS1_30default_config_static_selectorELNS0_4arch9wavefront6targetE1EEEvSK_.has_dyn_sized_stack, 0
	.set _ZN7rocprim17ROCPRIM_400000_NS6detail17trampoline_kernelINS0_14default_configENS1_22reduce_config_selectorIsEEZNS1_11reduce_implILb1ES3_N6thrust23THRUST_200600_302600_NS17counting_iteratorIsNS8_11hip_rocprim3tagENS8_11use_defaultESC_EEPssNS8_4plusIsEEEE10hipError_tPvRmT1_T2_T3_mT4_P12ihipStream_tbEUlT_E0_NS1_11comp_targetILNS1_3genE2ELNS1_11target_archE906ELNS1_3gpuE6ELNS1_3repE0EEENS1_30default_config_static_selectorELNS0_4arch9wavefront6targetE1EEEvSK_.has_recursion, 0
	.set _ZN7rocprim17ROCPRIM_400000_NS6detail17trampoline_kernelINS0_14default_configENS1_22reduce_config_selectorIsEEZNS1_11reduce_implILb1ES3_N6thrust23THRUST_200600_302600_NS17counting_iteratorIsNS8_11hip_rocprim3tagENS8_11use_defaultESC_EEPssNS8_4plusIsEEEE10hipError_tPvRmT1_T2_T3_mT4_P12ihipStream_tbEUlT_E0_NS1_11comp_targetILNS1_3genE2ELNS1_11target_archE906ELNS1_3gpuE6ELNS1_3repE0EEENS1_30default_config_static_selectorELNS0_4arch9wavefront6targetE1EEEvSK_.has_indirect_call, 0
	.section	.AMDGPU.csdata,"",@progbits
; Kernel info:
; codeLenInByte = 0
; TotalNumSgprs: 6
; NumVgprs: 0
; NumAgprs: 0
; TotalNumVgprs: 0
; ScratchSize: 0
; MemoryBound: 0
; FloatMode: 240
; IeeeMode: 1
; LDSByteSize: 0 bytes/workgroup (compile time only)
; SGPRBlocks: 0
; VGPRBlocks: 0
; NumSGPRsForWavesPerEU: 6
; NumVGPRsForWavesPerEU: 1
; AccumOffset: 4
; Occupancy: 8
; WaveLimiterHint : 0
; COMPUTE_PGM_RSRC2:SCRATCH_EN: 0
; COMPUTE_PGM_RSRC2:USER_SGPR: 2
; COMPUTE_PGM_RSRC2:TRAP_HANDLER: 0
; COMPUTE_PGM_RSRC2:TGID_X_EN: 1
; COMPUTE_PGM_RSRC2:TGID_Y_EN: 0
; COMPUTE_PGM_RSRC2:TGID_Z_EN: 0
; COMPUTE_PGM_RSRC2:TIDIG_COMP_CNT: 0
; COMPUTE_PGM_RSRC3_GFX90A:ACCUM_OFFSET: 0
; COMPUTE_PGM_RSRC3_GFX90A:TG_SPLIT: 0
	.section	.text._ZN7rocprim17ROCPRIM_400000_NS6detail17trampoline_kernelINS0_14default_configENS1_22reduce_config_selectorIsEEZNS1_11reduce_implILb1ES3_N6thrust23THRUST_200600_302600_NS17counting_iteratorIsNS8_11hip_rocprim3tagENS8_11use_defaultESC_EEPssNS8_4plusIsEEEE10hipError_tPvRmT1_T2_T3_mT4_P12ihipStream_tbEUlT_E0_NS1_11comp_targetILNS1_3genE10ELNS1_11target_archE1201ELNS1_3gpuE5ELNS1_3repE0EEENS1_30default_config_static_selectorELNS0_4arch9wavefront6targetE1EEEvSK_,"axG",@progbits,_ZN7rocprim17ROCPRIM_400000_NS6detail17trampoline_kernelINS0_14default_configENS1_22reduce_config_selectorIsEEZNS1_11reduce_implILb1ES3_N6thrust23THRUST_200600_302600_NS17counting_iteratorIsNS8_11hip_rocprim3tagENS8_11use_defaultESC_EEPssNS8_4plusIsEEEE10hipError_tPvRmT1_T2_T3_mT4_P12ihipStream_tbEUlT_E0_NS1_11comp_targetILNS1_3genE10ELNS1_11target_archE1201ELNS1_3gpuE5ELNS1_3repE0EEENS1_30default_config_static_selectorELNS0_4arch9wavefront6targetE1EEEvSK_,comdat
	.protected	_ZN7rocprim17ROCPRIM_400000_NS6detail17trampoline_kernelINS0_14default_configENS1_22reduce_config_selectorIsEEZNS1_11reduce_implILb1ES3_N6thrust23THRUST_200600_302600_NS17counting_iteratorIsNS8_11hip_rocprim3tagENS8_11use_defaultESC_EEPssNS8_4plusIsEEEE10hipError_tPvRmT1_T2_T3_mT4_P12ihipStream_tbEUlT_E0_NS1_11comp_targetILNS1_3genE10ELNS1_11target_archE1201ELNS1_3gpuE5ELNS1_3repE0EEENS1_30default_config_static_selectorELNS0_4arch9wavefront6targetE1EEEvSK_ ; -- Begin function _ZN7rocprim17ROCPRIM_400000_NS6detail17trampoline_kernelINS0_14default_configENS1_22reduce_config_selectorIsEEZNS1_11reduce_implILb1ES3_N6thrust23THRUST_200600_302600_NS17counting_iteratorIsNS8_11hip_rocprim3tagENS8_11use_defaultESC_EEPssNS8_4plusIsEEEE10hipError_tPvRmT1_T2_T3_mT4_P12ihipStream_tbEUlT_E0_NS1_11comp_targetILNS1_3genE10ELNS1_11target_archE1201ELNS1_3gpuE5ELNS1_3repE0EEENS1_30default_config_static_selectorELNS0_4arch9wavefront6targetE1EEEvSK_
	.globl	_ZN7rocprim17ROCPRIM_400000_NS6detail17trampoline_kernelINS0_14default_configENS1_22reduce_config_selectorIsEEZNS1_11reduce_implILb1ES3_N6thrust23THRUST_200600_302600_NS17counting_iteratorIsNS8_11hip_rocprim3tagENS8_11use_defaultESC_EEPssNS8_4plusIsEEEE10hipError_tPvRmT1_T2_T3_mT4_P12ihipStream_tbEUlT_E0_NS1_11comp_targetILNS1_3genE10ELNS1_11target_archE1201ELNS1_3gpuE5ELNS1_3repE0EEENS1_30default_config_static_selectorELNS0_4arch9wavefront6targetE1EEEvSK_
	.p2align	8
	.type	_ZN7rocprim17ROCPRIM_400000_NS6detail17trampoline_kernelINS0_14default_configENS1_22reduce_config_selectorIsEEZNS1_11reduce_implILb1ES3_N6thrust23THRUST_200600_302600_NS17counting_iteratorIsNS8_11hip_rocprim3tagENS8_11use_defaultESC_EEPssNS8_4plusIsEEEE10hipError_tPvRmT1_T2_T3_mT4_P12ihipStream_tbEUlT_E0_NS1_11comp_targetILNS1_3genE10ELNS1_11target_archE1201ELNS1_3gpuE5ELNS1_3repE0EEENS1_30default_config_static_selectorELNS0_4arch9wavefront6targetE1EEEvSK_,@function
_ZN7rocprim17ROCPRIM_400000_NS6detail17trampoline_kernelINS0_14default_configENS1_22reduce_config_selectorIsEEZNS1_11reduce_implILb1ES3_N6thrust23THRUST_200600_302600_NS17counting_iteratorIsNS8_11hip_rocprim3tagENS8_11use_defaultESC_EEPssNS8_4plusIsEEEE10hipError_tPvRmT1_T2_T3_mT4_P12ihipStream_tbEUlT_E0_NS1_11comp_targetILNS1_3genE10ELNS1_11target_archE1201ELNS1_3gpuE5ELNS1_3repE0EEENS1_30default_config_static_selectorELNS0_4arch9wavefront6targetE1EEEvSK_: ; @_ZN7rocprim17ROCPRIM_400000_NS6detail17trampoline_kernelINS0_14default_configENS1_22reduce_config_selectorIsEEZNS1_11reduce_implILb1ES3_N6thrust23THRUST_200600_302600_NS17counting_iteratorIsNS8_11hip_rocprim3tagENS8_11use_defaultESC_EEPssNS8_4plusIsEEEE10hipError_tPvRmT1_T2_T3_mT4_P12ihipStream_tbEUlT_E0_NS1_11comp_targetILNS1_3genE10ELNS1_11target_archE1201ELNS1_3gpuE5ELNS1_3repE0EEENS1_30default_config_static_selectorELNS0_4arch9wavefront6targetE1EEEvSK_
; %bb.0:
	.section	.rodata,"a",@progbits
	.p2align	6, 0x0
	.amdhsa_kernel _ZN7rocprim17ROCPRIM_400000_NS6detail17trampoline_kernelINS0_14default_configENS1_22reduce_config_selectorIsEEZNS1_11reduce_implILb1ES3_N6thrust23THRUST_200600_302600_NS17counting_iteratorIsNS8_11hip_rocprim3tagENS8_11use_defaultESC_EEPssNS8_4plusIsEEEE10hipError_tPvRmT1_T2_T3_mT4_P12ihipStream_tbEUlT_E0_NS1_11comp_targetILNS1_3genE10ELNS1_11target_archE1201ELNS1_3gpuE5ELNS1_3repE0EEENS1_30default_config_static_selectorELNS0_4arch9wavefront6targetE1EEEvSK_
		.amdhsa_group_segment_fixed_size 0
		.amdhsa_private_segment_fixed_size 0
		.amdhsa_kernarg_size 56
		.amdhsa_user_sgpr_count 2
		.amdhsa_user_sgpr_dispatch_ptr 0
		.amdhsa_user_sgpr_queue_ptr 0
		.amdhsa_user_sgpr_kernarg_segment_ptr 1
		.amdhsa_user_sgpr_dispatch_id 0
		.amdhsa_user_sgpr_kernarg_preload_length 0
		.amdhsa_user_sgpr_kernarg_preload_offset 0
		.amdhsa_user_sgpr_private_segment_size 0
		.amdhsa_uses_dynamic_stack 0
		.amdhsa_enable_private_segment 0
		.amdhsa_system_sgpr_workgroup_id_x 1
		.amdhsa_system_sgpr_workgroup_id_y 0
		.amdhsa_system_sgpr_workgroup_id_z 0
		.amdhsa_system_sgpr_workgroup_info 0
		.amdhsa_system_vgpr_workitem_id 0
		.amdhsa_next_free_vgpr 1
		.amdhsa_next_free_sgpr 0
		.amdhsa_accum_offset 4
		.amdhsa_reserve_vcc 0
		.amdhsa_float_round_mode_32 0
		.amdhsa_float_round_mode_16_64 0
		.amdhsa_float_denorm_mode_32 3
		.amdhsa_float_denorm_mode_16_64 3
		.amdhsa_dx10_clamp 1
		.amdhsa_ieee_mode 1
		.amdhsa_fp16_overflow 0
		.amdhsa_tg_split 0
		.amdhsa_exception_fp_ieee_invalid_op 0
		.amdhsa_exception_fp_denorm_src 0
		.amdhsa_exception_fp_ieee_div_zero 0
		.amdhsa_exception_fp_ieee_overflow 0
		.amdhsa_exception_fp_ieee_underflow 0
		.amdhsa_exception_fp_ieee_inexact 0
		.amdhsa_exception_int_div_zero 0
	.end_amdhsa_kernel
	.section	.text._ZN7rocprim17ROCPRIM_400000_NS6detail17trampoline_kernelINS0_14default_configENS1_22reduce_config_selectorIsEEZNS1_11reduce_implILb1ES3_N6thrust23THRUST_200600_302600_NS17counting_iteratorIsNS8_11hip_rocprim3tagENS8_11use_defaultESC_EEPssNS8_4plusIsEEEE10hipError_tPvRmT1_T2_T3_mT4_P12ihipStream_tbEUlT_E0_NS1_11comp_targetILNS1_3genE10ELNS1_11target_archE1201ELNS1_3gpuE5ELNS1_3repE0EEENS1_30default_config_static_selectorELNS0_4arch9wavefront6targetE1EEEvSK_,"axG",@progbits,_ZN7rocprim17ROCPRIM_400000_NS6detail17trampoline_kernelINS0_14default_configENS1_22reduce_config_selectorIsEEZNS1_11reduce_implILb1ES3_N6thrust23THRUST_200600_302600_NS17counting_iteratorIsNS8_11hip_rocprim3tagENS8_11use_defaultESC_EEPssNS8_4plusIsEEEE10hipError_tPvRmT1_T2_T3_mT4_P12ihipStream_tbEUlT_E0_NS1_11comp_targetILNS1_3genE10ELNS1_11target_archE1201ELNS1_3gpuE5ELNS1_3repE0EEENS1_30default_config_static_selectorELNS0_4arch9wavefront6targetE1EEEvSK_,comdat
.Lfunc_end1114:
	.size	_ZN7rocprim17ROCPRIM_400000_NS6detail17trampoline_kernelINS0_14default_configENS1_22reduce_config_selectorIsEEZNS1_11reduce_implILb1ES3_N6thrust23THRUST_200600_302600_NS17counting_iteratorIsNS8_11hip_rocprim3tagENS8_11use_defaultESC_EEPssNS8_4plusIsEEEE10hipError_tPvRmT1_T2_T3_mT4_P12ihipStream_tbEUlT_E0_NS1_11comp_targetILNS1_3genE10ELNS1_11target_archE1201ELNS1_3gpuE5ELNS1_3repE0EEENS1_30default_config_static_selectorELNS0_4arch9wavefront6targetE1EEEvSK_, .Lfunc_end1114-_ZN7rocprim17ROCPRIM_400000_NS6detail17trampoline_kernelINS0_14default_configENS1_22reduce_config_selectorIsEEZNS1_11reduce_implILb1ES3_N6thrust23THRUST_200600_302600_NS17counting_iteratorIsNS8_11hip_rocprim3tagENS8_11use_defaultESC_EEPssNS8_4plusIsEEEE10hipError_tPvRmT1_T2_T3_mT4_P12ihipStream_tbEUlT_E0_NS1_11comp_targetILNS1_3genE10ELNS1_11target_archE1201ELNS1_3gpuE5ELNS1_3repE0EEENS1_30default_config_static_selectorELNS0_4arch9wavefront6targetE1EEEvSK_
                                        ; -- End function
	.set _ZN7rocprim17ROCPRIM_400000_NS6detail17trampoline_kernelINS0_14default_configENS1_22reduce_config_selectorIsEEZNS1_11reduce_implILb1ES3_N6thrust23THRUST_200600_302600_NS17counting_iteratorIsNS8_11hip_rocprim3tagENS8_11use_defaultESC_EEPssNS8_4plusIsEEEE10hipError_tPvRmT1_T2_T3_mT4_P12ihipStream_tbEUlT_E0_NS1_11comp_targetILNS1_3genE10ELNS1_11target_archE1201ELNS1_3gpuE5ELNS1_3repE0EEENS1_30default_config_static_selectorELNS0_4arch9wavefront6targetE1EEEvSK_.num_vgpr, 0
	.set _ZN7rocprim17ROCPRIM_400000_NS6detail17trampoline_kernelINS0_14default_configENS1_22reduce_config_selectorIsEEZNS1_11reduce_implILb1ES3_N6thrust23THRUST_200600_302600_NS17counting_iteratorIsNS8_11hip_rocprim3tagENS8_11use_defaultESC_EEPssNS8_4plusIsEEEE10hipError_tPvRmT1_T2_T3_mT4_P12ihipStream_tbEUlT_E0_NS1_11comp_targetILNS1_3genE10ELNS1_11target_archE1201ELNS1_3gpuE5ELNS1_3repE0EEENS1_30default_config_static_selectorELNS0_4arch9wavefront6targetE1EEEvSK_.num_agpr, 0
	.set _ZN7rocprim17ROCPRIM_400000_NS6detail17trampoline_kernelINS0_14default_configENS1_22reduce_config_selectorIsEEZNS1_11reduce_implILb1ES3_N6thrust23THRUST_200600_302600_NS17counting_iteratorIsNS8_11hip_rocprim3tagENS8_11use_defaultESC_EEPssNS8_4plusIsEEEE10hipError_tPvRmT1_T2_T3_mT4_P12ihipStream_tbEUlT_E0_NS1_11comp_targetILNS1_3genE10ELNS1_11target_archE1201ELNS1_3gpuE5ELNS1_3repE0EEENS1_30default_config_static_selectorELNS0_4arch9wavefront6targetE1EEEvSK_.numbered_sgpr, 0
	.set _ZN7rocprim17ROCPRIM_400000_NS6detail17trampoline_kernelINS0_14default_configENS1_22reduce_config_selectorIsEEZNS1_11reduce_implILb1ES3_N6thrust23THRUST_200600_302600_NS17counting_iteratorIsNS8_11hip_rocprim3tagENS8_11use_defaultESC_EEPssNS8_4plusIsEEEE10hipError_tPvRmT1_T2_T3_mT4_P12ihipStream_tbEUlT_E0_NS1_11comp_targetILNS1_3genE10ELNS1_11target_archE1201ELNS1_3gpuE5ELNS1_3repE0EEENS1_30default_config_static_selectorELNS0_4arch9wavefront6targetE1EEEvSK_.num_named_barrier, 0
	.set _ZN7rocprim17ROCPRIM_400000_NS6detail17trampoline_kernelINS0_14default_configENS1_22reduce_config_selectorIsEEZNS1_11reduce_implILb1ES3_N6thrust23THRUST_200600_302600_NS17counting_iteratorIsNS8_11hip_rocprim3tagENS8_11use_defaultESC_EEPssNS8_4plusIsEEEE10hipError_tPvRmT1_T2_T3_mT4_P12ihipStream_tbEUlT_E0_NS1_11comp_targetILNS1_3genE10ELNS1_11target_archE1201ELNS1_3gpuE5ELNS1_3repE0EEENS1_30default_config_static_selectorELNS0_4arch9wavefront6targetE1EEEvSK_.private_seg_size, 0
	.set _ZN7rocprim17ROCPRIM_400000_NS6detail17trampoline_kernelINS0_14default_configENS1_22reduce_config_selectorIsEEZNS1_11reduce_implILb1ES3_N6thrust23THRUST_200600_302600_NS17counting_iteratorIsNS8_11hip_rocprim3tagENS8_11use_defaultESC_EEPssNS8_4plusIsEEEE10hipError_tPvRmT1_T2_T3_mT4_P12ihipStream_tbEUlT_E0_NS1_11comp_targetILNS1_3genE10ELNS1_11target_archE1201ELNS1_3gpuE5ELNS1_3repE0EEENS1_30default_config_static_selectorELNS0_4arch9wavefront6targetE1EEEvSK_.uses_vcc, 0
	.set _ZN7rocprim17ROCPRIM_400000_NS6detail17trampoline_kernelINS0_14default_configENS1_22reduce_config_selectorIsEEZNS1_11reduce_implILb1ES3_N6thrust23THRUST_200600_302600_NS17counting_iteratorIsNS8_11hip_rocprim3tagENS8_11use_defaultESC_EEPssNS8_4plusIsEEEE10hipError_tPvRmT1_T2_T3_mT4_P12ihipStream_tbEUlT_E0_NS1_11comp_targetILNS1_3genE10ELNS1_11target_archE1201ELNS1_3gpuE5ELNS1_3repE0EEENS1_30default_config_static_selectorELNS0_4arch9wavefront6targetE1EEEvSK_.uses_flat_scratch, 0
	.set _ZN7rocprim17ROCPRIM_400000_NS6detail17trampoline_kernelINS0_14default_configENS1_22reduce_config_selectorIsEEZNS1_11reduce_implILb1ES3_N6thrust23THRUST_200600_302600_NS17counting_iteratorIsNS8_11hip_rocprim3tagENS8_11use_defaultESC_EEPssNS8_4plusIsEEEE10hipError_tPvRmT1_T2_T3_mT4_P12ihipStream_tbEUlT_E0_NS1_11comp_targetILNS1_3genE10ELNS1_11target_archE1201ELNS1_3gpuE5ELNS1_3repE0EEENS1_30default_config_static_selectorELNS0_4arch9wavefront6targetE1EEEvSK_.has_dyn_sized_stack, 0
	.set _ZN7rocprim17ROCPRIM_400000_NS6detail17trampoline_kernelINS0_14default_configENS1_22reduce_config_selectorIsEEZNS1_11reduce_implILb1ES3_N6thrust23THRUST_200600_302600_NS17counting_iteratorIsNS8_11hip_rocprim3tagENS8_11use_defaultESC_EEPssNS8_4plusIsEEEE10hipError_tPvRmT1_T2_T3_mT4_P12ihipStream_tbEUlT_E0_NS1_11comp_targetILNS1_3genE10ELNS1_11target_archE1201ELNS1_3gpuE5ELNS1_3repE0EEENS1_30default_config_static_selectorELNS0_4arch9wavefront6targetE1EEEvSK_.has_recursion, 0
	.set _ZN7rocprim17ROCPRIM_400000_NS6detail17trampoline_kernelINS0_14default_configENS1_22reduce_config_selectorIsEEZNS1_11reduce_implILb1ES3_N6thrust23THRUST_200600_302600_NS17counting_iteratorIsNS8_11hip_rocprim3tagENS8_11use_defaultESC_EEPssNS8_4plusIsEEEE10hipError_tPvRmT1_T2_T3_mT4_P12ihipStream_tbEUlT_E0_NS1_11comp_targetILNS1_3genE10ELNS1_11target_archE1201ELNS1_3gpuE5ELNS1_3repE0EEENS1_30default_config_static_selectorELNS0_4arch9wavefront6targetE1EEEvSK_.has_indirect_call, 0
	.section	.AMDGPU.csdata,"",@progbits
; Kernel info:
; codeLenInByte = 0
; TotalNumSgprs: 6
; NumVgprs: 0
; NumAgprs: 0
; TotalNumVgprs: 0
; ScratchSize: 0
; MemoryBound: 0
; FloatMode: 240
; IeeeMode: 1
; LDSByteSize: 0 bytes/workgroup (compile time only)
; SGPRBlocks: 0
; VGPRBlocks: 0
; NumSGPRsForWavesPerEU: 6
; NumVGPRsForWavesPerEU: 1
; AccumOffset: 4
; Occupancy: 8
; WaveLimiterHint : 0
; COMPUTE_PGM_RSRC2:SCRATCH_EN: 0
; COMPUTE_PGM_RSRC2:USER_SGPR: 2
; COMPUTE_PGM_RSRC2:TRAP_HANDLER: 0
; COMPUTE_PGM_RSRC2:TGID_X_EN: 1
; COMPUTE_PGM_RSRC2:TGID_Y_EN: 0
; COMPUTE_PGM_RSRC2:TGID_Z_EN: 0
; COMPUTE_PGM_RSRC2:TIDIG_COMP_CNT: 0
; COMPUTE_PGM_RSRC3_GFX90A:ACCUM_OFFSET: 0
; COMPUTE_PGM_RSRC3_GFX90A:TG_SPLIT: 0
	.section	.text._ZN7rocprim17ROCPRIM_400000_NS6detail17trampoline_kernelINS0_14default_configENS1_22reduce_config_selectorIsEEZNS1_11reduce_implILb1ES3_N6thrust23THRUST_200600_302600_NS17counting_iteratorIsNS8_11hip_rocprim3tagENS8_11use_defaultESC_EEPssNS8_4plusIsEEEE10hipError_tPvRmT1_T2_T3_mT4_P12ihipStream_tbEUlT_E0_NS1_11comp_targetILNS1_3genE10ELNS1_11target_archE1200ELNS1_3gpuE4ELNS1_3repE0EEENS1_30default_config_static_selectorELNS0_4arch9wavefront6targetE1EEEvSK_,"axG",@progbits,_ZN7rocprim17ROCPRIM_400000_NS6detail17trampoline_kernelINS0_14default_configENS1_22reduce_config_selectorIsEEZNS1_11reduce_implILb1ES3_N6thrust23THRUST_200600_302600_NS17counting_iteratorIsNS8_11hip_rocprim3tagENS8_11use_defaultESC_EEPssNS8_4plusIsEEEE10hipError_tPvRmT1_T2_T3_mT4_P12ihipStream_tbEUlT_E0_NS1_11comp_targetILNS1_3genE10ELNS1_11target_archE1200ELNS1_3gpuE4ELNS1_3repE0EEENS1_30default_config_static_selectorELNS0_4arch9wavefront6targetE1EEEvSK_,comdat
	.protected	_ZN7rocprim17ROCPRIM_400000_NS6detail17trampoline_kernelINS0_14default_configENS1_22reduce_config_selectorIsEEZNS1_11reduce_implILb1ES3_N6thrust23THRUST_200600_302600_NS17counting_iteratorIsNS8_11hip_rocprim3tagENS8_11use_defaultESC_EEPssNS8_4plusIsEEEE10hipError_tPvRmT1_T2_T3_mT4_P12ihipStream_tbEUlT_E0_NS1_11comp_targetILNS1_3genE10ELNS1_11target_archE1200ELNS1_3gpuE4ELNS1_3repE0EEENS1_30default_config_static_selectorELNS0_4arch9wavefront6targetE1EEEvSK_ ; -- Begin function _ZN7rocprim17ROCPRIM_400000_NS6detail17trampoline_kernelINS0_14default_configENS1_22reduce_config_selectorIsEEZNS1_11reduce_implILb1ES3_N6thrust23THRUST_200600_302600_NS17counting_iteratorIsNS8_11hip_rocprim3tagENS8_11use_defaultESC_EEPssNS8_4plusIsEEEE10hipError_tPvRmT1_T2_T3_mT4_P12ihipStream_tbEUlT_E0_NS1_11comp_targetILNS1_3genE10ELNS1_11target_archE1200ELNS1_3gpuE4ELNS1_3repE0EEENS1_30default_config_static_selectorELNS0_4arch9wavefront6targetE1EEEvSK_
	.globl	_ZN7rocprim17ROCPRIM_400000_NS6detail17trampoline_kernelINS0_14default_configENS1_22reduce_config_selectorIsEEZNS1_11reduce_implILb1ES3_N6thrust23THRUST_200600_302600_NS17counting_iteratorIsNS8_11hip_rocprim3tagENS8_11use_defaultESC_EEPssNS8_4plusIsEEEE10hipError_tPvRmT1_T2_T3_mT4_P12ihipStream_tbEUlT_E0_NS1_11comp_targetILNS1_3genE10ELNS1_11target_archE1200ELNS1_3gpuE4ELNS1_3repE0EEENS1_30default_config_static_selectorELNS0_4arch9wavefront6targetE1EEEvSK_
	.p2align	8
	.type	_ZN7rocprim17ROCPRIM_400000_NS6detail17trampoline_kernelINS0_14default_configENS1_22reduce_config_selectorIsEEZNS1_11reduce_implILb1ES3_N6thrust23THRUST_200600_302600_NS17counting_iteratorIsNS8_11hip_rocprim3tagENS8_11use_defaultESC_EEPssNS8_4plusIsEEEE10hipError_tPvRmT1_T2_T3_mT4_P12ihipStream_tbEUlT_E0_NS1_11comp_targetILNS1_3genE10ELNS1_11target_archE1200ELNS1_3gpuE4ELNS1_3repE0EEENS1_30default_config_static_selectorELNS0_4arch9wavefront6targetE1EEEvSK_,@function
_ZN7rocprim17ROCPRIM_400000_NS6detail17trampoline_kernelINS0_14default_configENS1_22reduce_config_selectorIsEEZNS1_11reduce_implILb1ES3_N6thrust23THRUST_200600_302600_NS17counting_iteratorIsNS8_11hip_rocprim3tagENS8_11use_defaultESC_EEPssNS8_4plusIsEEEE10hipError_tPvRmT1_T2_T3_mT4_P12ihipStream_tbEUlT_E0_NS1_11comp_targetILNS1_3genE10ELNS1_11target_archE1200ELNS1_3gpuE4ELNS1_3repE0EEENS1_30default_config_static_selectorELNS0_4arch9wavefront6targetE1EEEvSK_: ; @_ZN7rocprim17ROCPRIM_400000_NS6detail17trampoline_kernelINS0_14default_configENS1_22reduce_config_selectorIsEEZNS1_11reduce_implILb1ES3_N6thrust23THRUST_200600_302600_NS17counting_iteratorIsNS8_11hip_rocprim3tagENS8_11use_defaultESC_EEPssNS8_4plusIsEEEE10hipError_tPvRmT1_T2_T3_mT4_P12ihipStream_tbEUlT_E0_NS1_11comp_targetILNS1_3genE10ELNS1_11target_archE1200ELNS1_3gpuE4ELNS1_3repE0EEENS1_30default_config_static_selectorELNS0_4arch9wavefront6targetE1EEEvSK_
; %bb.0:
	.section	.rodata,"a",@progbits
	.p2align	6, 0x0
	.amdhsa_kernel _ZN7rocprim17ROCPRIM_400000_NS6detail17trampoline_kernelINS0_14default_configENS1_22reduce_config_selectorIsEEZNS1_11reduce_implILb1ES3_N6thrust23THRUST_200600_302600_NS17counting_iteratorIsNS8_11hip_rocprim3tagENS8_11use_defaultESC_EEPssNS8_4plusIsEEEE10hipError_tPvRmT1_T2_T3_mT4_P12ihipStream_tbEUlT_E0_NS1_11comp_targetILNS1_3genE10ELNS1_11target_archE1200ELNS1_3gpuE4ELNS1_3repE0EEENS1_30default_config_static_selectorELNS0_4arch9wavefront6targetE1EEEvSK_
		.amdhsa_group_segment_fixed_size 0
		.amdhsa_private_segment_fixed_size 0
		.amdhsa_kernarg_size 56
		.amdhsa_user_sgpr_count 2
		.amdhsa_user_sgpr_dispatch_ptr 0
		.amdhsa_user_sgpr_queue_ptr 0
		.amdhsa_user_sgpr_kernarg_segment_ptr 1
		.amdhsa_user_sgpr_dispatch_id 0
		.amdhsa_user_sgpr_kernarg_preload_length 0
		.amdhsa_user_sgpr_kernarg_preload_offset 0
		.amdhsa_user_sgpr_private_segment_size 0
		.amdhsa_uses_dynamic_stack 0
		.amdhsa_enable_private_segment 0
		.amdhsa_system_sgpr_workgroup_id_x 1
		.amdhsa_system_sgpr_workgroup_id_y 0
		.amdhsa_system_sgpr_workgroup_id_z 0
		.amdhsa_system_sgpr_workgroup_info 0
		.amdhsa_system_vgpr_workitem_id 0
		.amdhsa_next_free_vgpr 1
		.amdhsa_next_free_sgpr 0
		.amdhsa_accum_offset 4
		.amdhsa_reserve_vcc 0
		.amdhsa_float_round_mode_32 0
		.amdhsa_float_round_mode_16_64 0
		.amdhsa_float_denorm_mode_32 3
		.amdhsa_float_denorm_mode_16_64 3
		.amdhsa_dx10_clamp 1
		.amdhsa_ieee_mode 1
		.amdhsa_fp16_overflow 0
		.amdhsa_tg_split 0
		.amdhsa_exception_fp_ieee_invalid_op 0
		.amdhsa_exception_fp_denorm_src 0
		.amdhsa_exception_fp_ieee_div_zero 0
		.amdhsa_exception_fp_ieee_overflow 0
		.amdhsa_exception_fp_ieee_underflow 0
		.amdhsa_exception_fp_ieee_inexact 0
		.amdhsa_exception_int_div_zero 0
	.end_amdhsa_kernel
	.section	.text._ZN7rocprim17ROCPRIM_400000_NS6detail17trampoline_kernelINS0_14default_configENS1_22reduce_config_selectorIsEEZNS1_11reduce_implILb1ES3_N6thrust23THRUST_200600_302600_NS17counting_iteratorIsNS8_11hip_rocprim3tagENS8_11use_defaultESC_EEPssNS8_4plusIsEEEE10hipError_tPvRmT1_T2_T3_mT4_P12ihipStream_tbEUlT_E0_NS1_11comp_targetILNS1_3genE10ELNS1_11target_archE1200ELNS1_3gpuE4ELNS1_3repE0EEENS1_30default_config_static_selectorELNS0_4arch9wavefront6targetE1EEEvSK_,"axG",@progbits,_ZN7rocprim17ROCPRIM_400000_NS6detail17trampoline_kernelINS0_14default_configENS1_22reduce_config_selectorIsEEZNS1_11reduce_implILb1ES3_N6thrust23THRUST_200600_302600_NS17counting_iteratorIsNS8_11hip_rocprim3tagENS8_11use_defaultESC_EEPssNS8_4plusIsEEEE10hipError_tPvRmT1_T2_T3_mT4_P12ihipStream_tbEUlT_E0_NS1_11comp_targetILNS1_3genE10ELNS1_11target_archE1200ELNS1_3gpuE4ELNS1_3repE0EEENS1_30default_config_static_selectorELNS0_4arch9wavefront6targetE1EEEvSK_,comdat
.Lfunc_end1115:
	.size	_ZN7rocprim17ROCPRIM_400000_NS6detail17trampoline_kernelINS0_14default_configENS1_22reduce_config_selectorIsEEZNS1_11reduce_implILb1ES3_N6thrust23THRUST_200600_302600_NS17counting_iteratorIsNS8_11hip_rocprim3tagENS8_11use_defaultESC_EEPssNS8_4plusIsEEEE10hipError_tPvRmT1_T2_T3_mT4_P12ihipStream_tbEUlT_E0_NS1_11comp_targetILNS1_3genE10ELNS1_11target_archE1200ELNS1_3gpuE4ELNS1_3repE0EEENS1_30default_config_static_selectorELNS0_4arch9wavefront6targetE1EEEvSK_, .Lfunc_end1115-_ZN7rocprim17ROCPRIM_400000_NS6detail17trampoline_kernelINS0_14default_configENS1_22reduce_config_selectorIsEEZNS1_11reduce_implILb1ES3_N6thrust23THRUST_200600_302600_NS17counting_iteratorIsNS8_11hip_rocprim3tagENS8_11use_defaultESC_EEPssNS8_4plusIsEEEE10hipError_tPvRmT1_T2_T3_mT4_P12ihipStream_tbEUlT_E0_NS1_11comp_targetILNS1_3genE10ELNS1_11target_archE1200ELNS1_3gpuE4ELNS1_3repE0EEENS1_30default_config_static_selectorELNS0_4arch9wavefront6targetE1EEEvSK_
                                        ; -- End function
	.set _ZN7rocprim17ROCPRIM_400000_NS6detail17trampoline_kernelINS0_14default_configENS1_22reduce_config_selectorIsEEZNS1_11reduce_implILb1ES3_N6thrust23THRUST_200600_302600_NS17counting_iteratorIsNS8_11hip_rocprim3tagENS8_11use_defaultESC_EEPssNS8_4plusIsEEEE10hipError_tPvRmT1_T2_T3_mT4_P12ihipStream_tbEUlT_E0_NS1_11comp_targetILNS1_3genE10ELNS1_11target_archE1200ELNS1_3gpuE4ELNS1_3repE0EEENS1_30default_config_static_selectorELNS0_4arch9wavefront6targetE1EEEvSK_.num_vgpr, 0
	.set _ZN7rocprim17ROCPRIM_400000_NS6detail17trampoline_kernelINS0_14default_configENS1_22reduce_config_selectorIsEEZNS1_11reduce_implILb1ES3_N6thrust23THRUST_200600_302600_NS17counting_iteratorIsNS8_11hip_rocprim3tagENS8_11use_defaultESC_EEPssNS8_4plusIsEEEE10hipError_tPvRmT1_T2_T3_mT4_P12ihipStream_tbEUlT_E0_NS1_11comp_targetILNS1_3genE10ELNS1_11target_archE1200ELNS1_3gpuE4ELNS1_3repE0EEENS1_30default_config_static_selectorELNS0_4arch9wavefront6targetE1EEEvSK_.num_agpr, 0
	.set _ZN7rocprim17ROCPRIM_400000_NS6detail17trampoline_kernelINS0_14default_configENS1_22reduce_config_selectorIsEEZNS1_11reduce_implILb1ES3_N6thrust23THRUST_200600_302600_NS17counting_iteratorIsNS8_11hip_rocprim3tagENS8_11use_defaultESC_EEPssNS8_4plusIsEEEE10hipError_tPvRmT1_T2_T3_mT4_P12ihipStream_tbEUlT_E0_NS1_11comp_targetILNS1_3genE10ELNS1_11target_archE1200ELNS1_3gpuE4ELNS1_3repE0EEENS1_30default_config_static_selectorELNS0_4arch9wavefront6targetE1EEEvSK_.numbered_sgpr, 0
	.set _ZN7rocprim17ROCPRIM_400000_NS6detail17trampoline_kernelINS0_14default_configENS1_22reduce_config_selectorIsEEZNS1_11reduce_implILb1ES3_N6thrust23THRUST_200600_302600_NS17counting_iteratorIsNS8_11hip_rocprim3tagENS8_11use_defaultESC_EEPssNS8_4plusIsEEEE10hipError_tPvRmT1_T2_T3_mT4_P12ihipStream_tbEUlT_E0_NS1_11comp_targetILNS1_3genE10ELNS1_11target_archE1200ELNS1_3gpuE4ELNS1_3repE0EEENS1_30default_config_static_selectorELNS0_4arch9wavefront6targetE1EEEvSK_.num_named_barrier, 0
	.set _ZN7rocprim17ROCPRIM_400000_NS6detail17trampoline_kernelINS0_14default_configENS1_22reduce_config_selectorIsEEZNS1_11reduce_implILb1ES3_N6thrust23THRUST_200600_302600_NS17counting_iteratorIsNS8_11hip_rocprim3tagENS8_11use_defaultESC_EEPssNS8_4plusIsEEEE10hipError_tPvRmT1_T2_T3_mT4_P12ihipStream_tbEUlT_E0_NS1_11comp_targetILNS1_3genE10ELNS1_11target_archE1200ELNS1_3gpuE4ELNS1_3repE0EEENS1_30default_config_static_selectorELNS0_4arch9wavefront6targetE1EEEvSK_.private_seg_size, 0
	.set _ZN7rocprim17ROCPRIM_400000_NS6detail17trampoline_kernelINS0_14default_configENS1_22reduce_config_selectorIsEEZNS1_11reduce_implILb1ES3_N6thrust23THRUST_200600_302600_NS17counting_iteratorIsNS8_11hip_rocprim3tagENS8_11use_defaultESC_EEPssNS8_4plusIsEEEE10hipError_tPvRmT1_T2_T3_mT4_P12ihipStream_tbEUlT_E0_NS1_11comp_targetILNS1_3genE10ELNS1_11target_archE1200ELNS1_3gpuE4ELNS1_3repE0EEENS1_30default_config_static_selectorELNS0_4arch9wavefront6targetE1EEEvSK_.uses_vcc, 0
	.set _ZN7rocprim17ROCPRIM_400000_NS6detail17trampoline_kernelINS0_14default_configENS1_22reduce_config_selectorIsEEZNS1_11reduce_implILb1ES3_N6thrust23THRUST_200600_302600_NS17counting_iteratorIsNS8_11hip_rocprim3tagENS8_11use_defaultESC_EEPssNS8_4plusIsEEEE10hipError_tPvRmT1_T2_T3_mT4_P12ihipStream_tbEUlT_E0_NS1_11comp_targetILNS1_3genE10ELNS1_11target_archE1200ELNS1_3gpuE4ELNS1_3repE0EEENS1_30default_config_static_selectorELNS0_4arch9wavefront6targetE1EEEvSK_.uses_flat_scratch, 0
	.set _ZN7rocprim17ROCPRIM_400000_NS6detail17trampoline_kernelINS0_14default_configENS1_22reduce_config_selectorIsEEZNS1_11reduce_implILb1ES3_N6thrust23THRUST_200600_302600_NS17counting_iteratorIsNS8_11hip_rocprim3tagENS8_11use_defaultESC_EEPssNS8_4plusIsEEEE10hipError_tPvRmT1_T2_T3_mT4_P12ihipStream_tbEUlT_E0_NS1_11comp_targetILNS1_3genE10ELNS1_11target_archE1200ELNS1_3gpuE4ELNS1_3repE0EEENS1_30default_config_static_selectorELNS0_4arch9wavefront6targetE1EEEvSK_.has_dyn_sized_stack, 0
	.set _ZN7rocprim17ROCPRIM_400000_NS6detail17trampoline_kernelINS0_14default_configENS1_22reduce_config_selectorIsEEZNS1_11reduce_implILb1ES3_N6thrust23THRUST_200600_302600_NS17counting_iteratorIsNS8_11hip_rocprim3tagENS8_11use_defaultESC_EEPssNS8_4plusIsEEEE10hipError_tPvRmT1_T2_T3_mT4_P12ihipStream_tbEUlT_E0_NS1_11comp_targetILNS1_3genE10ELNS1_11target_archE1200ELNS1_3gpuE4ELNS1_3repE0EEENS1_30default_config_static_selectorELNS0_4arch9wavefront6targetE1EEEvSK_.has_recursion, 0
	.set _ZN7rocprim17ROCPRIM_400000_NS6detail17trampoline_kernelINS0_14default_configENS1_22reduce_config_selectorIsEEZNS1_11reduce_implILb1ES3_N6thrust23THRUST_200600_302600_NS17counting_iteratorIsNS8_11hip_rocprim3tagENS8_11use_defaultESC_EEPssNS8_4plusIsEEEE10hipError_tPvRmT1_T2_T3_mT4_P12ihipStream_tbEUlT_E0_NS1_11comp_targetILNS1_3genE10ELNS1_11target_archE1200ELNS1_3gpuE4ELNS1_3repE0EEENS1_30default_config_static_selectorELNS0_4arch9wavefront6targetE1EEEvSK_.has_indirect_call, 0
	.section	.AMDGPU.csdata,"",@progbits
; Kernel info:
; codeLenInByte = 0
; TotalNumSgprs: 6
; NumVgprs: 0
; NumAgprs: 0
; TotalNumVgprs: 0
; ScratchSize: 0
; MemoryBound: 0
; FloatMode: 240
; IeeeMode: 1
; LDSByteSize: 0 bytes/workgroup (compile time only)
; SGPRBlocks: 0
; VGPRBlocks: 0
; NumSGPRsForWavesPerEU: 6
; NumVGPRsForWavesPerEU: 1
; AccumOffset: 4
; Occupancy: 8
; WaveLimiterHint : 0
; COMPUTE_PGM_RSRC2:SCRATCH_EN: 0
; COMPUTE_PGM_RSRC2:USER_SGPR: 2
; COMPUTE_PGM_RSRC2:TRAP_HANDLER: 0
; COMPUTE_PGM_RSRC2:TGID_X_EN: 1
; COMPUTE_PGM_RSRC2:TGID_Y_EN: 0
; COMPUTE_PGM_RSRC2:TGID_Z_EN: 0
; COMPUTE_PGM_RSRC2:TIDIG_COMP_CNT: 0
; COMPUTE_PGM_RSRC3_GFX90A:ACCUM_OFFSET: 0
; COMPUTE_PGM_RSRC3_GFX90A:TG_SPLIT: 0
	.section	.text._ZN7rocprim17ROCPRIM_400000_NS6detail17trampoline_kernelINS0_14default_configENS1_22reduce_config_selectorIsEEZNS1_11reduce_implILb1ES3_N6thrust23THRUST_200600_302600_NS17counting_iteratorIsNS8_11hip_rocprim3tagENS8_11use_defaultESC_EEPssNS8_4plusIsEEEE10hipError_tPvRmT1_T2_T3_mT4_P12ihipStream_tbEUlT_E0_NS1_11comp_targetILNS1_3genE9ELNS1_11target_archE1100ELNS1_3gpuE3ELNS1_3repE0EEENS1_30default_config_static_selectorELNS0_4arch9wavefront6targetE1EEEvSK_,"axG",@progbits,_ZN7rocprim17ROCPRIM_400000_NS6detail17trampoline_kernelINS0_14default_configENS1_22reduce_config_selectorIsEEZNS1_11reduce_implILb1ES3_N6thrust23THRUST_200600_302600_NS17counting_iteratorIsNS8_11hip_rocprim3tagENS8_11use_defaultESC_EEPssNS8_4plusIsEEEE10hipError_tPvRmT1_T2_T3_mT4_P12ihipStream_tbEUlT_E0_NS1_11comp_targetILNS1_3genE9ELNS1_11target_archE1100ELNS1_3gpuE3ELNS1_3repE0EEENS1_30default_config_static_selectorELNS0_4arch9wavefront6targetE1EEEvSK_,comdat
	.protected	_ZN7rocprim17ROCPRIM_400000_NS6detail17trampoline_kernelINS0_14default_configENS1_22reduce_config_selectorIsEEZNS1_11reduce_implILb1ES3_N6thrust23THRUST_200600_302600_NS17counting_iteratorIsNS8_11hip_rocprim3tagENS8_11use_defaultESC_EEPssNS8_4plusIsEEEE10hipError_tPvRmT1_T2_T3_mT4_P12ihipStream_tbEUlT_E0_NS1_11comp_targetILNS1_3genE9ELNS1_11target_archE1100ELNS1_3gpuE3ELNS1_3repE0EEENS1_30default_config_static_selectorELNS0_4arch9wavefront6targetE1EEEvSK_ ; -- Begin function _ZN7rocprim17ROCPRIM_400000_NS6detail17trampoline_kernelINS0_14default_configENS1_22reduce_config_selectorIsEEZNS1_11reduce_implILb1ES3_N6thrust23THRUST_200600_302600_NS17counting_iteratorIsNS8_11hip_rocprim3tagENS8_11use_defaultESC_EEPssNS8_4plusIsEEEE10hipError_tPvRmT1_T2_T3_mT4_P12ihipStream_tbEUlT_E0_NS1_11comp_targetILNS1_3genE9ELNS1_11target_archE1100ELNS1_3gpuE3ELNS1_3repE0EEENS1_30default_config_static_selectorELNS0_4arch9wavefront6targetE1EEEvSK_
	.globl	_ZN7rocprim17ROCPRIM_400000_NS6detail17trampoline_kernelINS0_14default_configENS1_22reduce_config_selectorIsEEZNS1_11reduce_implILb1ES3_N6thrust23THRUST_200600_302600_NS17counting_iteratorIsNS8_11hip_rocprim3tagENS8_11use_defaultESC_EEPssNS8_4plusIsEEEE10hipError_tPvRmT1_T2_T3_mT4_P12ihipStream_tbEUlT_E0_NS1_11comp_targetILNS1_3genE9ELNS1_11target_archE1100ELNS1_3gpuE3ELNS1_3repE0EEENS1_30default_config_static_selectorELNS0_4arch9wavefront6targetE1EEEvSK_
	.p2align	8
	.type	_ZN7rocprim17ROCPRIM_400000_NS6detail17trampoline_kernelINS0_14default_configENS1_22reduce_config_selectorIsEEZNS1_11reduce_implILb1ES3_N6thrust23THRUST_200600_302600_NS17counting_iteratorIsNS8_11hip_rocprim3tagENS8_11use_defaultESC_EEPssNS8_4plusIsEEEE10hipError_tPvRmT1_T2_T3_mT4_P12ihipStream_tbEUlT_E0_NS1_11comp_targetILNS1_3genE9ELNS1_11target_archE1100ELNS1_3gpuE3ELNS1_3repE0EEENS1_30default_config_static_selectorELNS0_4arch9wavefront6targetE1EEEvSK_,@function
_ZN7rocprim17ROCPRIM_400000_NS6detail17trampoline_kernelINS0_14default_configENS1_22reduce_config_selectorIsEEZNS1_11reduce_implILb1ES3_N6thrust23THRUST_200600_302600_NS17counting_iteratorIsNS8_11hip_rocprim3tagENS8_11use_defaultESC_EEPssNS8_4plusIsEEEE10hipError_tPvRmT1_T2_T3_mT4_P12ihipStream_tbEUlT_E0_NS1_11comp_targetILNS1_3genE9ELNS1_11target_archE1100ELNS1_3gpuE3ELNS1_3repE0EEENS1_30default_config_static_selectorELNS0_4arch9wavefront6targetE1EEEvSK_: ; @_ZN7rocprim17ROCPRIM_400000_NS6detail17trampoline_kernelINS0_14default_configENS1_22reduce_config_selectorIsEEZNS1_11reduce_implILb1ES3_N6thrust23THRUST_200600_302600_NS17counting_iteratorIsNS8_11hip_rocprim3tagENS8_11use_defaultESC_EEPssNS8_4plusIsEEEE10hipError_tPvRmT1_T2_T3_mT4_P12ihipStream_tbEUlT_E0_NS1_11comp_targetILNS1_3genE9ELNS1_11target_archE1100ELNS1_3gpuE3ELNS1_3repE0EEENS1_30default_config_static_selectorELNS0_4arch9wavefront6targetE1EEEvSK_
; %bb.0:
	.section	.rodata,"a",@progbits
	.p2align	6, 0x0
	.amdhsa_kernel _ZN7rocprim17ROCPRIM_400000_NS6detail17trampoline_kernelINS0_14default_configENS1_22reduce_config_selectorIsEEZNS1_11reduce_implILb1ES3_N6thrust23THRUST_200600_302600_NS17counting_iteratorIsNS8_11hip_rocprim3tagENS8_11use_defaultESC_EEPssNS8_4plusIsEEEE10hipError_tPvRmT1_T2_T3_mT4_P12ihipStream_tbEUlT_E0_NS1_11comp_targetILNS1_3genE9ELNS1_11target_archE1100ELNS1_3gpuE3ELNS1_3repE0EEENS1_30default_config_static_selectorELNS0_4arch9wavefront6targetE1EEEvSK_
		.amdhsa_group_segment_fixed_size 0
		.amdhsa_private_segment_fixed_size 0
		.amdhsa_kernarg_size 56
		.amdhsa_user_sgpr_count 2
		.amdhsa_user_sgpr_dispatch_ptr 0
		.amdhsa_user_sgpr_queue_ptr 0
		.amdhsa_user_sgpr_kernarg_segment_ptr 1
		.amdhsa_user_sgpr_dispatch_id 0
		.amdhsa_user_sgpr_kernarg_preload_length 0
		.amdhsa_user_sgpr_kernarg_preload_offset 0
		.amdhsa_user_sgpr_private_segment_size 0
		.amdhsa_uses_dynamic_stack 0
		.amdhsa_enable_private_segment 0
		.amdhsa_system_sgpr_workgroup_id_x 1
		.amdhsa_system_sgpr_workgroup_id_y 0
		.amdhsa_system_sgpr_workgroup_id_z 0
		.amdhsa_system_sgpr_workgroup_info 0
		.amdhsa_system_vgpr_workitem_id 0
		.amdhsa_next_free_vgpr 1
		.amdhsa_next_free_sgpr 0
		.amdhsa_accum_offset 4
		.amdhsa_reserve_vcc 0
		.amdhsa_float_round_mode_32 0
		.amdhsa_float_round_mode_16_64 0
		.amdhsa_float_denorm_mode_32 3
		.amdhsa_float_denorm_mode_16_64 3
		.amdhsa_dx10_clamp 1
		.amdhsa_ieee_mode 1
		.amdhsa_fp16_overflow 0
		.amdhsa_tg_split 0
		.amdhsa_exception_fp_ieee_invalid_op 0
		.amdhsa_exception_fp_denorm_src 0
		.amdhsa_exception_fp_ieee_div_zero 0
		.amdhsa_exception_fp_ieee_overflow 0
		.amdhsa_exception_fp_ieee_underflow 0
		.amdhsa_exception_fp_ieee_inexact 0
		.amdhsa_exception_int_div_zero 0
	.end_amdhsa_kernel
	.section	.text._ZN7rocprim17ROCPRIM_400000_NS6detail17trampoline_kernelINS0_14default_configENS1_22reduce_config_selectorIsEEZNS1_11reduce_implILb1ES3_N6thrust23THRUST_200600_302600_NS17counting_iteratorIsNS8_11hip_rocprim3tagENS8_11use_defaultESC_EEPssNS8_4plusIsEEEE10hipError_tPvRmT1_T2_T3_mT4_P12ihipStream_tbEUlT_E0_NS1_11comp_targetILNS1_3genE9ELNS1_11target_archE1100ELNS1_3gpuE3ELNS1_3repE0EEENS1_30default_config_static_selectorELNS0_4arch9wavefront6targetE1EEEvSK_,"axG",@progbits,_ZN7rocprim17ROCPRIM_400000_NS6detail17trampoline_kernelINS0_14default_configENS1_22reduce_config_selectorIsEEZNS1_11reduce_implILb1ES3_N6thrust23THRUST_200600_302600_NS17counting_iteratorIsNS8_11hip_rocprim3tagENS8_11use_defaultESC_EEPssNS8_4plusIsEEEE10hipError_tPvRmT1_T2_T3_mT4_P12ihipStream_tbEUlT_E0_NS1_11comp_targetILNS1_3genE9ELNS1_11target_archE1100ELNS1_3gpuE3ELNS1_3repE0EEENS1_30default_config_static_selectorELNS0_4arch9wavefront6targetE1EEEvSK_,comdat
.Lfunc_end1116:
	.size	_ZN7rocprim17ROCPRIM_400000_NS6detail17trampoline_kernelINS0_14default_configENS1_22reduce_config_selectorIsEEZNS1_11reduce_implILb1ES3_N6thrust23THRUST_200600_302600_NS17counting_iteratorIsNS8_11hip_rocprim3tagENS8_11use_defaultESC_EEPssNS8_4plusIsEEEE10hipError_tPvRmT1_T2_T3_mT4_P12ihipStream_tbEUlT_E0_NS1_11comp_targetILNS1_3genE9ELNS1_11target_archE1100ELNS1_3gpuE3ELNS1_3repE0EEENS1_30default_config_static_selectorELNS0_4arch9wavefront6targetE1EEEvSK_, .Lfunc_end1116-_ZN7rocprim17ROCPRIM_400000_NS6detail17trampoline_kernelINS0_14default_configENS1_22reduce_config_selectorIsEEZNS1_11reduce_implILb1ES3_N6thrust23THRUST_200600_302600_NS17counting_iteratorIsNS8_11hip_rocprim3tagENS8_11use_defaultESC_EEPssNS8_4plusIsEEEE10hipError_tPvRmT1_T2_T3_mT4_P12ihipStream_tbEUlT_E0_NS1_11comp_targetILNS1_3genE9ELNS1_11target_archE1100ELNS1_3gpuE3ELNS1_3repE0EEENS1_30default_config_static_selectorELNS0_4arch9wavefront6targetE1EEEvSK_
                                        ; -- End function
	.set _ZN7rocprim17ROCPRIM_400000_NS6detail17trampoline_kernelINS0_14default_configENS1_22reduce_config_selectorIsEEZNS1_11reduce_implILb1ES3_N6thrust23THRUST_200600_302600_NS17counting_iteratorIsNS8_11hip_rocprim3tagENS8_11use_defaultESC_EEPssNS8_4plusIsEEEE10hipError_tPvRmT1_T2_T3_mT4_P12ihipStream_tbEUlT_E0_NS1_11comp_targetILNS1_3genE9ELNS1_11target_archE1100ELNS1_3gpuE3ELNS1_3repE0EEENS1_30default_config_static_selectorELNS0_4arch9wavefront6targetE1EEEvSK_.num_vgpr, 0
	.set _ZN7rocprim17ROCPRIM_400000_NS6detail17trampoline_kernelINS0_14default_configENS1_22reduce_config_selectorIsEEZNS1_11reduce_implILb1ES3_N6thrust23THRUST_200600_302600_NS17counting_iteratorIsNS8_11hip_rocprim3tagENS8_11use_defaultESC_EEPssNS8_4plusIsEEEE10hipError_tPvRmT1_T2_T3_mT4_P12ihipStream_tbEUlT_E0_NS1_11comp_targetILNS1_3genE9ELNS1_11target_archE1100ELNS1_3gpuE3ELNS1_3repE0EEENS1_30default_config_static_selectorELNS0_4arch9wavefront6targetE1EEEvSK_.num_agpr, 0
	.set _ZN7rocprim17ROCPRIM_400000_NS6detail17trampoline_kernelINS0_14default_configENS1_22reduce_config_selectorIsEEZNS1_11reduce_implILb1ES3_N6thrust23THRUST_200600_302600_NS17counting_iteratorIsNS8_11hip_rocprim3tagENS8_11use_defaultESC_EEPssNS8_4plusIsEEEE10hipError_tPvRmT1_T2_T3_mT4_P12ihipStream_tbEUlT_E0_NS1_11comp_targetILNS1_3genE9ELNS1_11target_archE1100ELNS1_3gpuE3ELNS1_3repE0EEENS1_30default_config_static_selectorELNS0_4arch9wavefront6targetE1EEEvSK_.numbered_sgpr, 0
	.set _ZN7rocprim17ROCPRIM_400000_NS6detail17trampoline_kernelINS0_14default_configENS1_22reduce_config_selectorIsEEZNS1_11reduce_implILb1ES3_N6thrust23THRUST_200600_302600_NS17counting_iteratorIsNS8_11hip_rocprim3tagENS8_11use_defaultESC_EEPssNS8_4plusIsEEEE10hipError_tPvRmT1_T2_T3_mT4_P12ihipStream_tbEUlT_E0_NS1_11comp_targetILNS1_3genE9ELNS1_11target_archE1100ELNS1_3gpuE3ELNS1_3repE0EEENS1_30default_config_static_selectorELNS0_4arch9wavefront6targetE1EEEvSK_.num_named_barrier, 0
	.set _ZN7rocprim17ROCPRIM_400000_NS6detail17trampoline_kernelINS0_14default_configENS1_22reduce_config_selectorIsEEZNS1_11reduce_implILb1ES3_N6thrust23THRUST_200600_302600_NS17counting_iteratorIsNS8_11hip_rocprim3tagENS8_11use_defaultESC_EEPssNS8_4plusIsEEEE10hipError_tPvRmT1_T2_T3_mT4_P12ihipStream_tbEUlT_E0_NS1_11comp_targetILNS1_3genE9ELNS1_11target_archE1100ELNS1_3gpuE3ELNS1_3repE0EEENS1_30default_config_static_selectorELNS0_4arch9wavefront6targetE1EEEvSK_.private_seg_size, 0
	.set _ZN7rocprim17ROCPRIM_400000_NS6detail17trampoline_kernelINS0_14default_configENS1_22reduce_config_selectorIsEEZNS1_11reduce_implILb1ES3_N6thrust23THRUST_200600_302600_NS17counting_iteratorIsNS8_11hip_rocprim3tagENS8_11use_defaultESC_EEPssNS8_4plusIsEEEE10hipError_tPvRmT1_T2_T3_mT4_P12ihipStream_tbEUlT_E0_NS1_11comp_targetILNS1_3genE9ELNS1_11target_archE1100ELNS1_3gpuE3ELNS1_3repE0EEENS1_30default_config_static_selectorELNS0_4arch9wavefront6targetE1EEEvSK_.uses_vcc, 0
	.set _ZN7rocprim17ROCPRIM_400000_NS6detail17trampoline_kernelINS0_14default_configENS1_22reduce_config_selectorIsEEZNS1_11reduce_implILb1ES3_N6thrust23THRUST_200600_302600_NS17counting_iteratorIsNS8_11hip_rocprim3tagENS8_11use_defaultESC_EEPssNS8_4plusIsEEEE10hipError_tPvRmT1_T2_T3_mT4_P12ihipStream_tbEUlT_E0_NS1_11comp_targetILNS1_3genE9ELNS1_11target_archE1100ELNS1_3gpuE3ELNS1_3repE0EEENS1_30default_config_static_selectorELNS0_4arch9wavefront6targetE1EEEvSK_.uses_flat_scratch, 0
	.set _ZN7rocprim17ROCPRIM_400000_NS6detail17trampoline_kernelINS0_14default_configENS1_22reduce_config_selectorIsEEZNS1_11reduce_implILb1ES3_N6thrust23THRUST_200600_302600_NS17counting_iteratorIsNS8_11hip_rocprim3tagENS8_11use_defaultESC_EEPssNS8_4plusIsEEEE10hipError_tPvRmT1_T2_T3_mT4_P12ihipStream_tbEUlT_E0_NS1_11comp_targetILNS1_3genE9ELNS1_11target_archE1100ELNS1_3gpuE3ELNS1_3repE0EEENS1_30default_config_static_selectorELNS0_4arch9wavefront6targetE1EEEvSK_.has_dyn_sized_stack, 0
	.set _ZN7rocprim17ROCPRIM_400000_NS6detail17trampoline_kernelINS0_14default_configENS1_22reduce_config_selectorIsEEZNS1_11reduce_implILb1ES3_N6thrust23THRUST_200600_302600_NS17counting_iteratorIsNS8_11hip_rocprim3tagENS8_11use_defaultESC_EEPssNS8_4plusIsEEEE10hipError_tPvRmT1_T2_T3_mT4_P12ihipStream_tbEUlT_E0_NS1_11comp_targetILNS1_3genE9ELNS1_11target_archE1100ELNS1_3gpuE3ELNS1_3repE0EEENS1_30default_config_static_selectorELNS0_4arch9wavefront6targetE1EEEvSK_.has_recursion, 0
	.set _ZN7rocprim17ROCPRIM_400000_NS6detail17trampoline_kernelINS0_14default_configENS1_22reduce_config_selectorIsEEZNS1_11reduce_implILb1ES3_N6thrust23THRUST_200600_302600_NS17counting_iteratorIsNS8_11hip_rocprim3tagENS8_11use_defaultESC_EEPssNS8_4plusIsEEEE10hipError_tPvRmT1_T2_T3_mT4_P12ihipStream_tbEUlT_E0_NS1_11comp_targetILNS1_3genE9ELNS1_11target_archE1100ELNS1_3gpuE3ELNS1_3repE0EEENS1_30default_config_static_selectorELNS0_4arch9wavefront6targetE1EEEvSK_.has_indirect_call, 0
	.section	.AMDGPU.csdata,"",@progbits
; Kernel info:
; codeLenInByte = 0
; TotalNumSgprs: 6
; NumVgprs: 0
; NumAgprs: 0
; TotalNumVgprs: 0
; ScratchSize: 0
; MemoryBound: 0
; FloatMode: 240
; IeeeMode: 1
; LDSByteSize: 0 bytes/workgroup (compile time only)
; SGPRBlocks: 0
; VGPRBlocks: 0
; NumSGPRsForWavesPerEU: 6
; NumVGPRsForWavesPerEU: 1
; AccumOffset: 4
; Occupancy: 8
; WaveLimiterHint : 0
; COMPUTE_PGM_RSRC2:SCRATCH_EN: 0
; COMPUTE_PGM_RSRC2:USER_SGPR: 2
; COMPUTE_PGM_RSRC2:TRAP_HANDLER: 0
; COMPUTE_PGM_RSRC2:TGID_X_EN: 1
; COMPUTE_PGM_RSRC2:TGID_Y_EN: 0
; COMPUTE_PGM_RSRC2:TGID_Z_EN: 0
; COMPUTE_PGM_RSRC2:TIDIG_COMP_CNT: 0
; COMPUTE_PGM_RSRC3_GFX90A:ACCUM_OFFSET: 0
; COMPUTE_PGM_RSRC3_GFX90A:TG_SPLIT: 0
	.section	.text._ZN7rocprim17ROCPRIM_400000_NS6detail17trampoline_kernelINS0_14default_configENS1_22reduce_config_selectorIsEEZNS1_11reduce_implILb1ES3_N6thrust23THRUST_200600_302600_NS17counting_iteratorIsNS8_11hip_rocprim3tagENS8_11use_defaultESC_EEPssNS8_4plusIsEEEE10hipError_tPvRmT1_T2_T3_mT4_P12ihipStream_tbEUlT_E0_NS1_11comp_targetILNS1_3genE8ELNS1_11target_archE1030ELNS1_3gpuE2ELNS1_3repE0EEENS1_30default_config_static_selectorELNS0_4arch9wavefront6targetE1EEEvSK_,"axG",@progbits,_ZN7rocprim17ROCPRIM_400000_NS6detail17trampoline_kernelINS0_14default_configENS1_22reduce_config_selectorIsEEZNS1_11reduce_implILb1ES3_N6thrust23THRUST_200600_302600_NS17counting_iteratorIsNS8_11hip_rocprim3tagENS8_11use_defaultESC_EEPssNS8_4plusIsEEEE10hipError_tPvRmT1_T2_T3_mT4_P12ihipStream_tbEUlT_E0_NS1_11comp_targetILNS1_3genE8ELNS1_11target_archE1030ELNS1_3gpuE2ELNS1_3repE0EEENS1_30default_config_static_selectorELNS0_4arch9wavefront6targetE1EEEvSK_,comdat
	.protected	_ZN7rocprim17ROCPRIM_400000_NS6detail17trampoline_kernelINS0_14default_configENS1_22reduce_config_selectorIsEEZNS1_11reduce_implILb1ES3_N6thrust23THRUST_200600_302600_NS17counting_iteratorIsNS8_11hip_rocprim3tagENS8_11use_defaultESC_EEPssNS8_4plusIsEEEE10hipError_tPvRmT1_T2_T3_mT4_P12ihipStream_tbEUlT_E0_NS1_11comp_targetILNS1_3genE8ELNS1_11target_archE1030ELNS1_3gpuE2ELNS1_3repE0EEENS1_30default_config_static_selectorELNS0_4arch9wavefront6targetE1EEEvSK_ ; -- Begin function _ZN7rocprim17ROCPRIM_400000_NS6detail17trampoline_kernelINS0_14default_configENS1_22reduce_config_selectorIsEEZNS1_11reduce_implILb1ES3_N6thrust23THRUST_200600_302600_NS17counting_iteratorIsNS8_11hip_rocprim3tagENS8_11use_defaultESC_EEPssNS8_4plusIsEEEE10hipError_tPvRmT1_T2_T3_mT4_P12ihipStream_tbEUlT_E0_NS1_11comp_targetILNS1_3genE8ELNS1_11target_archE1030ELNS1_3gpuE2ELNS1_3repE0EEENS1_30default_config_static_selectorELNS0_4arch9wavefront6targetE1EEEvSK_
	.globl	_ZN7rocprim17ROCPRIM_400000_NS6detail17trampoline_kernelINS0_14default_configENS1_22reduce_config_selectorIsEEZNS1_11reduce_implILb1ES3_N6thrust23THRUST_200600_302600_NS17counting_iteratorIsNS8_11hip_rocprim3tagENS8_11use_defaultESC_EEPssNS8_4plusIsEEEE10hipError_tPvRmT1_T2_T3_mT4_P12ihipStream_tbEUlT_E0_NS1_11comp_targetILNS1_3genE8ELNS1_11target_archE1030ELNS1_3gpuE2ELNS1_3repE0EEENS1_30default_config_static_selectorELNS0_4arch9wavefront6targetE1EEEvSK_
	.p2align	8
	.type	_ZN7rocprim17ROCPRIM_400000_NS6detail17trampoline_kernelINS0_14default_configENS1_22reduce_config_selectorIsEEZNS1_11reduce_implILb1ES3_N6thrust23THRUST_200600_302600_NS17counting_iteratorIsNS8_11hip_rocprim3tagENS8_11use_defaultESC_EEPssNS8_4plusIsEEEE10hipError_tPvRmT1_T2_T3_mT4_P12ihipStream_tbEUlT_E0_NS1_11comp_targetILNS1_3genE8ELNS1_11target_archE1030ELNS1_3gpuE2ELNS1_3repE0EEENS1_30default_config_static_selectorELNS0_4arch9wavefront6targetE1EEEvSK_,@function
_ZN7rocprim17ROCPRIM_400000_NS6detail17trampoline_kernelINS0_14default_configENS1_22reduce_config_selectorIsEEZNS1_11reduce_implILb1ES3_N6thrust23THRUST_200600_302600_NS17counting_iteratorIsNS8_11hip_rocprim3tagENS8_11use_defaultESC_EEPssNS8_4plusIsEEEE10hipError_tPvRmT1_T2_T3_mT4_P12ihipStream_tbEUlT_E0_NS1_11comp_targetILNS1_3genE8ELNS1_11target_archE1030ELNS1_3gpuE2ELNS1_3repE0EEENS1_30default_config_static_selectorELNS0_4arch9wavefront6targetE1EEEvSK_: ; @_ZN7rocprim17ROCPRIM_400000_NS6detail17trampoline_kernelINS0_14default_configENS1_22reduce_config_selectorIsEEZNS1_11reduce_implILb1ES3_N6thrust23THRUST_200600_302600_NS17counting_iteratorIsNS8_11hip_rocprim3tagENS8_11use_defaultESC_EEPssNS8_4plusIsEEEE10hipError_tPvRmT1_T2_T3_mT4_P12ihipStream_tbEUlT_E0_NS1_11comp_targetILNS1_3genE8ELNS1_11target_archE1030ELNS1_3gpuE2ELNS1_3repE0EEENS1_30default_config_static_selectorELNS0_4arch9wavefront6targetE1EEEvSK_
; %bb.0:
	.section	.rodata,"a",@progbits
	.p2align	6, 0x0
	.amdhsa_kernel _ZN7rocprim17ROCPRIM_400000_NS6detail17trampoline_kernelINS0_14default_configENS1_22reduce_config_selectorIsEEZNS1_11reduce_implILb1ES3_N6thrust23THRUST_200600_302600_NS17counting_iteratorIsNS8_11hip_rocprim3tagENS8_11use_defaultESC_EEPssNS8_4plusIsEEEE10hipError_tPvRmT1_T2_T3_mT4_P12ihipStream_tbEUlT_E0_NS1_11comp_targetILNS1_3genE8ELNS1_11target_archE1030ELNS1_3gpuE2ELNS1_3repE0EEENS1_30default_config_static_selectorELNS0_4arch9wavefront6targetE1EEEvSK_
		.amdhsa_group_segment_fixed_size 0
		.amdhsa_private_segment_fixed_size 0
		.amdhsa_kernarg_size 56
		.amdhsa_user_sgpr_count 2
		.amdhsa_user_sgpr_dispatch_ptr 0
		.amdhsa_user_sgpr_queue_ptr 0
		.amdhsa_user_sgpr_kernarg_segment_ptr 1
		.amdhsa_user_sgpr_dispatch_id 0
		.amdhsa_user_sgpr_kernarg_preload_length 0
		.amdhsa_user_sgpr_kernarg_preload_offset 0
		.amdhsa_user_sgpr_private_segment_size 0
		.amdhsa_uses_dynamic_stack 0
		.amdhsa_enable_private_segment 0
		.amdhsa_system_sgpr_workgroup_id_x 1
		.amdhsa_system_sgpr_workgroup_id_y 0
		.amdhsa_system_sgpr_workgroup_id_z 0
		.amdhsa_system_sgpr_workgroup_info 0
		.amdhsa_system_vgpr_workitem_id 0
		.amdhsa_next_free_vgpr 1
		.amdhsa_next_free_sgpr 0
		.amdhsa_accum_offset 4
		.amdhsa_reserve_vcc 0
		.amdhsa_float_round_mode_32 0
		.amdhsa_float_round_mode_16_64 0
		.amdhsa_float_denorm_mode_32 3
		.amdhsa_float_denorm_mode_16_64 3
		.amdhsa_dx10_clamp 1
		.amdhsa_ieee_mode 1
		.amdhsa_fp16_overflow 0
		.amdhsa_tg_split 0
		.amdhsa_exception_fp_ieee_invalid_op 0
		.amdhsa_exception_fp_denorm_src 0
		.amdhsa_exception_fp_ieee_div_zero 0
		.amdhsa_exception_fp_ieee_overflow 0
		.amdhsa_exception_fp_ieee_underflow 0
		.amdhsa_exception_fp_ieee_inexact 0
		.amdhsa_exception_int_div_zero 0
	.end_amdhsa_kernel
	.section	.text._ZN7rocprim17ROCPRIM_400000_NS6detail17trampoline_kernelINS0_14default_configENS1_22reduce_config_selectorIsEEZNS1_11reduce_implILb1ES3_N6thrust23THRUST_200600_302600_NS17counting_iteratorIsNS8_11hip_rocprim3tagENS8_11use_defaultESC_EEPssNS8_4plusIsEEEE10hipError_tPvRmT1_T2_T3_mT4_P12ihipStream_tbEUlT_E0_NS1_11comp_targetILNS1_3genE8ELNS1_11target_archE1030ELNS1_3gpuE2ELNS1_3repE0EEENS1_30default_config_static_selectorELNS0_4arch9wavefront6targetE1EEEvSK_,"axG",@progbits,_ZN7rocprim17ROCPRIM_400000_NS6detail17trampoline_kernelINS0_14default_configENS1_22reduce_config_selectorIsEEZNS1_11reduce_implILb1ES3_N6thrust23THRUST_200600_302600_NS17counting_iteratorIsNS8_11hip_rocprim3tagENS8_11use_defaultESC_EEPssNS8_4plusIsEEEE10hipError_tPvRmT1_T2_T3_mT4_P12ihipStream_tbEUlT_E0_NS1_11comp_targetILNS1_3genE8ELNS1_11target_archE1030ELNS1_3gpuE2ELNS1_3repE0EEENS1_30default_config_static_selectorELNS0_4arch9wavefront6targetE1EEEvSK_,comdat
.Lfunc_end1117:
	.size	_ZN7rocprim17ROCPRIM_400000_NS6detail17trampoline_kernelINS0_14default_configENS1_22reduce_config_selectorIsEEZNS1_11reduce_implILb1ES3_N6thrust23THRUST_200600_302600_NS17counting_iteratorIsNS8_11hip_rocprim3tagENS8_11use_defaultESC_EEPssNS8_4plusIsEEEE10hipError_tPvRmT1_T2_T3_mT4_P12ihipStream_tbEUlT_E0_NS1_11comp_targetILNS1_3genE8ELNS1_11target_archE1030ELNS1_3gpuE2ELNS1_3repE0EEENS1_30default_config_static_selectorELNS0_4arch9wavefront6targetE1EEEvSK_, .Lfunc_end1117-_ZN7rocprim17ROCPRIM_400000_NS6detail17trampoline_kernelINS0_14default_configENS1_22reduce_config_selectorIsEEZNS1_11reduce_implILb1ES3_N6thrust23THRUST_200600_302600_NS17counting_iteratorIsNS8_11hip_rocprim3tagENS8_11use_defaultESC_EEPssNS8_4plusIsEEEE10hipError_tPvRmT1_T2_T3_mT4_P12ihipStream_tbEUlT_E0_NS1_11comp_targetILNS1_3genE8ELNS1_11target_archE1030ELNS1_3gpuE2ELNS1_3repE0EEENS1_30default_config_static_selectorELNS0_4arch9wavefront6targetE1EEEvSK_
                                        ; -- End function
	.set _ZN7rocprim17ROCPRIM_400000_NS6detail17trampoline_kernelINS0_14default_configENS1_22reduce_config_selectorIsEEZNS1_11reduce_implILb1ES3_N6thrust23THRUST_200600_302600_NS17counting_iteratorIsNS8_11hip_rocprim3tagENS8_11use_defaultESC_EEPssNS8_4plusIsEEEE10hipError_tPvRmT1_T2_T3_mT4_P12ihipStream_tbEUlT_E0_NS1_11comp_targetILNS1_3genE8ELNS1_11target_archE1030ELNS1_3gpuE2ELNS1_3repE0EEENS1_30default_config_static_selectorELNS0_4arch9wavefront6targetE1EEEvSK_.num_vgpr, 0
	.set _ZN7rocprim17ROCPRIM_400000_NS6detail17trampoline_kernelINS0_14default_configENS1_22reduce_config_selectorIsEEZNS1_11reduce_implILb1ES3_N6thrust23THRUST_200600_302600_NS17counting_iteratorIsNS8_11hip_rocprim3tagENS8_11use_defaultESC_EEPssNS8_4plusIsEEEE10hipError_tPvRmT1_T2_T3_mT4_P12ihipStream_tbEUlT_E0_NS1_11comp_targetILNS1_3genE8ELNS1_11target_archE1030ELNS1_3gpuE2ELNS1_3repE0EEENS1_30default_config_static_selectorELNS0_4arch9wavefront6targetE1EEEvSK_.num_agpr, 0
	.set _ZN7rocprim17ROCPRIM_400000_NS6detail17trampoline_kernelINS0_14default_configENS1_22reduce_config_selectorIsEEZNS1_11reduce_implILb1ES3_N6thrust23THRUST_200600_302600_NS17counting_iteratorIsNS8_11hip_rocprim3tagENS8_11use_defaultESC_EEPssNS8_4plusIsEEEE10hipError_tPvRmT1_T2_T3_mT4_P12ihipStream_tbEUlT_E0_NS1_11comp_targetILNS1_3genE8ELNS1_11target_archE1030ELNS1_3gpuE2ELNS1_3repE0EEENS1_30default_config_static_selectorELNS0_4arch9wavefront6targetE1EEEvSK_.numbered_sgpr, 0
	.set _ZN7rocprim17ROCPRIM_400000_NS6detail17trampoline_kernelINS0_14default_configENS1_22reduce_config_selectorIsEEZNS1_11reduce_implILb1ES3_N6thrust23THRUST_200600_302600_NS17counting_iteratorIsNS8_11hip_rocprim3tagENS8_11use_defaultESC_EEPssNS8_4plusIsEEEE10hipError_tPvRmT1_T2_T3_mT4_P12ihipStream_tbEUlT_E0_NS1_11comp_targetILNS1_3genE8ELNS1_11target_archE1030ELNS1_3gpuE2ELNS1_3repE0EEENS1_30default_config_static_selectorELNS0_4arch9wavefront6targetE1EEEvSK_.num_named_barrier, 0
	.set _ZN7rocprim17ROCPRIM_400000_NS6detail17trampoline_kernelINS0_14default_configENS1_22reduce_config_selectorIsEEZNS1_11reduce_implILb1ES3_N6thrust23THRUST_200600_302600_NS17counting_iteratorIsNS8_11hip_rocprim3tagENS8_11use_defaultESC_EEPssNS8_4plusIsEEEE10hipError_tPvRmT1_T2_T3_mT4_P12ihipStream_tbEUlT_E0_NS1_11comp_targetILNS1_3genE8ELNS1_11target_archE1030ELNS1_3gpuE2ELNS1_3repE0EEENS1_30default_config_static_selectorELNS0_4arch9wavefront6targetE1EEEvSK_.private_seg_size, 0
	.set _ZN7rocprim17ROCPRIM_400000_NS6detail17trampoline_kernelINS0_14default_configENS1_22reduce_config_selectorIsEEZNS1_11reduce_implILb1ES3_N6thrust23THRUST_200600_302600_NS17counting_iteratorIsNS8_11hip_rocprim3tagENS8_11use_defaultESC_EEPssNS8_4plusIsEEEE10hipError_tPvRmT1_T2_T3_mT4_P12ihipStream_tbEUlT_E0_NS1_11comp_targetILNS1_3genE8ELNS1_11target_archE1030ELNS1_3gpuE2ELNS1_3repE0EEENS1_30default_config_static_selectorELNS0_4arch9wavefront6targetE1EEEvSK_.uses_vcc, 0
	.set _ZN7rocprim17ROCPRIM_400000_NS6detail17trampoline_kernelINS0_14default_configENS1_22reduce_config_selectorIsEEZNS1_11reduce_implILb1ES3_N6thrust23THRUST_200600_302600_NS17counting_iteratorIsNS8_11hip_rocprim3tagENS8_11use_defaultESC_EEPssNS8_4plusIsEEEE10hipError_tPvRmT1_T2_T3_mT4_P12ihipStream_tbEUlT_E0_NS1_11comp_targetILNS1_3genE8ELNS1_11target_archE1030ELNS1_3gpuE2ELNS1_3repE0EEENS1_30default_config_static_selectorELNS0_4arch9wavefront6targetE1EEEvSK_.uses_flat_scratch, 0
	.set _ZN7rocprim17ROCPRIM_400000_NS6detail17trampoline_kernelINS0_14default_configENS1_22reduce_config_selectorIsEEZNS1_11reduce_implILb1ES3_N6thrust23THRUST_200600_302600_NS17counting_iteratorIsNS8_11hip_rocprim3tagENS8_11use_defaultESC_EEPssNS8_4plusIsEEEE10hipError_tPvRmT1_T2_T3_mT4_P12ihipStream_tbEUlT_E0_NS1_11comp_targetILNS1_3genE8ELNS1_11target_archE1030ELNS1_3gpuE2ELNS1_3repE0EEENS1_30default_config_static_selectorELNS0_4arch9wavefront6targetE1EEEvSK_.has_dyn_sized_stack, 0
	.set _ZN7rocprim17ROCPRIM_400000_NS6detail17trampoline_kernelINS0_14default_configENS1_22reduce_config_selectorIsEEZNS1_11reduce_implILb1ES3_N6thrust23THRUST_200600_302600_NS17counting_iteratorIsNS8_11hip_rocprim3tagENS8_11use_defaultESC_EEPssNS8_4plusIsEEEE10hipError_tPvRmT1_T2_T3_mT4_P12ihipStream_tbEUlT_E0_NS1_11comp_targetILNS1_3genE8ELNS1_11target_archE1030ELNS1_3gpuE2ELNS1_3repE0EEENS1_30default_config_static_selectorELNS0_4arch9wavefront6targetE1EEEvSK_.has_recursion, 0
	.set _ZN7rocprim17ROCPRIM_400000_NS6detail17trampoline_kernelINS0_14default_configENS1_22reduce_config_selectorIsEEZNS1_11reduce_implILb1ES3_N6thrust23THRUST_200600_302600_NS17counting_iteratorIsNS8_11hip_rocprim3tagENS8_11use_defaultESC_EEPssNS8_4plusIsEEEE10hipError_tPvRmT1_T2_T3_mT4_P12ihipStream_tbEUlT_E0_NS1_11comp_targetILNS1_3genE8ELNS1_11target_archE1030ELNS1_3gpuE2ELNS1_3repE0EEENS1_30default_config_static_selectorELNS0_4arch9wavefront6targetE1EEEvSK_.has_indirect_call, 0
	.section	.AMDGPU.csdata,"",@progbits
; Kernel info:
; codeLenInByte = 0
; TotalNumSgprs: 6
; NumVgprs: 0
; NumAgprs: 0
; TotalNumVgprs: 0
; ScratchSize: 0
; MemoryBound: 0
; FloatMode: 240
; IeeeMode: 1
; LDSByteSize: 0 bytes/workgroup (compile time only)
; SGPRBlocks: 0
; VGPRBlocks: 0
; NumSGPRsForWavesPerEU: 6
; NumVGPRsForWavesPerEU: 1
; AccumOffset: 4
; Occupancy: 8
; WaveLimiterHint : 0
; COMPUTE_PGM_RSRC2:SCRATCH_EN: 0
; COMPUTE_PGM_RSRC2:USER_SGPR: 2
; COMPUTE_PGM_RSRC2:TRAP_HANDLER: 0
; COMPUTE_PGM_RSRC2:TGID_X_EN: 1
; COMPUTE_PGM_RSRC2:TGID_Y_EN: 0
; COMPUTE_PGM_RSRC2:TGID_Z_EN: 0
; COMPUTE_PGM_RSRC2:TIDIG_COMP_CNT: 0
; COMPUTE_PGM_RSRC3_GFX90A:ACCUM_OFFSET: 0
; COMPUTE_PGM_RSRC3_GFX90A:TG_SPLIT: 0
	.section	.text._ZN7rocprim17ROCPRIM_400000_NS6detail17trampoline_kernelINS0_14default_configENS1_22reduce_config_selectorIsEEZNS1_11reduce_implILb1ES3_N6thrust23THRUST_200600_302600_NS17counting_iteratorIsNS8_11hip_rocprim3tagENS8_11use_defaultESC_EEPssNS8_4plusIsEEEE10hipError_tPvRmT1_T2_T3_mT4_P12ihipStream_tbEUlT_E1_NS1_11comp_targetILNS1_3genE0ELNS1_11target_archE4294967295ELNS1_3gpuE0ELNS1_3repE0EEENS1_30default_config_static_selectorELNS0_4arch9wavefront6targetE1EEEvSK_,"axG",@progbits,_ZN7rocprim17ROCPRIM_400000_NS6detail17trampoline_kernelINS0_14default_configENS1_22reduce_config_selectorIsEEZNS1_11reduce_implILb1ES3_N6thrust23THRUST_200600_302600_NS17counting_iteratorIsNS8_11hip_rocprim3tagENS8_11use_defaultESC_EEPssNS8_4plusIsEEEE10hipError_tPvRmT1_T2_T3_mT4_P12ihipStream_tbEUlT_E1_NS1_11comp_targetILNS1_3genE0ELNS1_11target_archE4294967295ELNS1_3gpuE0ELNS1_3repE0EEENS1_30default_config_static_selectorELNS0_4arch9wavefront6targetE1EEEvSK_,comdat
	.protected	_ZN7rocprim17ROCPRIM_400000_NS6detail17trampoline_kernelINS0_14default_configENS1_22reduce_config_selectorIsEEZNS1_11reduce_implILb1ES3_N6thrust23THRUST_200600_302600_NS17counting_iteratorIsNS8_11hip_rocprim3tagENS8_11use_defaultESC_EEPssNS8_4plusIsEEEE10hipError_tPvRmT1_T2_T3_mT4_P12ihipStream_tbEUlT_E1_NS1_11comp_targetILNS1_3genE0ELNS1_11target_archE4294967295ELNS1_3gpuE0ELNS1_3repE0EEENS1_30default_config_static_selectorELNS0_4arch9wavefront6targetE1EEEvSK_ ; -- Begin function _ZN7rocprim17ROCPRIM_400000_NS6detail17trampoline_kernelINS0_14default_configENS1_22reduce_config_selectorIsEEZNS1_11reduce_implILb1ES3_N6thrust23THRUST_200600_302600_NS17counting_iteratorIsNS8_11hip_rocprim3tagENS8_11use_defaultESC_EEPssNS8_4plusIsEEEE10hipError_tPvRmT1_T2_T3_mT4_P12ihipStream_tbEUlT_E1_NS1_11comp_targetILNS1_3genE0ELNS1_11target_archE4294967295ELNS1_3gpuE0ELNS1_3repE0EEENS1_30default_config_static_selectorELNS0_4arch9wavefront6targetE1EEEvSK_
	.globl	_ZN7rocprim17ROCPRIM_400000_NS6detail17trampoline_kernelINS0_14default_configENS1_22reduce_config_selectorIsEEZNS1_11reduce_implILb1ES3_N6thrust23THRUST_200600_302600_NS17counting_iteratorIsNS8_11hip_rocprim3tagENS8_11use_defaultESC_EEPssNS8_4plusIsEEEE10hipError_tPvRmT1_T2_T3_mT4_P12ihipStream_tbEUlT_E1_NS1_11comp_targetILNS1_3genE0ELNS1_11target_archE4294967295ELNS1_3gpuE0ELNS1_3repE0EEENS1_30default_config_static_selectorELNS0_4arch9wavefront6targetE1EEEvSK_
	.p2align	8
	.type	_ZN7rocprim17ROCPRIM_400000_NS6detail17trampoline_kernelINS0_14default_configENS1_22reduce_config_selectorIsEEZNS1_11reduce_implILb1ES3_N6thrust23THRUST_200600_302600_NS17counting_iteratorIsNS8_11hip_rocprim3tagENS8_11use_defaultESC_EEPssNS8_4plusIsEEEE10hipError_tPvRmT1_T2_T3_mT4_P12ihipStream_tbEUlT_E1_NS1_11comp_targetILNS1_3genE0ELNS1_11target_archE4294967295ELNS1_3gpuE0ELNS1_3repE0EEENS1_30default_config_static_selectorELNS0_4arch9wavefront6targetE1EEEvSK_,@function
_ZN7rocprim17ROCPRIM_400000_NS6detail17trampoline_kernelINS0_14default_configENS1_22reduce_config_selectorIsEEZNS1_11reduce_implILb1ES3_N6thrust23THRUST_200600_302600_NS17counting_iteratorIsNS8_11hip_rocprim3tagENS8_11use_defaultESC_EEPssNS8_4plusIsEEEE10hipError_tPvRmT1_T2_T3_mT4_P12ihipStream_tbEUlT_E1_NS1_11comp_targetILNS1_3genE0ELNS1_11target_archE4294967295ELNS1_3gpuE0ELNS1_3repE0EEENS1_30default_config_static_selectorELNS0_4arch9wavefront6targetE1EEEvSK_: ; @_ZN7rocprim17ROCPRIM_400000_NS6detail17trampoline_kernelINS0_14default_configENS1_22reduce_config_selectorIsEEZNS1_11reduce_implILb1ES3_N6thrust23THRUST_200600_302600_NS17counting_iteratorIsNS8_11hip_rocprim3tagENS8_11use_defaultESC_EEPssNS8_4plusIsEEEE10hipError_tPvRmT1_T2_T3_mT4_P12ihipStream_tbEUlT_E1_NS1_11comp_targetILNS1_3genE0ELNS1_11target_archE4294967295ELNS1_3gpuE0ELNS1_3repE0EEENS1_30default_config_static_selectorELNS0_4arch9wavefront6targetE1EEEvSK_
; %bb.0:
	s_load_dwordx2 s[96:97], s[0:1], 0x4
	s_load_dwordx4 s[92:95], s[0:1], 0x10
	s_waitcnt lgkmcnt(0)
	s_cmp_lt_i32 s96, 8
	s_cbranch_scc1 .LBB1118_12
; %bb.1:
	s_cmp_gt_i32 s96, 31
	s_cbranch_scc0 .LBB1118_13
; %bb.2:
	s_cmp_gt_i32 s96, 63
	s_cbranch_scc0 .LBB1118_22
; %bb.3:
	s_cmp_eq_u32 s96, 64
	s_mov_b64 s[98:99], 0
	s_cbranch_scc0 .LBB1118_23
; %bb.4:
	s_mov_b32 s3, 0
	s_lshr_b64 s[4:5], s[92:93], 13
	s_cmp_lg_u64 s[4:5], s[2:3]
	s_cbranch_scc0 .LBB1118_34
; %bb.5:
	v_add_u16_e32 v1, s97, v0
	v_lshlrev_b16_e32 v1, 6, v1
	v_add_u16_e32 v1, 0xf000, v1
	v_mbcnt_lo_u32_b32 v2, -1, 0
	v_mbcnt_hi_u32_b32 v2, -1, v2
	v_add_u16_dpp v1, v1, v1 quad_perm:[1,0,3,2] row_mask:0xf bank_mask:0xf bound_ctrl:1
	v_lshlrev_b32_e32 v3, 2, v2
	v_or_b32_e32 v4, 0xfc, v3
	v_add_u16_dpp v1, v1, v1 quad_perm:[2,3,0,1] row_mask:0xf bank_mask:0xf bound_ctrl:1
	v_cmp_eq_u32_e32 vcc, 0, v2
	s_nop 0
	v_add_u16_dpp v1, v1, v1 row_ror:4 row_mask:0xf bank_mask:0xf bound_ctrl:1
	s_nop 1
	v_add_u16_dpp v1, v1, v1 row_ror:8 row_mask:0xf bank_mask:0xf bound_ctrl:1
	s_nop 1
	v_add_u16_dpp v1, v1, v1 row_bcast:15 row_mask:0xf bank_mask:0xf bound_ctrl:1
	s_nop 1
	v_add_u16_dpp v1, v1, v1 row_bcast:31 row_mask:0xf bank_mask:0xf bound_ctrl:1
	ds_bpermute_b32 v1, v4, v1
	s_and_saveexec_b64 s[4:5], vcc
	s_cbranch_execz .LBB1118_7
; %bb.6:
	v_lshrrev_b32_e32 v4, 5, v0
	v_and_b32_e32 v4, 2, v4
	s_waitcnt lgkmcnt(0)
	ds_write_b16 v4, v1 offset:20
.LBB1118_7:
	s_or_b64 exec, exec, s[4:5]
	v_cmp_gt_u32_e32 vcc, 64, v0
	s_waitcnt lgkmcnt(0)
	s_barrier
	s_and_saveexec_b64 s[4:5], vcc
	s_cbranch_execz .LBB1118_9
; %bb.8:
	v_and_b32_e32 v1, 1, v2
	v_lshlrev_b32_e32 v1, 1, v1
	ds_read_u16 v1, v1 offset:20
	v_or_b32_e32 v2, 4, v3
	s_waitcnt lgkmcnt(0)
	v_and_b32_e32 v3, 0xffff, v1
	ds_bpermute_b32 v2, v2, v3
	s_waitcnt lgkmcnt(0)
	v_add_u16_e32 v1, v1, v2
.LBB1118_9:
	s_or_b64 exec, exec, s[4:5]
.LBB1118_10:
	v_cmp_eq_u32_e64 s[4:5], 0, v0
	s_and_b64 vcc, exec, s[98:99]
	s_cbranch_vccnz .LBB1118_24
.LBB1118_11:
	s_branch .LBB1118_64
.LBB1118_12:
	s_mov_b64 s[4:5], 0
                                        ; implicit-def: $vgpr1
	s_cbranch_execz .LBB1118_119
	s_branch .LBB1118_65
.LBB1118_13:
	s_mov_b64 s[4:5], 0
                                        ; implicit-def: $vgpr1
	s_cbranch_execz .LBB1118_64
; %bb.14:
	s_cmp_gt_i32 s96, 15
	s_cbranch_scc0 .LBB1118_31
; %bb.15:
	s_cmp_eq_u32 s96, 16
	s_cbranch_scc0 .LBB1118_32
; %bb.16:
	s_mov_b32 s3, 0
	s_lshl_b32 s6, s2, 11
	s_lshr_b64 s[4:5], s[92:93], 11
	s_cmp_lg_u64 s[4:5], s[2:3]
	s_cbranch_scc0 .LBB1118_40
; %bb.17:
	v_or_b32_e32 v1, s6, v0
	v_add_u16_e32 v1, s97, v1
	v_lshlrev_b16_e32 v1, 4, v1
	v_add_u16_e32 v1, 0x3c00, v1
	v_mbcnt_lo_u32_b32 v2, -1, 0
	v_mbcnt_hi_u32_b32 v2, -1, v2
	v_add_u16_dpp v1, v1, v1 quad_perm:[1,0,3,2] row_mask:0xf bank_mask:0xf bound_ctrl:1
	v_lshlrev_b32_e32 v3, 2, v2
	v_or_b32_e32 v4, 0xfc, v3
	v_add_u16_dpp v1, v1, v1 quad_perm:[2,3,0,1] row_mask:0xf bank_mask:0xf bound_ctrl:1
	v_cmp_eq_u32_e32 vcc, 0, v2
	s_nop 0
	v_add_u16_dpp v1, v1, v1 row_ror:4 row_mask:0xf bank_mask:0xf bound_ctrl:1
	s_nop 1
	v_add_u16_dpp v1, v1, v1 row_ror:8 row_mask:0xf bank_mask:0xf bound_ctrl:1
	s_nop 1
	v_add_u16_dpp v1, v1, v1 row_bcast:15 row_mask:0xf bank_mask:0xf bound_ctrl:1
	s_nop 1
	v_add_u16_dpp v1, v1, v1 row_bcast:31 row_mask:0xf bank_mask:0xf bound_ctrl:1
	ds_bpermute_b32 v1, v4, v1
	s_and_saveexec_b64 s[4:5], vcc
	s_cbranch_execz .LBB1118_19
; %bb.18:
	v_lshrrev_b32_e32 v4, 5, v0
	v_and_b32_e32 v4, 2, v4
	s_waitcnt lgkmcnt(0)
	ds_write_b16 v4, v1
.LBB1118_19:
	s_or_b64 exec, exec, s[4:5]
	v_cmp_gt_u32_e32 vcc, 64, v0
	s_waitcnt lgkmcnt(0)
	s_barrier
	s_and_saveexec_b64 s[4:5], vcc
	s_cbranch_execz .LBB1118_21
; %bb.20:
	v_and_b32_e32 v1, 1, v2
	v_lshlrev_b32_e32 v1, 1, v1
	ds_read_u16 v1, v1
	v_or_b32_e32 v2, 4, v3
	s_waitcnt lgkmcnt(0)
	v_and_b32_e32 v3, 0xffff, v1
	ds_bpermute_b32 v2, v2, v3
	s_waitcnt lgkmcnt(0)
	v_add_u16_e32 v1, v1, v2
.LBB1118_21:
	s_or_b64 exec, exec, s[4:5]
	s_mov_b64 s[4:5], 0
	s_branch .LBB1118_41
.LBB1118_22:
	s_mov_b64 s[98:99], -1
.LBB1118_23:
	s_mov_b64 s[4:5], 0
                                        ; implicit-def: $vgpr1
	s_and_b64 vcc, exec, s[98:99]
	s_cbranch_vccz .LBB1118_11
.LBB1118_24:
	s_cmp_eq_u32 s96, 32
	s_cbranch_scc0 .LBB1118_33
; %bb.25:
	s_mov_b32 s3, 0
	s_lshr_b64 s[4:5], s[92:93], 12
	s_cmp_lg_u64 s[4:5], s[2:3]
	s_cbranch_scc0 .LBB1118_56
; %bb.26:
	v_add_u16_e32 v1, s97, v0
	v_lshlrev_b16_e32 v1, 5, v1
	v_add_u16_e32 v1, 0xf800, v1
	v_mbcnt_lo_u32_b32 v2, -1, 0
	v_mbcnt_hi_u32_b32 v2, -1, v2
	v_add_u16_dpp v1, v1, v1 quad_perm:[1,0,3,2] row_mask:0xf bank_mask:0xf bound_ctrl:1
	v_lshlrev_b32_e32 v3, 2, v2
	v_or_b32_e32 v4, 0xfc, v3
	v_add_u16_dpp v1, v1, v1 quad_perm:[2,3,0,1] row_mask:0xf bank_mask:0xf bound_ctrl:1
	v_cmp_eq_u32_e32 vcc, 0, v2
	s_nop 0
	v_add_u16_dpp v1, v1, v1 row_ror:4 row_mask:0xf bank_mask:0xf bound_ctrl:1
	s_nop 1
	v_add_u16_dpp v1, v1, v1 row_ror:8 row_mask:0xf bank_mask:0xf bound_ctrl:1
	s_nop 1
	v_add_u16_dpp v1, v1, v1 row_bcast:15 row_mask:0xf bank_mask:0xf bound_ctrl:1
	s_nop 1
	v_add_u16_dpp v1, v1, v1 row_bcast:31 row_mask:0xf bank_mask:0xf bound_ctrl:1
	ds_bpermute_b32 v1, v4, v1
	s_and_saveexec_b64 s[4:5], vcc
	s_cbranch_execz .LBB1118_28
; %bb.27:
	v_lshrrev_b32_e32 v4, 5, v0
	v_and_b32_e32 v4, 2, v4
	s_waitcnt lgkmcnt(0)
	ds_write_b16 v4, v1 offset:12
.LBB1118_28:
	s_or_b64 exec, exec, s[4:5]
	v_cmp_gt_u32_e32 vcc, 64, v0
	s_waitcnt lgkmcnt(0)
	s_barrier
	s_and_saveexec_b64 s[4:5], vcc
	s_cbranch_execz .LBB1118_30
; %bb.29:
	v_and_b32_e32 v1, 1, v2
	v_lshlrev_b32_e32 v1, 1, v1
	ds_read_u16 v1, v1 offset:12
	v_or_b32_e32 v2, 4, v3
	s_waitcnt lgkmcnt(0)
	v_and_b32_e32 v3, 0xffff, v1
	ds_bpermute_b32 v2, v2, v3
	s_waitcnt lgkmcnt(0)
	v_add_u16_e32 v1, v1, v2
.LBB1118_30:
	s_or_b64 exec, exec, s[4:5]
	s_mov_b64 s[4:5], 0
	s_branch .LBB1118_57
.LBB1118_31:
                                        ; implicit-def: $vgpr1
	s_cbranch_execz .LBB1118_64
	s_branch .LBB1118_48
.LBB1118_32:
                                        ; implicit-def: $vgpr1
	s_branch .LBB1118_64
.LBB1118_33:
                                        ; implicit-def: $vgpr1
	s_branch .LBB1118_64
.LBB1118_34:
                                        ; implicit-def: $vgpr1
	s_cbranch_execz .LBB1118_10
; %bb.35:
	s_lshl_b32 s4, s2, 13
	s_sub_i32 s33, s92, s4
	s_add_i32 s10, s97, s4
	v_add_u16_e32 v1, s10, v0
	v_cmp_gt_u32_e32 vcc, s33, v0
	v_or_b32_e32 v2, 0x80, v0
	v_add_u16_e32 v3, s10, v2
	v_cndmask_b32_e32 v1, 0, v1, vcc
	s_mov_b32 s11, 0x5040100
	v_perm_b32 v3, v3, v1, s11
	v_cmp_gt_u32_e32 vcc, s33, v2
	v_or_b32_e32 v2, 0x100, v0
	v_cmp_gt_u32_e64 s[4:5], s33, v2
	v_cndmask_b32_e32 v1, v1, v3, vcc
	v_add_u16_e32 v3, s10, v2
	v_cndmask_b32_e64 v2, 0, v3, s[4:5]
	v_or_b32_e32 v3, 0x180, v0
	v_add_u16_e32 v4, s10, v3
	v_perm_b32 v4, v4, v2, s11
	v_cmp_gt_u32_e64 s[6:7], s33, v3
	v_or_b32_e32 v3, 0x200, v0
	v_cmp_gt_u32_e64 s[8:9], s33, v3
	v_cndmask_b32_e64 v2, v2, v4, s[6:7]
	v_add_u16_e32 v4, s10, v3
	v_cndmask_b32_e64 v3, 0, v4, s[8:9]
	v_or_b32_e32 v4, 0x280, v0
	v_add_u16_e32 v5, s10, v4
	v_perm_b32 v5, v5, v3, s11
	v_cmp_gt_u32_e64 s[78:79], s33, v4
	v_or_b32_e32 v4, 0x300, v0
	v_cmp_gt_u32_e64 s[12:13], s33, v4
	v_cndmask_b32_e64 v3, v3, v5, s[78:79]
	;; [unrolled: 9-line block ×7, first 2 shown]
	v_add_u16_e32 v10, s10, v9
	v_or_b32_e32 v33, 0x1000, v0
	v_cndmask_b32_e64 v9, 0, v10, s[34:35]
	v_or_b32_e32 v10, 0x880, v0
	v_or_b32_e32 v12, 0x900, v0
	;; [unrolled: 1-line block ×4, first 2 shown]
	v_add_u16_e32 v34, s10, v33
	v_cmp_gt_u32_e64 s[52:53], s33, v33
	v_or_b32_e32 v36, 0x1100, v0
	v_add_u16_e32 v11, s10, v10
	v_add_u16_e32 v13, s10, v12
	v_cmp_gt_u32_e64 s[36:37], s33, v12
	v_or_b32_e32 v15, 0xa00, v0
	v_add_u16_e32 v19, s10, v18
	v_cmp_gt_u32_e64 s[40:41], s33, v18
	v_add_u16_e32 v22, s10, v21
	v_cmp_gt_u32_e64 s[42:43], s33, v21
	v_cndmask_b32_e64 v33, 0, v34, s[52:53]
	v_or_b32_e32 v34, 0x1080, v0
	v_add_u16_e32 v37, s10, v36
	v_cmp_gt_u32_e64 s[56:57], s33, v36
	v_perm_b32 v11, v11, v9, s11
	v_cndmask_b32_e64 v12, 0, v13, s[36:37]
	v_or_b32_e32 v13, 0x980, v0
	v_add_u16_e32 v16, s10, v15
	v_cmp_gt_u32_e64 s[38:39], s33, v15
	v_cndmask_b32_e64 v18, 0, v19, s[40:41]
	v_or_b32_e32 v19, 0xb80, v0
	v_cndmask_b32_e64 v21, 0, v22, s[42:43]
	v_or_b32_e32 v22, 0xc80, v0
	v_add_u16_e32 v35, s10, v34
	v_cndmask_b32_e64 v36, 0, v37, s[56:57]
	v_or_b32_e32 v37, 0x1180, v0
	v_or_b32_e32 v39, 0x1200, v0
	v_cmp_gt_u32_e64 s[68:69], s33, v10
	v_add_u16_e32 v14, s10, v13
	v_cndmask_b32_e64 v15, 0, v16, s[38:39]
	v_or_b32_e32 v16, 0xa80, v0
	v_add_u16_e32 v20, s10, v19
	v_add_u16_e32 v23, s10, v22
	v_perm_b32 v35, v35, v33, s11
	v_add_u16_e32 v38, s10, v37
	v_add_u16_e32 v40, s10, v39
	v_cmp_gt_u32_e64 s[62:63], s33, v39
	v_cndmask_b32_e64 v9, v9, v11, s[68:69]
	v_cmp_gt_u32_e64 s[84:85], s33, v34
	v_perm_b32 v14, v14, v12, s11
	v_add_u16_e32 v17, s10, v16
	v_perm_b32 v20, v20, v18, s11
	v_perm_b32 v23, v23, v21, s11
	v_or_b32_e32 v24, 0xd00, v0
	v_perm_b32 v38, v38, v36, s11
	v_cndmask_b32_e64 v39, 0, v40, s[62:63]
	v_or_b32_e32 v40, 0x1280, v0
	v_or_b32_e32 v42, 0x1300, v0
	v_cmp_gt_u32_e64 s[70:71], s33, v13
	v_cmp_gt_u32_e64 s[74:75], s33, v19
	;; [unrolled: 1-line block ×3, first 2 shown]
	v_cndmask_b32_e64 v22, v33, v35, s[84:85]
	v_cmp_gt_u32_e64 s[86:87], s33, v37
	v_cndmask_b32_e64 v33, 0, v9, s[34:35]
	v_or_b32_e32 v35, 0x1900, v0
	v_lshrrev_b32_e32 v9, 16, v9
	v_perm_b32 v17, v17, v15, s11
	v_add_u16_e32 v25, s10, v24
	v_cmp_gt_u32_e64 s[44:45], s33, v24
	v_add_u16_e32 v41, s10, v40
	v_add_u16_e32 v43, s10, v42
	v_cmp_gt_u32_e64 s[66:67], s33, v42
	v_cndmask_b32_e64 v11, v12, v14, s[70:71]
	v_cmp_gt_u32_e64 s[72:73], s33, v16
	v_cndmask_b32_e64 v14, v18, v20, s[74:75]
	v_cndmask_b32_e64 v16, v21, v23, s[76:77]
	;; [unrolled: 1-line block ×3, first 2 shown]
	v_lshrrev_b32_e32 v4, 16, v4
	v_cndmask_b32_e64 v23, v36, v38, s[86:87]
	v_add_u16_e32 v36, s10, v35
	v_cndmask_b32_e64 v9, 0, v9, s[68:69]
	v_cmp_gt_u32_e64 s[68:69], s33, v35
	v_or_b32_e32 v35, 0x1980, v0
	v_cndmask_b32_e64 v24, 0, v25, s[44:45]
	v_or_b32_e32 v25, 0xd80, v0
	v_or_b32_e32 v27, 0xe00, v0
	v_perm_b32 v41, v41, v39, s11
	v_cndmask_b32_e64 v42, 0, v43, s[66:67]
	v_or_b32_e32 v43, 0x1380, v0
	v_or_b32_e32 v45, 0x1400, v0
	v_cndmask_b32_e64 v13, v15, v17, s[72:73]
	v_cndmask_b32_e64 v15, 0, v3, s[8:9]
	v_lshrrev_b32_e32 v3, 16, v3
	v_cndmask_b32_e64 v4, 0, v4, s[14:15]
	v_cmp_gt_u32_e64 s[88:89], s33, v40
	v_add_u16_e32 v37, s10, v35
	v_cmp_gt_u32_e64 s[14:15], s33, v35
	v_or_b32_e32 v35, 0x1a00, v0
	v_add_u16_e32 v26, s10, v25
	v_add_u16_e32 v28, s10, v27
	v_cmp_gt_u32_e64 s[46:47], s33, v27
	v_add_u16_e32 v44, s10, v43
	v_add_u16_e32 v46, s10, v45
	v_cmp_gt_u32_e64 s[50:51], s33, v45
	v_cndmask_b32_e64 v3, 0, v3, s[78:79]
	v_cmp_gt_u32_e64 s[78:79], s33, v25
	v_cndmask_b32_e64 v21, 0, v5, s[16:17]
	v_lshrrev_b32_e32 v5, 16, v5
	v_cndmask_b32_e64 v25, v39, v41, s[88:89]
	v_add_u16_e32 v39, s10, v35
	v_cmp_gt_u32_e64 s[16:17], s33, v35
	v_or_b32_e32 v35, 0x1a80, v0
	v_perm_b32 v26, v26, v24, s11
	v_cndmask_b32_e64 v27, 0, v28, s[46:47]
	v_or_b32_e32 v28, 0xe80, v0
	v_or_b32_e32 v30, 0xf00, v0
	v_perm_b32 v44, v44, v42, s11
	v_cndmask_b32_e64 v45, 0, v46, s[50:51]
	v_or_b32_e32 v46, 0x1480, v0
	v_or_b32_e32 v48, 0x1500, v0
	v_cndmask_b32_e64 v5, 0, v5, s[18:19]
	v_cmp_gt_u32_e64 s[90:91], s33, v43
	v_add_u16_e32 v40, s10, v35
	v_cmp_gt_u32_e64 s[18:19], s33, v35
	v_or_b32_e32 v35, 0x1b00, v0
	v_add_u16_e32 v29, s10, v28
	v_add_u16_e32 v31, s10, v30
	v_cmp_gt_u32_e64 s[48:49], s33, v30
	v_add_u16_e32 v47, s10, v46
	v_add_u16_e32 v49, s10, v48
	v_cmp_gt_u32_e64 s[54:55], s33, v48
	v_cndmask_b32_e64 v17, v24, v26, s[78:79]
	v_cndmask_b32_e64 v24, 0, v6, s[20:21]
	v_lshrrev_b32_e32 v6, 16, v6
	v_cndmask_b32_e64 v26, v42, v44, s[90:91]
	v_add_u16_e32 v42, s10, v35
	v_cmp_gt_u32_e64 s[20:21], s33, v35
	v_or_b32_e32 v35, 0x1b80, v0
	v_perm_b32 v29, v29, v27, s11
	v_cndmask_b32_e64 v30, 0, v31, s[48:49]
	v_or_b32_e32 v31, 0xf80, v0
	v_perm_b32 v47, v47, v45, s11
	v_cndmask_b32_e64 v48, 0, v49, s[54:55]
	v_or_b32_e32 v49, 0x1580, v0
	v_or_b32_e32 v51, 0x1600, v0
	v_cmp_gt_u32_e64 s[80:81], s33, v28
	v_cndmask_b32_e64 v6, 0, v6, s[22:23]
	v_cmp_gt_u32_e64 s[12:13], s33, v46
	v_add_u16_e32 v43, s10, v35
	v_cmp_gt_u32_e64 s[22:23], s33, v35
	v_or_b32_e32 v35, 0x1c00, v0
	v_add_u16_e32 v32, s10, v31
	v_add_u16_e32 v50, s10, v49
	;; [unrolled: 1-line block ×3, first 2 shown]
	v_cmp_gt_u32_e64 s[58:59], s33, v51
	v_cndmask_b32_e64 v19, v27, v29, s[80:81]
	v_cndmask_b32_e64 v27, 0, v7, s[24:25]
	;; [unrolled: 1-line block ×3, first 2 shown]
	v_lshrrev_b32_e32 v7, 16, v7
	v_add_u16_e32 v45, s10, v35
	v_cmp_gt_u32_e64 s[24:25], s33, v35
	v_or_b32_e32 v35, 0x1c80, v0
	v_perm_b32 v32, v32, v30, s11
	v_perm_b32 v50, v50, v48, s11
	v_cndmask_b32_e64 v51, 0, v52, s[58:59]
	v_or_b32_e32 v52, 0x1680, v0
	v_or_b32_e32 v54, 0x1700, v0
	v_cmp_gt_u32_e64 s[82:83], s33, v31
	v_cndmask_b32_e64 v7, 0, v7, s[26:27]
	v_cmp_gt_u32_e64 s[8:9], s33, v49
	v_add_u16_e32 v46, s10, v35
	v_cmp_gt_u32_e64 s[26:27], s33, v35
	v_or_b32_e32 v35, 0x1d00, v0
	v_add_u16_e32 v53, s10, v52
	v_add_u16_e32 v55, s10, v54
	v_cmp_gt_u32_e64 s[60:61], s33, v54
	v_cndmask_b32_e64 v12, 0, v2, s[4:5]
	v_lshrrev_b32_e32 v2, 16, v2
	v_cndmask_b32_e64 v20, v30, v32, s[82:83]
	v_cndmask_b32_e64 v29, v48, v50, s[8:9]
	;; [unrolled: 1-line block ×3, first 2 shown]
	v_lshrrev_b32_e32 v8, 16, v8
	v_add_u16_e32 v48, s10, v35
	v_cmp_gt_u32_e64 s[28:29], s33, v35
	v_or_b32_e32 v35, 0x1d80, v0
	v_perm_b32 v53, v53, v51, s11
	v_cndmask_b32_e64 v54, 0, v55, s[60:61]
	v_or_b32_e32 v55, 0x1780, v0
	v_cndmask_b32_e64 v2, 0, v2, s[6:7]
	v_cmp_gt_u32_e64 s[6:7], s33, v52
	v_cndmask_b32_e64 v8, 0, v8, s[30:31]
	v_add_u16_e32 v49, s10, v35
	v_cmp_gt_u32_e64 s[30:31], s33, v35
	v_or_b32_e32 v35, 0x1e00, v0
	v_add_u16_e32 v56, s10, v55
	v_cndmask_b32_e64 v31, v51, v53, s[6:7]
	v_add_u16_e32 v51, s10, v35
	v_cmp_gt_u32_e64 s[34:35], s33, v35
	v_or_b32_e32 v35, 0x1e80, v0
	v_perm_b32 v56, v56, v54, s11
	v_cmp_gt_u32_e64 s[4:5], s33, v55
	v_cndmask_b32_e64 v38, 0, v11, s[36:37]
	v_add_u16_e32 v52, s10, v35
	v_cmp_gt_u32_e64 s[36:37], s33, v35
	v_or_b32_e32 v35, 0x1f00, v0
	v_cndmask_b32_e64 v32, v54, v56, s[4:5]
	v_cndmask_b32_e64 v41, 0, v13, s[38:39]
	v_add_u16_e32 v54, s10, v35
	v_cmp_gt_u32_e64 s[38:39], s33, v35
	v_or_b32_e32 v35, 0x1f80, v0
	v_cndmask_b32_e64 v44, 0, v14, s[40:41]
	v_add_u16_e32 v55, s10, v35
	v_cmp_gt_u32_e64 s[40:41], s33, v35
	v_cndmask_b32_e64 v54, 0, v54, s[38:39]
	v_cndmask_b32_e64 v51, 0, v51, s[34:35]
	;; [unrolled: 1-line block ×3, first 2 shown]
	v_add_u16_e32 v54, v55, v54
	v_add_u16_e32 v51, v54, v51
	v_cndmask_b32_e64 v52, 0, v52, s[36:37]
	v_add_u16_e32 v51, v51, v52
	v_cndmask_b32_e64 v48, 0, v48, s[28:29]
	;; [unrolled: 2-line block ×4, first 2 shown]
	v_cndmask_b32_e64 v46, 0, v46, s[26:27]
	v_add_u16_e32 v45, v48, v45
	v_cndmask_b32_e64 v42, 0, v42, s[20:21]
	v_add_u16_e32 v45, v45, v46
	;; [unrolled: 2-line block ×3, first 2 shown]
	v_lshrrev_b32_e32 v10, 16, v1
	v_add_u16_e32 v42, v42, v43
	v_cndmask_b32_e32 v10, 0, v10, vcc
	v_add_u16_e32 v1, v42, v1
	v_add_u16_e32 v1, v1, v10
	;; [unrolled: 1-line block ×17, first 2 shown]
	v_lshrrev_b32_e32 v11, 16, v11
	v_add_u16_e32 v1, v1, v9
	v_cndmask_b32_e64 v11, 0, v11, s[70:71]
	v_add_u16_e32 v1, v1, v38
	v_lshrrev_b32_e32 v13, 16, v13
	v_add_u16_e32 v1, v1, v11
	v_cndmask_b32_e64 v13, 0, v13, s[72:73]
	v_add_u16_e32 v1, v1, v41
	;; [unrolled: 4-line block ×3, first 2 shown]
	v_cndmask_b32_e64 v47, 0, v16, s[42:43]
	v_lshrrev_b32_e32 v16, 16, v16
	v_add_u16_e32 v1, v1, v14
	v_cndmask_b32_e64 v16, 0, v16, s[76:77]
	v_add_u16_e32 v1, v1, v47
	v_cndmask_b32_e64 v50, 0, v17, s[44:45]
	v_lshrrev_b32_e32 v17, 16, v17
	v_add_u16_e32 v1, v1, v16
	v_cndmask_b32_e64 v17, 0, v17, s[78:79]
	v_add_u16_e32 v1, v1, v50
	v_cndmask_b32_e64 v53, 0, v19, s[46:47]
	v_lshrrev_b32_e32 v19, 16, v19
	v_add_u16_e32 v1, v1, v17
	v_or_b32_e32 v57, 0x1800, v0
	v_cndmask_b32_e64 v19, 0, v19, s[80:81]
	v_add_u16_e32 v1, v1, v53
	v_add_u16_e32 v58, s10, v57
	v_cmp_gt_u32_e64 s[64:65], s33, v57
	v_cndmask_b32_e64 v56, 0, v20, s[48:49]
	v_lshrrev_b32_e32 v20, 16, v20
	v_add_u16_e32 v1, v1, v19
	v_cndmask_b32_e64 v57, 0, v58, s[64:65]
	v_or_b32_e32 v58, 0x1880, v0
	v_cndmask_b32_e64 v20, 0, v20, s[82:83]
	v_add_u16_e32 v1, v1, v56
	v_add_u16_e32 v59, s10, v58
	v_cndmask_b32_e64 v35, 0, v22, s[52:53]
	v_lshrrev_b32_e32 v22, 16, v22
	v_add_u16_e32 v1, v1, v20
	v_perm_b32 v59, v59, v57, s11
	v_cmp_gt_u32_e32 vcc, s33, v58
	v_cndmask_b32_e64 v22, 0, v22, s[84:85]
	v_add_u16_e32 v1, v1, v35
	v_cndmask_b32_e32 v34, v57, v59, vcc
	v_cndmask_b32_e64 v57, 0, v23, s[56:57]
	v_lshrrev_b32_e32 v23, 16, v23
	v_add_u16_e32 v1, v1, v22
	v_cndmask_b32_e64 v23, 0, v23, s[86:87]
	v_add_u16_e32 v1, v1, v57
	v_cndmask_b32_e64 v58, 0, v25, s[62:63]
	v_lshrrev_b32_e32 v25, 16, v25
	v_add_u16_e32 v1, v1, v23
	v_cndmask_b32_e64 v25, 0, v25, s[88:89]
	v_add_u16_e32 v1, v1, v58
	;; [unrolled: 5-line block ×7, first 2 shown]
	v_cndmask_b32_e64 v49, 0, v34, s[64:65]
	v_lshrrev_b32_e32 v34, 16, v34
	v_add_u16_e32 v1, v1, v32
	v_cndmask_b32_e32 v34, 0, v34, vcc
	v_add_u16_e32 v1, v1, v49
	v_mbcnt_lo_u32_b32 v2, -1, 0
	v_cndmask_b32_e64 v36, 0, v36, s[68:69]
	v_add_u16_e32 v1, v1, v34
	v_mbcnt_hi_u32_b32 v2, -1, v2
	v_cndmask_b32_e64 v37, 0, v37, s[14:15]
	v_add_u16_e32 v1, v1, v36
	v_and_b32_e32 v4, 63, v2
	v_cndmask_b32_e64 v39, 0, v39, s[16:17]
	v_add_u16_e32 v1, v1, v37
	v_cmp_ne_u32_e32 vcc, 63, v4
	v_cndmask_b32_e64 v40, 0, v40, s[18:19]
	v_add_u16_e32 v1, v1, v39
	v_addc_co_u32_e32 v3, vcc, 0, v2, vcc
	v_add_u16_e32 v1, v1, v40
	v_lshlrev_b32_e32 v3, 2, v3
	ds_bpermute_b32 v3, v3, v1
	s_min_u32 s6, s33, 0x80
	v_and_b32_e32 v5, 64, v0
	v_sub_u32_e64 v5, s6, v5 clamp
	v_add_u32_e32 v6, 1, v4
	v_cmp_gt_u32_e64 s[4:5], 62, v4
	s_waitcnt lgkmcnt(0)
	v_add_u16_e32 v3, v1, v3
	v_cmp_lt_u32_e32 vcc, v6, v5
	v_cndmask_b32_e64 v6, 0, 2, s[4:5]
	v_add_lshl_u32 v6, v6, v2, 2
	v_cndmask_b32_e32 v3, v1, v3, vcc
	ds_bpermute_b32 v6, v6, v3
	v_add_u32_e32 v7, 2, v4
	v_cmp_lt_u32_e64 s[4:5], v7, v5
	v_add_u32_e32 v7, 4, v4
	s_waitcnt lgkmcnt(0)
	v_add_u16_e32 v6, v3, v6
	v_cndmask_b32_e64 v3, v3, v6, s[4:5]
	v_cmp_gt_u32_e64 s[4:5], 60, v4
	s_nop 1
	v_cndmask_b32_e64 v6, 0, 4, s[4:5]
	v_add_lshl_u32 v6, v6, v2, 2
	ds_bpermute_b32 v6, v6, v3
	v_cmp_lt_u32_e64 s[4:5], v7, v5
	v_add_u32_e32 v7, 8, v4
	s_waitcnt lgkmcnt(0)
	v_add_u16_e32 v6, v3, v6
	v_cndmask_b32_e64 v3, v3, v6, s[4:5]
	v_cmp_gt_u32_e64 s[4:5], 56, v4
	s_nop 1
	v_cndmask_b32_e64 v6, 0, 8, s[4:5]
	v_add_lshl_u32 v6, v6, v2, 2
	ds_bpermute_b32 v6, v6, v3
	v_cmp_lt_u32_e64 s[4:5], v7, v5
	v_add_u32_e32 v7, 16, v4
	s_waitcnt lgkmcnt(0)
	v_add_u16_e32 v6, v3, v6
	v_cndmask_b32_e64 v3, v3, v6, s[4:5]
	v_cmp_gt_u32_e64 s[4:5], 48, v4
	v_add_u32_e32 v4, 32, v4
	s_nop 0
	v_cndmask_b32_e64 v6, 0, 16, s[4:5]
	v_add_lshl_u32 v6, v6, v2, 2
	ds_bpermute_b32 v6, v6, v3
	v_cmp_lt_u32_e64 s[4:5], v7, v5
	s_waitcnt lgkmcnt(0)
	v_add_u16_e32 v6, v3, v6
	v_cndmask_b32_e64 v6, v3, v6, s[4:5]
	v_lshlrev_b32_e32 v3, 2, v2
	v_or_b32_e32 v7, 0x80, v3
	ds_bpermute_b32 v7, v7, v6
	v_cmp_lt_u32_e64 s[4:5], v4, v5
	s_waitcnt lgkmcnt(0)
	s_nop 0
	v_cndmask_b32_e64 v4, 0, v7, s[4:5]
	v_add_u16_e32 v4, v6, v4
	v_cndmask_b32_e32 v1, v1, v4, vcc
	v_cmp_eq_u32_e32 vcc, 0, v2
	s_and_saveexec_b64 s[4:5], vcc
; %bb.36:
	v_lshrrev_b32_e32 v4, 5, v0
	v_and_b32_e32 v4, 2, v4
	ds_write_b16 v4, v1 offset:28
; %bb.37:
	s_or_b64 exec, exec, s[4:5]
	v_cmp_gt_u32_e32 vcc, 2, v0
	s_waitcnt lgkmcnt(0)
	s_barrier
	s_and_saveexec_b64 s[4:5], vcc
	s_cbranch_execz .LBB1118_39
; %bb.38:
	v_lshlrev_b32_e32 v1, 1, v2
	ds_read_u16 v1, v1 offset:28
	v_or_b32_e32 v3, 4, v3
	s_add_i32 s6, s6, 63
	v_and_b32_e32 v2, 1, v2
	s_lshr_b32 s6, s6, 6
	s_waitcnt lgkmcnt(0)
	v_and_b32_e32 v4, 0xffff, v1
	ds_bpermute_b32 v3, v3, v4
	v_add_u32_e32 v2, 1, v2
	v_cmp_gt_u32_e32 vcc, s6, v2
	s_waitcnt lgkmcnt(0)
	s_nop 0
	v_cndmask_b32_e32 v2, 0, v3, vcc
	v_add_u16_e32 v1, v2, v1
.LBB1118_39:
	s_or_b64 exec, exec, s[4:5]
	v_cmp_eq_u32_e64 s[4:5], 0, v0
	s_and_b64 vcc, exec, s[98:99]
	s_cbranch_vccnz .LBB1118_24
	s_branch .LBB1118_11
.LBB1118_40:
	s_mov_b64 s[4:5], -1
                                        ; implicit-def: $vgpr1
.LBB1118_41:
	s_and_b64 vcc, exec, s[4:5]
	s_cbranch_vccz .LBB1118_47
; %bb.42:
	s_sub_i32 s4, s92, s6
	s_add_i32 s5, s97, s6
	v_add_u16_e32 v1, s5, v0
	v_cmp_gt_u32_e32 vcc, s4, v0
	v_or_b32_e32 v2, 0x80, v0
	v_add_u16_e32 v3, s5, v2
	v_cndmask_b32_e32 v1, 0, v1, vcc
	s_mov_b32 s6, 0x5040100
	v_perm_b32 v3, v3, v1, s6
	v_cmp_gt_u32_e32 vcc, s4, v2
	v_or_b32_e32 v2, 0x100, v0
	v_or_b32_e32 v4, 0x180, v0
	v_cndmask_b32_e32 v1, v1, v3, vcc
	v_lshrrev_b32_e32 v30, 16, v1
	v_add_u16_e32 v3, s5, v2
	v_cndmask_b32_e32 v30, 0, v30, vcc
	v_cmp_gt_u32_e32 vcc, s4, v2
	v_add_u16_e32 v5, s5, v4
	v_or_b32_e32 v6, 0x200, v0
	v_cndmask_b32_e32 v2, 0, v3, vcc
	v_cmp_gt_u32_e32 vcc, s4, v4
	v_add_u16_e32 v7, s5, v6
	v_or_b32_e32 v8, 0x280, v0
	;; [unrolled: 4-line block ×12, first 2 shown]
	v_cndmask_b32_e32 v13, 0, v25, vcc
	v_cmp_gt_u32_e32 vcc, s4, v26
	v_add_u16_e32 v29, s5, v28
	s_min_u32 s6, s4, 0x80
	v_cndmask_b32_e32 v14, 0, v27, vcc
	v_cmp_gt_u32_e32 vcc, s4, v28
	s_nop 1
	v_cndmask_b32_e32 v15, 0, v29, vcc
	v_add_u16_e32 v14, v15, v14
	v_add_u16_e32 v12, v14, v12
	;; [unrolled: 1-line block ×12, first 2 shown]
	v_mbcnt_lo_u32_b32 v2, -1, 0
	v_add_u16_e32 v1, v1, v3
	v_mbcnt_hi_u32_b32 v2, -1, v2
	v_add_u16_e32 v1, v1, v4
	v_and_b32_e32 v4, 63, v2
	v_cmp_ne_u32_e32 vcc, 63, v4
	v_add_u16_e32 v1, v1, v5
	v_and_b32_e32 v5, 64, v0
	v_addc_co_u32_e32 v3, vcc, 0, v2, vcc
	v_lshlrev_b32_e32 v3, 2, v3
	ds_bpermute_b32 v3, v3, v1
	v_sub_u32_e64 v5, s6, v5 clamp
	v_add_u32_e32 v6, 1, v4
	v_cmp_gt_u32_e64 s[4:5], 62, v4
	v_cmp_lt_u32_e32 vcc, v6, v5
	s_waitcnt lgkmcnt(0)
	v_add_u16_e32 v3, v1, v3
	v_cndmask_b32_e64 v6, 0, 2, s[4:5]
	v_cndmask_b32_e32 v3, v1, v3, vcc
	v_add_lshl_u32 v6, v6, v2, 2
	ds_bpermute_b32 v6, v6, v3
	v_add_u32_e32 v7, 2, v4
	v_cmp_lt_u32_e64 s[4:5], v7, v5
	v_add_u32_e32 v7, 4, v4
	s_waitcnt lgkmcnt(0)
	v_add_u16_e32 v6, v3, v6
	v_cndmask_b32_e64 v3, v3, v6, s[4:5]
	v_cmp_gt_u32_e64 s[4:5], 60, v4
	s_nop 1
	v_cndmask_b32_e64 v6, 0, 4, s[4:5]
	v_add_lshl_u32 v6, v6, v2, 2
	ds_bpermute_b32 v6, v6, v3
	v_cmp_lt_u32_e64 s[4:5], v7, v5
	v_add_u32_e32 v7, 8, v4
	s_waitcnt lgkmcnt(0)
	v_add_u16_e32 v6, v3, v6
	v_cndmask_b32_e64 v3, v3, v6, s[4:5]
	v_cmp_gt_u32_e64 s[4:5], 56, v4
	s_nop 1
	v_cndmask_b32_e64 v6, 0, 8, s[4:5]
	v_add_lshl_u32 v6, v6, v2, 2
	ds_bpermute_b32 v6, v6, v3
	v_cmp_lt_u32_e64 s[4:5], v7, v5
	v_add_u32_e32 v7, 16, v4
	s_waitcnt lgkmcnt(0)
	v_add_u16_e32 v6, v3, v6
	v_cndmask_b32_e64 v3, v3, v6, s[4:5]
	v_cmp_gt_u32_e64 s[4:5], 48, v4
	v_add_u32_e32 v4, 32, v4
	s_nop 0
	v_cndmask_b32_e64 v6, 0, 16, s[4:5]
	v_add_lshl_u32 v6, v6, v2, 2
	ds_bpermute_b32 v6, v6, v3
	v_cmp_lt_u32_e64 s[4:5], v7, v5
	s_waitcnt lgkmcnt(0)
	v_add_u16_e32 v6, v3, v6
	v_cndmask_b32_e64 v6, v3, v6, s[4:5]
	v_lshlrev_b32_e32 v3, 2, v2
	v_or_b32_e32 v7, 0x80, v3
	ds_bpermute_b32 v7, v7, v6
	v_cmp_lt_u32_e64 s[4:5], v4, v5
	s_waitcnt lgkmcnt(0)
	s_nop 0
	v_cndmask_b32_e64 v4, 0, v7, s[4:5]
	v_add_u16_e32 v4, v6, v4
	v_cndmask_b32_e32 v1, v1, v4, vcc
	v_cmp_eq_u32_e32 vcc, 0, v2
	s_and_saveexec_b64 s[4:5], vcc
; %bb.43:
	v_lshrrev_b32_e32 v4, 5, v0
	v_and_b32_e32 v4, 2, v4
	ds_write_b16 v4, v1 offset:28
; %bb.44:
	s_or_b64 exec, exec, s[4:5]
	v_cmp_gt_u32_e32 vcc, 2, v0
	s_waitcnt lgkmcnt(0)
	s_barrier
	s_and_saveexec_b64 s[4:5], vcc
	s_cbranch_execz .LBB1118_46
; %bb.45:
	v_lshlrev_b32_e32 v1, 1, v2
	ds_read_u16 v1, v1 offset:28
	v_or_b32_e32 v3, 4, v3
	s_add_i32 s6, s6, 63
	v_and_b32_e32 v2, 1, v2
	s_lshr_b32 s6, s6, 6
	s_waitcnt lgkmcnt(0)
	v_and_b32_e32 v4, 0xffff, v1
	ds_bpermute_b32 v3, v3, v4
	v_add_u32_e32 v2, 1, v2
	v_cmp_gt_u32_e32 vcc, s6, v2
	s_waitcnt lgkmcnt(0)
	s_nop 0
	v_cndmask_b32_e32 v2, 0, v3, vcc
	v_add_u16_e32 v1, v2, v1
.LBB1118_46:
	s_or_b64 exec, exec, s[4:5]
.LBB1118_47:
	v_cmp_eq_u32_e64 s[4:5], 0, v0
	s_branch .LBB1118_64
.LBB1118_48:
	s_cmp_eq_u32 s96, 8
	s_cbranch_scc0 .LBB1118_55
; %bb.49:
	s_mov_b32 s3, 0
	s_lshl_b32 s6, s2, 10
	s_lshr_b64 s[4:5], s[92:93], 10
	s_cmp_lg_u64 s[4:5], s[2:3]
	s_cbranch_scc0 .LBB1118_85
; %bb.50:
	v_or_b32_e32 v1, s6, v0
	v_add_u16_e32 v1, s97, v1
	v_lshlrev_b16_e32 v1, 3, v1
	v_add_u16_e32 v1, 0xe00, v1
	v_mbcnt_lo_u32_b32 v2, -1, 0
	v_mbcnt_hi_u32_b32 v2, -1, v2
	v_add_u16_dpp v1, v1, v1 quad_perm:[1,0,3,2] row_mask:0xf bank_mask:0xf bound_ctrl:1
	v_lshlrev_b32_e32 v3, 2, v2
	v_or_b32_e32 v4, 0xfc, v3
	v_add_u16_dpp v1, v1, v1 quad_perm:[2,3,0,1] row_mask:0xf bank_mask:0xf bound_ctrl:1
	v_cmp_eq_u32_e32 vcc, 0, v2
	s_nop 0
	v_add_u16_dpp v1, v1, v1 row_ror:4 row_mask:0xf bank_mask:0xf bound_ctrl:1
	s_nop 1
	v_add_u16_dpp v1, v1, v1 row_ror:8 row_mask:0xf bank_mask:0xf bound_ctrl:1
	s_nop 1
	v_add_u16_dpp v1, v1, v1 row_bcast:15 row_mask:0xf bank_mask:0xf bound_ctrl:1
	s_nop 1
	v_add_u16_dpp v1, v1, v1 row_bcast:31 row_mask:0xf bank_mask:0xf bound_ctrl:1
	ds_bpermute_b32 v1, v4, v1
	s_and_saveexec_b64 s[4:5], vcc
	s_cbranch_execz .LBB1118_52
; %bb.51:
	v_lshrrev_b32_e32 v4, 5, v0
	v_and_b32_e32 v4, 2, v4
	s_waitcnt lgkmcnt(0)
	ds_write_b16 v4, v1 offset:24
.LBB1118_52:
	s_or_b64 exec, exec, s[4:5]
	v_cmp_gt_u32_e32 vcc, 64, v0
	s_waitcnt lgkmcnt(0)
	s_barrier
	s_and_saveexec_b64 s[4:5], vcc
	s_cbranch_execz .LBB1118_54
; %bb.53:
	v_and_b32_e32 v1, 1, v2
	v_lshlrev_b32_e32 v1, 1, v1
	ds_read_u16 v1, v1 offset:24
	v_or_b32_e32 v2, 4, v3
	s_waitcnt lgkmcnt(0)
	v_and_b32_e32 v3, 0xffff, v1
	ds_bpermute_b32 v2, v2, v3
	s_waitcnt lgkmcnt(0)
	v_add_u16_e32 v1, v1, v2
.LBB1118_54:
	s_or_b64 exec, exec, s[4:5]
	s_mov_b64 s[4:5], 0
	s_branch .LBB1118_86
.LBB1118_55:
                                        ; implicit-def: $vgpr1
	s_branch .LBB1118_119
.LBB1118_56:
	s_mov_b64 s[4:5], -1
                                        ; implicit-def: $vgpr1
.LBB1118_57:
	s_and_b64 vcc, exec, s[4:5]
	s_cbranch_vccz .LBB1118_63
; %bb.58:
	s_lshl_b32 s4, s2, 12
	s_sub_i32 s33, s92, s4
	s_add_i32 s38, s97, s4
	v_add_u16_e32 v1, s38, v0
	v_cmp_gt_u32_e32 vcc, s33, v0
	v_or_b32_e32 v2, 0x80, v0
	v_add_u16_e32 v3, s38, v2
	v_cndmask_b32_e32 v1, 0, v1, vcc
	s_mov_b32 s36, 0x5040100
	v_perm_b32 v3, v3, v1, s36
	v_cmp_gt_u32_e32 vcc, s33, v2
	v_or_b32_e32 v2, 0x100, v0
	v_cmp_gt_u32_e64 s[4:5], s33, v2
	v_cndmask_b32_e32 v1, v1, v3, vcc
	v_add_u16_e32 v3, s38, v2
	v_cndmask_b32_e64 v2, 0, v3, s[4:5]
	v_or_b32_e32 v3, 0x180, v0
	v_add_u16_e32 v4, s38, v3
	v_perm_b32 v4, v4, v2, s36
	v_cmp_gt_u32_e64 s[6:7], s33, v3
	v_or_b32_e32 v3, 0x200, v0
	v_cmp_gt_u32_e64 s[8:9], s33, v3
	v_cndmask_b32_e64 v2, v2, v4, s[6:7]
	v_add_u16_e32 v4, s38, v3
	v_cndmask_b32_e64 v3, 0, v4, s[8:9]
	v_or_b32_e32 v4, 0x280, v0
	v_add_u16_e32 v5, s38, v4
	v_perm_b32 v5, v5, v3, s36
	v_cmp_gt_u32_e64 s[10:11], s33, v4
	v_or_b32_e32 v4, 0x300, v0
	v_cmp_gt_u32_e64 s[12:13], s33, v4
	v_cndmask_b32_e64 v3, v3, v5, s[10:11]
	;; [unrolled: 9-line block ×7, first 2 shown]
	v_add_u16_e32 v10, s38, v9
	v_cndmask_b32_e64 v9, 0, v10, s[34:35]
	v_or_b32_e32 v10, 0x880, v0
	v_add_u16_e32 v11, s38, v10
	v_perm_b32 v11, v11, v9, s36
	v_cmp_gt_u32_e64 s[36:37], s33, v10
	v_or_b32_e32 v10, 0x900, v0
	v_lshrrev_b32_e32 v38, 16, v1
	v_cndmask_b32_e64 v9, v9, v11, s[36:37]
	v_add_u16_e32 v11, s38, v10
	v_or_b32_e32 v12, 0x980, v0
	v_cndmask_b32_e32 v38, 0, v38, vcc
	v_cmp_gt_u32_e32 vcc, s33, v10
	v_add_u16_e32 v13, s38, v12
	v_or_b32_e32 v14, 0xa00, v0
	v_cndmask_b32_e32 v10, 0, v11, vcc
	v_cmp_gt_u32_e32 vcc, s33, v12
	;; [unrolled: 4-line block ×13, first 2 shown]
	v_add_u16_e32 v37, s38, v36
	v_cndmask_b32_e64 v39, 0, v2, s[4:5]
	v_cndmask_b32_e32 v22, 0, v35, vcc
	v_cmp_gt_u32_e32 vcc, s33, v36
	v_lshrrev_b32_e32 v2, 16, v2
	v_cndmask_b32_e64 v2, 0, v2, s[6:7]
	v_cndmask_b32_e32 v23, 0, v37, vcc
	v_add_u16_e32 v22, v23, v22
	v_add_u16_e32 v20, v22, v20
	;; [unrolled: 1-line block ×12, first 2 shown]
	v_cndmask_b32_e64 v40, 0, v3, s[8:9]
	v_lshrrev_b32_e32 v3, 16, v3
	v_add_u16_e32 v1, v1, v2
	v_cndmask_b32_e64 v3, 0, v3, s[10:11]
	v_add_u16_e32 v1, v1, v40
	v_cndmask_b32_e64 v41, 0, v4, s[12:13]
	v_lshrrev_b32_e32 v4, 16, v4
	v_add_u16_e32 v1, v1, v3
	v_cndmask_b32_e64 v4, 0, v4, s[14:15]
	v_add_u16_e32 v1, v1, v41
	;; [unrolled: 5-line block ×7, first 2 shown]
	v_mbcnt_lo_u32_b32 v2, -1, 0
	v_add_u16_e32 v1, v1, v9
	v_mbcnt_hi_u32_b32 v2, -1, v2
	v_add_u16_e32 v1, v1, v10
	v_and_b32_e32 v4, 63, v2
	v_add_u16_e32 v1, v1, v11
	v_cmp_ne_u32_e32 vcc, 63, v4
	v_add_u16_e32 v1, v1, v12
	v_add_u16_e32 v1, v1, v13
	v_addc_co_u32_e32 v3, vcc, 0, v2, vcc
	v_lshlrev_b32_e32 v3, 2, v3
	ds_bpermute_b32 v3, v3, v1
	s_min_u32 s6, s33, 0x80
	v_and_b32_e32 v5, 64, v0
	v_sub_u32_e64 v5, s6, v5 clamp
	v_add_u32_e32 v6, 1, v4
	v_cmp_gt_u32_e64 s[4:5], 62, v4
	s_waitcnt lgkmcnt(0)
	v_add_u16_e32 v3, v1, v3
	v_cmp_lt_u32_e32 vcc, v6, v5
	v_cndmask_b32_e64 v6, 0, 2, s[4:5]
	v_add_lshl_u32 v6, v6, v2, 2
	v_cndmask_b32_e32 v3, v1, v3, vcc
	ds_bpermute_b32 v6, v6, v3
	v_add_u32_e32 v7, 2, v4
	v_cmp_lt_u32_e64 s[4:5], v7, v5
	v_add_u32_e32 v7, 4, v4
	s_waitcnt lgkmcnt(0)
	v_add_u16_e32 v6, v3, v6
	v_cndmask_b32_e64 v3, v3, v6, s[4:5]
	v_cmp_gt_u32_e64 s[4:5], 60, v4
	s_nop 1
	v_cndmask_b32_e64 v6, 0, 4, s[4:5]
	v_add_lshl_u32 v6, v6, v2, 2
	ds_bpermute_b32 v6, v6, v3
	v_cmp_lt_u32_e64 s[4:5], v7, v5
	v_add_u32_e32 v7, 8, v4
	s_waitcnt lgkmcnt(0)
	v_add_u16_e32 v6, v3, v6
	v_cndmask_b32_e64 v3, v3, v6, s[4:5]
	v_cmp_gt_u32_e64 s[4:5], 56, v4
	s_nop 1
	v_cndmask_b32_e64 v6, 0, 8, s[4:5]
	v_add_lshl_u32 v6, v6, v2, 2
	ds_bpermute_b32 v6, v6, v3
	v_cmp_lt_u32_e64 s[4:5], v7, v5
	v_add_u32_e32 v7, 16, v4
	s_waitcnt lgkmcnt(0)
	v_add_u16_e32 v6, v3, v6
	v_cndmask_b32_e64 v3, v3, v6, s[4:5]
	v_cmp_gt_u32_e64 s[4:5], 48, v4
	v_add_u32_e32 v4, 32, v4
	s_nop 0
	v_cndmask_b32_e64 v6, 0, 16, s[4:5]
	v_add_lshl_u32 v6, v6, v2, 2
	ds_bpermute_b32 v6, v6, v3
	v_cmp_lt_u32_e64 s[4:5], v7, v5
	s_waitcnt lgkmcnt(0)
	v_add_u16_e32 v6, v3, v6
	v_cndmask_b32_e64 v6, v3, v6, s[4:5]
	v_lshlrev_b32_e32 v3, 2, v2
	v_or_b32_e32 v7, 0x80, v3
	ds_bpermute_b32 v7, v7, v6
	v_cmp_lt_u32_e64 s[4:5], v4, v5
	s_waitcnt lgkmcnt(0)
	s_nop 0
	v_cndmask_b32_e64 v4, 0, v7, s[4:5]
	v_add_u16_e32 v4, v6, v4
	v_cndmask_b32_e32 v1, v1, v4, vcc
	v_cmp_eq_u32_e32 vcc, 0, v2
	s_and_saveexec_b64 s[4:5], vcc
; %bb.59:
	v_lshrrev_b32_e32 v4, 5, v0
	v_and_b32_e32 v4, 2, v4
	ds_write_b16 v4, v1 offset:28
; %bb.60:
	s_or_b64 exec, exec, s[4:5]
	v_cmp_gt_u32_e32 vcc, 2, v0
	s_waitcnt lgkmcnt(0)
	s_barrier
	s_and_saveexec_b64 s[4:5], vcc
	s_cbranch_execz .LBB1118_62
; %bb.61:
	v_lshlrev_b32_e32 v1, 1, v2
	ds_read_u16 v1, v1 offset:28
	v_or_b32_e32 v3, 4, v3
	s_add_i32 s6, s6, 63
	v_and_b32_e32 v2, 1, v2
	s_lshr_b32 s6, s6, 6
	s_waitcnt lgkmcnt(0)
	v_and_b32_e32 v4, 0xffff, v1
	ds_bpermute_b32 v3, v3, v4
	v_add_u32_e32 v2, 1, v2
	v_cmp_gt_u32_e32 vcc, s6, v2
	s_waitcnt lgkmcnt(0)
	s_nop 0
	v_cndmask_b32_e32 v2, 0, v3, vcc
	v_add_u16_e32 v1, v2, v1
.LBB1118_62:
	s_or_b64 exec, exec, s[4:5]
.LBB1118_63:
	v_cmp_eq_u32_e64 s[4:5], 0, v0
.LBB1118_64:
	s_branch .LBB1118_119
.LBB1118_65:
	s_cmp_gt_i32 s96, 1
	s_cbranch_scc0 .LBB1118_74
; %bb.66:
	s_cmp_gt_i32 s96, 3
	s_cbranch_scc0 .LBB1118_75
; %bb.67:
	s_cmp_eq_u32 s96, 4
	s_cbranch_scc0 .LBB1118_83
; %bb.68:
	s_mov_b32 s3, 0
	s_lshl_b32 s6, s2, 9
	s_lshr_b64 s[4:5], s[92:93], 9
	s_cmp_lg_u64 s[4:5], s[2:3]
	s_cbranch_scc0 .LBB1118_93
; %bb.69:
	v_add_u16_e32 v1, s6, v0
	v_add_u16_e32 v1, s97, v1
	v_lshlrev_b16_e32 v1, 2, v1
	v_add_u16_e32 v1, 0x300, v1
	v_mbcnt_lo_u32_b32 v2, -1, 0
	v_mbcnt_hi_u32_b32 v2, -1, v2
	v_add_u16_dpp v1, v1, v1 quad_perm:[1,0,3,2] row_mask:0xf bank_mask:0xf bound_ctrl:1
	v_lshlrev_b32_e32 v3, 2, v2
	v_or_b32_e32 v4, 0xfc, v3
	v_add_u16_dpp v1, v1, v1 quad_perm:[2,3,0,1] row_mask:0xf bank_mask:0xf bound_ctrl:1
	v_cmp_eq_u32_e32 vcc, 0, v2
	s_nop 0
	v_add_u16_dpp v1, v1, v1 row_ror:4 row_mask:0xf bank_mask:0xf bound_ctrl:1
	s_nop 1
	v_add_u16_dpp v1, v1, v1 row_ror:8 row_mask:0xf bank_mask:0xf bound_ctrl:1
	s_nop 1
	v_add_u16_dpp v1, v1, v1 row_bcast:15 row_mask:0xf bank_mask:0xf bound_ctrl:1
	s_nop 1
	v_add_u16_dpp v1, v1, v1 row_bcast:31 row_mask:0xf bank_mask:0xf bound_ctrl:1
	ds_bpermute_b32 v1, v4, v1
	s_and_saveexec_b64 s[4:5], vcc
	s_cbranch_execz .LBB1118_71
; %bb.70:
	v_lshrrev_b32_e32 v4, 5, v0
	v_and_b32_e32 v4, 2, v4
	s_waitcnt lgkmcnt(0)
	ds_write_b16 v4, v1 offset:16
.LBB1118_71:
	s_or_b64 exec, exec, s[4:5]
	v_cmp_gt_u32_e32 vcc, 64, v0
	s_waitcnt lgkmcnt(0)
	s_barrier
	s_and_saveexec_b64 s[4:5], vcc
	s_cbranch_execz .LBB1118_73
; %bb.72:
	v_and_b32_e32 v1, 1, v2
	v_lshlrev_b32_e32 v1, 1, v1
	ds_read_u16 v1, v1 offset:16
	v_or_b32_e32 v2, 4, v3
	s_waitcnt lgkmcnt(0)
	v_and_b32_e32 v3, 0xffff, v1
	ds_bpermute_b32 v2, v2, v3
	s_waitcnt lgkmcnt(0)
	v_add_u16_e32 v1, v1, v2
.LBB1118_73:
	s_or_b64 exec, exec, s[4:5]
	s_mov_b64 s[4:5], 0
	s_branch .LBB1118_94
.LBB1118_74:
                                        ; implicit-def: $vgpr1
	s_cbranch_execnz .LBB1118_110
	s_branch .LBB1118_119
.LBB1118_75:
                                        ; implicit-def: $vgpr1
	s_cbranch_execz .LBB1118_101
; %bb.76:
	s_cmp_eq_u32 s96, 2
	s_cbranch_scc0 .LBB1118_84
; %bb.77:
	s_mov_b32 s3, 0
	s_lshl_b32 s6, s2, 8
	s_lshr_b64 s[4:5], s[92:93], 8
	s_cmp_lg_u64 s[4:5], s[2:3]
	s_cbranch_scc0 .LBB1118_102
; %bb.78:
	v_add_u16_e32 v1, s6, v0
	v_add_u16_e32 v1, s97, v1
	v_lshlrev_b16_e32 v1, 1, v1
	v_add_u16_e32 v1, 0x80, v1
	v_mbcnt_lo_u32_b32 v2, -1, 0
	v_mbcnt_hi_u32_b32 v2, -1, v2
	v_add_u16_dpp v1, v1, v1 quad_perm:[1,0,3,2] row_mask:0xf bank_mask:0xf bound_ctrl:1
	v_lshlrev_b32_e32 v3, 2, v2
	v_or_b32_e32 v4, 0xfc, v3
	v_add_u16_dpp v1, v1, v1 quad_perm:[2,3,0,1] row_mask:0xf bank_mask:0xf bound_ctrl:1
	v_cmp_eq_u32_e32 vcc, 0, v2
	s_nop 0
	v_add_u16_dpp v1, v1, v1 row_ror:4 row_mask:0xf bank_mask:0xf bound_ctrl:1
	s_nop 1
	v_add_u16_dpp v1, v1, v1 row_ror:8 row_mask:0xf bank_mask:0xf bound_ctrl:1
	s_nop 1
	v_add_u16_dpp v1, v1, v1 row_bcast:15 row_mask:0xf bank_mask:0xf bound_ctrl:1
	s_nop 1
	v_add_u16_dpp v1, v1, v1 row_bcast:31 row_mask:0xf bank_mask:0xf bound_ctrl:1
	ds_bpermute_b32 v1, v4, v1
	s_and_saveexec_b64 s[4:5], vcc
	s_cbranch_execz .LBB1118_80
; %bb.79:
	v_lshrrev_b32_e32 v4, 5, v0
	v_and_b32_e32 v4, 2, v4
	s_waitcnt lgkmcnt(0)
	ds_write_b16 v4, v1 offset:8
.LBB1118_80:
	s_or_b64 exec, exec, s[4:5]
	v_cmp_gt_u32_e32 vcc, 64, v0
	s_waitcnt lgkmcnt(0)
	s_barrier
	s_and_saveexec_b64 s[4:5], vcc
	s_cbranch_execz .LBB1118_82
; %bb.81:
	v_and_b32_e32 v1, 1, v2
	v_lshlrev_b32_e32 v1, 1, v1
	ds_read_u16 v1, v1 offset:8
	v_or_b32_e32 v2, 4, v3
	s_waitcnt lgkmcnt(0)
	v_and_b32_e32 v3, 0xffff, v1
	ds_bpermute_b32 v2, v2, v3
	s_waitcnt lgkmcnt(0)
	v_add_u16_e32 v1, v1, v2
.LBB1118_82:
	s_or_b64 exec, exec, s[4:5]
	s_mov_b64 s[4:5], 0
	s_branch .LBB1118_103
.LBB1118_83:
                                        ; implicit-def: $vgpr1
	s_branch .LBB1118_101
.LBB1118_84:
                                        ; implicit-def: $vgpr1
	s_branch .LBB1118_119
.LBB1118_85:
	s_mov_b64 s[4:5], -1
                                        ; implicit-def: $vgpr1
.LBB1118_86:
	s_and_b64 vcc, exec, s[4:5]
	s_cbranch_vccz .LBB1118_92
; %bb.87:
	s_sub_i32 s4, s92, s6
	s_add_i32 s5, s97, s6
	v_add_u16_e32 v1, s5, v0
	v_or_b32_e32 v2, 0x80, v0
	v_cmp_gt_u32_e32 vcc, s4, v0
	v_add_u16_e32 v3, s5, v2
	v_or_b32_e32 v4, 0x100, v0
	v_cndmask_b32_e32 v1, 0, v1, vcc
	v_cmp_gt_u32_e32 vcc, s4, v2
	v_add_u16_e32 v5, s5, v4
	v_or_b32_e32 v6, 0x180, v0
	v_cndmask_b32_e32 v2, 0, v3, vcc
	v_cmp_gt_u32_e32 vcc, s4, v4
	v_add_u16_e32 v7, s5, v6
	v_or_b32_e32 v8, 0x200, v0
	v_cndmask_b32_e32 v3, 0, v5, vcc
	v_cmp_gt_u32_e32 vcc, s4, v6
	v_add_u16_e32 v9, s5, v8
	v_or_b32_e32 v10, 0x280, v0
	v_cndmask_b32_e32 v4, 0, v7, vcc
	v_cmp_gt_u32_e32 vcc, s4, v8
	v_add_u16_e32 v11, s5, v10
	v_or_b32_e32 v12, 0x300, v0
	v_cndmask_b32_e32 v5, 0, v9, vcc
	v_cmp_gt_u32_e32 vcc, s4, v10
	v_add_u16_e32 v13, s5, v12
	v_or_b32_e32 v14, 0x380, v0
	v_cndmask_b32_e32 v6, 0, v11, vcc
	v_cmp_gt_u32_e32 vcc, s4, v12
	v_add_u16_e32 v15, s5, v14
	s_min_u32 s6, s4, 0x80
	v_cndmask_b32_e32 v7, 0, v13, vcc
	v_cmp_gt_u32_e32 vcc, s4, v14
	s_nop 1
	v_cndmask_b32_e32 v8, 0, v15, vcc
	v_add_u16_e32 v7, v8, v7
	v_add_u16_e32 v5, v7, v5
	;; [unrolled: 1-line block ×7, first 2 shown]
	v_mbcnt_lo_u32_b32 v2, -1, 0
	v_mbcnt_hi_u32_b32 v2, -1, v2
	v_and_b32_e32 v4, 63, v2
	v_cmp_ne_u32_e32 vcc, 63, v4
	v_and_b32_e32 v5, 64, v0
	v_sub_u32_e64 v5, s6, v5 clamp
	v_addc_co_u32_e32 v3, vcc, 0, v2, vcc
	v_lshlrev_b32_e32 v3, 2, v3
	ds_bpermute_b32 v3, v3, v1
	v_add_u32_e32 v6, 1, v4
	v_cmp_gt_u32_e64 s[4:5], 62, v4
	v_cmp_lt_u32_e32 vcc, v6, v5
	v_add_u32_e32 v7, 2, v4
	s_waitcnt lgkmcnt(0)
	v_add_u16_e32 v3, v1, v3
	v_cndmask_b32_e64 v6, 0, 2, s[4:5]
	v_cndmask_b32_e32 v3, v1, v3, vcc
	v_add_lshl_u32 v6, v6, v2, 2
	ds_bpermute_b32 v6, v6, v3
	v_cmp_lt_u32_e64 s[4:5], v7, v5
	v_add_u32_e32 v7, 4, v4
	s_waitcnt lgkmcnt(0)
	v_add_u16_e32 v6, v3, v6
	v_cndmask_b32_e64 v3, v3, v6, s[4:5]
	v_cmp_gt_u32_e64 s[4:5], 60, v4
	s_nop 1
	v_cndmask_b32_e64 v6, 0, 4, s[4:5]
	v_add_lshl_u32 v6, v6, v2, 2
	ds_bpermute_b32 v6, v6, v3
	v_cmp_lt_u32_e64 s[4:5], v7, v5
	v_add_u32_e32 v7, 8, v4
	s_waitcnt lgkmcnt(0)
	v_add_u16_e32 v6, v3, v6
	v_cndmask_b32_e64 v3, v3, v6, s[4:5]
	v_cmp_gt_u32_e64 s[4:5], 56, v4
	s_nop 1
	v_cndmask_b32_e64 v6, 0, 8, s[4:5]
	v_add_lshl_u32 v6, v6, v2, 2
	ds_bpermute_b32 v6, v6, v3
	v_cmp_lt_u32_e64 s[4:5], v7, v5
	v_add_u32_e32 v7, 16, v4
	s_waitcnt lgkmcnt(0)
	v_add_u16_e32 v6, v3, v6
	v_cndmask_b32_e64 v3, v3, v6, s[4:5]
	v_cmp_gt_u32_e64 s[4:5], 48, v4
	v_add_u32_e32 v4, 32, v4
	s_nop 0
	v_cndmask_b32_e64 v6, 0, 16, s[4:5]
	v_add_lshl_u32 v6, v6, v2, 2
	ds_bpermute_b32 v6, v6, v3
	v_cmp_lt_u32_e64 s[4:5], v7, v5
	s_waitcnt lgkmcnt(0)
	v_add_u16_e32 v6, v3, v6
	v_cndmask_b32_e64 v6, v3, v6, s[4:5]
	v_lshlrev_b32_e32 v3, 2, v2
	v_or_b32_e32 v7, 0x80, v3
	ds_bpermute_b32 v7, v7, v6
	v_cmp_lt_u32_e64 s[4:5], v4, v5
	s_waitcnt lgkmcnt(0)
	s_nop 0
	v_cndmask_b32_e64 v4, 0, v7, s[4:5]
	v_add_u16_e32 v4, v6, v4
	v_cndmask_b32_e32 v1, v1, v4, vcc
	v_cmp_eq_u32_e32 vcc, 0, v2
	s_and_saveexec_b64 s[4:5], vcc
; %bb.88:
	v_lshrrev_b32_e32 v4, 5, v0
	v_and_b32_e32 v4, 2, v4
	ds_write_b16 v4, v1 offset:28
; %bb.89:
	s_or_b64 exec, exec, s[4:5]
	v_cmp_gt_u32_e32 vcc, 2, v0
	s_waitcnt lgkmcnt(0)
	s_barrier
	s_and_saveexec_b64 s[4:5], vcc
	s_cbranch_execz .LBB1118_91
; %bb.90:
	v_lshlrev_b32_e32 v1, 1, v2
	ds_read_u16 v1, v1 offset:28
	v_or_b32_e32 v3, 4, v3
	s_add_i32 s6, s6, 63
	v_and_b32_e32 v2, 1, v2
	s_lshr_b32 s6, s6, 6
	s_waitcnt lgkmcnt(0)
	v_and_b32_e32 v4, 0xffff, v1
	ds_bpermute_b32 v3, v3, v4
	v_add_u32_e32 v2, 1, v2
	v_cmp_gt_u32_e32 vcc, s6, v2
	s_waitcnt lgkmcnt(0)
	s_nop 0
	v_cndmask_b32_e32 v2, 0, v3, vcc
	v_add_u16_e32 v1, v2, v1
.LBB1118_91:
	s_or_b64 exec, exec, s[4:5]
.LBB1118_92:
	v_cmp_eq_u32_e64 s[4:5], 0, v0
	s_branch .LBB1118_119
.LBB1118_93:
	s_mov_b64 s[4:5], -1
                                        ; implicit-def: $vgpr1
.LBB1118_94:
	s_and_b64 vcc, exec, s[4:5]
	s_cbranch_vccz .LBB1118_100
; %bb.95:
	s_sub_i32 s4, s92, s6
	s_add_i32 s5, s97, s6
	v_add_u16_e32 v1, s5, v0
	v_or_b32_e32 v2, 0x80, v0
	v_cmp_gt_u32_e32 vcc, s4, v0
	v_add_u16_e32 v3, s5, v2
	v_or_b32_e32 v4, 0x100, v0
	v_cndmask_b32_e32 v1, 0, v1, vcc
	v_cmp_gt_u32_e32 vcc, s4, v2
	v_add_u16_e32 v5, s5, v4
	v_or_b32_e32 v6, 0x180, v0
	v_cndmask_b32_e32 v2, 0, v3, vcc
	v_cmp_gt_u32_e32 vcc, s4, v4
	v_add_u16_e32 v7, s5, v6
	s_min_u32 s6, s4, 0x80
	v_cndmask_b32_e32 v3, 0, v5, vcc
	v_cmp_gt_u32_e32 vcc, s4, v6
	v_and_b32_e32 v5, 64, v0
	v_sub_u32_e64 v5, s6, v5 clamp
	v_cndmask_b32_e32 v4, 0, v7, vcc
	v_add_u16_e32 v3, v4, v3
	v_add_u16_e32 v1, v3, v1
	v_add_u16_e32 v1, v1, v2
	v_mbcnt_lo_u32_b32 v2, -1, 0
	v_mbcnt_hi_u32_b32 v2, -1, v2
	v_and_b32_e32 v4, 63, v2
	v_cmp_ne_u32_e32 vcc, 63, v4
	v_add_u32_e32 v6, 1, v4
	v_cmp_gt_u32_e64 s[4:5], 62, v4
	v_addc_co_u32_e32 v3, vcc, 0, v2, vcc
	v_lshlrev_b32_e32 v3, 2, v3
	ds_bpermute_b32 v3, v3, v1
	v_cmp_lt_u32_e32 vcc, v6, v5
	v_cndmask_b32_e64 v6, 0, 2, s[4:5]
	v_add_lshl_u32 v6, v6, v2, 2
	v_add_u32_e32 v7, 2, v4
	s_waitcnt lgkmcnt(0)
	v_add_u16_e32 v3, v1, v3
	v_cndmask_b32_e32 v3, v1, v3, vcc
	ds_bpermute_b32 v6, v6, v3
	v_cmp_lt_u32_e64 s[4:5], v7, v5
	v_add_u32_e32 v7, 4, v4
	s_waitcnt lgkmcnt(0)
	v_add_u16_e32 v6, v3, v6
	v_cndmask_b32_e64 v3, v3, v6, s[4:5]
	v_cmp_gt_u32_e64 s[4:5], 60, v4
	s_nop 1
	v_cndmask_b32_e64 v6, 0, 4, s[4:5]
	v_add_lshl_u32 v6, v6, v2, 2
	ds_bpermute_b32 v6, v6, v3
	v_cmp_lt_u32_e64 s[4:5], v7, v5
	v_add_u32_e32 v7, 8, v4
	s_waitcnt lgkmcnt(0)
	v_add_u16_e32 v6, v3, v6
	v_cndmask_b32_e64 v3, v3, v6, s[4:5]
	v_cmp_gt_u32_e64 s[4:5], 56, v4
	s_nop 1
	v_cndmask_b32_e64 v6, 0, 8, s[4:5]
	v_add_lshl_u32 v6, v6, v2, 2
	ds_bpermute_b32 v6, v6, v3
	v_cmp_lt_u32_e64 s[4:5], v7, v5
	v_add_u32_e32 v7, 16, v4
	s_waitcnt lgkmcnt(0)
	v_add_u16_e32 v6, v3, v6
	v_cndmask_b32_e64 v3, v3, v6, s[4:5]
	v_cmp_gt_u32_e64 s[4:5], 48, v4
	v_add_u32_e32 v4, 32, v4
	s_nop 0
	v_cndmask_b32_e64 v6, 0, 16, s[4:5]
	v_add_lshl_u32 v6, v6, v2, 2
	ds_bpermute_b32 v6, v6, v3
	v_cmp_lt_u32_e64 s[4:5], v7, v5
	s_waitcnt lgkmcnt(0)
	v_add_u16_e32 v6, v3, v6
	v_cndmask_b32_e64 v6, v3, v6, s[4:5]
	v_lshlrev_b32_e32 v3, 2, v2
	v_or_b32_e32 v7, 0x80, v3
	ds_bpermute_b32 v7, v7, v6
	v_cmp_lt_u32_e64 s[4:5], v4, v5
	s_waitcnt lgkmcnt(0)
	s_nop 0
	v_cndmask_b32_e64 v4, 0, v7, s[4:5]
	v_add_u16_e32 v4, v6, v4
	v_cndmask_b32_e32 v1, v1, v4, vcc
	v_cmp_eq_u32_e32 vcc, 0, v2
	s_and_saveexec_b64 s[4:5], vcc
; %bb.96:
	v_lshrrev_b32_e32 v4, 5, v0
	v_and_b32_e32 v4, 2, v4
	ds_write_b16 v4, v1 offset:28
; %bb.97:
	s_or_b64 exec, exec, s[4:5]
	v_cmp_gt_u32_e32 vcc, 2, v0
	s_waitcnt lgkmcnt(0)
	s_barrier
	s_and_saveexec_b64 s[4:5], vcc
	s_cbranch_execz .LBB1118_99
; %bb.98:
	v_lshlrev_b32_e32 v1, 1, v2
	ds_read_u16 v1, v1 offset:28
	v_or_b32_e32 v3, 4, v3
	s_add_i32 s6, s6, 63
	v_and_b32_e32 v2, 1, v2
	s_lshr_b32 s6, s6, 6
	s_waitcnt lgkmcnt(0)
	v_and_b32_e32 v4, 0xffff, v1
	ds_bpermute_b32 v3, v3, v4
	v_add_u32_e32 v2, 1, v2
	v_cmp_gt_u32_e32 vcc, s6, v2
	s_waitcnt lgkmcnt(0)
	s_nop 0
	v_cndmask_b32_e32 v2, 0, v3, vcc
	v_add_u16_e32 v1, v2, v1
.LBB1118_99:
	s_or_b64 exec, exec, s[4:5]
.LBB1118_100:
	v_cmp_eq_u32_e64 s[4:5], 0, v0
.LBB1118_101:
	s_branch .LBB1118_119
.LBB1118_102:
	s_mov_b64 s[4:5], -1
                                        ; implicit-def: $vgpr1
.LBB1118_103:
	s_and_b64 vcc, exec, s[4:5]
	s_cbranch_vccz .LBB1118_109
; %bb.104:
	s_sub_i32 s4, s92, s6
	s_add_i32 s5, s97, s6
	v_add_u16_e32 v1, s5, v0
	v_or_b32_e32 v2, 0x80, v0
	v_cmp_gt_u32_e32 vcc, s4, v0
	v_add_u16_e32 v3, s5, v2
	s_min_u32 s6, s4, 0x80
	v_cndmask_b32_e32 v1, 0, v1, vcc
	v_cmp_gt_u32_e32 vcc, s4, v2
	v_and_b32_e32 v5, 64, v0
	v_sub_u32_e64 v5, s6, v5 clamp
	v_cndmask_b32_e32 v2, 0, v3, vcc
	v_add_u16_e32 v1, v1, v2
	v_mbcnt_lo_u32_b32 v2, -1, 0
	v_mbcnt_hi_u32_b32 v2, -1, v2
	v_and_b32_e32 v4, 63, v2
	v_cmp_ne_u32_e32 vcc, 63, v4
	v_add_u32_e32 v6, 1, v4
	v_cmp_gt_u32_e64 s[4:5], 62, v4
	v_addc_co_u32_e32 v3, vcc, 0, v2, vcc
	v_lshlrev_b32_e32 v3, 2, v3
	ds_bpermute_b32 v3, v3, v1
	v_cmp_lt_u32_e32 vcc, v6, v5
	v_cndmask_b32_e64 v6, 0, 2, s[4:5]
	v_add_lshl_u32 v6, v6, v2, 2
	v_add_u32_e32 v7, 2, v4
	s_waitcnt lgkmcnt(0)
	v_add_u16_e32 v3, v1, v3
	v_cndmask_b32_e32 v3, v1, v3, vcc
	ds_bpermute_b32 v6, v6, v3
	v_cmp_lt_u32_e64 s[4:5], v7, v5
	v_add_u32_e32 v7, 4, v4
	s_waitcnt lgkmcnt(0)
	v_add_u16_e32 v6, v3, v6
	v_cndmask_b32_e64 v3, v3, v6, s[4:5]
	v_cmp_gt_u32_e64 s[4:5], 60, v4
	s_nop 1
	v_cndmask_b32_e64 v6, 0, 4, s[4:5]
	v_add_lshl_u32 v6, v6, v2, 2
	ds_bpermute_b32 v6, v6, v3
	v_cmp_lt_u32_e64 s[4:5], v7, v5
	v_add_u32_e32 v7, 8, v4
	s_waitcnt lgkmcnt(0)
	v_add_u16_e32 v6, v3, v6
	v_cndmask_b32_e64 v3, v3, v6, s[4:5]
	v_cmp_gt_u32_e64 s[4:5], 56, v4
	s_nop 1
	v_cndmask_b32_e64 v6, 0, 8, s[4:5]
	v_add_lshl_u32 v6, v6, v2, 2
	ds_bpermute_b32 v6, v6, v3
	v_cmp_lt_u32_e64 s[4:5], v7, v5
	v_add_u32_e32 v7, 16, v4
	s_waitcnt lgkmcnt(0)
	v_add_u16_e32 v6, v3, v6
	v_cndmask_b32_e64 v3, v3, v6, s[4:5]
	v_cmp_gt_u32_e64 s[4:5], 48, v4
	v_add_u32_e32 v4, 32, v4
	s_nop 0
	v_cndmask_b32_e64 v6, 0, 16, s[4:5]
	v_add_lshl_u32 v6, v6, v2, 2
	ds_bpermute_b32 v6, v6, v3
	v_cmp_lt_u32_e64 s[4:5], v7, v5
	s_waitcnt lgkmcnt(0)
	v_add_u16_e32 v6, v3, v6
	v_cndmask_b32_e64 v6, v3, v6, s[4:5]
	v_lshlrev_b32_e32 v3, 2, v2
	v_or_b32_e32 v7, 0x80, v3
	ds_bpermute_b32 v7, v7, v6
	v_cmp_lt_u32_e64 s[4:5], v4, v5
	s_waitcnt lgkmcnt(0)
	s_nop 0
	v_cndmask_b32_e64 v4, 0, v7, s[4:5]
	v_add_u16_e32 v4, v6, v4
	v_cndmask_b32_e32 v1, v1, v4, vcc
	v_cmp_eq_u32_e32 vcc, 0, v2
	s_and_saveexec_b64 s[4:5], vcc
; %bb.105:
	v_lshrrev_b32_e32 v4, 5, v0
	v_and_b32_e32 v4, 2, v4
	ds_write_b16 v4, v1 offset:28
; %bb.106:
	s_or_b64 exec, exec, s[4:5]
	v_cmp_gt_u32_e32 vcc, 2, v0
	s_waitcnt lgkmcnt(0)
	s_barrier
	s_and_saveexec_b64 s[4:5], vcc
	s_cbranch_execz .LBB1118_108
; %bb.107:
	v_lshlrev_b32_e32 v1, 1, v2
	ds_read_u16 v1, v1 offset:28
	v_or_b32_e32 v3, 4, v3
	s_add_i32 s6, s6, 63
	v_and_b32_e32 v2, 1, v2
	s_lshr_b32 s6, s6, 6
	s_waitcnt lgkmcnt(0)
	v_and_b32_e32 v4, 0xffff, v1
	ds_bpermute_b32 v3, v3, v4
	v_add_u32_e32 v2, 1, v2
	v_cmp_gt_u32_e32 vcc, s6, v2
	s_waitcnt lgkmcnt(0)
	s_nop 0
	v_cndmask_b32_e32 v2, 0, v3, vcc
	v_add_u16_e32 v1, v2, v1
.LBB1118_108:
	s_or_b64 exec, exec, s[4:5]
.LBB1118_109:
	v_cmp_eq_u32_e64 s[4:5], 0, v0
	s_branch .LBB1118_119
.LBB1118_110:
	s_cmp_eq_u32 s96, 1
	s_cbranch_scc0 .LBB1118_118
; %bb.111:
	s_lshl_b32 s6, s2, 7
	s_mov_b32 s3, 0
	s_lshr_b64 s[4:5], s[92:93], 7
	s_cmp_lg_u64 s[4:5], s[2:3]
	v_add_u16_e32 v3, s6, v0
	v_mbcnt_lo_u32_b32 v2, -1, 0
	s_cbranch_scc0 .LBB1118_122
; %bb.112:
	v_add_u16_e32 v1, s97, v3
	v_mbcnt_hi_u32_b32 v4, -1, v2
	v_lshlrev_b32_e32 v5, 2, v4
	v_add_u16_dpp v1, v1, v1 quad_perm:[1,0,3,2] row_mask:0xf bank_mask:0xf bound_ctrl:1
	v_or_b32_e32 v6, 0xfc, v5
	v_cmp_eq_u32_e32 vcc, 0, v4
	v_add_u16_dpp v1, v1, v1 quad_perm:[2,3,0,1] row_mask:0xf bank_mask:0xf bound_ctrl:1
	s_nop 1
	v_add_u16_dpp v1, v1, v1 row_ror:4 row_mask:0xf bank_mask:0xf bound_ctrl:1
	s_nop 1
	v_add_u16_dpp v1, v1, v1 row_ror:8 row_mask:0xf bank_mask:0xf bound_ctrl:1
	s_nop 1
	v_add_u16_dpp v1, v1, v1 row_bcast:15 row_mask:0xf bank_mask:0xf bound_ctrl:1
	s_nop 1
	v_add_u16_dpp v1, v1, v1 row_bcast:31 row_mask:0xf bank_mask:0xf bound_ctrl:1
	ds_bpermute_b32 v1, v6, v1
	s_and_saveexec_b64 s[4:5], vcc
	s_cbranch_execz .LBB1118_114
; %bb.113:
	v_lshrrev_b32_e32 v6, 5, v0
	v_and_b32_e32 v6, 2, v6
	s_waitcnt lgkmcnt(0)
	ds_write_b16 v6, v1 offset:4
.LBB1118_114:
	s_or_b64 exec, exec, s[4:5]
	v_cmp_gt_u32_e32 vcc, 64, v0
	s_waitcnt lgkmcnt(0)
	s_barrier
	s_and_saveexec_b64 s[4:5], vcc
	s_cbranch_execz .LBB1118_116
; %bb.115:
	v_and_b32_e32 v1, 1, v4
	v_lshlrev_b32_e32 v1, 1, v1
	ds_read_u16 v1, v1 offset:4
	v_or_b32_e32 v4, 4, v5
	s_waitcnt lgkmcnt(0)
	v_and_b32_e32 v5, 0xffff, v1
	ds_bpermute_b32 v4, v4, v5
	s_waitcnt lgkmcnt(0)
	v_add_u16_e32 v1, v1, v4
.LBB1118_116:
	s_or_b64 exec, exec, s[4:5]
.LBB1118_117:
	v_cmp_eq_u32_e64 s[4:5], 0, v0
	s_and_saveexec_b64 s[6:7], s[4:5]
	s_cbranch_execnz .LBB1118_120
	s_branch .LBB1118_121
.LBB1118_118:
                                        ; implicit-def: $vgpr1
                                        ; implicit-def: $sgpr2_sgpr3
.LBB1118_119:
	s_and_saveexec_b64 s[6:7], s[4:5]
	s_cbranch_execz .LBB1118_121
.LBB1118_120:
	s_load_dword s4, s[0:1], 0x20
	s_lshl_b64 s[0:1], s[2:3], 1
	s_add_u32 s0, s94, s0
	s_addc_u32 s1, s95, s1
	s_cmp_lg_u64 s[92:93], 0
	s_cselect_b64 vcc, -1, 0
	v_cndmask_b32_e32 v1, 0, v1, vcc
	v_mov_b32_e32 v0, 0
	s_waitcnt lgkmcnt(0)
	v_add_u16_e32 v1, s4, v1
	global_store_short v0, v1, s[0:1]
.LBB1118_121:
	s_endpgm
.LBB1118_122:
                                        ; implicit-def: $vgpr1
	s_cbranch_execz .LBB1118_117
; %bb.123:
	v_mbcnt_hi_u32_b32 v2, -1, v2
	v_and_b32_e32 v4, 63, v2
	v_cmp_ne_u32_e32 vcc, 63, v4
	v_add_u16_e32 v1, s97, v3
	s_sub_i32 s4, s92, s6
	v_addc_co_u32_e32 v3, vcc, 0, v2, vcc
	v_lshlrev_b32_e32 v3, 2, v3
	ds_bpermute_b32 v3, v3, v1
	s_min_u32 s6, s4, 0x80
	v_and_b32_e32 v5, 64, v0
	v_sub_u32_e64 v5, s6, v5 clamp
	v_add_u32_e32 v6, 1, v4
	v_cmp_gt_u32_e64 s[4:5], 62, v4
	s_waitcnt lgkmcnt(0)
	v_add_u16_e32 v3, v1, v3
	v_cmp_lt_u32_e32 vcc, v6, v5
	v_cndmask_b32_e64 v6, 0, 2, s[4:5]
	v_add_lshl_u32 v6, v6, v2, 2
	v_cndmask_b32_e32 v3, v1, v3, vcc
	ds_bpermute_b32 v6, v6, v3
	v_add_u32_e32 v7, 2, v4
	v_cmp_lt_u32_e64 s[4:5], v7, v5
	v_add_u32_e32 v7, 4, v4
	s_waitcnt lgkmcnt(0)
	v_add_u16_e32 v6, v3, v6
	v_cndmask_b32_e64 v3, v3, v6, s[4:5]
	v_cmp_gt_u32_e64 s[4:5], 60, v4
	s_nop 1
	v_cndmask_b32_e64 v6, 0, 4, s[4:5]
	v_add_lshl_u32 v6, v6, v2, 2
	ds_bpermute_b32 v6, v6, v3
	v_cmp_lt_u32_e64 s[4:5], v7, v5
	v_add_u32_e32 v7, 8, v4
	s_waitcnt lgkmcnt(0)
	v_add_u16_e32 v6, v3, v6
	v_cndmask_b32_e64 v3, v3, v6, s[4:5]
	v_cmp_gt_u32_e64 s[4:5], 56, v4
	s_nop 1
	v_cndmask_b32_e64 v6, 0, 8, s[4:5]
	v_add_lshl_u32 v6, v6, v2, 2
	ds_bpermute_b32 v6, v6, v3
	v_cmp_lt_u32_e64 s[4:5], v7, v5
	v_add_u32_e32 v7, 16, v4
	s_waitcnt lgkmcnt(0)
	v_add_u16_e32 v6, v3, v6
	v_cndmask_b32_e64 v3, v3, v6, s[4:5]
	v_cmp_gt_u32_e64 s[4:5], 48, v4
	v_add_u32_e32 v4, 32, v4
	s_nop 0
	v_cndmask_b32_e64 v6, 0, 16, s[4:5]
	v_add_lshl_u32 v6, v6, v2, 2
	ds_bpermute_b32 v6, v6, v3
	v_cmp_lt_u32_e64 s[4:5], v7, v5
	s_waitcnt lgkmcnt(0)
	v_add_u16_e32 v6, v3, v6
	v_cndmask_b32_e64 v6, v3, v6, s[4:5]
	v_lshlrev_b32_e32 v3, 2, v2
	v_or_b32_e32 v7, 0x80, v3
	ds_bpermute_b32 v7, v7, v6
	v_cmp_lt_u32_e64 s[4:5], v4, v5
	s_waitcnt lgkmcnt(0)
	s_nop 0
	v_cndmask_b32_e64 v4, 0, v7, s[4:5]
	v_add_u16_e32 v4, v6, v4
	v_cndmask_b32_e32 v1, v1, v4, vcc
	v_cmp_eq_u32_e32 vcc, 0, v2
	s_and_saveexec_b64 s[4:5], vcc
; %bb.124:
	v_lshrrev_b32_e32 v4, 5, v0
	v_and_b32_e32 v4, 2, v4
	ds_write_b16 v4, v1 offset:28
; %bb.125:
	s_or_b64 exec, exec, s[4:5]
	v_cmp_gt_u32_e32 vcc, 2, v0
	s_waitcnt lgkmcnt(0)
	s_barrier
	s_and_saveexec_b64 s[4:5], vcc
	s_cbranch_execz .LBB1118_127
; %bb.126:
	v_lshlrev_b32_e32 v1, 1, v2
	ds_read_u16 v1, v1 offset:28
	v_or_b32_e32 v3, 4, v3
	s_add_i32 s6, s6, 63
	v_and_b32_e32 v2, 1, v2
	s_lshr_b32 s6, s6, 6
	s_waitcnt lgkmcnt(0)
	v_and_b32_e32 v4, 0xffff, v1
	ds_bpermute_b32 v3, v3, v4
	v_add_u32_e32 v2, 1, v2
	v_cmp_gt_u32_e32 vcc, s6, v2
	s_waitcnt lgkmcnt(0)
	s_nop 0
	v_cndmask_b32_e32 v2, 0, v3, vcc
	v_add_u16_e32 v1, v2, v1
.LBB1118_127:
	s_or_b64 exec, exec, s[4:5]
	v_cmp_eq_u32_e64 s[4:5], 0, v0
	s_and_saveexec_b64 s[6:7], s[4:5]
	s_cbranch_execnz .LBB1118_120
	s_branch .LBB1118_121
	.section	.rodata,"a",@progbits
	.p2align	6, 0x0
	.amdhsa_kernel _ZN7rocprim17ROCPRIM_400000_NS6detail17trampoline_kernelINS0_14default_configENS1_22reduce_config_selectorIsEEZNS1_11reduce_implILb1ES3_N6thrust23THRUST_200600_302600_NS17counting_iteratorIsNS8_11hip_rocprim3tagENS8_11use_defaultESC_EEPssNS8_4plusIsEEEE10hipError_tPvRmT1_T2_T3_mT4_P12ihipStream_tbEUlT_E1_NS1_11comp_targetILNS1_3genE0ELNS1_11target_archE4294967295ELNS1_3gpuE0ELNS1_3repE0EEENS1_30default_config_static_selectorELNS0_4arch9wavefront6targetE1EEEvSK_
		.amdhsa_group_segment_fixed_size 32
		.amdhsa_private_segment_fixed_size 0
		.amdhsa_kernarg_size 40
		.amdhsa_user_sgpr_count 2
		.amdhsa_user_sgpr_dispatch_ptr 0
		.amdhsa_user_sgpr_queue_ptr 0
		.amdhsa_user_sgpr_kernarg_segment_ptr 1
		.amdhsa_user_sgpr_dispatch_id 0
		.amdhsa_user_sgpr_kernarg_preload_length 0
		.amdhsa_user_sgpr_kernarg_preload_offset 0
		.amdhsa_user_sgpr_private_segment_size 0
		.amdhsa_uses_dynamic_stack 0
		.amdhsa_enable_private_segment 0
		.amdhsa_system_sgpr_workgroup_id_x 1
		.amdhsa_system_sgpr_workgroup_id_y 0
		.amdhsa_system_sgpr_workgroup_id_z 0
		.amdhsa_system_sgpr_workgroup_info 0
		.amdhsa_system_vgpr_workitem_id 0
		.amdhsa_next_free_vgpr 60
		.amdhsa_next_free_sgpr 100
		.amdhsa_accum_offset 60
		.amdhsa_reserve_vcc 1
		.amdhsa_float_round_mode_32 0
		.amdhsa_float_round_mode_16_64 0
		.amdhsa_float_denorm_mode_32 3
		.amdhsa_float_denorm_mode_16_64 3
		.amdhsa_dx10_clamp 1
		.amdhsa_ieee_mode 1
		.amdhsa_fp16_overflow 0
		.amdhsa_tg_split 0
		.amdhsa_exception_fp_ieee_invalid_op 0
		.amdhsa_exception_fp_denorm_src 0
		.amdhsa_exception_fp_ieee_div_zero 0
		.amdhsa_exception_fp_ieee_overflow 0
		.amdhsa_exception_fp_ieee_underflow 0
		.amdhsa_exception_fp_ieee_inexact 0
		.amdhsa_exception_int_div_zero 0
	.end_amdhsa_kernel
	.section	.text._ZN7rocprim17ROCPRIM_400000_NS6detail17trampoline_kernelINS0_14default_configENS1_22reduce_config_selectorIsEEZNS1_11reduce_implILb1ES3_N6thrust23THRUST_200600_302600_NS17counting_iteratorIsNS8_11hip_rocprim3tagENS8_11use_defaultESC_EEPssNS8_4plusIsEEEE10hipError_tPvRmT1_T2_T3_mT4_P12ihipStream_tbEUlT_E1_NS1_11comp_targetILNS1_3genE0ELNS1_11target_archE4294967295ELNS1_3gpuE0ELNS1_3repE0EEENS1_30default_config_static_selectorELNS0_4arch9wavefront6targetE1EEEvSK_,"axG",@progbits,_ZN7rocprim17ROCPRIM_400000_NS6detail17trampoline_kernelINS0_14default_configENS1_22reduce_config_selectorIsEEZNS1_11reduce_implILb1ES3_N6thrust23THRUST_200600_302600_NS17counting_iteratorIsNS8_11hip_rocprim3tagENS8_11use_defaultESC_EEPssNS8_4plusIsEEEE10hipError_tPvRmT1_T2_T3_mT4_P12ihipStream_tbEUlT_E1_NS1_11comp_targetILNS1_3genE0ELNS1_11target_archE4294967295ELNS1_3gpuE0ELNS1_3repE0EEENS1_30default_config_static_selectorELNS0_4arch9wavefront6targetE1EEEvSK_,comdat
.Lfunc_end1118:
	.size	_ZN7rocprim17ROCPRIM_400000_NS6detail17trampoline_kernelINS0_14default_configENS1_22reduce_config_selectorIsEEZNS1_11reduce_implILb1ES3_N6thrust23THRUST_200600_302600_NS17counting_iteratorIsNS8_11hip_rocprim3tagENS8_11use_defaultESC_EEPssNS8_4plusIsEEEE10hipError_tPvRmT1_T2_T3_mT4_P12ihipStream_tbEUlT_E1_NS1_11comp_targetILNS1_3genE0ELNS1_11target_archE4294967295ELNS1_3gpuE0ELNS1_3repE0EEENS1_30default_config_static_selectorELNS0_4arch9wavefront6targetE1EEEvSK_, .Lfunc_end1118-_ZN7rocprim17ROCPRIM_400000_NS6detail17trampoline_kernelINS0_14default_configENS1_22reduce_config_selectorIsEEZNS1_11reduce_implILb1ES3_N6thrust23THRUST_200600_302600_NS17counting_iteratorIsNS8_11hip_rocprim3tagENS8_11use_defaultESC_EEPssNS8_4plusIsEEEE10hipError_tPvRmT1_T2_T3_mT4_P12ihipStream_tbEUlT_E1_NS1_11comp_targetILNS1_3genE0ELNS1_11target_archE4294967295ELNS1_3gpuE0ELNS1_3repE0EEENS1_30default_config_static_selectorELNS0_4arch9wavefront6targetE1EEEvSK_
                                        ; -- End function
	.set _ZN7rocprim17ROCPRIM_400000_NS6detail17trampoline_kernelINS0_14default_configENS1_22reduce_config_selectorIsEEZNS1_11reduce_implILb1ES3_N6thrust23THRUST_200600_302600_NS17counting_iteratorIsNS8_11hip_rocprim3tagENS8_11use_defaultESC_EEPssNS8_4plusIsEEEE10hipError_tPvRmT1_T2_T3_mT4_P12ihipStream_tbEUlT_E1_NS1_11comp_targetILNS1_3genE0ELNS1_11target_archE4294967295ELNS1_3gpuE0ELNS1_3repE0EEENS1_30default_config_static_selectorELNS0_4arch9wavefront6targetE1EEEvSK_.num_vgpr, 60
	.set _ZN7rocprim17ROCPRIM_400000_NS6detail17trampoline_kernelINS0_14default_configENS1_22reduce_config_selectorIsEEZNS1_11reduce_implILb1ES3_N6thrust23THRUST_200600_302600_NS17counting_iteratorIsNS8_11hip_rocprim3tagENS8_11use_defaultESC_EEPssNS8_4plusIsEEEE10hipError_tPvRmT1_T2_T3_mT4_P12ihipStream_tbEUlT_E1_NS1_11comp_targetILNS1_3genE0ELNS1_11target_archE4294967295ELNS1_3gpuE0ELNS1_3repE0EEENS1_30default_config_static_selectorELNS0_4arch9wavefront6targetE1EEEvSK_.num_agpr, 0
	.set _ZN7rocprim17ROCPRIM_400000_NS6detail17trampoline_kernelINS0_14default_configENS1_22reduce_config_selectorIsEEZNS1_11reduce_implILb1ES3_N6thrust23THRUST_200600_302600_NS17counting_iteratorIsNS8_11hip_rocprim3tagENS8_11use_defaultESC_EEPssNS8_4plusIsEEEE10hipError_tPvRmT1_T2_T3_mT4_P12ihipStream_tbEUlT_E1_NS1_11comp_targetILNS1_3genE0ELNS1_11target_archE4294967295ELNS1_3gpuE0ELNS1_3repE0EEENS1_30default_config_static_selectorELNS0_4arch9wavefront6targetE1EEEvSK_.numbered_sgpr, 100
	.set _ZN7rocprim17ROCPRIM_400000_NS6detail17trampoline_kernelINS0_14default_configENS1_22reduce_config_selectorIsEEZNS1_11reduce_implILb1ES3_N6thrust23THRUST_200600_302600_NS17counting_iteratorIsNS8_11hip_rocprim3tagENS8_11use_defaultESC_EEPssNS8_4plusIsEEEE10hipError_tPvRmT1_T2_T3_mT4_P12ihipStream_tbEUlT_E1_NS1_11comp_targetILNS1_3genE0ELNS1_11target_archE4294967295ELNS1_3gpuE0ELNS1_3repE0EEENS1_30default_config_static_selectorELNS0_4arch9wavefront6targetE1EEEvSK_.num_named_barrier, 0
	.set _ZN7rocprim17ROCPRIM_400000_NS6detail17trampoline_kernelINS0_14default_configENS1_22reduce_config_selectorIsEEZNS1_11reduce_implILb1ES3_N6thrust23THRUST_200600_302600_NS17counting_iteratorIsNS8_11hip_rocprim3tagENS8_11use_defaultESC_EEPssNS8_4plusIsEEEE10hipError_tPvRmT1_T2_T3_mT4_P12ihipStream_tbEUlT_E1_NS1_11comp_targetILNS1_3genE0ELNS1_11target_archE4294967295ELNS1_3gpuE0ELNS1_3repE0EEENS1_30default_config_static_selectorELNS0_4arch9wavefront6targetE1EEEvSK_.private_seg_size, 0
	.set _ZN7rocprim17ROCPRIM_400000_NS6detail17trampoline_kernelINS0_14default_configENS1_22reduce_config_selectorIsEEZNS1_11reduce_implILb1ES3_N6thrust23THRUST_200600_302600_NS17counting_iteratorIsNS8_11hip_rocprim3tagENS8_11use_defaultESC_EEPssNS8_4plusIsEEEE10hipError_tPvRmT1_T2_T3_mT4_P12ihipStream_tbEUlT_E1_NS1_11comp_targetILNS1_3genE0ELNS1_11target_archE4294967295ELNS1_3gpuE0ELNS1_3repE0EEENS1_30default_config_static_selectorELNS0_4arch9wavefront6targetE1EEEvSK_.uses_vcc, 1
	.set _ZN7rocprim17ROCPRIM_400000_NS6detail17trampoline_kernelINS0_14default_configENS1_22reduce_config_selectorIsEEZNS1_11reduce_implILb1ES3_N6thrust23THRUST_200600_302600_NS17counting_iteratorIsNS8_11hip_rocprim3tagENS8_11use_defaultESC_EEPssNS8_4plusIsEEEE10hipError_tPvRmT1_T2_T3_mT4_P12ihipStream_tbEUlT_E1_NS1_11comp_targetILNS1_3genE0ELNS1_11target_archE4294967295ELNS1_3gpuE0ELNS1_3repE0EEENS1_30default_config_static_selectorELNS0_4arch9wavefront6targetE1EEEvSK_.uses_flat_scratch, 0
	.set _ZN7rocprim17ROCPRIM_400000_NS6detail17trampoline_kernelINS0_14default_configENS1_22reduce_config_selectorIsEEZNS1_11reduce_implILb1ES3_N6thrust23THRUST_200600_302600_NS17counting_iteratorIsNS8_11hip_rocprim3tagENS8_11use_defaultESC_EEPssNS8_4plusIsEEEE10hipError_tPvRmT1_T2_T3_mT4_P12ihipStream_tbEUlT_E1_NS1_11comp_targetILNS1_3genE0ELNS1_11target_archE4294967295ELNS1_3gpuE0ELNS1_3repE0EEENS1_30default_config_static_selectorELNS0_4arch9wavefront6targetE1EEEvSK_.has_dyn_sized_stack, 0
	.set _ZN7rocprim17ROCPRIM_400000_NS6detail17trampoline_kernelINS0_14default_configENS1_22reduce_config_selectorIsEEZNS1_11reduce_implILb1ES3_N6thrust23THRUST_200600_302600_NS17counting_iteratorIsNS8_11hip_rocprim3tagENS8_11use_defaultESC_EEPssNS8_4plusIsEEEE10hipError_tPvRmT1_T2_T3_mT4_P12ihipStream_tbEUlT_E1_NS1_11comp_targetILNS1_3genE0ELNS1_11target_archE4294967295ELNS1_3gpuE0ELNS1_3repE0EEENS1_30default_config_static_selectorELNS0_4arch9wavefront6targetE1EEEvSK_.has_recursion, 0
	.set _ZN7rocprim17ROCPRIM_400000_NS6detail17trampoline_kernelINS0_14default_configENS1_22reduce_config_selectorIsEEZNS1_11reduce_implILb1ES3_N6thrust23THRUST_200600_302600_NS17counting_iteratorIsNS8_11hip_rocprim3tagENS8_11use_defaultESC_EEPssNS8_4plusIsEEEE10hipError_tPvRmT1_T2_T3_mT4_P12ihipStream_tbEUlT_E1_NS1_11comp_targetILNS1_3genE0ELNS1_11target_archE4294967295ELNS1_3gpuE0ELNS1_3repE0EEENS1_30default_config_static_selectorELNS0_4arch9wavefront6targetE1EEEvSK_.has_indirect_call, 0
	.section	.AMDGPU.csdata,"",@progbits
; Kernel info:
; codeLenInByte = 10404
; TotalNumSgprs: 106
; NumVgprs: 60
; NumAgprs: 0
; TotalNumVgprs: 60
; ScratchSize: 0
; MemoryBound: 0
; FloatMode: 240
; IeeeMode: 1
; LDSByteSize: 32 bytes/workgroup (compile time only)
; SGPRBlocks: 13
; VGPRBlocks: 7
; NumSGPRsForWavesPerEU: 106
; NumVGPRsForWavesPerEU: 60
; AccumOffset: 60
; Occupancy: 7
; WaveLimiterHint : 0
; COMPUTE_PGM_RSRC2:SCRATCH_EN: 0
; COMPUTE_PGM_RSRC2:USER_SGPR: 2
; COMPUTE_PGM_RSRC2:TRAP_HANDLER: 0
; COMPUTE_PGM_RSRC2:TGID_X_EN: 1
; COMPUTE_PGM_RSRC2:TGID_Y_EN: 0
; COMPUTE_PGM_RSRC2:TGID_Z_EN: 0
; COMPUTE_PGM_RSRC2:TIDIG_COMP_CNT: 0
; COMPUTE_PGM_RSRC3_GFX90A:ACCUM_OFFSET: 14
; COMPUTE_PGM_RSRC3_GFX90A:TG_SPLIT: 0
	.section	.text._ZN7rocprim17ROCPRIM_400000_NS6detail17trampoline_kernelINS0_14default_configENS1_22reduce_config_selectorIsEEZNS1_11reduce_implILb1ES3_N6thrust23THRUST_200600_302600_NS17counting_iteratorIsNS8_11hip_rocprim3tagENS8_11use_defaultESC_EEPssNS8_4plusIsEEEE10hipError_tPvRmT1_T2_T3_mT4_P12ihipStream_tbEUlT_E1_NS1_11comp_targetILNS1_3genE5ELNS1_11target_archE942ELNS1_3gpuE9ELNS1_3repE0EEENS1_30default_config_static_selectorELNS0_4arch9wavefront6targetE1EEEvSK_,"axG",@progbits,_ZN7rocprim17ROCPRIM_400000_NS6detail17trampoline_kernelINS0_14default_configENS1_22reduce_config_selectorIsEEZNS1_11reduce_implILb1ES3_N6thrust23THRUST_200600_302600_NS17counting_iteratorIsNS8_11hip_rocprim3tagENS8_11use_defaultESC_EEPssNS8_4plusIsEEEE10hipError_tPvRmT1_T2_T3_mT4_P12ihipStream_tbEUlT_E1_NS1_11comp_targetILNS1_3genE5ELNS1_11target_archE942ELNS1_3gpuE9ELNS1_3repE0EEENS1_30default_config_static_selectorELNS0_4arch9wavefront6targetE1EEEvSK_,comdat
	.protected	_ZN7rocprim17ROCPRIM_400000_NS6detail17trampoline_kernelINS0_14default_configENS1_22reduce_config_selectorIsEEZNS1_11reduce_implILb1ES3_N6thrust23THRUST_200600_302600_NS17counting_iteratorIsNS8_11hip_rocprim3tagENS8_11use_defaultESC_EEPssNS8_4plusIsEEEE10hipError_tPvRmT1_T2_T3_mT4_P12ihipStream_tbEUlT_E1_NS1_11comp_targetILNS1_3genE5ELNS1_11target_archE942ELNS1_3gpuE9ELNS1_3repE0EEENS1_30default_config_static_selectorELNS0_4arch9wavefront6targetE1EEEvSK_ ; -- Begin function _ZN7rocprim17ROCPRIM_400000_NS6detail17trampoline_kernelINS0_14default_configENS1_22reduce_config_selectorIsEEZNS1_11reduce_implILb1ES3_N6thrust23THRUST_200600_302600_NS17counting_iteratorIsNS8_11hip_rocprim3tagENS8_11use_defaultESC_EEPssNS8_4plusIsEEEE10hipError_tPvRmT1_T2_T3_mT4_P12ihipStream_tbEUlT_E1_NS1_11comp_targetILNS1_3genE5ELNS1_11target_archE942ELNS1_3gpuE9ELNS1_3repE0EEENS1_30default_config_static_selectorELNS0_4arch9wavefront6targetE1EEEvSK_
	.globl	_ZN7rocprim17ROCPRIM_400000_NS6detail17trampoline_kernelINS0_14default_configENS1_22reduce_config_selectorIsEEZNS1_11reduce_implILb1ES3_N6thrust23THRUST_200600_302600_NS17counting_iteratorIsNS8_11hip_rocprim3tagENS8_11use_defaultESC_EEPssNS8_4plusIsEEEE10hipError_tPvRmT1_T2_T3_mT4_P12ihipStream_tbEUlT_E1_NS1_11comp_targetILNS1_3genE5ELNS1_11target_archE942ELNS1_3gpuE9ELNS1_3repE0EEENS1_30default_config_static_selectorELNS0_4arch9wavefront6targetE1EEEvSK_
	.p2align	8
	.type	_ZN7rocprim17ROCPRIM_400000_NS6detail17trampoline_kernelINS0_14default_configENS1_22reduce_config_selectorIsEEZNS1_11reduce_implILb1ES3_N6thrust23THRUST_200600_302600_NS17counting_iteratorIsNS8_11hip_rocprim3tagENS8_11use_defaultESC_EEPssNS8_4plusIsEEEE10hipError_tPvRmT1_T2_T3_mT4_P12ihipStream_tbEUlT_E1_NS1_11comp_targetILNS1_3genE5ELNS1_11target_archE942ELNS1_3gpuE9ELNS1_3repE0EEENS1_30default_config_static_selectorELNS0_4arch9wavefront6targetE1EEEvSK_,@function
_ZN7rocprim17ROCPRIM_400000_NS6detail17trampoline_kernelINS0_14default_configENS1_22reduce_config_selectorIsEEZNS1_11reduce_implILb1ES3_N6thrust23THRUST_200600_302600_NS17counting_iteratorIsNS8_11hip_rocprim3tagENS8_11use_defaultESC_EEPssNS8_4plusIsEEEE10hipError_tPvRmT1_T2_T3_mT4_P12ihipStream_tbEUlT_E1_NS1_11comp_targetILNS1_3genE5ELNS1_11target_archE942ELNS1_3gpuE9ELNS1_3repE0EEENS1_30default_config_static_selectorELNS0_4arch9wavefront6targetE1EEEvSK_: ; @_ZN7rocprim17ROCPRIM_400000_NS6detail17trampoline_kernelINS0_14default_configENS1_22reduce_config_selectorIsEEZNS1_11reduce_implILb1ES3_N6thrust23THRUST_200600_302600_NS17counting_iteratorIsNS8_11hip_rocprim3tagENS8_11use_defaultESC_EEPssNS8_4plusIsEEEE10hipError_tPvRmT1_T2_T3_mT4_P12ihipStream_tbEUlT_E1_NS1_11comp_targetILNS1_3genE5ELNS1_11target_archE942ELNS1_3gpuE9ELNS1_3repE0EEENS1_30default_config_static_selectorELNS0_4arch9wavefront6targetE1EEEvSK_
; %bb.0:
	.section	.rodata,"a",@progbits
	.p2align	6, 0x0
	.amdhsa_kernel _ZN7rocprim17ROCPRIM_400000_NS6detail17trampoline_kernelINS0_14default_configENS1_22reduce_config_selectorIsEEZNS1_11reduce_implILb1ES3_N6thrust23THRUST_200600_302600_NS17counting_iteratorIsNS8_11hip_rocprim3tagENS8_11use_defaultESC_EEPssNS8_4plusIsEEEE10hipError_tPvRmT1_T2_T3_mT4_P12ihipStream_tbEUlT_E1_NS1_11comp_targetILNS1_3genE5ELNS1_11target_archE942ELNS1_3gpuE9ELNS1_3repE0EEENS1_30default_config_static_selectorELNS0_4arch9wavefront6targetE1EEEvSK_
		.amdhsa_group_segment_fixed_size 0
		.amdhsa_private_segment_fixed_size 0
		.amdhsa_kernarg_size 40
		.amdhsa_user_sgpr_count 2
		.amdhsa_user_sgpr_dispatch_ptr 0
		.amdhsa_user_sgpr_queue_ptr 0
		.amdhsa_user_sgpr_kernarg_segment_ptr 1
		.amdhsa_user_sgpr_dispatch_id 0
		.amdhsa_user_sgpr_kernarg_preload_length 0
		.amdhsa_user_sgpr_kernarg_preload_offset 0
		.amdhsa_user_sgpr_private_segment_size 0
		.amdhsa_uses_dynamic_stack 0
		.amdhsa_enable_private_segment 0
		.amdhsa_system_sgpr_workgroup_id_x 1
		.amdhsa_system_sgpr_workgroup_id_y 0
		.amdhsa_system_sgpr_workgroup_id_z 0
		.amdhsa_system_sgpr_workgroup_info 0
		.amdhsa_system_vgpr_workitem_id 0
		.amdhsa_next_free_vgpr 1
		.amdhsa_next_free_sgpr 0
		.amdhsa_accum_offset 4
		.amdhsa_reserve_vcc 0
		.amdhsa_float_round_mode_32 0
		.amdhsa_float_round_mode_16_64 0
		.amdhsa_float_denorm_mode_32 3
		.amdhsa_float_denorm_mode_16_64 3
		.amdhsa_dx10_clamp 1
		.amdhsa_ieee_mode 1
		.amdhsa_fp16_overflow 0
		.amdhsa_tg_split 0
		.amdhsa_exception_fp_ieee_invalid_op 0
		.amdhsa_exception_fp_denorm_src 0
		.amdhsa_exception_fp_ieee_div_zero 0
		.amdhsa_exception_fp_ieee_overflow 0
		.amdhsa_exception_fp_ieee_underflow 0
		.amdhsa_exception_fp_ieee_inexact 0
		.amdhsa_exception_int_div_zero 0
	.end_amdhsa_kernel
	.section	.text._ZN7rocprim17ROCPRIM_400000_NS6detail17trampoline_kernelINS0_14default_configENS1_22reduce_config_selectorIsEEZNS1_11reduce_implILb1ES3_N6thrust23THRUST_200600_302600_NS17counting_iteratorIsNS8_11hip_rocprim3tagENS8_11use_defaultESC_EEPssNS8_4plusIsEEEE10hipError_tPvRmT1_T2_T3_mT4_P12ihipStream_tbEUlT_E1_NS1_11comp_targetILNS1_3genE5ELNS1_11target_archE942ELNS1_3gpuE9ELNS1_3repE0EEENS1_30default_config_static_selectorELNS0_4arch9wavefront6targetE1EEEvSK_,"axG",@progbits,_ZN7rocprim17ROCPRIM_400000_NS6detail17trampoline_kernelINS0_14default_configENS1_22reduce_config_selectorIsEEZNS1_11reduce_implILb1ES3_N6thrust23THRUST_200600_302600_NS17counting_iteratorIsNS8_11hip_rocprim3tagENS8_11use_defaultESC_EEPssNS8_4plusIsEEEE10hipError_tPvRmT1_T2_T3_mT4_P12ihipStream_tbEUlT_E1_NS1_11comp_targetILNS1_3genE5ELNS1_11target_archE942ELNS1_3gpuE9ELNS1_3repE0EEENS1_30default_config_static_selectorELNS0_4arch9wavefront6targetE1EEEvSK_,comdat
.Lfunc_end1119:
	.size	_ZN7rocprim17ROCPRIM_400000_NS6detail17trampoline_kernelINS0_14default_configENS1_22reduce_config_selectorIsEEZNS1_11reduce_implILb1ES3_N6thrust23THRUST_200600_302600_NS17counting_iteratorIsNS8_11hip_rocprim3tagENS8_11use_defaultESC_EEPssNS8_4plusIsEEEE10hipError_tPvRmT1_T2_T3_mT4_P12ihipStream_tbEUlT_E1_NS1_11comp_targetILNS1_3genE5ELNS1_11target_archE942ELNS1_3gpuE9ELNS1_3repE0EEENS1_30default_config_static_selectorELNS0_4arch9wavefront6targetE1EEEvSK_, .Lfunc_end1119-_ZN7rocprim17ROCPRIM_400000_NS6detail17trampoline_kernelINS0_14default_configENS1_22reduce_config_selectorIsEEZNS1_11reduce_implILb1ES3_N6thrust23THRUST_200600_302600_NS17counting_iteratorIsNS8_11hip_rocprim3tagENS8_11use_defaultESC_EEPssNS8_4plusIsEEEE10hipError_tPvRmT1_T2_T3_mT4_P12ihipStream_tbEUlT_E1_NS1_11comp_targetILNS1_3genE5ELNS1_11target_archE942ELNS1_3gpuE9ELNS1_3repE0EEENS1_30default_config_static_selectorELNS0_4arch9wavefront6targetE1EEEvSK_
                                        ; -- End function
	.set _ZN7rocprim17ROCPRIM_400000_NS6detail17trampoline_kernelINS0_14default_configENS1_22reduce_config_selectorIsEEZNS1_11reduce_implILb1ES3_N6thrust23THRUST_200600_302600_NS17counting_iteratorIsNS8_11hip_rocprim3tagENS8_11use_defaultESC_EEPssNS8_4plusIsEEEE10hipError_tPvRmT1_T2_T3_mT4_P12ihipStream_tbEUlT_E1_NS1_11comp_targetILNS1_3genE5ELNS1_11target_archE942ELNS1_3gpuE9ELNS1_3repE0EEENS1_30default_config_static_selectorELNS0_4arch9wavefront6targetE1EEEvSK_.num_vgpr, 0
	.set _ZN7rocprim17ROCPRIM_400000_NS6detail17trampoline_kernelINS0_14default_configENS1_22reduce_config_selectorIsEEZNS1_11reduce_implILb1ES3_N6thrust23THRUST_200600_302600_NS17counting_iteratorIsNS8_11hip_rocprim3tagENS8_11use_defaultESC_EEPssNS8_4plusIsEEEE10hipError_tPvRmT1_T2_T3_mT4_P12ihipStream_tbEUlT_E1_NS1_11comp_targetILNS1_3genE5ELNS1_11target_archE942ELNS1_3gpuE9ELNS1_3repE0EEENS1_30default_config_static_selectorELNS0_4arch9wavefront6targetE1EEEvSK_.num_agpr, 0
	.set _ZN7rocprim17ROCPRIM_400000_NS6detail17trampoline_kernelINS0_14default_configENS1_22reduce_config_selectorIsEEZNS1_11reduce_implILb1ES3_N6thrust23THRUST_200600_302600_NS17counting_iteratorIsNS8_11hip_rocprim3tagENS8_11use_defaultESC_EEPssNS8_4plusIsEEEE10hipError_tPvRmT1_T2_T3_mT4_P12ihipStream_tbEUlT_E1_NS1_11comp_targetILNS1_3genE5ELNS1_11target_archE942ELNS1_3gpuE9ELNS1_3repE0EEENS1_30default_config_static_selectorELNS0_4arch9wavefront6targetE1EEEvSK_.numbered_sgpr, 0
	.set _ZN7rocprim17ROCPRIM_400000_NS6detail17trampoline_kernelINS0_14default_configENS1_22reduce_config_selectorIsEEZNS1_11reduce_implILb1ES3_N6thrust23THRUST_200600_302600_NS17counting_iteratorIsNS8_11hip_rocprim3tagENS8_11use_defaultESC_EEPssNS8_4plusIsEEEE10hipError_tPvRmT1_T2_T3_mT4_P12ihipStream_tbEUlT_E1_NS1_11comp_targetILNS1_3genE5ELNS1_11target_archE942ELNS1_3gpuE9ELNS1_3repE0EEENS1_30default_config_static_selectorELNS0_4arch9wavefront6targetE1EEEvSK_.num_named_barrier, 0
	.set _ZN7rocprim17ROCPRIM_400000_NS6detail17trampoline_kernelINS0_14default_configENS1_22reduce_config_selectorIsEEZNS1_11reduce_implILb1ES3_N6thrust23THRUST_200600_302600_NS17counting_iteratorIsNS8_11hip_rocprim3tagENS8_11use_defaultESC_EEPssNS8_4plusIsEEEE10hipError_tPvRmT1_T2_T3_mT4_P12ihipStream_tbEUlT_E1_NS1_11comp_targetILNS1_3genE5ELNS1_11target_archE942ELNS1_3gpuE9ELNS1_3repE0EEENS1_30default_config_static_selectorELNS0_4arch9wavefront6targetE1EEEvSK_.private_seg_size, 0
	.set _ZN7rocprim17ROCPRIM_400000_NS6detail17trampoline_kernelINS0_14default_configENS1_22reduce_config_selectorIsEEZNS1_11reduce_implILb1ES3_N6thrust23THRUST_200600_302600_NS17counting_iteratorIsNS8_11hip_rocprim3tagENS8_11use_defaultESC_EEPssNS8_4plusIsEEEE10hipError_tPvRmT1_T2_T3_mT4_P12ihipStream_tbEUlT_E1_NS1_11comp_targetILNS1_3genE5ELNS1_11target_archE942ELNS1_3gpuE9ELNS1_3repE0EEENS1_30default_config_static_selectorELNS0_4arch9wavefront6targetE1EEEvSK_.uses_vcc, 0
	.set _ZN7rocprim17ROCPRIM_400000_NS6detail17trampoline_kernelINS0_14default_configENS1_22reduce_config_selectorIsEEZNS1_11reduce_implILb1ES3_N6thrust23THRUST_200600_302600_NS17counting_iteratorIsNS8_11hip_rocprim3tagENS8_11use_defaultESC_EEPssNS8_4plusIsEEEE10hipError_tPvRmT1_T2_T3_mT4_P12ihipStream_tbEUlT_E1_NS1_11comp_targetILNS1_3genE5ELNS1_11target_archE942ELNS1_3gpuE9ELNS1_3repE0EEENS1_30default_config_static_selectorELNS0_4arch9wavefront6targetE1EEEvSK_.uses_flat_scratch, 0
	.set _ZN7rocprim17ROCPRIM_400000_NS6detail17trampoline_kernelINS0_14default_configENS1_22reduce_config_selectorIsEEZNS1_11reduce_implILb1ES3_N6thrust23THRUST_200600_302600_NS17counting_iteratorIsNS8_11hip_rocprim3tagENS8_11use_defaultESC_EEPssNS8_4plusIsEEEE10hipError_tPvRmT1_T2_T3_mT4_P12ihipStream_tbEUlT_E1_NS1_11comp_targetILNS1_3genE5ELNS1_11target_archE942ELNS1_3gpuE9ELNS1_3repE0EEENS1_30default_config_static_selectorELNS0_4arch9wavefront6targetE1EEEvSK_.has_dyn_sized_stack, 0
	.set _ZN7rocprim17ROCPRIM_400000_NS6detail17trampoline_kernelINS0_14default_configENS1_22reduce_config_selectorIsEEZNS1_11reduce_implILb1ES3_N6thrust23THRUST_200600_302600_NS17counting_iteratorIsNS8_11hip_rocprim3tagENS8_11use_defaultESC_EEPssNS8_4plusIsEEEE10hipError_tPvRmT1_T2_T3_mT4_P12ihipStream_tbEUlT_E1_NS1_11comp_targetILNS1_3genE5ELNS1_11target_archE942ELNS1_3gpuE9ELNS1_3repE0EEENS1_30default_config_static_selectorELNS0_4arch9wavefront6targetE1EEEvSK_.has_recursion, 0
	.set _ZN7rocprim17ROCPRIM_400000_NS6detail17trampoline_kernelINS0_14default_configENS1_22reduce_config_selectorIsEEZNS1_11reduce_implILb1ES3_N6thrust23THRUST_200600_302600_NS17counting_iteratorIsNS8_11hip_rocprim3tagENS8_11use_defaultESC_EEPssNS8_4plusIsEEEE10hipError_tPvRmT1_T2_T3_mT4_P12ihipStream_tbEUlT_E1_NS1_11comp_targetILNS1_3genE5ELNS1_11target_archE942ELNS1_3gpuE9ELNS1_3repE0EEENS1_30default_config_static_selectorELNS0_4arch9wavefront6targetE1EEEvSK_.has_indirect_call, 0
	.section	.AMDGPU.csdata,"",@progbits
; Kernel info:
; codeLenInByte = 0
; TotalNumSgprs: 6
; NumVgprs: 0
; NumAgprs: 0
; TotalNumVgprs: 0
; ScratchSize: 0
; MemoryBound: 0
; FloatMode: 240
; IeeeMode: 1
; LDSByteSize: 0 bytes/workgroup (compile time only)
; SGPRBlocks: 0
; VGPRBlocks: 0
; NumSGPRsForWavesPerEU: 6
; NumVGPRsForWavesPerEU: 1
; AccumOffset: 4
; Occupancy: 8
; WaveLimiterHint : 0
; COMPUTE_PGM_RSRC2:SCRATCH_EN: 0
; COMPUTE_PGM_RSRC2:USER_SGPR: 2
; COMPUTE_PGM_RSRC2:TRAP_HANDLER: 0
; COMPUTE_PGM_RSRC2:TGID_X_EN: 1
; COMPUTE_PGM_RSRC2:TGID_Y_EN: 0
; COMPUTE_PGM_RSRC2:TGID_Z_EN: 0
; COMPUTE_PGM_RSRC2:TIDIG_COMP_CNT: 0
; COMPUTE_PGM_RSRC3_GFX90A:ACCUM_OFFSET: 0
; COMPUTE_PGM_RSRC3_GFX90A:TG_SPLIT: 0
	.section	.text._ZN7rocprim17ROCPRIM_400000_NS6detail17trampoline_kernelINS0_14default_configENS1_22reduce_config_selectorIsEEZNS1_11reduce_implILb1ES3_N6thrust23THRUST_200600_302600_NS17counting_iteratorIsNS8_11hip_rocprim3tagENS8_11use_defaultESC_EEPssNS8_4plusIsEEEE10hipError_tPvRmT1_T2_T3_mT4_P12ihipStream_tbEUlT_E1_NS1_11comp_targetILNS1_3genE4ELNS1_11target_archE910ELNS1_3gpuE8ELNS1_3repE0EEENS1_30default_config_static_selectorELNS0_4arch9wavefront6targetE1EEEvSK_,"axG",@progbits,_ZN7rocprim17ROCPRIM_400000_NS6detail17trampoline_kernelINS0_14default_configENS1_22reduce_config_selectorIsEEZNS1_11reduce_implILb1ES3_N6thrust23THRUST_200600_302600_NS17counting_iteratorIsNS8_11hip_rocprim3tagENS8_11use_defaultESC_EEPssNS8_4plusIsEEEE10hipError_tPvRmT1_T2_T3_mT4_P12ihipStream_tbEUlT_E1_NS1_11comp_targetILNS1_3genE4ELNS1_11target_archE910ELNS1_3gpuE8ELNS1_3repE0EEENS1_30default_config_static_selectorELNS0_4arch9wavefront6targetE1EEEvSK_,comdat
	.protected	_ZN7rocprim17ROCPRIM_400000_NS6detail17trampoline_kernelINS0_14default_configENS1_22reduce_config_selectorIsEEZNS1_11reduce_implILb1ES3_N6thrust23THRUST_200600_302600_NS17counting_iteratorIsNS8_11hip_rocprim3tagENS8_11use_defaultESC_EEPssNS8_4plusIsEEEE10hipError_tPvRmT1_T2_T3_mT4_P12ihipStream_tbEUlT_E1_NS1_11comp_targetILNS1_3genE4ELNS1_11target_archE910ELNS1_3gpuE8ELNS1_3repE0EEENS1_30default_config_static_selectorELNS0_4arch9wavefront6targetE1EEEvSK_ ; -- Begin function _ZN7rocprim17ROCPRIM_400000_NS6detail17trampoline_kernelINS0_14default_configENS1_22reduce_config_selectorIsEEZNS1_11reduce_implILb1ES3_N6thrust23THRUST_200600_302600_NS17counting_iteratorIsNS8_11hip_rocprim3tagENS8_11use_defaultESC_EEPssNS8_4plusIsEEEE10hipError_tPvRmT1_T2_T3_mT4_P12ihipStream_tbEUlT_E1_NS1_11comp_targetILNS1_3genE4ELNS1_11target_archE910ELNS1_3gpuE8ELNS1_3repE0EEENS1_30default_config_static_selectorELNS0_4arch9wavefront6targetE1EEEvSK_
	.globl	_ZN7rocprim17ROCPRIM_400000_NS6detail17trampoline_kernelINS0_14default_configENS1_22reduce_config_selectorIsEEZNS1_11reduce_implILb1ES3_N6thrust23THRUST_200600_302600_NS17counting_iteratorIsNS8_11hip_rocprim3tagENS8_11use_defaultESC_EEPssNS8_4plusIsEEEE10hipError_tPvRmT1_T2_T3_mT4_P12ihipStream_tbEUlT_E1_NS1_11comp_targetILNS1_3genE4ELNS1_11target_archE910ELNS1_3gpuE8ELNS1_3repE0EEENS1_30default_config_static_selectorELNS0_4arch9wavefront6targetE1EEEvSK_
	.p2align	8
	.type	_ZN7rocprim17ROCPRIM_400000_NS6detail17trampoline_kernelINS0_14default_configENS1_22reduce_config_selectorIsEEZNS1_11reduce_implILb1ES3_N6thrust23THRUST_200600_302600_NS17counting_iteratorIsNS8_11hip_rocprim3tagENS8_11use_defaultESC_EEPssNS8_4plusIsEEEE10hipError_tPvRmT1_T2_T3_mT4_P12ihipStream_tbEUlT_E1_NS1_11comp_targetILNS1_3genE4ELNS1_11target_archE910ELNS1_3gpuE8ELNS1_3repE0EEENS1_30default_config_static_selectorELNS0_4arch9wavefront6targetE1EEEvSK_,@function
_ZN7rocprim17ROCPRIM_400000_NS6detail17trampoline_kernelINS0_14default_configENS1_22reduce_config_selectorIsEEZNS1_11reduce_implILb1ES3_N6thrust23THRUST_200600_302600_NS17counting_iteratorIsNS8_11hip_rocprim3tagENS8_11use_defaultESC_EEPssNS8_4plusIsEEEE10hipError_tPvRmT1_T2_T3_mT4_P12ihipStream_tbEUlT_E1_NS1_11comp_targetILNS1_3genE4ELNS1_11target_archE910ELNS1_3gpuE8ELNS1_3repE0EEENS1_30default_config_static_selectorELNS0_4arch9wavefront6targetE1EEEvSK_: ; @_ZN7rocprim17ROCPRIM_400000_NS6detail17trampoline_kernelINS0_14default_configENS1_22reduce_config_selectorIsEEZNS1_11reduce_implILb1ES3_N6thrust23THRUST_200600_302600_NS17counting_iteratorIsNS8_11hip_rocprim3tagENS8_11use_defaultESC_EEPssNS8_4plusIsEEEE10hipError_tPvRmT1_T2_T3_mT4_P12ihipStream_tbEUlT_E1_NS1_11comp_targetILNS1_3genE4ELNS1_11target_archE910ELNS1_3gpuE8ELNS1_3repE0EEENS1_30default_config_static_selectorELNS0_4arch9wavefront6targetE1EEEvSK_
; %bb.0:
	.section	.rodata,"a",@progbits
	.p2align	6, 0x0
	.amdhsa_kernel _ZN7rocprim17ROCPRIM_400000_NS6detail17trampoline_kernelINS0_14default_configENS1_22reduce_config_selectorIsEEZNS1_11reduce_implILb1ES3_N6thrust23THRUST_200600_302600_NS17counting_iteratorIsNS8_11hip_rocprim3tagENS8_11use_defaultESC_EEPssNS8_4plusIsEEEE10hipError_tPvRmT1_T2_T3_mT4_P12ihipStream_tbEUlT_E1_NS1_11comp_targetILNS1_3genE4ELNS1_11target_archE910ELNS1_3gpuE8ELNS1_3repE0EEENS1_30default_config_static_selectorELNS0_4arch9wavefront6targetE1EEEvSK_
		.amdhsa_group_segment_fixed_size 0
		.amdhsa_private_segment_fixed_size 0
		.amdhsa_kernarg_size 40
		.amdhsa_user_sgpr_count 2
		.amdhsa_user_sgpr_dispatch_ptr 0
		.amdhsa_user_sgpr_queue_ptr 0
		.amdhsa_user_sgpr_kernarg_segment_ptr 1
		.amdhsa_user_sgpr_dispatch_id 0
		.amdhsa_user_sgpr_kernarg_preload_length 0
		.amdhsa_user_sgpr_kernarg_preload_offset 0
		.amdhsa_user_sgpr_private_segment_size 0
		.amdhsa_uses_dynamic_stack 0
		.amdhsa_enable_private_segment 0
		.amdhsa_system_sgpr_workgroup_id_x 1
		.amdhsa_system_sgpr_workgroup_id_y 0
		.amdhsa_system_sgpr_workgroup_id_z 0
		.amdhsa_system_sgpr_workgroup_info 0
		.amdhsa_system_vgpr_workitem_id 0
		.amdhsa_next_free_vgpr 1
		.amdhsa_next_free_sgpr 0
		.amdhsa_accum_offset 4
		.amdhsa_reserve_vcc 0
		.amdhsa_float_round_mode_32 0
		.amdhsa_float_round_mode_16_64 0
		.amdhsa_float_denorm_mode_32 3
		.amdhsa_float_denorm_mode_16_64 3
		.amdhsa_dx10_clamp 1
		.amdhsa_ieee_mode 1
		.amdhsa_fp16_overflow 0
		.amdhsa_tg_split 0
		.amdhsa_exception_fp_ieee_invalid_op 0
		.amdhsa_exception_fp_denorm_src 0
		.amdhsa_exception_fp_ieee_div_zero 0
		.amdhsa_exception_fp_ieee_overflow 0
		.amdhsa_exception_fp_ieee_underflow 0
		.amdhsa_exception_fp_ieee_inexact 0
		.amdhsa_exception_int_div_zero 0
	.end_amdhsa_kernel
	.section	.text._ZN7rocprim17ROCPRIM_400000_NS6detail17trampoline_kernelINS0_14default_configENS1_22reduce_config_selectorIsEEZNS1_11reduce_implILb1ES3_N6thrust23THRUST_200600_302600_NS17counting_iteratorIsNS8_11hip_rocprim3tagENS8_11use_defaultESC_EEPssNS8_4plusIsEEEE10hipError_tPvRmT1_T2_T3_mT4_P12ihipStream_tbEUlT_E1_NS1_11comp_targetILNS1_3genE4ELNS1_11target_archE910ELNS1_3gpuE8ELNS1_3repE0EEENS1_30default_config_static_selectorELNS0_4arch9wavefront6targetE1EEEvSK_,"axG",@progbits,_ZN7rocprim17ROCPRIM_400000_NS6detail17trampoline_kernelINS0_14default_configENS1_22reduce_config_selectorIsEEZNS1_11reduce_implILb1ES3_N6thrust23THRUST_200600_302600_NS17counting_iteratorIsNS8_11hip_rocprim3tagENS8_11use_defaultESC_EEPssNS8_4plusIsEEEE10hipError_tPvRmT1_T2_T3_mT4_P12ihipStream_tbEUlT_E1_NS1_11comp_targetILNS1_3genE4ELNS1_11target_archE910ELNS1_3gpuE8ELNS1_3repE0EEENS1_30default_config_static_selectorELNS0_4arch9wavefront6targetE1EEEvSK_,comdat
.Lfunc_end1120:
	.size	_ZN7rocprim17ROCPRIM_400000_NS6detail17trampoline_kernelINS0_14default_configENS1_22reduce_config_selectorIsEEZNS1_11reduce_implILb1ES3_N6thrust23THRUST_200600_302600_NS17counting_iteratorIsNS8_11hip_rocprim3tagENS8_11use_defaultESC_EEPssNS8_4plusIsEEEE10hipError_tPvRmT1_T2_T3_mT4_P12ihipStream_tbEUlT_E1_NS1_11comp_targetILNS1_3genE4ELNS1_11target_archE910ELNS1_3gpuE8ELNS1_3repE0EEENS1_30default_config_static_selectorELNS0_4arch9wavefront6targetE1EEEvSK_, .Lfunc_end1120-_ZN7rocprim17ROCPRIM_400000_NS6detail17trampoline_kernelINS0_14default_configENS1_22reduce_config_selectorIsEEZNS1_11reduce_implILb1ES3_N6thrust23THRUST_200600_302600_NS17counting_iteratorIsNS8_11hip_rocprim3tagENS8_11use_defaultESC_EEPssNS8_4plusIsEEEE10hipError_tPvRmT1_T2_T3_mT4_P12ihipStream_tbEUlT_E1_NS1_11comp_targetILNS1_3genE4ELNS1_11target_archE910ELNS1_3gpuE8ELNS1_3repE0EEENS1_30default_config_static_selectorELNS0_4arch9wavefront6targetE1EEEvSK_
                                        ; -- End function
	.set _ZN7rocprim17ROCPRIM_400000_NS6detail17trampoline_kernelINS0_14default_configENS1_22reduce_config_selectorIsEEZNS1_11reduce_implILb1ES3_N6thrust23THRUST_200600_302600_NS17counting_iteratorIsNS8_11hip_rocprim3tagENS8_11use_defaultESC_EEPssNS8_4plusIsEEEE10hipError_tPvRmT1_T2_T3_mT4_P12ihipStream_tbEUlT_E1_NS1_11comp_targetILNS1_3genE4ELNS1_11target_archE910ELNS1_3gpuE8ELNS1_3repE0EEENS1_30default_config_static_selectorELNS0_4arch9wavefront6targetE1EEEvSK_.num_vgpr, 0
	.set _ZN7rocprim17ROCPRIM_400000_NS6detail17trampoline_kernelINS0_14default_configENS1_22reduce_config_selectorIsEEZNS1_11reduce_implILb1ES3_N6thrust23THRUST_200600_302600_NS17counting_iteratorIsNS8_11hip_rocprim3tagENS8_11use_defaultESC_EEPssNS8_4plusIsEEEE10hipError_tPvRmT1_T2_T3_mT4_P12ihipStream_tbEUlT_E1_NS1_11comp_targetILNS1_3genE4ELNS1_11target_archE910ELNS1_3gpuE8ELNS1_3repE0EEENS1_30default_config_static_selectorELNS0_4arch9wavefront6targetE1EEEvSK_.num_agpr, 0
	.set _ZN7rocprim17ROCPRIM_400000_NS6detail17trampoline_kernelINS0_14default_configENS1_22reduce_config_selectorIsEEZNS1_11reduce_implILb1ES3_N6thrust23THRUST_200600_302600_NS17counting_iteratorIsNS8_11hip_rocprim3tagENS8_11use_defaultESC_EEPssNS8_4plusIsEEEE10hipError_tPvRmT1_T2_T3_mT4_P12ihipStream_tbEUlT_E1_NS1_11comp_targetILNS1_3genE4ELNS1_11target_archE910ELNS1_3gpuE8ELNS1_3repE0EEENS1_30default_config_static_selectorELNS0_4arch9wavefront6targetE1EEEvSK_.numbered_sgpr, 0
	.set _ZN7rocprim17ROCPRIM_400000_NS6detail17trampoline_kernelINS0_14default_configENS1_22reduce_config_selectorIsEEZNS1_11reduce_implILb1ES3_N6thrust23THRUST_200600_302600_NS17counting_iteratorIsNS8_11hip_rocprim3tagENS8_11use_defaultESC_EEPssNS8_4plusIsEEEE10hipError_tPvRmT1_T2_T3_mT4_P12ihipStream_tbEUlT_E1_NS1_11comp_targetILNS1_3genE4ELNS1_11target_archE910ELNS1_3gpuE8ELNS1_3repE0EEENS1_30default_config_static_selectorELNS0_4arch9wavefront6targetE1EEEvSK_.num_named_barrier, 0
	.set _ZN7rocprim17ROCPRIM_400000_NS6detail17trampoline_kernelINS0_14default_configENS1_22reduce_config_selectorIsEEZNS1_11reduce_implILb1ES3_N6thrust23THRUST_200600_302600_NS17counting_iteratorIsNS8_11hip_rocprim3tagENS8_11use_defaultESC_EEPssNS8_4plusIsEEEE10hipError_tPvRmT1_T2_T3_mT4_P12ihipStream_tbEUlT_E1_NS1_11comp_targetILNS1_3genE4ELNS1_11target_archE910ELNS1_3gpuE8ELNS1_3repE0EEENS1_30default_config_static_selectorELNS0_4arch9wavefront6targetE1EEEvSK_.private_seg_size, 0
	.set _ZN7rocprim17ROCPRIM_400000_NS6detail17trampoline_kernelINS0_14default_configENS1_22reduce_config_selectorIsEEZNS1_11reduce_implILb1ES3_N6thrust23THRUST_200600_302600_NS17counting_iteratorIsNS8_11hip_rocprim3tagENS8_11use_defaultESC_EEPssNS8_4plusIsEEEE10hipError_tPvRmT1_T2_T3_mT4_P12ihipStream_tbEUlT_E1_NS1_11comp_targetILNS1_3genE4ELNS1_11target_archE910ELNS1_3gpuE8ELNS1_3repE0EEENS1_30default_config_static_selectorELNS0_4arch9wavefront6targetE1EEEvSK_.uses_vcc, 0
	.set _ZN7rocprim17ROCPRIM_400000_NS6detail17trampoline_kernelINS0_14default_configENS1_22reduce_config_selectorIsEEZNS1_11reduce_implILb1ES3_N6thrust23THRUST_200600_302600_NS17counting_iteratorIsNS8_11hip_rocprim3tagENS8_11use_defaultESC_EEPssNS8_4plusIsEEEE10hipError_tPvRmT1_T2_T3_mT4_P12ihipStream_tbEUlT_E1_NS1_11comp_targetILNS1_3genE4ELNS1_11target_archE910ELNS1_3gpuE8ELNS1_3repE0EEENS1_30default_config_static_selectorELNS0_4arch9wavefront6targetE1EEEvSK_.uses_flat_scratch, 0
	.set _ZN7rocprim17ROCPRIM_400000_NS6detail17trampoline_kernelINS0_14default_configENS1_22reduce_config_selectorIsEEZNS1_11reduce_implILb1ES3_N6thrust23THRUST_200600_302600_NS17counting_iteratorIsNS8_11hip_rocprim3tagENS8_11use_defaultESC_EEPssNS8_4plusIsEEEE10hipError_tPvRmT1_T2_T3_mT4_P12ihipStream_tbEUlT_E1_NS1_11comp_targetILNS1_3genE4ELNS1_11target_archE910ELNS1_3gpuE8ELNS1_3repE0EEENS1_30default_config_static_selectorELNS0_4arch9wavefront6targetE1EEEvSK_.has_dyn_sized_stack, 0
	.set _ZN7rocprim17ROCPRIM_400000_NS6detail17trampoline_kernelINS0_14default_configENS1_22reduce_config_selectorIsEEZNS1_11reduce_implILb1ES3_N6thrust23THRUST_200600_302600_NS17counting_iteratorIsNS8_11hip_rocprim3tagENS8_11use_defaultESC_EEPssNS8_4plusIsEEEE10hipError_tPvRmT1_T2_T3_mT4_P12ihipStream_tbEUlT_E1_NS1_11comp_targetILNS1_3genE4ELNS1_11target_archE910ELNS1_3gpuE8ELNS1_3repE0EEENS1_30default_config_static_selectorELNS0_4arch9wavefront6targetE1EEEvSK_.has_recursion, 0
	.set _ZN7rocprim17ROCPRIM_400000_NS6detail17trampoline_kernelINS0_14default_configENS1_22reduce_config_selectorIsEEZNS1_11reduce_implILb1ES3_N6thrust23THRUST_200600_302600_NS17counting_iteratorIsNS8_11hip_rocprim3tagENS8_11use_defaultESC_EEPssNS8_4plusIsEEEE10hipError_tPvRmT1_T2_T3_mT4_P12ihipStream_tbEUlT_E1_NS1_11comp_targetILNS1_3genE4ELNS1_11target_archE910ELNS1_3gpuE8ELNS1_3repE0EEENS1_30default_config_static_selectorELNS0_4arch9wavefront6targetE1EEEvSK_.has_indirect_call, 0
	.section	.AMDGPU.csdata,"",@progbits
; Kernel info:
; codeLenInByte = 0
; TotalNumSgprs: 6
; NumVgprs: 0
; NumAgprs: 0
; TotalNumVgprs: 0
; ScratchSize: 0
; MemoryBound: 0
; FloatMode: 240
; IeeeMode: 1
; LDSByteSize: 0 bytes/workgroup (compile time only)
; SGPRBlocks: 0
; VGPRBlocks: 0
; NumSGPRsForWavesPerEU: 6
; NumVGPRsForWavesPerEU: 1
; AccumOffset: 4
; Occupancy: 8
; WaveLimiterHint : 0
; COMPUTE_PGM_RSRC2:SCRATCH_EN: 0
; COMPUTE_PGM_RSRC2:USER_SGPR: 2
; COMPUTE_PGM_RSRC2:TRAP_HANDLER: 0
; COMPUTE_PGM_RSRC2:TGID_X_EN: 1
; COMPUTE_PGM_RSRC2:TGID_Y_EN: 0
; COMPUTE_PGM_RSRC2:TGID_Z_EN: 0
; COMPUTE_PGM_RSRC2:TIDIG_COMP_CNT: 0
; COMPUTE_PGM_RSRC3_GFX90A:ACCUM_OFFSET: 0
; COMPUTE_PGM_RSRC3_GFX90A:TG_SPLIT: 0
	.section	.text._ZN7rocprim17ROCPRIM_400000_NS6detail17trampoline_kernelINS0_14default_configENS1_22reduce_config_selectorIsEEZNS1_11reduce_implILb1ES3_N6thrust23THRUST_200600_302600_NS17counting_iteratorIsNS8_11hip_rocprim3tagENS8_11use_defaultESC_EEPssNS8_4plusIsEEEE10hipError_tPvRmT1_T2_T3_mT4_P12ihipStream_tbEUlT_E1_NS1_11comp_targetILNS1_3genE3ELNS1_11target_archE908ELNS1_3gpuE7ELNS1_3repE0EEENS1_30default_config_static_selectorELNS0_4arch9wavefront6targetE1EEEvSK_,"axG",@progbits,_ZN7rocprim17ROCPRIM_400000_NS6detail17trampoline_kernelINS0_14default_configENS1_22reduce_config_selectorIsEEZNS1_11reduce_implILb1ES3_N6thrust23THRUST_200600_302600_NS17counting_iteratorIsNS8_11hip_rocprim3tagENS8_11use_defaultESC_EEPssNS8_4plusIsEEEE10hipError_tPvRmT1_T2_T3_mT4_P12ihipStream_tbEUlT_E1_NS1_11comp_targetILNS1_3genE3ELNS1_11target_archE908ELNS1_3gpuE7ELNS1_3repE0EEENS1_30default_config_static_selectorELNS0_4arch9wavefront6targetE1EEEvSK_,comdat
	.protected	_ZN7rocprim17ROCPRIM_400000_NS6detail17trampoline_kernelINS0_14default_configENS1_22reduce_config_selectorIsEEZNS1_11reduce_implILb1ES3_N6thrust23THRUST_200600_302600_NS17counting_iteratorIsNS8_11hip_rocprim3tagENS8_11use_defaultESC_EEPssNS8_4plusIsEEEE10hipError_tPvRmT1_T2_T3_mT4_P12ihipStream_tbEUlT_E1_NS1_11comp_targetILNS1_3genE3ELNS1_11target_archE908ELNS1_3gpuE7ELNS1_3repE0EEENS1_30default_config_static_selectorELNS0_4arch9wavefront6targetE1EEEvSK_ ; -- Begin function _ZN7rocprim17ROCPRIM_400000_NS6detail17trampoline_kernelINS0_14default_configENS1_22reduce_config_selectorIsEEZNS1_11reduce_implILb1ES3_N6thrust23THRUST_200600_302600_NS17counting_iteratorIsNS8_11hip_rocprim3tagENS8_11use_defaultESC_EEPssNS8_4plusIsEEEE10hipError_tPvRmT1_T2_T3_mT4_P12ihipStream_tbEUlT_E1_NS1_11comp_targetILNS1_3genE3ELNS1_11target_archE908ELNS1_3gpuE7ELNS1_3repE0EEENS1_30default_config_static_selectorELNS0_4arch9wavefront6targetE1EEEvSK_
	.globl	_ZN7rocprim17ROCPRIM_400000_NS6detail17trampoline_kernelINS0_14default_configENS1_22reduce_config_selectorIsEEZNS1_11reduce_implILb1ES3_N6thrust23THRUST_200600_302600_NS17counting_iteratorIsNS8_11hip_rocprim3tagENS8_11use_defaultESC_EEPssNS8_4plusIsEEEE10hipError_tPvRmT1_T2_T3_mT4_P12ihipStream_tbEUlT_E1_NS1_11comp_targetILNS1_3genE3ELNS1_11target_archE908ELNS1_3gpuE7ELNS1_3repE0EEENS1_30default_config_static_selectorELNS0_4arch9wavefront6targetE1EEEvSK_
	.p2align	8
	.type	_ZN7rocprim17ROCPRIM_400000_NS6detail17trampoline_kernelINS0_14default_configENS1_22reduce_config_selectorIsEEZNS1_11reduce_implILb1ES3_N6thrust23THRUST_200600_302600_NS17counting_iteratorIsNS8_11hip_rocprim3tagENS8_11use_defaultESC_EEPssNS8_4plusIsEEEE10hipError_tPvRmT1_T2_T3_mT4_P12ihipStream_tbEUlT_E1_NS1_11comp_targetILNS1_3genE3ELNS1_11target_archE908ELNS1_3gpuE7ELNS1_3repE0EEENS1_30default_config_static_selectorELNS0_4arch9wavefront6targetE1EEEvSK_,@function
_ZN7rocprim17ROCPRIM_400000_NS6detail17trampoline_kernelINS0_14default_configENS1_22reduce_config_selectorIsEEZNS1_11reduce_implILb1ES3_N6thrust23THRUST_200600_302600_NS17counting_iteratorIsNS8_11hip_rocprim3tagENS8_11use_defaultESC_EEPssNS8_4plusIsEEEE10hipError_tPvRmT1_T2_T3_mT4_P12ihipStream_tbEUlT_E1_NS1_11comp_targetILNS1_3genE3ELNS1_11target_archE908ELNS1_3gpuE7ELNS1_3repE0EEENS1_30default_config_static_selectorELNS0_4arch9wavefront6targetE1EEEvSK_: ; @_ZN7rocprim17ROCPRIM_400000_NS6detail17trampoline_kernelINS0_14default_configENS1_22reduce_config_selectorIsEEZNS1_11reduce_implILb1ES3_N6thrust23THRUST_200600_302600_NS17counting_iteratorIsNS8_11hip_rocprim3tagENS8_11use_defaultESC_EEPssNS8_4plusIsEEEE10hipError_tPvRmT1_T2_T3_mT4_P12ihipStream_tbEUlT_E1_NS1_11comp_targetILNS1_3genE3ELNS1_11target_archE908ELNS1_3gpuE7ELNS1_3repE0EEENS1_30default_config_static_selectorELNS0_4arch9wavefront6targetE1EEEvSK_
; %bb.0:
	.section	.rodata,"a",@progbits
	.p2align	6, 0x0
	.amdhsa_kernel _ZN7rocprim17ROCPRIM_400000_NS6detail17trampoline_kernelINS0_14default_configENS1_22reduce_config_selectorIsEEZNS1_11reduce_implILb1ES3_N6thrust23THRUST_200600_302600_NS17counting_iteratorIsNS8_11hip_rocprim3tagENS8_11use_defaultESC_EEPssNS8_4plusIsEEEE10hipError_tPvRmT1_T2_T3_mT4_P12ihipStream_tbEUlT_E1_NS1_11comp_targetILNS1_3genE3ELNS1_11target_archE908ELNS1_3gpuE7ELNS1_3repE0EEENS1_30default_config_static_selectorELNS0_4arch9wavefront6targetE1EEEvSK_
		.amdhsa_group_segment_fixed_size 0
		.amdhsa_private_segment_fixed_size 0
		.amdhsa_kernarg_size 40
		.amdhsa_user_sgpr_count 2
		.amdhsa_user_sgpr_dispatch_ptr 0
		.amdhsa_user_sgpr_queue_ptr 0
		.amdhsa_user_sgpr_kernarg_segment_ptr 1
		.amdhsa_user_sgpr_dispatch_id 0
		.amdhsa_user_sgpr_kernarg_preload_length 0
		.amdhsa_user_sgpr_kernarg_preload_offset 0
		.amdhsa_user_sgpr_private_segment_size 0
		.amdhsa_uses_dynamic_stack 0
		.amdhsa_enable_private_segment 0
		.amdhsa_system_sgpr_workgroup_id_x 1
		.amdhsa_system_sgpr_workgroup_id_y 0
		.amdhsa_system_sgpr_workgroup_id_z 0
		.amdhsa_system_sgpr_workgroup_info 0
		.amdhsa_system_vgpr_workitem_id 0
		.amdhsa_next_free_vgpr 1
		.amdhsa_next_free_sgpr 0
		.amdhsa_accum_offset 4
		.amdhsa_reserve_vcc 0
		.amdhsa_float_round_mode_32 0
		.amdhsa_float_round_mode_16_64 0
		.amdhsa_float_denorm_mode_32 3
		.amdhsa_float_denorm_mode_16_64 3
		.amdhsa_dx10_clamp 1
		.amdhsa_ieee_mode 1
		.amdhsa_fp16_overflow 0
		.amdhsa_tg_split 0
		.amdhsa_exception_fp_ieee_invalid_op 0
		.amdhsa_exception_fp_denorm_src 0
		.amdhsa_exception_fp_ieee_div_zero 0
		.amdhsa_exception_fp_ieee_overflow 0
		.amdhsa_exception_fp_ieee_underflow 0
		.amdhsa_exception_fp_ieee_inexact 0
		.amdhsa_exception_int_div_zero 0
	.end_amdhsa_kernel
	.section	.text._ZN7rocprim17ROCPRIM_400000_NS6detail17trampoline_kernelINS0_14default_configENS1_22reduce_config_selectorIsEEZNS1_11reduce_implILb1ES3_N6thrust23THRUST_200600_302600_NS17counting_iteratorIsNS8_11hip_rocprim3tagENS8_11use_defaultESC_EEPssNS8_4plusIsEEEE10hipError_tPvRmT1_T2_T3_mT4_P12ihipStream_tbEUlT_E1_NS1_11comp_targetILNS1_3genE3ELNS1_11target_archE908ELNS1_3gpuE7ELNS1_3repE0EEENS1_30default_config_static_selectorELNS0_4arch9wavefront6targetE1EEEvSK_,"axG",@progbits,_ZN7rocprim17ROCPRIM_400000_NS6detail17trampoline_kernelINS0_14default_configENS1_22reduce_config_selectorIsEEZNS1_11reduce_implILb1ES3_N6thrust23THRUST_200600_302600_NS17counting_iteratorIsNS8_11hip_rocprim3tagENS8_11use_defaultESC_EEPssNS8_4plusIsEEEE10hipError_tPvRmT1_T2_T3_mT4_P12ihipStream_tbEUlT_E1_NS1_11comp_targetILNS1_3genE3ELNS1_11target_archE908ELNS1_3gpuE7ELNS1_3repE0EEENS1_30default_config_static_selectorELNS0_4arch9wavefront6targetE1EEEvSK_,comdat
.Lfunc_end1121:
	.size	_ZN7rocprim17ROCPRIM_400000_NS6detail17trampoline_kernelINS0_14default_configENS1_22reduce_config_selectorIsEEZNS1_11reduce_implILb1ES3_N6thrust23THRUST_200600_302600_NS17counting_iteratorIsNS8_11hip_rocprim3tagENS8_11use_defaultESC_EEPssNS8_4plusIsEEEE10hipError_tPvRmT1_T2_T3_mT4_P12ihipStream_tbEUlT_E1_NS1_11comp_targetILNS1_3genE3ELNS1_11target_archE908ELNS1_3gpuE7ELNS1_3repE0EEENS1_30default_config_static_selectorELNS0_4arch9wavefront6targetE1EEEvSK_, .Lfunc_end1121-_ZN7rocprim17ROCPRIM_400000_NS6detail17trampoline_kernelINS0_14default_configENS1_22reduce_config_selectorIsEEZNS1_11reduce_implILb1ES3_N6thrust23THRUST_200600_302600_NS17counting_iteratorIsNS8_11hip_rocprim3tagENS8_11use_defaultESC_EEPssNS8_4plusIsEEEE10hipError_tPvRmT1_T2_T3_mT4_P12ihipStream_tbEUlT_E1_NS1_11comp_targetILNS1_3genE3ELNS1_11target_archE908ELNS1_3gpuE7ELNS1_3repE0EEENS1_30default_config_static_selectorELNS0_4arch9wavefront6targetE1EEEvSK_
                                        ; -- End function
	.set _ZN7rocprim17ROCPRIM_400000_NS6detail17trampoline_kernelINS0_14default_configENS1_22reduce_config_selectorIsEEZNS1_11reduce_implILb1ES3_N6thrust23THRUST_200600_302600_NS17counting_iteratorIsNS8_11hip_rocprim3tagENS8_11use_defaultESC_EEPssNS8_4plusIsEEEE10hipError_tPvRmT1_T2_T3_mT4_P12ihipStream_tbEUlT_E1_NS1_11comp_targetILNS1_3genE3ELNS1_11target_archE908ELNS1_3gpuE7ELNS1_3repE0EEENS1_30default_config_static_selectorELNS0_4arch9wavefront6targetE1EEEvSK_.num_vgpr, 0
	.set _ZN7rocprim17ROCPRIM_400000_NS6detail17trampoline_kernelINS0_14default_configENS1_22reduce_config_selectorIsEEZNS1_11reduce_implILb1ES3_N6thrust23THRUST_200600_302600_NS17counting_iteratorIsNS8_11hip_rocprim3tagENS8_11use_defaultESC_EEPssNS8_4plusIsEEEE10hipError_tPvRmT1_T2_T3_mT4_P12ihipStream_tbEUlT_E1_NS1_11comp_targetILNS1_3genE3ELNS1_11target_archE908ELNS1_3gpuE7ELNS1_3repE0EEENS1_30default_config_static_selectorELNS0_4arch9wavefront6targetE1EEEvSK_.num_agpr, 0
	.set _ZN7rocprim17ROCPRIM_400000_NS6detail17trampoline_kernelINS0_14default_configENS1_22reduce_config_selectorIsEEZNS1_11reduce_implILb1ES3_N6thrust23THRUST_200600_302600_NS17counting_iteratorIsNS8_11hip_rocprim3tagENS8_11use_defaultESC_EEPssNS8_4plusIsEEEE10hipError_tPvRmT1_T2_T3_mT4_P12ihipStream_tbEUlT_E1_NS1_11comp_targetILNS1_3genE3ELNS1_11target_archE908ELNS1_3gpuE7ELNS1_3repE0EEENS1_30default_config_static_selectorELNS0_4arch9wavefront6targetE1EEEvSK_.numbered_sgpr, 0
	.set _ZN7rocprim17ROCPRIM_400000_NS6detail17trampoline_kernelINS0_14default_configENS1_22reduce_config_selectorIsEEZNS1_11reduce_implILb1ES3_N6thrust23THRUST_200600_302600_NS17counting_iteratorIsNS8_11hip_rocprim3tagENS8_11use_defaultESC_EEPssNS8_4plusIsEEEE10hipError_tPvRmT1_T2_T3_mT4_P12ihipStream_tbEUlT_E1_NS1_11comp_targetILNS1_3genE3ELNS1_11target_archE908ELNS1_3gpuE7ELNS1_3repE0EEENS1_30default_config_static_selectorELNS0_4arch9wavefront6targetE1EEEvSK_.num_named_barrier, 0
	.set _ZN7rocprim17ROCPRIM_400000_NS6detail17trampoline_kernelINS0_14default_configENS1_22reduce_config_selectorIsEEZNS1_11reduce_implILb1ES3_N6thrust23THRUST_200600_302600_NS17counting_iteratorIsNS8_11hip_rocprim3tagENS8_11use_defaultESC_EEPssNS8_4plusIsEEEE10hipError_tPvRmT1_T2_T3_mT4_P12ihipStream_tbEUlT_E1_NS1_11comp_targetILNS1_3genE3ELNS1_11target_archE908ELNS1_3gpuE7ELNS1_3repE0EEENS1_30default_config_static_selectorELNS0_4arch9wavefront6targetE1EEEvSK_.private_seg_size, 0
	.set _ZN7rocprim17ROCPRIM_400000_NS6detail17trampoline_kernelINS0_14default_configENS1_22reduce_config_selectorIsEEZNS1_11reduce_implILb1ES3_N6thrust23THRUST_200600_302600_NS17counting_iteratorIsNS8_11hip_rocprim3tagENS8_11use_defaultESC_EEPssNS8_4plusIsEEEE10hipError_tPvRmT1_T2_T3_mT4_P12ihipStream_tbEUlT_E1_NS1_11comp_targetILNS1_3genE3ELNS1_11target_archE908ELNS1_3gpuE7ELNS1_3repE0EEENS1_30default_config_static_selectorELNS0_4arch9wavefront6targetE1EEEvSK_.uses_vcc, 0
	.set _ZN7rocprim17ROCPRIM_400000_NS6detail17trampoline_kernelINS0_14default_configENS1_22reduce_config_selectorIsEEZNS1_11reduce_implILb1ES3_N6thrust23THRUST_200600_302600_NS17counting_iteratorIsNS8_11hip_rocprim3tagENS8_11use_defaultESC_EEPssNS8_4plusIsEEEE10hipError_tPvRmT1_T2_T3_mT4_P12ihipStream_tbEUlT_E1_NS1_11comp_targetILNS1_3genE3ELNS1_11target_archE908ELNS1_3gpuE7ELNS1_3repE0EEENS1_30default_config_static_selectorELNS0_4arch9wavefront6targetE1EEEvSK_.uses_flat_scratch, 0
	.set _ZN7rocprim17ROCPRIM_400000_NS6detail17trampoline_kernelINS0_14default_configENS1_22reduce_config_selectorIsEEZNS1_11reduce_implILb1ES3_N6thrust23THRUST_200600_302600_NS17counting_iteratorIsNS8_11hip_rocprim3tagENS8_11use_defaultESC_EEPssNS8_4plusIsEEEE10hipError_tPvRmT1_T2_T3_mT4_P12ihipStream_tbEUlT_E1_NS1_11comp_targetILNS1_3genE3ELNS1_11target_archE908ELNS1_3gpuE7ELNS1_3repE0EEENS1_30default_config_static_selectorELNS0_4arch9wavefront6targetE1EEEvSK_.has_dyn_sized_stack, 0
	.set _ZN7rocprim17ROCPRIM_400000_NS6detail17trampoline_kernelINS0_14default_configENS1_22reduce_config_selectorIsEEZNS1_11reduce_implILb1ES3_N6thrust23THRUST_200600_302600_NS17counting_iteratorIsNS8_11hip_rocprim3tagENS8_11use_defaultESC_EEPssNS8_4plusIsEEEE10hipError_tPvRmT1_T2_T3_mT4_P12ihipStream_tbEUlT_E1_NS1_11comp_targetILNS1_3genE3ELNS1_11target_archE908ELNS1_3gpuE7ELNS1_3repE0EEENS1_30default_config_static_selectorELNS0_4arch9wavefront6targetE1EEEvSK_.has_recursion, 0
	.set _ZN7rocprim17ROCPRIM_400000_NS6detail17trampoline_kernelINS0_14default_configENS1_22reduce_config_selectorIsEEZNS1_11reduce_implILb1ES3_N6thrust23THRUST_200600_302600_NS17counting_iteratorIsNS8_11hip_rocprim3tagENS8_11use_defaultESC_EEPssNS8_4plusIsEEEE10hipError_tPvRmT1_T2_T3_mT4_P12ihipStream_tbEUlT_E1_NS1_11comp_targetILNS1_3genE3ELNS1_11target_archE908ELNS1_3gpuE7ELNS1_3repE0EEENS1_30default_config_static_selectorELNS0_4arch9wavefront6targetE1EEEvSK_.has_indirect_call, 0
	.section	.AMDGPU.csdata,"",@progbits
; Kernel info:
; codeLenInByte = 0
; TotalNumSgprs: 6
; NumVgprs: 0
; NumAgprs: 0
; TotalNumVgprs: 0
; ScratchSize: 0
; MemoryBound: 0
; FloatMode: 240
; IeeeMode: 1
; LDSByteSize: 0 bytes/workgroup (compile time only)
; SGPRBlocks: 0
; VGPRBlocks: 0
; NumSGPRsForWavesPerEU: 6
; NumVGPRsForWavesPerEU: 1
; AccumOffset: 4
; Occupancy: 8
; WaveLimiterHint : 0
; COMPUTE_PGM_RSRC2:SCRATCH_EN: 0
; COMPUTE_PGM_RSRC2:USER_SGPR: 2
; COMPUTE_PGM_RSRC2:TRAP_HANDLER: 0
; COMPUTE_PGM_RSRC2:TGID_X_EN: 1
; COMPUTE_PGM_RSRC2:TGID_Y_EN: 0
; COMPUTE_PGM_RSRC2:TGID_Z_EN: 0
; COMPUTE_PGM_RSRC2:TIDIG_COMP_CNT: 0
; COMPUTE_PGM_RSRC3_GFX90A:ACCUM_OFFSET: 0
; COMPUTE_PGM_RSRC3_GFX90A:TG_SPLIT: 0
	.section	.text._ZN7rocprim17ROCPRIM_400000_NS6detail17trampoline_kernelINS0_14default_configENS1_22reduce_config_selectorIsEEZNS1_11reduce_implILb1ES3_N6thrust23THRUST_200600_302600_NS17counting_iteratorIsNS8_11hip_rocprim3tagENS8_11use_defaultESC_EEPssNS8_4plusIsEEEE10hipError_tPvRmT1_T2_T3_mT4_P12ihipStream_tbEUlT_E1_NS1_11comp_targetILNS1_3genE2ELNS1_11target_archE906ELNS1_3gpuE6ELNS1_3repE0EEENS1_30default_config_static_selectorELNS0_4arch9wavefront6targetE1EEEvSK_,"axG",@progbits,_ZN7rocprim17ROCPRIM_400000_NS6detail17trampoline_kernelINS0_14default_configENS1_22reduce_config_selectorIsEEZNS1_11reduce_implILb1ES3_N6thrust23THRUST_200600_302600_NS17counting_iteratorIsNS8_11hip_rocprim3tagENS8_11use_defaultESC_EEPssNS8_4plusIsEEEE10hipError_tPvRmT1_T2_T3_mT4_P12ihipStream_tbEUlT_E1_NS1_11comp_targetILNS1_3genE2ELNS1_11target_archE906ELNS1_3gpuE6ELNS1_3repE0EEENS1_30default_config_static_selectorELNS0_4arch9wavefront6targetE1EEEvSK_,comdat
	.protected	_ZN7rocprim17ROCPRIM_400000_NS6detail17trampoline_kernelINS0_14default_configENS1_22reduce_config_selectorIsEEZNS1_11reduce_implILb1ES3_N6thrust23THRUST_200600_302600_NS17counting_iteratorIsNS8_11hip_rocprim3tagENS8_11use_defaultESC_EEPssNS8_4plusIsEEEE10hipError_tPvRmT1_T2_T3_mT4_P12ihipStream_tbEUlT_E1_NS1_11comp_targetILNS1_3genE2ELNS1_11target_archE906ELNS1_3gpuE6ELNS1_3repE0EEENS1_30default_config_static_selectorELNS0_4arch9wavefront6targetE1EEEvSK_ ; -- Begin function _ZN7rocprim17ROCPRIM_400000_NS6detail17trampoline_kernelINS0_14default_configENS1_22reduce_config_selectorIsEEZNS1_11reduce_implILb1ES3_N6thrust23THRUST_200600_302600_NS17counting_iteratorIsNS8_11hip_rocprim3tagENS8_11use_defaultESC_EEPssNS8_4plusIsEEEE10hipError_tPvRmT1_T2_T3_mT4_P12ihipStream_tbEUlT_E1_NS1_11comp_targetILNS1_3genE2ELNS1_11target_archE906ELNS1_3gpuE6ELNS1_3repE0EEENS1_30default_config_static_selectorELNS0_4arch9wavefront6targetE1EEEvSK_
	.globl	_ZN7rocprim17ROCPRIM_400000_NS6detail17trampoline_kernelINS0_14default_configENS1_22reduce_config_selectorIsEEZNS1_11reduce_implILb1ES3_N6thrust23THRUST_200600_302600_NS17counting_iteratorIsNS8_11hip_rocprim3tagENS8_11use_defaultESC_EEPssNS8_4plusIsEEEE10hipError_tPvRmT1_T2_T3_mT4_P12ihipStream_tbEUlT_E1_NS1_11comp_targetILNS1_3genE2ELNS1_11target_archE906ELNS1_3gpuE6ELNS1_3repE0EEENS1_30default_config_static_selectorELNS0_4arch9wavefront6targetE1EEEvSK_
	.p2align	8
	.type	_ZN7rocprim17ROCPRIM_400000_NS6detail17trampoline_kernelINS0_14default_configENS1_22reduce_config_selectorIsEEZNS1_11reduce_implILb1ES3_N6thrust23THRUST_200600_302600_NS17counting_iteratorIsNS8_11hip_rocprim3tagENS8_11use_defaultESC_EEPssNS8_4plusIsEEEE10hipError_tPvRmT1_T2_T3_mT4_P12ihipStream_tbEUlT_E1_NS1_11comp_targetILNS1_3genE2ELNS1_11target_archE906ELNS1_3gpuE6ELNS1_3repE0EEENS1_30default_config_static_selectorELNS0_4arch9wavefront6targetE1EEEvSK_,@function
_ZN7rocprim17ROCPRIM_400000_NS6detail17trampoline_kernelINS0_14default_configENS1_22reduce_config_selectorIsEEZNS1_11reduce_implILb1ES3_N6thrust23THRUST_200600_302600_NS17counting_iteratorIsNS8_11hip_rocprim3tagENS8_11use_defaultESC_EEPssNS8_4plusIsEEEE10hipError_tPvRmT1_T2_T3_mT4_P12ihipStream_tbEUlT_E1_NS1_11comp_targetILNS1_3genE2ELNS1_11target_archE906ELNS1_3gpuE6ELNS1_3repE0EEENS1_30default_config_static_selectorELNS0_4arch9wavefront6targetE1EEEvSK_: ; @_ZN7rocprim17ROCPRIM_400000_NS6detail17trampoline_kernelINS0_14default_configENS1_22reduce_config_selectorIsEEZNS1_11reduce_implILb1ES3_N6thrust23THRUST_200600_302600_NS17counting_iteratorIsNS8_11hip_rocprim3tagENS8_11use_defaultESC_EEPssNS8_4plusIsEEEE10hipError_tPvRmT1_T2_T3_mT4_P12ihipStream_tbEUlT_E1_NS1_11comp_targetILNS1_3genE2ELNS1_11target_archE906ELNS1_3gpuE6ELNS1_3repE0EEENS1_30default_config_static_selectorELNS0_4arch9wavefront6targetE1EEEvSK_
; %bb.0:
	.section	.rodata,"a",@progbits
	.p2align	6, 0x0
	.amdhsa_kernel _ZN7rocprim17ROCPRIM_400000_NS6detail17trampoline_kernelINS0_14default_configENS1_22reduce_config_selectorIsEEZNS1_11reduce_implILb1ES3_N6thrust23THRUST_200600_302600_NS17counting_iteratorIsNS8_11hip_rocprim3tagENS8_11use_defaultESC_EEPssNS8_4plusIsEEEE10hipError_tPvRmT1_T2_T3_mT4_P12ihipStream_tbEUlT_E1_NS1_11comp_targetILNS1_3genE2ELNS1_11target_archE906ELNS1_3gpuE6ELNS1_3repE0EEENS1_30default_config_static_selectorELNS0_4arch9wavefront6targetE1EEEvSK_
		.amdhsa_group_segment_fixed_size 0
		.amdhsa_private_segment_fixed_size 0
		.amdhsa_kernarg_size 40
		.amdhsa_user_sgpr_count 2
		.amdhsa_user_sgpr_dispatch_ptr 0
		.amdhsa_user_sgpr_queue_ptr 0
		.amdhsa_user_sgpr_kernarg_segment_ptr 1
		.amdhsa_user_sgpr_dispatch_id 0
		.amdhsa_user_sgpr_kernarg_preload_length 0
		.amdhsa_user_sgpr_kernarg_preload_offset 0
		.amdhsa_user_sgpr_private_segment_size 0
		.amdhsa_uses_dynamic_stack 0
		.amdhsa_enable_private_segment 0
		.amdhsa_system_sgpr_workgroup_id_x 1
		.amdhsa_system_sgpr_workgroup_id_y 0
		.amdhsa_system_sgpr_workgroup_id_z 0
		.amdhsa_system_sgpr_workgroup_info 0
		.amdhsa_system_vgpr_workitem_id 0
		.amdhsa_next_free_vgpr 1
		.amdhsa_next_free_sgpr 0
		.amdhsa_accum_offset 4
		.amdhsa_reserve_vcc 0
		.amdhsa_float_round_mode_32 0
		.amdhsa_float_round_mode_16_64 0
		.amdhsa_float_denorm_mode_32 3
		.amdhsa_float_denorm_mode_16_64 3
		.amdhsa_dx10_clamp 1
		.amdhsa_ieee_mode 1
		.amdhsa_fp16_overflow 0
		.amdhsa_tg_split 0
		.amdhsa_exception_fp_ieee_invalid_op 0
		.amdhsa_exception_fp_denorm_src 0
		.amdhsa_exception_fp_ieee_div_zero 0
		.amdhsa_exception_fp_ieee_overflow 0
		.amdhsa_exception_fp_ieee_underflow 0
		.amdhsa_exception_fp_ieee_inexact 0
		.amdhsa_exception_int_div_zero 0
	.end_amdhsa_kernel
	.section	.text._ZN7rocprim17ROCPRIM_400000_NS6detail17trampoline_kernelINS0_14default_configENS1_22reduce_config_selectorIsEEZNS1_11reduce_implILb1ES3_N6thrust23THRUST_200600_302600_NS17counting_iteratorIsNS8_11hip_rocprim3tagENS8_11use_defaultESC_EEPssNS8_4plusIsEEEE10hipError_tPvRmT1_T2_T3_mT4_P12ihipStream_tbEUlT_E1_NS1_11comp_targetILNS1_3genE2ELNS1_11target_archE906ELNS1_3gpuE6ELNS1_3repE0EEENS1_30default_config_static_selectorELNS0_4arch9wavefront6targetE1EEEvSK_,"axG",@progbits,_ZN7rocprim17ROCPRIM_400000_NS6detail17trampoline_kernelINS0_14default_configENS1_22reduce_config_selectorIsEEZNS1_11reduce_implILb1ES3_N6thrust23THRUST_200600_302600_NS17counting_iteratorIsNS8_11hip_rocprim3tagENS8_11use_defaultESC_EEPssNS8_4plusIsEEEE10hipError_tPvRmT1_T2_T3_mT4_P12ihipStream_tbEUlT_E1_NS1_11comp_targetILNS1_3genE2ELNS1_11target_archE906ELNS1_3gpuE6ELNS1_3repE0EEENS1_30default_config_static_selectorELNS0_4arch9wavefront6targetE1EEEvSK_,comdat
.Lfunc_end1122:
	.size	_ZN7rocprim17ROCPRIM_400000_NS6detail17trampoline_kernelINS0_14default_configENS1_22reduce_config_selectorIsEEZNS1_11reduce_implILb1ES3_N6thrust23THRUST_200600_302600_NS17counting_iteratorIsNS8_11hip_rocprim3tagENS8_11use_defaultESC_EEPssNS8_4plusIsEEEE10hipError_tPvRmT1_T2_T3_mT4_P12ihipStream_tbEUlT_E1_NS1_11comp_targetILNS1_3genE2ELNS1_11target_archE906ELNS1_3gpuE6ELNS1_3repE0EEENS1_30default_config_static_selectorELNS0_4arch9wavefront6targetE1EEEvSK_, .Lfunc_end1122-_ZN7rocprim17ROCPRIM_400000_NS6detail17trampoline_kernelINS0_14default_configENS1_22reduce_config_selectorIsEEZNS1_11reduce_implILb1ES3_N6thrust23THRUST_200600_302600_NS17counting_iteratorIsNS8_11hip_rocprim3tagENS8_11use_defaultESC_EEPssNS8_4plusIsEEEE10hipError_tPvRmT1_T2_T3_mT4_P12ihipStream_tbEUlT_E1_NS1_11comp_targetILNS1_3genE2ELNS1_11target_archE906ELNS1_3gpuE6ELNS1_3repE0EEENS1_30default_config_static_selectorELNS0_4arch9wavefront6targetE1EEEvSK_
                                        ; -- End function
	.set _ZN7rocprim17ROCPRIM_400000_NS6detail17trampoline_kernelINS0_14default_configENS1_22reduce_config_selectorIsEEZNS1_11reduce_implILb1ES3_N6thrust23THRUST_200600_302600_NS17counting_iteratorIsNS8_11hip_rocprim3tagENS8_11use_defaultESC_EEPssNS8_4plusIsEEEE10hipError_tPvRmT1_T2_T3_mT4_P12ihipStream_tbEUlT_E1_NS1_11comp_targetILNS1_3genE2ELNS1_11target_archE906ELNS1_3gpuE6ELNS1_3repE0EEENS1_30default_config_static_selectorELNS0_4arch9wavefront6targetE1EEEvSK_.num_vgpr, 0
	.set _ZN7rocprim17ROCPRIM_400000_NS6detail17trampoline_kernelINS0_14default_configENS1_22reduce_config_selectorIsEEZNS1_11reduce_implILb1ES3_N6thrust23THRUST_200600_302600_NS17counting_iteratorIsNS8_11hip_rocprim3tagENS8_11use_defaultESC_EEPssNS8_4plusIsEEEE10hipError_tPvRmT1_T2_T3_mT4_P12ihipStream_tbEUlT_E1_NS1_11comp_targetILNS1_3genE2ELNS1_11target_archE906ELNS1_3gpuE6ELNS1_3repE0EEENS1_30default_config_static_selectorELNS0_4arch9wavefront6targetE1EEEvSK_.num_agpr, 0
	.set _ZN7rocprim17ROCPRIM_400000_NS6detail17trampoline_kernelINS0_14default_configENS1_22reduce_config_selectorIsEEZNS1_11reduce_implILb1ES3_N6thrust23THRUST_200600_302600_NS17counting_iteratorIsNS8_11hip_rocprim3tagENS8_11use_defaultESC_EEPssNS8_4plusIsEEEE10hipError_tPvRmT1_T2_T3_mT4_P12ihipStream_tbEUlT_E1_NS1_11comp_targetILNS1_3genE2ELNS1_11target_archE906ELNS1_3gpuE6ELNS1_3repE0EEENS1_30default_config_static_selectorELNS0_4arch9wavefront6targetE1EEEvSK_.numbered_sgpr, 0
	.set _ZN7rocprim17ROCPRIM_400000_NS6detail17trampoline_kernelINS0_14default_configENS1_22reduce_config_selectorIsEEZNS1_11reduce_implILb1ES3_N6thrust23THRUST_200600_302600_NS17counting_iteratorIsNS8_11hip_rocprim3tagENS8_11use_defaultESC_EEPssNS8_4plusIsEEEE10hipError_tPvRmT1_T2_T3_mT4_P12ihipStream_tbEUlT_E1_NS1_11comp_targetILNS1_3genE2ELNS1_11target_archE906ELNS1_3gpuE6ELNS1_3repE0EEENS1_30default_config_static_selectorELNS0_4arch9wavefront6targetE1EEEvSK_.num_named_barrier, 0
	.set _ZN7rocprim17ROCPRIM_400000_NS6detail17trampoline_kernelINS0_14default_configENS1_22reduce_config_selectorIsEEZNS1_11reduce_implILb1ES3_N6thrust23THRUST_200600_302600_NS17counting_iteratorIsNS8_11hip_rocprim3tagENS8_11use_defaultESC_EEPssNS8_4plusIsEEEE10hipError_tPvRmT1_T2_T3_mT4_P12ihipStream_tbEUlT_E1_NS1_11comp_targetILNS1_3genE2ELNS1_11target_archE906ELNS1_3gpuE6ELNS1_3repE0EEENS1_30default_config_static_selectorELNS0_4arch9wavefront6targetE1EEEvSK_.private_seg_size, 0
	.set _ZN7rocprim17ROCPRIM_400000_NS6detail17trampoline_kernelINS0_14default_configENS1_22reduce_config_selectorIsEEZNS1_11reduce_implILb1ES3_N6thrust23THRUST_200600_302600_NS17counting_iteratorIsNS8_11hip_rocprim3tagENS8_11use_defaultESC_EEPssNS8_4plusIsEEEE10hipError_tPvRmT1_T2_T3_mT4_P12ihipStream_tbEUlT_E1_NS1_11comp_targetILNS1_3genE2ELNS1_11target_archE906ELNS1_3gpuE6ELNS1_3repE0EEENS1_30default_config_static_selectorELNS0_4arch9wavefront6targetE1EEEvSK_.uses_vcc, 0
	.set _ZN7rocprim17ROCPRIM_400000_NS6detail17trampoline_kernelINS0_14default_configENS1_22reduce_config_selectorIsEEZNS1_11reduce_implILb1ES3_N6thrust23THRUST_200600_302600_NS17counting_iteratorIsNS8_11hip_rocprim3tagENS8_11use_defaultESC_EEPssNS8_4plusIsEEEE10hipError_tPvRmT1_T2_T3_mT4_P12ihipStream_tbEUlT_E1_NS1_11comp_targetILNS1_3genE2ELNS1_11target_archE906ELNS1_3gpuE6ELNS1_3repE0EEENS1_30default_config_static_selectorELNS0_4arch9wavefront6targetE1EEEvSK_.uses_flat_scratch, 0
	.set _ZN7rocprim17ROCPRIM_400000_NS6detail17trampoline_kernelINS0_14default_configENS1_22reduce_config_selectorIsEEZNS1_11reduce_implILb1ES3_N6thrust23THRUST_200600_302600_NS17counting_iteratorIsNS8_11hip_rocprim3tagENS8_11use_defaultESC_EEPssNS8_4plusIsEEEE10hipError_tPvRmT1_T2_T3_mT4_P12ihipStream_tbEUlT_E1_NS1_11comp_targetILNS1_3genE2ELNS1_11target_archE906ELNS1_3gpuE6ELNS1_3repE0EEENS1_30default_config_static_selectorELNS0_4arch9wavefront6targetE1EEEvSK_.has_dyn_sized_stack, 0
	.set _ZN7rocprim17ROCPRIM_400000_NS6detail17trampoline_kernelINS0_14default_configENS1_22reduce_config_selectorIsEEZNS1_11reduce_implILb1ES3_N6thrust23THRUST_200600_302600_NS17counting_iteratorIsNS8_11hip_rocprim3tagENS8_11use_defaultESC_EEPssNS8_4plusIsEEEE10hipError_tPvRmT1_T2_T3_mT4_P12ihipStream_tbEUlT_E1_NS1_11comp_targetILNS1_3genE2ELNS1_11target_archE906ELNS1_3gpuE6ELNS1_3repE0EEENS1_30default_config_static_selectorELNS0_4arch9wavefront6targetE1EEEvSK_.has_recursion, 0
	.set _ZN7rocprim17ROCPRIM_400000_NS6detail17trampoline_kernelINS0_14default_configENS1_22reduce_config_selectorIsEEZNS1_11reduce_implILb1ES3_N6thrust23THRUST_200600_302600_NS17counting_iteratorIsNS8_11hip_rocprim3tagENS8_11use_defaultESC_EEPssNS8_4plusIsEEEE10hipError_tPvRmT1_T2_T3_mT4_P12ihipStream_tbEUlT_E1_NS1_11comp_targetILNS1_3genE2ELNS1_11target_archE906ELNS1_3gpuE6ELNS1_3repE0EEENS1_30default_config_static_selectorELNS0_4arch9wavefront6targetE1EEEvSK_.has_indirect_call, 0
	.section	.AMDGPU.csdata,"",@progbits
; Kernel info:
; codeLenInByte = 0
; TotalNumSgprs: 6
; NumVgprs: 0
; NumAgprs: 0
; TotalNumVgprs: 0
; ScratchSize: 0
; MemoryBound: 0
; FloatMode: 240
; IeeeMode: 1
; LDSByteSize: 0 bytes/workgroup (compile time only)
; SGPRBlocks: 0
; VGPRBlocks: 0
; NumSGPRsForWavesPerEU: 6
; NumVGPRsForWavesPerEU: 1
; AccumOffset: 4
; Occupancy: 8
; WaveLimiterHint : 0
; COMPUTE_PGM_RSRC2:SCRATCH_EN: 0
; COMPUTE_PGM_RSRC2:USER_SGPR: 2
; COMPUTE_PGM_RSRC2:TRAP_HANDLER: 0
; COMPUTE_PGM_RSRC2:TGID_X_EN: 1
; COMPUTE_PGM_RSRC2:TGID_Y_EN: 0
; COMPUTE_PGM_RSRC2:TGID_Z_EN: 0
; COMPUTE_PGM_RSRC2:TIDIG_COMP_CNT: 0
; COMPUTE_PGM_RSRC3_GFX90A:ACCUM_OFFSET: 0
; COMPUTE_PGM_RSRC3_GFX90A:TG_SPLIT: 0
	.section	.text._ZN7rocprim17ROCPRIM_400000_NS6detail17trampoline_kernelINS0_14default_configENS1_22reduce_config_selectorIsEEZNS1_11reduce_implILb1ES3_N6thrust23THRUST_200600_302600_NS17counting_iteratorIsNS8_11hip_rocprim3tagENS8_11use_defaultESC_EEPssNS8_4plusIsEEEE10hipError_tPvRmT1_T2_T3_mT4_P12ihipStream_tbEUlT_E1_NS1_11comp_targetILNS1_3genE10ELNS1_11target_archE1201ELNS1_3gpuE5ELNS1_3repE0EEENS1_30default_config_static_selectorELNS0_4arch9wavefront6targetE1EEEvSK_,"axG",@progbits,_ZN7rocprim17ROCPRIM_400000_NS6detail17trampoline_kernelINS0_14default_configENS1_22reduce_config_selectorIsEEZNS1_11reduce_implILb1ES3_N6thrust23THRUST_200600_302600_NS17counting_iteratorIsNS8_11hip_rocprim3tagENS8_11use_defaultESC_EEPssNS8_4plusIsEEEE10hipError_tPvRmT1_T2_T3_mT4_P12ihipStream_tbEUlT_E1_NS1_11comp_targetILNS1_3genE10ELNS1_11target_archE1201ELNS1_3gpuE5ELNS1_3repE0EEENS1_30default_config_static_selectorELNS0_4arch9wavefront6targetE1EEEvSK_,comdat
	.protected	_ZN7rocprim17ROCPRIM_400000_NS6detail17trampoline_kernelINS0_14default_configENS1_22reduce_config_selectorIsEEZNS1_11reduce_implILb1ES3_N6thrust23THRUST_200600_302600_NS17counting_iteratorIsNS8_11hip_rocprim3tagENS8_11use_defaultESC_EEPssNS8_4plusIsEEEE10hipError_tPvRmT1_T2_T3_mT4_P12ihipStream_tbEUlT_E1_NS1_11comp_targetILNS1_3genE10ELNS1_11target_archE1201ELNS1_3gpuE5ELNS1_3repE0EEENS1_30default_config_static_selectorELNS0_4arch9wavefront6targetE1EEEvSK_ ; -- Begin function _ZN7rocprim17ROCPRIM_400000_NS6detail17trampoline_kernelINS0_14default_configENS1_22reduce_config_selectorIsEEZNS1_11reduce_implILb1ES3_N6thrust23THRUST_200600_302600_NS17counting_iteratorIsNS8_11hip_rocprim3tagENS8_11use_defaultESC_EEPssNS8_4plusIsEEEE10hipError_tPvRmT1_T2_T3_mT4_P12ihipStream_tbEUlT_E1_NS1_11comp_targetILNS1_3genE10ELNS1_11target_archE1201ELNS1_3gpuE5ELNS1_3repE0EEENS1_30default_config_static_selectorELNS0_4arch9wavefront6targetE1EEEvSK_
	.globl	_ZN7rocprim17ROCPRIM_400000_NS6detail17trampoline_kernelINS0_14default_configENS1_22reduce_config_selectorIsEEZNS1_11reduce_implILb1ES3_N6thrust23THRUST_200600_302600_NS17counting_iteratorIsNS8_11hip_rocprim3tagENS8_11use_defaultESC_EEPssNS8_4plusIsEEEE10hipError_tPvRmT1_T2_T3_mT4_P12ihipStream_tbEUlT_E1_NS1_11comp_targetILNS1_3genE10ELNS1_11target_archE1201ELNS1_3gpuE5ELNS1_3repE0EEENS1_30default_config_static_selectorELNS0_4arch9wavefront6targetE1EEEvSK_
	.p2align	8
	.type	_ZN7rocprim17ROCPRIM_400000_NS6detail17trampoline_kernelINS0_14default_configENS1_22reduce_config_selectorIsEEZNS1_11reduce_implILb1ES3_N6thrust23THRUST_200600_302600_NS17counting_iteratorIsNS8_11hip_rocprim3tagENS8_11use_defaultESC_EEPssNS8_4plusIsEEEE10hipError_tPvRmT1_T2_T3_mT4_P12ihipStream_tbEUlT_E1_NS1_11comp_targetILNS1_3genE10ELNS1_11target_archE1201ELNS1_3gpuE5ELNS1_3repE0EEENS1_30default_config_static_selectorELNS0_4arch9wavefront6targetE1EEEvSK_,@function
_ZN7rocprim17ROCPRIM_400000_NS6detail17trampoline_kernelINS0_14default_configENS1_22reduce_config_selectorIsEEZNS1_11reduce_implILb1ES3_N6thrust23THRUST_200600_302600_NS17counting_iteratorIsNS8_11hip_rocprim3tagENS8_11use_defaultESC_EEPssNS8_4plusIsEEEE10hipError_tPvRmT1_T2_T3_mT4_P12ihipStream_tbEUlT_E1_NS1_11comp_targetILNS1_3genE10ELNS1_11target_archE1201ELNS1_3gpuE5ELNS1_3repE0EEENS1_30default_config_static_selectorELNS0_4arch9wavefront6targetE1EEEvSK_: ; @_ZN7rocprim17ROCPRIM_400000_NS6detail17trampoline_kernelINS0_14default_configENS1_22reduce_config_selectorIsEEZNS1_11reduce_implILb1ES3_N6thrust23THRUST_200600_302600_NS17counting_iteratorIsNS8_11hip_rocprim3tagENS8_11use_defaultESC_EEPssNS8_4plusIsEEEE10hipError_tPvRmT1_T2_T3_mT4_P12ihipStream_tbEUlT_E1_NS1_11comp_targetILNS1_3genE10ELNS1_11target_archE1201ELNS1_3gpuE5ELNS1_3repE0EEENS1_30default_config_static_selectorELNS0_4arch9wavefront6targetE1EEEvSK_
; %bb.0:
	.section	.rodata,"a",@progbits
	.p2align	6, 0x0
	.amdhsa_kernel _ZN7rocprim17ROCPRIM_400000_NS6detail17trampoline_kernelINS0_14default_configENS1_22reduce_config_selectorIsEEZNS1_11reduce_implILb1ES3_N6thrust23THRUST_200600_302600_NS17counting_iteratorIsNS8_11hip_rocprim3tagENS8_11use_defaultESC_EEPssNS8_4plusIsEEEE10hipError_tPvRmT1_T2_T3_mT4_P12ihipStream_tbEUlT_E1_NS1_11comp_targetILNS1_3genE10ELNS1_11target_archE1201ELNS1_3gpuE5ELNS1_3repE0EEENS1_30default_config_static_selectorELNS0_4arch9wavefront6targetE1EEEvSK_
		.amdhsa_group_segment_fixed_size 0
		.amdhsa_private_segment_fixed_size 0
		.amdhsa_kernarg_size 40
		.amdhsa_user_sgpr_count 2
		.amdhsa_user_sgpr_dispatch_ptr 0
		.amdhsa_user_sgpr_queue_ptr 0
		.amdhsa_user_sgpr_kernarg_segment_ptr 1
		.amdhsa_user_sgpr_dispatch_id 0
		.amdhsa_user_sgpr_kernarg_preload_length 0
		.amdhsa_user_sgpr_kernarg_preload_offset 0
		.amdhsa_user_sgpr_private_segment_size 0
		.amdhsa_uses_dynamic_stack 0
		.amdhsa_enable_private_segment 0
		.amdhsa_system_sgpr_workgroup_id_x 1
		.amdhsa_system_sgpr_workgroup_id_y 0
		.amdhsa_system_sgpr_workgroup_id_z 0
		.amdhsa_system_sgpr_workgroup_info 0
		.amdhsa_system_vgpr_workitem_id 0
		.amdhsa_next_free_vgpr 1
		.amdhsa_next_free_sgpr 0
		.amdhsa_accum_offset 4
		.amdhsa_reserve_vcc 0
		.amdhsa_float_round_mode_32 0
		.amdhsa_float_round_mode_16_64 0
		.amdhsa_float_denorm_mode_32 3
		.amdhsa_float_denorm_mode_16_64 3
		.amdhsa_dx10_clamp 1
		.amdhsa_ieee_mode 1
		.amdhsa_fp16_overflow 0
		.amdhsa_tg_split 0
		.amdhsa_exception_fp_ieee_invalid_op 0
		.amdhsa_exception_fp_denorm_src 0
		.amdhsa_exception_fp_ieee_div_zero 0
		.amdhsa_exception_fp_ieee_overflow 0
		.amdhsa_exception_fp_ieee_underflow 0
		.amdhsa_exception_fp_ieee_inexact 0
		.amdhsa_exception_int_div_zero 0
	.end_amdhsa_kernel
	.section	.text._ZN7rocprim17ROCPRIM_400000_NS6detail17trampoline_kernelINS0_14default_configENS1_22reduce_config_selectorIsEEZNS1_11reduce_implILb1ES3_N6thrust23THRUST_200600_302600_NS17counting_iteratorIsNS8_11hip_rocprim3tagENS8_11use_defaultESC_EEPssNS8_4plusIsEEEE10hipError_tPvRmT1_T2_T3_mT4_P12ihipStream_tbEUlT_E1_NS1_11comp_targetILNS1_3genE10ELNS1_11target_archE1201ELNS1_3gpuE5ELNS1_3repE0EEENS1_30default_config_static_selectorELNS0_4arch9wavefront6targetE1EEEvSK_,"axG",@progbits,_ZN7rocprim17ROCPRIM_400000_NS6detail17trampoline_kernelINS0_14default_configENS1_22reduce_config_selectorIsEEZNS1_11reduce_implILb1ES3_N6thrust23THRUST_200600_302600_NS17counting_iteratorIsNS8_11hip_rocprim3tagENS8_11use_defaultESC_EEPssNS8_4plusIsEEEE10hipError_tPvRmT1_T2_T3_mT4_P12ihipStream_tbEUlT_E1_NS1_11comp_targetILNS1_3genE10ELNS1_11target_archE1201ELNS1_3gpuE5ELNS1_3repE0EEENS1_30default_config_static_selectorELNS0_4arch9wavefront6targetE1EEEvSK_,comdat
.Lfunc_end1123:
	.size	_ZN7rocprim17ROCPRIM_400000_NS6detail17trampoline_kernelINS0_14default_configENS1_22reduce_config_selectorIsEEZNS1_11reduce_implILb1ES3_N6thrust23THRUST_200600_302600_NS17counting_iteratorIsNS8_11hip_rocprim3tagENS8_11use_defaultESC_EEPssNS8_4plusIsEEEE10hipError_tPvRmT1_T2_T3_mT4_P12ihipStream_tbEUlT_E1_NS1_11comp_targetILNS1_3genE10ELNS1_11target_archE1201ELNS1_3gpuE5ELNS1_3repE0EEENS1_30default_config_static_selectorELNS0_4arch9wavefront6targetE1EEEvSK_, .Lfunc_end1123-_ZN7rocprim17ROCPRIM_400000_NS6detail17trampoline_kernelINS0_14default_configENS1_22reduce_config_selectorIsEEZNS1_11reduce_implILb1ES3_N6thrust23THRUST_200600_302600_NS17counting_iteratorIsNS8_11hip_rocprim3tagENS8_11use_defaultESC_EEPssNS8_4plusIsEEEE10hipError_tPvRmT1_T2_T3_mT4_P12ihipStream_tbEUlT_E1_NS1_11comp_targetILNS1_3genE10ELNS1_11target_archE1201ELNS1_3gpuE5ELNS1_3repE0EEENS1_30default_config_static_selectorELNS0_4arch9wavefront6targetE1EEEvSK_
                                        ; -- End function
	.set _ZN7rocprim17ROCPRIM_400000_NS6detail17trampoline_kernelINS0_14default_configENS1_22reduce_config_selectorIsEEZNS1_11reduce_implILb1ES3_N6thrust23THRUST_200600_302600_NS17counting_iteratorIsNS8_11hip_rocprim3tagENS8_11use_defaultESC_EEPssNS8_4plusIsEEEE10hipError_tPvRmT1_T2_T3_mT4_P12ihipStream_tbEUlT_E1_NS1_11comp_targetILNS1_3genE10ELNS1_11target_archE1201ELNS1_3gpuE5ELNS1_3repE0EEENS1_30default_config_static_selectorELNS0_4arch9wavefront6targetE1EEEvSK_.num_vgpr, 0
	.set _ZN7rocprim17ROCPRIM_400000_NS6detail17trampoline_kernelINS0_14default_configENS1_22reduce_config_selectorIsEEZNS1_11reduce_implILb1ES3_N6thrust23THRUST_200600_302600_NS17counting_iteratorIsNS8_11hip_rocprim3tagENS8_11use_defaultESC_EEPssNS8_4plusIsEEEE10hipError_tPvRmT1_T2_T3_mT4_P12ihipStream_tbEUlT_E1_NS1_11comp_targetILNS1_3genE10ELNS1_11target_archE1201ELNS1_3gpuE5ELNS1_3repE0EEENS1_30default_config_static_selectorELNS0_4arch9wavefront6targetE1EEEvSK_.num_agpr, 0
	.set _ZN7rocprim17ROCPRIM_400000_NS6detail17trampoline_kernelINS0_14default_configENS1_22reduce_config_selectorIsEEZNS1_11reduce_implILb1ES3_N6thrust23THRUST_200600_302600_NS17counting_iteratorIsNS8_11hip_rocprim3tagENS8_11use_defaultESC_EEPssNS8_4plusIsEEEE10hipError_tPvRmT1_T2_T3_mT4_P12ihipStream_tbEUlT_E1_NS1_11comp_targetILNS1_3genE10ELNS1_11target_archE1201ELNS1_3gpuE5ELNS1_3repE0EEENS1_30default_config_static_selectorELNS0_4arch9wavefront6targetE1EEEvSK_.numbered_sgpr, 0
	.set _ZN7rocprim17ROCPRIM_400000_NS6detail17trampoline_kernelINS0_14default_configENS1_22reduce_config_selectorIsEEZNS1_11reduce_implILb1ES3_N6thrust23THRUST_200600_302600_NS17counting_iteratorIsNS8_11hip_rocprim3tagENS8_11use_defaultESC_EEPssNS8_4plusIsEEEE10hipError_tPvRmT1_T2_T3_mT4_P12ihipStream_tbEUlT_E1_NS1_11comp_targetILNS1_3genE10ELNS1_11target_archE1201ELNS1_3gpuE5ELNS1_3repE0EEENS1_30default_config_static_selectorELNS0_4arch9wavefront6targetE1EEEvSK_.num_named_barrier, 0
	.set _ZN7rocprim17ROCPRIM_400000_NS6detail17trampoline_kernelINS0_14default_configENS1_22reduce_config_selectorIsEEZNS1_11reduce_implILb1ES3_N6thrust23THRUST_200600_302600_NS17counting_iteratorIsNS8_11hip_rocprim3tagENS8_11use_defaultESC_EEPssNS8_4plusIsEEEE10hipError_tPvRmT1_T2_T3_mT4_P12ihipStream_tbEUlT_E1_NS1_11comp_targetILNS1_3genE10ELNS1_11target_archE1201ELNS1_3gpuE5ELNS1_3repE0EEENS1_30default_config_static_selectorELNS0_4arch9wavefront6targetE1EEEvSK_.private_seg_size, 0
	.set _ZN7rocprim17ROCPRIM_400000_NS6detail17trampoline_kernelINS0_14default_configENS1_22reduce_config_selectorIsEEZNS1_11reduce_implILb1ES3_N6thrust23THRUST_200600_302600_NS17counting_iteratorIsNS8_11hip_rocprim3tagENS8_11use_defaultESC_EEPssNS8_4plusIsEEEE10hipError_tPvRmT1_T2_T3_mT4_P12ihipStream_tbEUlT_E1_NS1_11comp_targetILNS1_3genE10ELNS1_11target_archE1201ELNS1_3gpuE5ELNS1_3repE0EEENS1_30default_config_static_selectorELNS0_4arch9wavefront6targetE1EEEvSK_.uses_vcc, 0
	.set _ZN7rocprim17ROCPRIM_400000_NS6detail17trampoline_kernelINS0_14default_configENS1_22reduce_config_selectorIsEEZNS1_11reduce_implILb1ES3_N6thrust23THRUST_200600_302600_NS17counting_iteratorIsNS8_11hip_rocprim3tagENS8_11use_defaultESC_EEPssNS8_4plusIsEEEE10hipError_tPvRmT1_T2_T3_mT4_P12ihipStream_tbEUlT_E1_NS1_11comp_targetILNS1_3genE10ELNS1_11target_archE1201ELNS1_3gpuE5ELNS1_3repE0EEENS1_30default_config_static_selectorELNS0_4arch9wavefront6targetE1EEEvSK_.uses_flat_scratch, 0
	.set _ZN7rocprim17ROCPRIM_400000_NS6detail17trampoline_kernelINS0_14default_configENS1_22reduce_config_selectorIsEEZNS1_11reduce_implILb1ES3_N6thrust23THRUST_200600_302600_NS17counting_iteratorIsNS8_11hip_rocprim3tagENS8_11use_defaultESC_EEPssNS8_4plusIsEEEE10hipError_tPvRmT1_T2_T3_mT4_P12ihipStream_tbEUlT_E1_NS1_11comp_targetILNS1_3genE10ELNS1_11target_archE1201ELNS1_3gpuE5ELNS1_3repE0EEENS1_30default_config_static_selectorELNS0_4arch9wavefront6targetE1EEEvSK_.has_dyn_sized_stack, 0
	.set _ZN7rocprim17ROCPRIM_400000_NS6detail17trampoline_kernelINS0_14default_configENS1_22reduce_config_selectorIsEEZNS1_11reduce_implILb1ES3_N6thrust23THRUST_200600_302600_NS17counting_iteratorIsNS8_11hip_rocprim3tagENS8_11use_defaultESC_EEPssNS8_4plusIsEEEE10hipError_tPvRmT1_T2_T3_mT4_P12ihipStream_tbEUlT_E1_NS1_11comp_targetILNS1_3genE10ELNS1_11target_archE1201ELNS1_3gpuE5ELNS1_3repE0EEENS1_30default_config_static_selectorELNS0_4arch9wavefront6targetE1EEEvSK_.has_recursion, 0
	.set _ZN7rocprim17ROCPRIM_400000_NS6detail17trampoline_kernelINS0_14default_configENS1_22reduce_config_selectorIsEEZNS1_11reduce_implILb1ES3_N6thrust23THRUST_200600_302600_NS17counting_iteratorIsNS8_11hip_rocprim3tagENS8_11use_defaultESC_EEPssNS8_4plusIsEEEE10hipError_tPvRmT1_T2_T3_mT4_P12ihipStream_tbEUlT_E1_NS1_11comp_targetILNS1_3genE10ELNS1_11target_archE1201ELNS1_3gpuE5ELNS1_3repE0EEENS1_30default_config_static_selectorELNS0_4arch9wavefront6targetE1EEEvSK_.has_indirect_call, 0
	.section	.AMDGPU.csdata,"",@progbits
; Kernel info:
; codeLenInByte = 0
; TotalNumSgprs: 6
; NumVgprs: 0
; NumAgprs: 0
; TotalNumVgprs: 0
; ScratchSize: 0
; MemoryBound: 0
; FloatMode: 240
; IeeeMode: 1
; LDSByteSize: 0 bytes/workgroup (compile time only)
; SGPRBlocks: 0
; VGPRBlocks: 0
; NumSGPRsForWavesPerEU: 6
; NumVGPRsForWavesPerEU: 1
; AccumOffset: 4
; Occupancy: 8
; WaveLimiterHint : 0
; COMPUTE_PGM_RSRC2:SCRATCH_EN: 0
; COMPUTE_PGM_RSRC2:USER_SGPR: 2
; COMPUTE_PGM_RSRC2:TRAP_HANDLER: 0
; COMPUTE_PGM_RSRC2:TGID_X_EN: 1
; COMPUTE_PGM_RSRC2:TGID_Y_EN: 0
; COMPUTE_PGM_RSRC2:TGID_Z_EN: 0
; COMPUTE_PGM_RSRC2:TIDIG_COMP_CNT: 0
; COMPUTE_PGM_RSRC3_GFX90A:ACCUM_OFFSET: 0
; COMPUTE_PGM_RSRC3_GFX90A:TG_SPLIT: 0
	.section	.text._ZN7rocprim17ROCPRIM_400000_NS6detail17trampoline_kernelINS0_14default_configENS1_22reduce_config_selectorIsEEZNS1_11reduce_implILb1ES3_N6thrust23THRUST_200600_302600_NS17counting_iteratorIsNS8_11hip_rocprim3tagENS8_11use_defaultESC_EEPssNS8_4plusIsEEEE10hipError_tPvRmT1_T2_T3_mT4_P12ihipStream_tbEUlT_E1_NS1_11comp_targetILNS1_3genE10ELNS1_11target_archE1200ELNS1_3gpuE4ELNS1_3repE0EEENS1_30default_config_static_selectorELNS0_4arch9wavefront6targetE1EEEvSK_,"axG",@progbits,_ZN7rocprim17ROCPRIM_400000_NS6detail17trampoline_kernelINS0_14default_configENS1_22reduce_config_selectorIsEEZNS1_11reduce_implILb1ES3_N6thrust23THRUST_200600_302600_NS17counting_iteratorIsNS8_11hip_rocprim3tagENS8_11use_defaultESC_EEPssNS8_4plusIsEEEE10hipError_tPvRmT1_T2_T3_mT4_P12ihipStream_tbEUlT_E1_NS1_11comp_targetILNS1_3genE10ELNS1_11target_archE1200ELNS1_3gpuE4ELNS1_3repE0EEENS1_30default_config_static_selectorELNS0_4arch9wavefront6targetE1EEEvSK_,comdat
	.protected	_ZN7rocprim17ROCPRIM_400000_NS6detail17trampoline_kernelINS0_14default_configENS1_22reduce_config_selectorIsEEZNS1_11reduce_implILb1ES3_N6thrust23THRUST_200600_302600_NS17counting_iteratorIsNS8_11hip_rocprim3tagENS8_11use_defaultESC_EEPssNS8_4plusIsEEEE10hipError_tPvRmT1_T2_T3_mT4_P12ihipStream_tbEUlT_E1_NS1_11comp_targetILNS1_3genE10ELNS1_11target_archE1200ELNS1_3gpuE4ELNS1_3repE0EEENS1_30default_config_static_selectorELNS0_4arch9wavefront6targetE1EEEvSK_ ; -- Begin function _ZN7rocprim17ROCPRIM_400000_NS6detail17trampoline_kernelINS0_14default_configENS1_22reduce_config_selectorIsEEZNS1_11reduce_implILb1ES3_N6thrust23THRUST_200600_302600_NS17counting_iteratorIsNS8_11hip_rocprim3tagENS8_11use_defaultESC_EEPssNS8_4plusIsEEEE10hipError_tPvRmT1_T2_T3_mT4_P12ihipStream_tbEUlT_E1_NS1_11comp_targetILNS1_3genE10ELNS1_11target_archE1200ELNS1_3gpuE4ELNS1_3repE0EEENS1_30default_config_static_selectorELNS0_4arch9wavefront6targetE1EEEvSK_
	.globl	_ZN7rocprim17ROCPRIM_400000_NS6detail17trampoline_kernelINS0_14default_configENS1_22reduce_config_selectorIsEEZNS1_11reduce_implILb1ES3_N6thrust23THRUST_200600_302600_NS17counting_iteratorIsNS8_11hip_rocprim3tagENS8_11use_defaultESC_EEPssNS8_4plusIsEEEE10hipError_tPvRmT1_T2_T3_mT4_P12ihipStream_tbEUlT_E1_NS1_11comp_targetILNS1_3genE10ELNS1_11target_archE1200ELNS1_3gpuE4ELNS1_3repE0EEENS1_30default_config_static_selectorELNS0_4arch9wavefront6targetE1EEEvSK_
	.p2align	8
	.type	_ZN7rocprim17ROCPRIM_400000_NS6detail17trampoline_kernelINS0_14default_configENS1_22reduce_config_selectorIsEEZNS1_11reduce_implILb1ES3_N6thrust23THRUST_200600_302600_NS17counting_iteratorIsNS8_11hip_rocprim3tagENS8_11use_defaultESC_EEPssNS8_4plusIsEEEE10hipError_tPvRmT1_T2_T3_mT4_P12ihipStream_tbEUlT_E1_NS1_11comp_targetILNS1_3genE10ELNS1_11target_archE1200ELNS1_3gpuE4ELNS1_3repE0EEENS1_30default_config_static_selectorELNS0_4arch9wavefront6targetE1EEEvSK_,@function
_ZN7rocprim17ROCPRIM_400000_NS6detail17trampoline_kernelINS0_14default_configENS1_22reduce_config_selectorIsEEZNS1_11reduce_implILb1ES3_N6thrust23THRUST_200600_302600_NS17counting_iteratorIsNS8_11hip_rocprim3tagENS8_11use_defaultESC_EEPssNS8_4plusIsEEEE10hipError_tPvRmT1_T2_T3_mT4_P12ihipStream_tbEUlT_E1_NS1_11comp_targetILNS1_3genE10ELNS1_11target_archE1200ELNS1_3gpuE4ELNS1_3repE0EEENS1_30default_config_static_selectorELNS0_4arch9wavefront6targetE1EEEvSK_: ; @_ZN7rocprim17ROCPRIM_400000_NS6detail17trampoline_kernelINS0_14default_configENS1_22reduce_config_selectorIsEEZNS1_11reduce_implILb1ES3_N6thrust23THRUST_200600_302600_NS17counting_iteratorIsNS8_11hip_rocprim3tagENS8_11use_defaultESC_EEPssNS8_4plusIsEEEE10hipError_tPvRmT1_T2_T3_mT4_P12ihipStream_tbEUlT_E1_NS1_11comp_targetILNS1_3genE10ELNS1_11target_archE1200ELNS1_3gpuE4ELNS1_3repE0EEENS1_30default_config_static_selectorELNS0_4arch9wavefront6targetE1EEEvSK_
; %bb.0:
	.section	.rodata,"a",@progbits
	.p2align	6, 0x0
	.amdhsa_kernel _ZN7rocprim17ROCPRIM_400000_NS6detail17trampoline_kernelINS0_14default_configENS1_22reduce_config_selectorIsEEZNS1_11reduce_implILb1ES3_N6thrust23THRUST_200600_302600_NS17counting_iteratorIsNS8_11hip_rocprim3tagENS8_11use_defaultESC_EEPssNS8_4plusIsEEEE10hipError_tPvRmT1_T2_T3_mT4_P12ihipStream_tbEUlT_E1_NS1_11comp_targetILNS1_3genE10ELNS1_11target_archE1200ELNS1_3gpuE4ELNS1_3repE0EEENS1_30default_config_static_selectorELNS0_4arch9wavefront6targetE1EEEvSK_
		.amdhsa_group_segment_fixed_size 0
		.amdhsa_private_segment_fixed_size 0
		.amdhsa_kernarg_size 40
		.amdhsa_user_sgpr_count 2
		.amdhsa_user_sgpr_dispatch_ptr 0
		.amdhsa_user_sgpr_queue_ptr 0
		.amdhsa_user_sgpr_kernarg_segment_ptr 1
		.amdhsa_user_sgpr_dispatch_id 0
		.amdhsa_user_sgpr_kernarg_preload_length 0
		.amdhsa_user_sgpr_kernarg_preload_offset 0
		.amdhsa_user_sgpr_private_segment_size 0
		.amdhsa_uses_dynamic_stack 0
		.amdhsa_enable_private_segment 0
		.amdhsa_system_sgpr_workgroup_id_x 1
		.amdhsa_system_sgpr_workgroup_id_y 0
		.amdhsa_system_sgpr_workgroup_id_z 0
		.amdhsa_system_sgpr_workgroup_info 0
		.amdhsa_system_vgpr_workitem_id 0
		.amdhsa_next_free_vgpr 1
		.amdhsa_next_free_sgpr 0
		.amdhsa_accum_offset 4
		.amdhsa_reserve_vcc 0
		.amdhsa_float_round_mode_32 0
		.amdhsa_float_round_mode_16_64 0
		.amdhsa_float_denorm_mode_32 3
		.amdhsa_float_denorm_mode_16_64 3
		.amdhsa_dx10_clamp 1
		.amdhsa_ieee_mode 1
		.amdhsa_fp16_overflow 0
		.amdhsa_tg_split 0
		.amdhsa_exception_fp_ieee_invalid_op 0
		.amdhsa_exception_fp_denorm_src 0
		.amdhsa_exception_fp_ieee_div_zero 0
		.amdhsa_exception_fp_ieee_overflow 0
		.amdhsa_exception_fp_ieee_underflow 0
		.amdhsa_exception_fp_ieee_inexact 0
		.amdhsa_exception_int_div_zero 0
	.end_amdhsa_kernel
	.section	.text._ZN7rocprim17ROCPRIM_400000_NS6detail17trampoline_kernelINS0_14default_configENS1_22reduce_config_selectorIsEEZNS1_11reduce_implILb1ES3_N6thrust23THRUST_200600_302600_NS17counting_iteratorIsNS8_11hip_rocprim3tagENS8_11use_defaultESC_EEPssNS8_4plusIsEEEE10hipError_tPvRmT1_T2_T3_mT4_P12ihipStream_tbEUlT_E1_NS1_11comp_targetILNS1_3genE10ELNS1_11target_archE1200ELNS1_3gpuE4ELNS1_3repE0EEENS1_30default_config_static_selectorELNS0_4arch9wavefront6targetE1EEEvSK_,"axG",@progbits,_ZN7rocprim17ROCPRIM_400000_NS6detail17trampoline_kernelINS0_14default_configENS1_22reduce_config_selectorIsEEZNS1_11reduce_implILb1ES3_N6thrust23THRUST_200600_302600_NS17counting_iteratorIsNS8_11hip_rocprim3tagENS8_11use_defaultESC_EEPssNS8_4plusIsEEEE10hipError_tPvRmT1_T2_T3_mT4_P12ihipStream_tbEUlT_E1_NS1_11comp_targetILNS1_3genE10ELNS1_11target_archE1200ELNS1_3gpuE4ELNS1_3repE0EEENS1_30default_config_static_selectorELNS0_4arch9wavefront6targetE1EEEvSK_,comdat
.Lfunc_end1124:
	.size	_ZN7rocprim17ROCPRIM_400000_NS6detail17trampoline_kernelINS0_14default_configENS1_22reduce_config_selectorIsEEZNS1_11reduce_implILb1ES3_N6thrust23THRUST_200600_302600_NS17counting_iteratorIsNS8_11hip_rocprim3tagENS8_11use_defaultESC_EEPssNS8_4plusIsEEEE10hipError_tPvRmT1_T2_T3_mT4_P12ihipStream_tbEUlT_E1_NS1_11comp_targetILNS1_3genE10ELNS1_11target_archE1200ELNS1_3gpuE4ELNS1_3repE0EEENS1_30default_config_static_selectorELNS0_4arch9wavefront6targetE1EEEvSK_, .Lfunc_end1124-_ZN7rocprim17ROCPRIM_400000_NS6detail17trampoline_kernelINS0_14default_configENS1_22reduce_config_selectorIsEEZNS1_11reduce_implILb1ES3_N6thrust23THRUST_200600_302600_NS17counting_iteratorIsNS8_11hip_rocprim3tagENS8_11use_defaultESC_EEPssNS8_4plusIsEEEE10hipError_tPvRmT1_T2_T3_mT4_P12ihipStream_tbEUlT_E1_NS1_11comp_targetILNS1_3genE10ELNS1_11target_archE1200ELNS1_3gpuE4ELNS1_3repE0EEENS1_30default_config_static_selectorELNS0_4arch9wavefront6targetE1EEEvSK_
                                        ; -- End function
	.set _ZN7rocprim17ROCPRIM_400000_NS6detail17trampoline_kernelINS0_14default_configENS1_22reduce_config_selectorIsEEZNS1_11reduce_implILb1ES3_N6thrust23THRUST_200600_302600_NS17counting_iteratorIsNS8_11hip_rocprim3tagENS8_11use_defaultESC_EEPssNS8_4plusIsEEEE10hipError_tPvRmT1_T2_T3_mT4_P12ihipStream_tbEUlT_E1_NS1_11comp_targetILNS1_3genE10ELNS1_11target_archE1200ELNS1_3gpuE4ELNS1_3repE0EEENS1_30default_config_static_selectorELNS0_4arch9wavefront6targetE1EEEvSK_.num_vgpr, 0
	.set _ZN7rocprim17ROCPRIM_400000_NS6detail17trampoline_kernelINS0_14default_configENS1_22reduce_config_selectorIsEEZNS1_11reduce_implILb1ES3_N6thrust23THRUST_200600_302600_NS17counting_iteratorIsNS8_11hip_rocprim3tagENS8_11use_defaultESC_EEPssNS8_4plusIsEEEE10hipError_tPvRmT1_T2_T3_mT4_P12ihipStream_tbEUlT_E1_NS1_11comp_targetILNS1_3genE10ELNS1_11target_archE1200ELNS1_3gpuE4ELNS1_3repE0EEENS1_30default_config_static_selectorELNS0_4arch9wavefront6targetE1EEEvSK_.num_agpr, 0
	.set _ZN7rocprim17ROCPRIM_400000_NS6detail17trampoline_kernelINS0_14default_configENS1_22reduce_config_selectorIsEEZNS1_11reduce_implILb1ES3_N6thrust23THRUST_200600_302600_NS17counting_iteratorIsNS8_11hip_rocprim3tagENS8_11use_defaultESC_EEPssNS8_4plusIsEEEE10hipError_tPvRmT1_T2_T3_mT4_P12ihipStream_tbEUlT_E1_NS1_11comp_targetILNS1_3genE10ELNS1_11target_archE1200ELNS1_3gpuE4ELNS1_3repE0EEENS1_30default_config_static_selectorELNS0_4arch9wavefront6targetE1EEEvSK_.numbered_sgpr, 0
	.set _ZN7rocprim17ROCPRIM_400000_NS6detail17trampoline_kernelINS0_14default_configENS1_22reduce_config_selectorIsEEZNS1_11reduce_implILb1ES3_N6thrust23THRUST_200600_302600_NS17counting_iteratorIsNS8_11hip_rocprim3tagENS8_11use_defaultESC_EEPssNS8_4plusIsEEEE10hipError_tPvRmT1_T2_T3_mT4_P12ihipStream_tbEUlT_E1_NS1_11comp_targetILNS1_3genE10ELNS1_11target_archE1200ELNS1_3gpuE4ELNS1_3repE0EEENS1_30default_config_static_selectorELNS0_4arch9wavefront6targetE1EEEvSK_.num_named_barrier, 0
	.set _ZN7rocprim17ROCPRIM_400000_NS6detail17trampoline_kernelINS0_14default_configENS1_22reduce_config_selectorIsEEZNS1_11reduce_implILb1ES3_N6thrust23THRUST_200600_302600_NS17counting_iteratorIsNS8_11hip_rocprim3tagENS8_11use_defaultESC_EEPssNS8_4plusIsEEEE10hipError_tPvRmT1_T2_T3_mT4_P12ihipStream_tbEUlT_E1_NS1_11comp_targetILNS1_3genE10ELNS1_11target_archE1200ELNS1_3gpuE4ELNS1_3repE0EEENS1_30default_config_static_selectorELNS0_4arch9wavefront6targetE1EEEvSK_.private_seg_size, 0
	.set _ZN7rocprim17ROCPRIM_400000_NS6detail17trampoline_kernelINS0_14default_configENS1_22reduce_config_selectorIsEEZNS1_11reduce_implILb1ES3_N6thrust23THRUST_200600_302600_NS17counting_iteratorIsNS8_11hip_rocprim3tagENS8_11use_defaultESC_EEPssNS8_4plusIsEEEE10hipError_tPvRmT1_T2_T3_mT4_P12ihipStream_tbEUlT_E1_NS1_11comp_targetILNS1_3genE10ELNS1_11target_archE1200ELNS1_3gpuE4ELNS1_3repE0EEENS1_30default_config_static_selectorELNS0_4arch9wavefront6targetE1EEEvSK_.uses_vcc, 0
	.set _ZN7rocprim17ROCPRIM_400000_NS6detail17trampoline_kernelINS0_14default_configENS1_22reduce_config_selectorIsEEZNS1_11reduce_implILb1ES3_N6thrust23THRUST_200600_302600_NS17counting_iteratorIsNS8_11hip_rocprim3tagENS8_11use_defaultESC_EEPssNS8_4plusIsEEEE10hipError_tPvRmT1_T2_T3_mT4_P12ihipStream_tbEUlT_E1_NS1_11comp_targetILNS1_3genE10ELNS1_11target_archE1200ELNS1_3gpuE4ELNS1_3repE0EEENS1_30default_config_static_selectorELNS0_4arch9wavefront6targetE1EEEvSK_.uses_flat_scratch, 0
	.set _ZN7rocprim17ROCPRIM_400000_NS6detail17trampoline_kernelINS0_14default_configENS1_22reduce_config_selectorIsEEZNS1_11reduce_implILb1ES3_N6thrust23THRUST_200600_302600_NS17counting_iteratorIsNS8_11hip_rocprim3tagENS8_11use_defaultESC_EEPssNS8_4plusIsEEEE10hipError_tPvRmT1_T2_T3_mT4_P12ihipStream_tbEUlT_E1_NS1_11comp_targetILNS1_3genE10ELNS1_11target_archE1200ELNS1_3gpuE4ELNS1_3repE0EEENS1_30default_config_static_selectorELNS0_4arch9wavefront6targetE1EEEvSK_.has_dyn_sized_stack, 0
	.set _ZN7rocprim17ROCPRIM_400000_NS6detail17trampoline_kernelINS0_14default_configENS1_22reduce_config_selectorIsEEZNS1_11reduce_implILb1ES3_N6thrust23THRUST_200600_302600_NS17counting_iteratorIsNS8_11hip_rocprim3tagENS8_11use_defaultESC_EEPssNS8_4plusIsEEEE10hipError_tPvRmT1_T2_T3_mT4_P12ihipStream_tbEUlT_E1_NS1_11comp_targetILNS1_3genE10ELNS1_11target_archE1200ELNS1_3gpuE4ELNS1_3repE0EEENS1_30default_config_static_selectorELNS0_4arch9wavefront6targetE1EEEvSK_.has_recursion, 0
	.set _ZN7rocprim17ROCPRIM_400000_NS6detail17trampoline_kernelINS0_14default_configENS1_22reduce_config_selectorIsEEZNS1_11reduce_implILb1ES3_N6thrust23THRUST_200600_302600_NS17counting_iteratorIsNS8_11hip_rocprim3tagENS8_11use_defaultESC_EEPssNS8_4plusIsEEEE10hipError_tPvRmT1_T2_T3_mT4_P12ihipStream_tbEUlT_E1_NS1_11comp_targetILNS1_3genE10ELNS1_11target_archE1200ELNS1_3gpuE4ELNS1_3repE0EEENS1_30default_config_static_selectorELNS0_4arch9wavefront6targetE1EEEvSK_.has_indirect_call, 0
	.section	.AMDGPU.csdata,"",@progbits
; Kernel info:
; codeLenInByte = 0
; TotalNumSgprs: 6
; NumVgprs: 0
; NumAgprs: 0
; TotalNumVgprs: 0
; ScratchSize: 0
; MemoryBound: 0
; FloatMode: 240
; IeeeMode: 1
; LDSByteSize: 0 bytes/workgroup (compile time only)
; SGPRBlocks: 0
; VGPRBlocks: 0
; NumSGPRsForWavesPerEU: 6
; NumVGPRsForWavesPerEU: 1
; AccumOffset: 4
; Occupancy: 8
; WaveLimiterHint : 0
; COMPUTE_PGM_RSRC2:SCRATCH_EN: 0
; COMPUTE_PGM_RSRC2:USER_SGPR: 2
; COMPUTE_PGM_RSRC2:TRAP_HANDLER: 0
; COMPUTE_PGM_RSRC2:TGID_X_EN: 1
; COMPUTE_PGM_RSRC2:TGID_Y_EN: 0
; COMPUTE_PGM_RSRC2:TGID_Z_EN: 0
; COMPUTE_PGM_RSRC2:TIDIG_COMP_CNT: 0
; COMPUTE_PGM_RSRC3_GFX90A:ACCUM_OFFSET: 0
; COMPUTE_PGM_RSRC3_GFX90A:TG_SPLIT: 0
	.section	.text._ZN7rocprim17ROCPRIM_400000_NS6detail17trampoline_kernelINS0_14default_configENS1_22reduce_config_selectorIsEEZNS1_11reduce_implILb1ES3_N6thrust23THRUST_200600_302600_NS17counting_iteratorIsNS8_11hip_rocprim3tagENS8_11use_defaultESC_EEPssNS8_4plusIsEEEE10hipError_tPvRmT1_T2_T3_mT4_P12ihipStream_tbEUlT_E1_NS1_11comp_targetILNS1_3genE9ELNS1_11target_archE1100ELNS1_3gpuE3ELNS1_3repE0EEENS1_30default_config_static_selectorELNS0_4arch9wavefront6targetE1EEEvSK_,"axG",@progbits,_ZN7rocprim17ROCPRIM_400000_NS6detail17trampoline_kernelINS0_14default_configENS1_22reduce_config_selectorIsEEZNS1_11reduce_implILb1ES3_N6thrust23THRUST_200600_302600_NS17counting_iteratorIsNS8_11hip_rocprim3tagENS8_11use_defaultESC_EEPssNS8_4plusIsEEEE10hipError_tPvRmT1_T2_T3_mT4_P12ihipStream_tbEUlT_E1_NS1_11comp_targetILNS1_3genE9ELNS1_11target_archE1100ELNS1_3gpuE3ELNS1_3repE0EEENS1_30default_config_static_selectorELNS0_4arch9wavefront6targetE1EEEvSK_,comdat
	.protected	_ZN7rocprim17ROCPRIM_400000_NS6detail17trampoline_kernelINS0_14default_configENS1_22reduce_config_selectorIsEEZNS1_11reduce_implILb1ES3_N6thrust23THRUST_200600_302600_NS17counting_iteratorIsNS8_11hip_rocprim3tagENS8_11use_defaultESC_EEPssNS8_4plusIsEEEE10hipError_tPvRmT1_T2_T3_mT4_P12ihipStream_tbEUlT_E1_NS1_11comp_targetILNS1_3genE9ELNS1_11target_archE1100ELNS1_3gpuE3ELNS1_3repE0EEENS1_30default_config_static_selectorELNS0_4arch9wavefront6targetE1EEEvSK_ ; -- Begin function _ZN7rocprim17ROCPRIM_400000_NS6detail17trampoline_kernelINS0_14default_configENS1_22reduce_config_selectorIsEEZNS1_11reduce_implILb1ES3_N6thrust23THRUST_200600_302600_NS17counting_iteratorIsNS8_11hip_rocprim3tagENS8_11use_defaultESC_EEPssNS8_4plusIsEEEE10hipError_tPvRmT1_T2_T3_mT4_P12ihipStream_tbEUlT_E1_NS1_11comp_targetILNS1_3genE9ELNS1_11target_archE1100ELNS1_3gpuE3ELNS1_3repE0EEENS1_30default_config_static_selectorELNS0_4arch9wavefront6targetE1EEEvSK_
	.globl	_ZN7rocprim17ROCPRIM_400000_NS6detail17trampoline_kernelINS0_14default_configENS1_22reduce_config_selectorIsEEZNS1_11reduce_implILb1ES3_N6thrust23THRUST_200600_302600_NS17counting_iteratorIsNS8_11hip_rocprim3tagENS8_11use_defaultESC_EEPssNS8_4plusIsEEEE10hipError_tPvRmT1_T2_T3_mT4_P12ihipStream_tbEUlT_E1_NS1_11comp_targetILNS1_3genE9ELNS1_11target_archE1100ELNS1_3gpuE3ELNS1_3repE0EEENS1_30default_config_static_selectorELNS0_4arch9wavefront6targetE1EEEvSK_
	.p2align	8
	.type	_ZN7rocprim17ROCPRIM_400000_NS6detail17trampoline_kernelINS0_14default_configENS1_22reduce_config_selectorIsEEZNS1_11reduce_implILb1ES3_N6thrust23THRUST_200600_302600_NS17counting_iteratorIsNS8_11hip_rocprim3tagENS8_11use_defaultESC_EEPssNS8_4plusIsEEEE10hipError_tPvRmT1_T2_T3_mT4_P12ihipStream_tbEUlT_E1_NS1_11comp_targetILNS1_3genE9ELNS1_11target_archE1100ELNS1_3gpuE3ELNS1_3repE0EEENS1_30default_config_static_selectorELNS0_4arch9wavefront6targetE1EEEvSK_,@function
_ZN7rocprim17ROCPRIM_400000_NS6detail17trampoline_kernelINS0_14default_configENS1_22reduce_config_selectorIsEEZNS1_11reduce_implILb1ES3_N6thrust23THRUST_200600_302600_NS17counting_iteratorIsNS8_11hip_rocprim3tagENS8_11use_defaultESC_EEPssNS8_4plusIsEEEE10hipError_tPvRmT1_T2_T3_mT4_P12ihipStream_tbEUlT_E1_NS1_11comp_targetILNS1_3genE9ELNS1_11target_archE1100ELNS1_3gpuE3ELNS1_3repE0EEENS1_30default_config_static_selectorELNS0_4arch9wavefront6targetE1EEEvSK_: ; @_ZN7rocprim17ROCPRIM_400000_NS6detail17trampoline_kernelINS0_14default_configENS1_22reduce_config_selectorIsEEZNS1_11reduce_implILb1ES3_N6thrust23THRUST_200600_302600_NS17counting_iteratorIsNS8_11hip_rocprim3tagENS8_11use_defaultESC_EEPssNS8_4plusIsEEEE10hipError_tPvRmT1_T2_T3_mT4_P12ihipStream_tbEUlT_E1_NS1_11comp_targetILNS1_3genE9ELNS1_11target_archE1100ELNS1_3gpuE3ELNS1_3repE0EEENS1_30default_config_static_selectorELNS0_4arch9wavefront6targetE1EEEvSK_
; %bb.0:
	.section	.rodata,"a",@progbits
	.p2align	6, 0x0
	.amdhsa_kernel _ZN7rocprim17ROCPRIM_400000_NS6detail17trampoline_kernelINS0_14default_configENS1_22reduce_config_selectorIsEEZNS1_11reduce_implILb1ES3_N6thrust23THRUST_200600_302600_NS17counting_iteratorIsNS8_11hip_rocprim3tagENS8_11use_defaultESC_EEPssNS8_4plusIsEEEE10hipError_tPvRmT1_T2_T3_mT4_P12ihipStream_tbEUlT_E1_NS1_11comp_targetILNS1_3genE9ELNS1_11target_archE1100ELNS1_3gpuE3ELNS1_3repE0EEENS1_30default_config_static_selectorELNS0_4arch9wavefront6targetE1EEEvSK_
		.amdhsa_group_segment_fixed_size 0
		.amdhsa_private_segment_fixed_size 0
		.amdhsa_kernarg_size 40
		.amdhsa_user_sgpr_count 2
		.amdhsa_user_sgpr_dispatch_ptr 0
		.amdhsa_user_sgpr_queue_ptr 0
		.amdhsa_user_sgpr_kernarg_segment_ptr 1
		.amdhsa_user_sgpr_dispatch_id 0
		.amdhsa_user_sgpr_kernarg_preload_length 0
		.amdhsa_user_sgpr_kernarg_preload_offset 0
		.amdhsa_user_sgpr_private_segment_size 0
		.amdhsa_uses_dynamic_stack 0
		.amdhsa_enable_private_segment 0
		.amdhsa_system_sgpr_workgroup_id_x 1
		.amdhsa_system_sgpr_workgroup_id_y 0
		.amdhsa_system_sgpr_workgroup_id_z 0
		.amdhsa_system_sgpr_workgroup_info 0
		.amdhsa_system_vgpr_workitem_id 0
		.amdhsa_next_free_vgpr 1
		.amdhsa_next_free_sgpr 0
		.amdhsa_accum_offset 4
		.amdhsa_reserve_vcc 0
		.amdhsa_float_round_mode_32 0
		.amdhsa_float_round_mode_16_64 0
		.amdhsa_float_denorm_mode_32 3
		.amdhsa_float_denorm_mode_16_64 3
		.amdhsa_dx10_clamp 1
		.amdhsa_ieee_mode 1
		.amdhsa_fp16_overflow 0
		.amdhsa_tg_split 0
		.amdhsa_exception_fp_ieee_invalid_op 0
		.amdhsa_exception_fp_denorm_src 0
		.amdhsa_exception_fp_ieee_div_zero 0
		.amdhsa_exception_fp_ieee_overflow 0
		.amdhsa_exception_fp_ieee_underflow 0
		.amdhsa_exception_fp_ieee_inexact 0
		.amdhsa_exception_int_div_zero 0
	.end_amdhsa_kernel
	.section	.text._ZN7rocprim17ROCPRIM_400000_NS6detail17trampoline_kernelINS0_14default_configENS1_22reduce_config_selectorIsEEZNS1_11reduce_implILb1ES3_N6thrust23THRUST_200600_302600_NS17counting_iteratorIsNS8_11hip_rocprim3tagENS8_11use_defaultESC_EEPssNS8_4plusIsEEEE10hipError_tPvRmT1_T2_T3_mT4_P12ihipStream_tbEUlT_E1_NS1_11comp_targetILNS1_3genE9ELNS1_11target_archE1100ELNS1_3gpuE3ELNS1_3repE0EEENS1_30default_config_static_selectorELNS0_4arch9wavefront6targetE1EEEvSK_,"axG",@progbits,_ZN7rocprim17ROCPRIM_400000_NS6detail17trampoline_kernelINS0_14default_configENS1_22reduce_config_selectorIsEEZNS1_11reduce_implILb1ES3_N6thrust23THRUST_200600_302600_NS17counting_iteratorIsNS8_11hip_rocprim3tagENS8_11use_defaultESC_EEPssNS8_4plusIsEEEE10hipError_tPvRmT1_T2_T3_mT4_P12ihipStream_tbEUlT_E1_NS1_11comp_targetILNS1_3genE9ELNS1_11target_archE1100ELNS1_3gpuE3ELNS1_3repE0EEENS1_30default_config_static_selectorELNS0_4arch9wavefront6targetE1EEEvSK_,comdat
.Lfunc_end1125:
	.size	_ZN7rocprim17ROCPRIM_400000_NS6detail17trampoline_kernelINS0_14default_configENS1_22reduce_config_selectorIsEEZNS1_11reduce_implILb1ES3_N6thrust23THRUST_200600_302600_NS17counting_iteratorIsNS8_11hip_rocprim3tagENS8_11use_defaultESC_EEPssNS8_4plusIsEEEE10hipError_tPvRmT1_T2_T3_mT4_P12ihipStream_tbEUlT_E1_NS1_11comp_targetILNS1_3genE9ELNS1_11target_archE1100ELNS1_3gpuE3ELNS1_3repE0EEENS1_30default_config_static_selectorELNS0_4arch9wavefront6targetE1EEEvSK_, .Lfunc_end1125-_ZN7rocprim17ROCPRIM_400000_NS6detail17trampoline_kernelINS0_14default_configENS1_22reduce_config_selectorIsEEZNS1_11reduce_implILb1ES3_N6thrust23THRUST_200600_302600_NS17counting_iteratorIsNS8_11hip_rocprim3tagENS8_11use_defaultESC_EEPssNS8_4plusIsEEEE10hipError_tPvRmT1_T2_T3_mT4_P12ihipStream_tbEUlT_E1_NS1_11comp_targetILNS1_3genE9ELNS1_11target_archE1100ELNS1_3gpuE3ELNS1_3repE0EEENS1_30default_config_static_selectorELNS0_4arch9wavefront6targetE1EEEvSK_
                                        ; -- End function
	.set _ZN7rocprim17ROCPRIM_400000_NS6detail17trampoline_kernelINS0_14default_configENS1_22reduce_config_selectorIsEEZNS1_11reduce_implILb1ES3_N6thrust23THRUST_200600_302600_NS17counting_iteratorIsNS8_11hip_rocprim3tagENS8_11use_defaultESC_EEPssNS8_4plusIsEEEE10hipError_tPvRmT1_T2_T3_mT4_P12ihipStream_tbEUlT_E1_NS1_11comp_targetILNS1_3genE9ELNS1_11target_archE1100ELNS1_3gpuE3ELNS1_3repE0EEENS1_30default_config_static_selectorELNS0_4arch9wavefront6targetE1EEEvSK_.num_vgpr, 0
	.set _ZN7rocprim17ROCPRIM_400000_NS6detail17trampoline_kernelINS0_14default_configENS1_22reduce_config_selectorIsEEZNS1_11reduce_implILb1ES3_N6thrust23THRUST_200600_302600_NS17counting_iteratorIsNS8_11hip_rocprim3tagENS8_11use_defaultESC_EEPssNS8_4plusIsEEEE10hipError_tPvRmT1_T2_T3_mT4_P12ihipStream_tbEUlT_E1_NS1_11comp_targetILNS1_3genE9ELNS1_11target_archE1100ELNS1_3gpuE3ELNS1_3repE0EEENS1_30default_config_static_selectorELNS0_4arch9wavefront6targetE1EEEvSK_.num_agpr, 0
	.set _ZN7rocprim17ROCPRIM_400000_NS6detail17trampoline_kernelINS0_14default_configENS1_22reduce_config_selectorIsEEZNS1_11reduce_implILb1ES3_N6thrust23THRUST_200600_302600_NS17counting_iteratorIsNS8_11hip_rocprim3tagENS8_11use_defaultESC_EEPssNS8_4plusIsEEEE10hipError_tPvRmT1_T2_T3_mT4_P12ihipStream_tbEUlT_E1_NS1_11comp_targetILNS1_3genE9ELNS1_11target_archE1100ELNS1_3gpuE3ELNS1_3repE0EEENS1_30default_config_static_selectorELNS0_4arch9wavefront6targetE1EEEvSK_.numbered_sgpr, 0
	.set _ZN7rocprim17ROCPRIM_400000_NS6detail17trampoline_kernelINS0_14default_configENS1_22reduce_config_selectorIsEEZNS1_11reduce_implILb1ES3_N6thrust23THRUST_200600_302600_NS17counting_iteratorIsNS8_11hip_rocprim3tagENS8_11use_defaultESC_EEPssNS8_4plusIsEEEE10hipError_tPvRmT1_T2_T3_mT4_P12ihipStream_tbEUlT_E1_NS1_11comp_targetILNS1_3genE9ELNS1_11target_archE1100ELNS1_3gpuE3ELNS1_3repE0EEENS1_30default_config_static_selectorELNS0_4arch9wavefront6targetE1EEEvSK_.num_named_barrier, 0
	.set _ZN7rocprim17ROCPRIM_400000_NS6detail17trampoline_kernelINS0_14default_configENS1_22reduce_config_selectorIsEEZNS1_11reduce_implILb1ES3_N6thrust23THRUST_200600_302600_NS17counting_iteratorIsNS8_11hip_rocprim3tagENS8_11use_defaultESC_EEPssNS8_4plusIsEEEE10hipError_tPvRmT1_T2_T3_mT4_P12ihipStream_tbEUlT_E1_NS1_11comp_targetILNS1_3genE9ELNS1_11target_archE1100ELNS1_3gpuE3ELNS1_3repE0EEENS1_30default_config_static_selectorELNS0_4arch9wavefront6targetE1EEEvSK_.private_seg_size, 0
	.set _ZN7rocprim17ROCPRIM_400000_NS6detail17trampoline_kernelINS0_14default_configENS1_22reduce_config_selectorIsEEZNS1_11reduce_implILb1ES3_N6thrust23THRUST_200600_302600_NS17counting_iteratorIsNS8_11hip_rocprim3tagENS8_11use_defaultESC_EEPssNS8_4plusIsEEEE10hipError_tPvRmT1_T2_T3_mT4_P12ihipStream_tbEUlT_E1_NS1_11comp_targetILNS1_3genE9ELNS1_11target_archE1100ELNS1_3gpuE3ELNS1_3repE0EEENS1_30default_config_static_selectorELNS0_4arch9wavefront6targetE1EEEvSK_.uses_vcc, 0
	.set _ZN7rocprim17ROCPRIM_400000_NS6detail17trampoline_kernelINS0_14default_configENS1_22reduce_config_selectorIsEEZNS1_11reduce_implILb1ES3_N6thrust23THRUST_200600_302600_NS17counting_iteratorIsNS8_11hip_rocprim3tagENS8_11use_defaultESC_EEPssNS8_4plusIsEEEE10hipError_tPvRmT1_T2_T3_mT4_P12ihipStream_tbEUlT_E1_NS1_11comp_targetILNS1_3genE9ELNS1_11target_archE1100ELNS1_3gpuE3ELNS1_3repE0EEENS1_30default_config_static_selectorELNS0_4arch9wavefront6targetE1EEEvSK_.uses_flat_scratch, 0
	.set _ZN7rocprim17ROCPRIM_400000_NS6detail17trampoline_kernelINS0_14default_configENS1_22reduce_config_selectorIsEEZNS1_11reduce_implILb1ES3_N6thrust23THRUST_200600_302600_NS17counting_iteratorIsNS8_11hip_rocprim3tagENS8_11use_defaultESC_EEPssNS8_4plusIsEEEE10hipError_tPvRmT1_T2_T3_mT4_P12ihipStream_tbEUlT_E1_NS1_11comp_targetILNS1_3genE9ELNS1_11target_archE1100ELNS1_3gpuE3ELNS1_3repE0EEENS1_30default_config_static_selectorELNS0_4arch9wavefront6targetE1EEEvSK_.has_dyn_sized_stack, 0
	.set _ZN7rocprim17ROCPRIM_400000_NS6detail17trampoline_kernelINS0_14default_configENS1_22reduce_config_selectorIsEEZNS1_11reduce_implILb1ES3_N6thrust23THRUST_200600_302600_NS17counting_iteratorIsNS8_11hip_rocprim3tagENS8_11use_defaultESC_EEPssNS8_4plusIsEEEE10hipError_tPvRmT1_T2_T3_mT4_P12ihipStream_tbEUlT_E1_NS1_11comp_targetILNS1_3genE9ELNS1_11target_archE1100ELNS1_3gpuE3ELNS1_3repE0EEENS1_30default_config_static_selectorELNS0_4arch9wavefront6targetE1EEEvSK_.has_recursion, 0
	.set _ZN7rocprim17ROCPRIM_400000_NS6detail17trampoline_kernelINS0_14default_configENS1_22reduce_config_selectorIsEEZNS1_11reduce_implILb1ES3_N6thrust23THRUST_200600_302600_NS17counting_iteratorIsNS8_11hip_rocprim3tagENS8_11use_defaultESC_EEPssNS8_4plusIsEEEE10hipError_tPvRmT1_T2_T3_mT4_P12ihipStream_tbEUlT_E1_NS1_11comp_targetILNS1_3genE9ELNS1_11target_archE1100ELNS1_3gpuE3ELNS1_3repE0EEENS1_30default_config_static_selectorELNS0_4arch9wavefront6targetE1EEEvSK_.has_indirect_call, 0
	.section	.AMDGPU.csdata,"",@progbits
; Kernel info:
; codeLenInByte = 0
; TotalNumSgprs: 6
; NumVgprs: 0
; NumAgprs: 0
; TotalNumVgprs: 0
; ScratchSize: 0
; MemoryBound: 0
; FloatMode: 240
; IeeeMode: 1
; LDSByteSize: 0 bytes/workgroup (compile time only)
; SGPRBlocks: 0
; VGPRBlocks: 0
; NumSGPRsForWavesPerEU: 6
; NumVGPRsForWavesPerEU: 1
; AccumOffset: 4
; Occupancy: 8
; WaveLimiterHint : 0
; COMPUTE_PGM_RSRC2:SCRATCH_EN: 0
; COMPUTE_PGM_RSRC2:USER_SGPR: 2
; COMPUTE_PGM_RSRC2:TRAP_HANDLER: 0
; COMPUTE_PGM_RSRC2:TGID_X_EN: 1
; COMPUTE_PGM_RSRC2:TGID_Y_EN: 0
; COMPUTE_PGM_RSRC2:TGID_Z_EN: 0
; COMPUTE_PGM_RSRC2:TIDIG_COMP_CNT: 0
; COMPUTE_PGM_RSRC3_GFX90A:ACCUM_OFFSET: 0
; COMPUTE_PGM_RSRC3_GFX90A:TG_SPLIT: 0
	.section	.text._ZN7rocprim17ROCPRIM_400000_NS6detail17trampoline_kernelINS0_14default_configENS1_22reduce_config_selectorIsEEZNS1_11reduce_implILb1ES3_N6thrust23THRUST_200600_302600_NS17counting_iteratorIsNS8_11hip_rocprim3tagENS8_11use_defaultESC_EEPssNS8_4plusIsEEEE10hipError_tPvRmT1_T2_T3_mT4_P12ihipStream_tbEUlT_E1_NS1_11comp_targetILNS1_3genE8ELNS1_11target_archE1030ELNS1_3gpuE2ELNS1_3repE0EEENS1_30default_config_static_selectorELNS0_4arch9wavefront6targetE1EEEvSK_,"axG",@progbits,_ZN7rocprim17ROCPRIM_400000_NS6detail17trampoline_kernelINS0_14default_configENS1_22reduce_config_selectorIsEEZNS1_11reduce_implILb1ES3_N6thrust23THRUST_200600_302600_NS17counting_iteratorIsNS8_11hip_rocprim3tagENS8_11use_defaultESC_EEPssNS8_4plusIsEEEE10hipError_tPvRmT1_T2_T3_mT4_P12ihipStream_tbEUlT_E1_NS1_11comp_targetILNS1_3genE8ELNS1_11target_archE1030ELNS1_3gpuE2ELNS1_3repE0EEENS1_30default_config_static_selectorELNS0_4arch9wavefront6targetE1EEEvSK_,comdat
	.protected	_ZN7rocprim17ROCPRIM_400000_NS6detail17trampoline_kernelINS0_14default_configENS1_22reduce_config_selectorIsEEZNS1_11reduce_implILb1ES3_N6thrust23THRUST_200600_302600_NS17counting_iteratorIsNS8_11hip_rocprim3tagENS8_11use_defaultESC_EEPssNS8_4plusIsEEEE10hipError_tPvRmT1_T2_T3_mT4_P12ihipStream_tbEUlT_E1_NS1_11comp_targetILNS1_3genE8ELNS1_11target_archE1030ELNS1_3gpuE2ELNS1_3repE0EEENS1_30default_config_static_selectorELNS0_4arch9wavefront6targetE1EEEvSK_ ; -- Begin function _ZN7rocprim17ROCPRIM_400000_NS6detail17trampoline_kernelINS0_14default_configENS1_22reduce_config_selectorIsEEZNS1_11reduce_implILb1ES3_N6thrust23THRUST_200600_302600_NS17counting_iteratorIsNS8_11hip_rocprim3tagENS8_11use_defaultESC_EEPssNS8_4plusIsEEEE10hipError_tPvRmT1_T2_T3_mT4_P12ihipStream_tbEUlT_E1_NS1_11comp_targetILNS1_3genE8ELNS1_11target_archE1030ELNS1_3gpuE2ELNS1_3repE0EEENS1_30default_config_static_selectorELNS0_4arch9wavefront6targetE1EEEvSK_
	.globl	_ZN7rocprim17ROCPRIM_400000_NS6detail17trampoline_kernelINS0_14default_configENS1_22reduce_config_selectorIsEEZNS1_11reduce_implILb1ES3_N6thrust23THRUST_200600_302600_NS17counting_iteratorIsNS8_11hip_rocprim3tagENS8_11use_defaultESC_EEPssNS8_4plusIsEEEE10hipError_tPvRmT1_T2_T3_mT4_P12ihipStream_tbEUlT_E1_NS1_11comp_targetILNS1_3genE8ELNS1_11target_archE1030ELNS1_3gpuE2ELNS1_3repE0EEENS1_30default_config_static_selectorELNS0_4arch9wavefront6targetE1EEEvSK_
	.p2align	8
	.type	_ZN7rocprim17ROCPRIM_400000_NS6detail17trampoline_kernelINS0_14default_configENS1_22reduce_config_selectorIsEEZNS1_11reduce_implILb1ES3_N6thrust23THRUST_200600_302600_NS17counting_iteratorIsNS8_11hip_rocprim3tagENS8_11use_defaultESC_EEPssNS8_4plusIsEEEE10hipError_tPvRmT1_T2_T3_mT4_P12ihipStream_tbEUlT_E1_NS1_11comp_targetILNS1_3genE8ELNS1_11target_archE1030ELNS1_3gpuE2ELNS1_3repE0EEENS1_30default_config_static_selectorELNS0_4arch9wavefront6targetE1EEEvSK_,@function
_ZN7rocprim17ROCPRIM_400000_NS6detail17trampoline_kernelINS0_14default_configENS1_22reduce_config_selectorIsEEZNS1_11reduce_implILb1ES3_N6thrust23THRUST_200600_302600_NS17counting_iteratorIsNS8_11hip_rocprim3tagENS8_11use_defaultESC_EEPssNS8_4plusIsEEEE10hipError_tPvRmT1_T2_T3_mT4_P12ihipStream_tbEUlT_E1_NS1_11comp_targetILNS1_3genE8ELNS1_11target_archE1030ELNS1_3gpuE2ELNS1_3repE0EEENS1_30default_config_static_selectorELNS0_4arch9wavefront6targetE1EEEvSK_: ; @_ZN7rocprim17ROCPRIM_400000_NS6detail17trampoline_kernelINS0_14default_configENS1_22reduce_config_selectorIsEEZNS1_11reduce_implILb1ES3_N6thrust23THRUST_200600_302600_NS17counting_iteratorIsNS8_11hip_rocprim3tagENS8_11use_defaultESC_EEPssNS8_4plusIsEEEE10hipError_tPvRmT1_T2_T3_mT4_P12ihipStream_tbEUlT_E1_NS1_11comp_targetILNS1_3genE8ELNS1_11target_archE1030ELNS1_3gpuE2ELNS1_3repE0EEENS1_30default_config_static_selectorELNS0_4arch9wavefront6targetE1EEEvSK_
; %bb.0:
	.section	.rodata,"a",@progbits
	.p2align	6, 0x0
	.amdhsa_kernel _ZN7rocprim17ROCPRIM_400000_NS6detail17trampoline_kernelINS0_14default_configENS1_22reduce_config_selectorIsEEZNS1_11reduce_implILb1ES3_N6thrust23THRUST_200600_302600_NS17counting_iteratorIsNS8_11hip_rocprim3tagENS8_11use_defaultESC_EEPssNS8_4plusIsEEEE10hipError_tPvRmT1_T2_T3_mT4_P12ihipStream_tbEUlT_E1_NS1_11comp_targetILNS1_3genE8ELNS1_11target_archE1030ELNS1_3gpuE2ELNS1_3repE0EEENS1_30default_config_static_selectorELNS0_4arch9wavefront6targetE1EEEvSK_
		.amdhsa_group_segment_fixed_size 0
		.amdhsa_private_segment_fixed_size 0
		.amdhsa_kernarg_size 40
		.amdhsa_user_sgpr_count 2
		.amdhsa_user_sgpr_dispatch_ptr 0
		.amdhsa_user_sgpr_queue_ptr 0
		.amdhsa_user_sgpr_kernarg_segment_ptr 1
		.amdhsa_user_sgpr_dispatch_id 0
		.amdhsa_user_sgpr_kernarg_preload_length 0
		.amdhsa_user_sgpr_kernarg_preload_offset 0
		.amdhsa_user_sgpr_private_segment_size 0
		.amdhsa_uses_dynamic_stack 0
		.amdhsa_enable_private_segment 0
		.amdhsa_system_sgpr_workgroup_id_x 1
		.amdhsa_system_sgpr_workgroup_id_y 0
		.amdhsa_system_sgpr_workgroup_id_z 0
		.amdhsa_system_sgpr_workgroup_info 0
		.amdhsa_system_vgpr_workitem_id 0
		.amdhsa_next_free_vgpr 1
		.amdhsa_next_free_sgpr 0
		.amdhsa_accum_offset 4
		.amdhsa_reserve_vcc 0
		.amdhsa_float_round_mode_32 0
		.amdhsa_float_round_mode_16_64 0
		.amdhsa_float_denorm_mode_32 3
		.amdhsa_float_denorm_mode_16_64 3
		.amdhsa_dx10_clamp 1
		.amdhsa_ieee_mode 1
		.amdhsa_fp16_overflow 0
		.amdhsa_tg_split 0
		.amdhsa_exception_fp_ieee_invalid_op 0
		.amdhsa_exception_fp_denorm_src 0
		.amdhsa_exception_fp_ieee_div_zero 0
		.amdhsa_exception_fp_ieee_overflow 0
		.amdhsa_exception_fp_ieee_underflow 0
		.amdhsa_exception_fp_ieee_inexact 0
		.amdhsa_exception_int_div_zero 0
	.end_amdhsa_kernel
	.section	.text._ZN7rocprim17ROCPRIM_400000_NS6detail17trampoline_kernelINS0_14default_configENS1_22reduce_config_selectorIsEEZNS1_11reduce_implILb1ES3_N6thrust23THRUST_200600_302600_NS17counting_iteratorIsNS8_11hip_rocprim3tagENS8_11use_defaultESC_EEPssNS8_4plusIsEEEE10hipError_tPvRmT1_T2_T3_mT4_P12ihipStream_tbEUlT_E1_NS1_11comp_targetILNS1_3genE8ELNS1_11target_archE1030ELNS1_3gpuE2ELNS1_3repE0EEENS1_30default_config_static_selectorELNS0_4arch9wavefront6targetE1EEEvSK_,"axG",@progbits,_ZN7rocprim17ROCPRIM_400000_NS6detail17trampoline_kernelINS0_14default_configENS1_22reduce_config_selectorIsEEZNS1_11reduce_implILb1ES3_N6thrust23THRUST_200600_302600_NS17counting_iteratorIsNS8_11hip_rocprim3tagENS8_11use_defaultESC_EEPssNS8_4plusIsEEEE10hipError_tPvRmT1_T2_T3_mT4_P12ihipStream_tbEUlT_E1_NS1_11comp_targetILNS1_3genE8ELNS1_11target_archE1030ELNS1_3gpuE2ELNS1_3repE0EEENS1_30default_config_static_selectorELNS0_4arch9wavefront6targetE1EEEvSK_,comdat
.Lfunc_end1126:
	.size	_ZN7rocprim17ROCPRIM_400000_NS6detail17trampoline_kernelINS0_14default_configENS1_22reduce_config_selectorIsEEZNS1_11reduce_implILb1ES3_N6thrust23THRUST_200600_302600_NS17counting_iteratorIsNS8_11hip_rocprim3tagENS8_11use_defaultESC_EEPssNS8_4plusIsEEEE10hipError_tPvRmT1_T2_T3_mT4_P12ihipStream_tbEUlT_E1_NS1_11comp_targetILNS1_3genE8ELNS1_11target_archE1030ELNS1_3gpuE2ELNS1_3repE0EEENS1_30default_config_static_selectorELNS0_4arch9wavefront6targetE1EEEvSK_, .Lfunc_end1126-_ZN7rocprim17ROCPRIM_400000_NS6detail17trampoline_kernelINS0_14default_configENS1_22reduce_config_selectorIsEEZNS1_11reduce_implILb1ES3_N6thrust23THRUST_200600_302600_NS17counting_iteratorIsNS8_11hip_rocprim3tagENS8_11use_defaultESC_EEPssNS8_4plusIsEEEE10hipError_tPvRmT1_T2_T3_mT4_P12ihipStream_tbEUlT_E1_NS1_11comp_targetILNS1_3genE8ELNS1_11target_archE1030ELNS1_3gpuE2ELNS1_3repE0EEENS1_30default_config_static_selectorELNS0_4arch9wavefront6targetE1EEEvSK_
                                        ; -- End function
	.set _ZN7rocprim17ROCPRIM_400000_NS6detail17trampoline_kernelINS0_14default_configENS1_22reduce_config_selectorIsEEZNS1_11reduce_implILb1ES3_N6thrust23THRUST_200600_302600_NS17counting_iteratorIsNS8_11hip_rocprim3tagENS8_11use_defaultESC_EEPssNS8_4plusIsEEEE10hipError_tPvRmT1_T2_T3_mT4_P12ihipStream_tbEUlT_E1_NS1_11comp_targetILNS1_3genE8ELNS1_11target_archE1030ELNS1_3gpuE2ELNS1_3repE0EEENS1_30default_config_static_selectorELNS0_4arch9wavefront6targetE1EEEvSK_.num_vgpr, 0
	.set _ZN7rocprim17ROCPRIM_400000_NS6detail17trampoline_kernelINS0_14default_configENS1_22reduce_config_selectorIsEEZNS1_11reduce_implILb1ES3_N6thrust23THRUST_200600_302600_NS17counting_iteratorIsNS8_11hip_rocprim3tagENS8_11use_defaultESC_EEPssNS8_4plusIsEEEE10hipError_tPvRmT1_T2_T3_mT4_P12ihipStream_tbEUlT_E1_NS1_11comp_targetILNS1_3genE8ELNS1_11target_archE1030ELNS1_3gpuE2ELNS1_3repE0EEENS1_30default_config_static_selectorELNS0_4arch9wavefront6targetE1EEEvSK_.num_agpr, 0
	.set _ZN7rocprim17ROCPRIM_400000_NS6detail17trampoline_kernelINS0_14default_configENS1_22reduce_config_selectorIsEEZNS1_11reduce_implILb1ES3_N6thrust23THRUST_200600_302600_NS17counting_iteratorIsNS8_11hip_rocprim3tagENS8_11use_defaultESC_EEPssNS8_4plusIsEEEE10hipError_tPvRmT1_T2_T3_mT4_P12ihipStream_tbEUlT_E1_NS1_11comp_targetILNS1_3genE8ELNS1_11target_archE1030ELNS1_3gpuE2ELNS1_3repE0EEENS1_30default_config_static_selectorELNS0_4arch9wavefront6targetE1EEEvSK_.numbered_sgpr, 0
	.set _ZN7rocprim17ROCPRIM_400000_NS6detail17trampoline_kernelINS0_14default_configENS1_22reduce_config_selectorIsEEZNS1_11reduce_implILb1ES3_N6thrust23THRUST_200600_302600_NS17counting_iteratorIsNS8_11hip_rocprim3tagENS8_11use_defaultESC_EEPssNS8_4plusIsEEEE10hipError_tPvRmT1_T2_T3_mT4_P12ihipStream_tbEUlT_E1_NS1_11comp_targetILNS1_3genE8ELNS1_11target_archE1030ELNS1_3gpuE2ELNS1_3repE0EEENS1_30default_config_static_selectorELNS0_4arch9wavefront6targetE1EEEvSK_.num_named_barrier, 0
	.set _ZN7rocprim17ROCPRIM_400000_NS6detail17trampoline_kernelINS0_14default_configENS1_22reduce_config_selectorIsEEZNS1_11reduce_implILb1ES3_N6thrust23THRUST_200600_302600_NS17counting_iteratorIsNS8_11hip_rocprim3tagENS8_11use_defaultESC_EEPssNS8_4plusIsEEEE10hipError_tPvRmT1_T2_T3_mT4_P12ihipStream_tbEUlT_E1_NS1_11comp_targetILNS1_3genE8ELNS1_11target_archE1030ELNS1_3gpuE2ELNS1_3repE0EEENS1_30default_config_static_selectorELNS0_4arch9wavefront6targetE1EEEvSK_.private_seg_size, 0
	.set _ZN7rocprim17ROCPRIM_400000_NS6detail17trampoline_kernelINS0_14default_configENS1_22reduce_config_selectorIsEEZNS1_11reduce_implILb1ES3_N6thrust23THRUST_200600_302600_NS17counting_iteratorIsNS8_11hip_rocprim3tagENS8_11use_defaultESC_EEPssNS8_4plusIsEEEE10hipError_tPvRmT1_T2_T3_mT4_P12ihipStream_tbEUlT_E1_NS1_11comp_targetILNS1_3genE8ELNS1_11target_archE1030ELNS1_3gpuE2ELNS1_3repE0EEENS1_30default_config_static_selectorELNS0_4arch9wavefront6targetE1EEEvSK_.uses_vcc, 0
	.set _ZN7rocprim17ROCPRIM_400000_NS6detail17trampoline_kernelINS0_14default_configENS1_22reduce_config_selectorIsEEZNS1_11reduce_implILb1ES3_N6thrust23THRUST_200600_302600_NS17counting_iteratorIsNS8_11hip_rocprim3tagENS8_11use_defaultESC_EEPssNS8_4plusIsEEEE10hipError_tPvRmT1_T2_T3_mT4_P12ihipStream_tbEUlT_E1_NS1_11comp_targetILNS1_3genE8ELNS1_11target_archE1030ELNS1_3gpuE2ELNS1_3repE0EEENS1_30default_config_static_selectorELNS0_4arch9wavefront6targetE1EEEvSK_.uses_flat_scratch, 0
	.set _ZN7rocprim17ROCPRIM_400000_NS6detail17trampoline_kernelINS0_14default_configENS1_22reduce_config_selectorIsEEZNS1_11reduce_implILb1ES3_N6thrust23THRUST_200600_302600_NS17counting_iteratorIsNS8_11hip_rocprim3tagENS8_11use_defaultESC_EEPssNS8_4plusIsEEEE10hipError_tPvRmT1_T2_T3_mT4_P12ihipStream_tbEUlT_E1_NS1_11comp_targetILNS1_3genE8ELNS1_11target_archE1030ELNS1_3gpuE2ELNS1_3repE0EEENS1_30default_config_static_selectorELNS0_4arch9wavefront6targetE1EEEvSK_.has_dyn_sized_stack, 0
	.set _ZN7rocprim17ROCPRIM_400000_NS6detail17trampoline_kernelINS0_14default_configENS1_22reduce_config_selectorIsEEZNS1_11reduce_implILb1ES3_N6thrust23THRUST_200600_302600_NS17counting_iteratorIsNS8_11hip_rocprim3tagENS8_11use_defaultESC_EEPssNS8_4plusIsEEEE10hipError_tPvRmT1_T2_T3_mT4_P12ihipStream_tbEUlT_E1_NS1_11comp_targetILNS1_3genE8ELNS1_11target_archE1030ELNS1_3gpuE2ELNS1_3repE0EEENS1_30default_config_static_selectorELNS0_4arch9wavefront6targetE1EEEvSK_.has_recursion, 0
	.set _ZN7rocprim17ROCPRIM_400000_NS6detail17trampoline_kernelINS0_14default_configENS1_22reduce_config_selectorIsEEZNS1_11reduce_implILb1ES3_N6thrust23THRUST_200600_302600_NS17counting_iteratorIsNS8_11hip_rocprim3tagENS8_11use_defaultESC_EEPssNS8_4plusIsEEEE10hipError_tPvRmT1_T2_T3_mT4_P12ihipStream_tbEUlT_E1_NS1_11comp_targetILNS1_3genE8ELNS1_11target_archE1030ELNS1_3gpuE2ELNS1_3repE0EEENS1_30default_config_static_selectorELNS0_4arch9wavefront6targetE1EEEvSK_.has_indirect_call, 0
	.section	.AMDGPU.csdata,"",@progbits
; Kernel info:
; codeLenInByte = 0
; TotalNumSgprs: 6
; NumVgprs: 0
; NumAgprs: 0
; TotalNumVgprs: 0
; ScratchSize: 0
; MemoryBound: 0
; FloatMode: 240
; IeeeMode: 1
; LDSByteSize: 0 bytes/workgroup (compile time only)
; SGPRBlocks: 0
; VGPRBlocks: 0
; NumSGPRsForWavesPerEU: 6
; NumVGPRsForWavesPerEU: 1
; AccumOffset: 4
; Occupancy: 8
; WaveLimiterHint : 0
; COMPUTE_PGM_RSRC2:SCRATCH_EN: 0
; COMPUTE_PGM_RSRC2:USER_SGPR: 2
; COMPUTE_PGM_RSRC2:TRAP_HANDLER: 0
; COMPUTE_PGM_RSRC2:TGID_X_EN: 1
; COMPUTE_PGM_RSRC2:TGID_Y_EN: 0
; COMPUTE_PGM_RSRC2:TGID_Z_EN: 0
; COMPUTE_PGM_RSRC2:TIDIG_COMP_CNT: 0
; COMPUTE_PGM_RSRC3_GFX90A:ACCUM_OFFSET: 0
; COMPUTE_PGM_RSRC3_GFX90A:TG_SPLIT: 0
	.section	.text._ZN7rocprim17ROCPRIM_400000_NS6detail17trampoline_kernelINS0_14default_configENS1_22reduce_config_selectorIiEEZNS1_11reduce_implILb1ES3_N6thrust23THRUST_200600_302600_NS10device_ptrIiEEPiiNS8_4plusIiEEEE10hipError_tPvRmT1_T2_T3_mT4_P12ihipStream_tbEUlT_E0_NS1_11comp_targetILNS1_3genE0ELNS1_11target_archE4294967295ELNS1_3gpuE0ELNS1_3repE0EEENS1_30default_config_static_selectorELNS0_4arch9wavefront6targetE1EEEvSH_,"axG",@progbits,_ZN7rocprim17ROCPRIM_400000_NS6detail17trampoline_kernelINS0_14default_configENS1_22reduce_config_selectorIiEEZNS1_11reduce_implILb1ES3_N6thrust23THRUST_200600_302600_NS10device_ptrIiEEPiiNS8_4plusIiEEEE10hipError_tPvRmT1_T2_T3_mT4_P12ihipStream_tbEUlT_E0_NS1_11comp_targetILNS1_3genE0ELNS1_11target_archE4294967295ELNS1_3gpuE0ELNS1_3repE0EEENS1_30default_config_static_selectorELNS0_4arch9wavefront6targetE1EEEvSH_,comdat
	.protected	_ZN7rocprim17ROCPRIM_400000_NS6detail17trampoline_kernelINS0_14default_configENS1_22reduce_config_selectorIiEEZNS1_11reduce_implILb1ES3_N6thrust23THRUST_200600_302600_NS10device_ptrIiEEPiiNS8_4plusIiEEEE10hipError_tPvRmT1_T2_T3_mT4_P12ihipStream_tbEUlT_E0_NS1_11comp_targetILNS1_3genE0ELNS1_11target_archE4294967295ELNS1_3gpuE0ELNS1_3repE0EEENS1_30default_config_static_selectorELNS0_4arch9wavefront6targetE1EEEvSH_ ; -- Begin function _ZN7rocprim17ROCPRIM_400000_NS6detail17trampoline_kernelINS0_14default_configENS1_22reduce_config_selectorIiEEZNS1_11reduce_implILb1ES3_N6thrust23THRUST_200600_302600_NS10device_ptrIiEEPiiNS8_4plusIiEEEE10hipError_tPvRmT1_T2_T3_mT4_P12ihipStream_tbEUlT_E0_NS1_11comp_targetILNS1_3genE0ELNS1_11target_archE4294967295ELNS1_3gpuE0ELNS1_3repE0EEENS1_30default_config_static_selectorELNS0_4arch9wavefront6targetE1EEEvSH_
	.globl	_ZN7rocprim17ROCPRIM_400000_NS6detail17trampoline_kernelINS0_14default_configENS1_22reduce_config_selectorIiEEZNS1_11reduce_implILb1ES3_N6thrust23THRUST_200600_302600_NS10device_ptrIiEEPiiNS8_4plusIiEEEE10hipError_tPvRmT1_T2_T3_mT4_P12ihipStream_tbEUlT_E0_NS1_11comp_targetILNS1_3genE0ELNS1_11target_archE4294967295ELNS1_3gpuE0ELNS1_3repE0EEENS1_30default_config_static_selectorELNS0_4arch9wavefront6targetE1EEEvSH_
	.p2align	8
	.type	_ZN7rocprim17ROCPRIM_400000_NS6detail17trampoline_kernelINS0_14default_configENS1_22reduce_config_selectorIiEEZNS1_11reduce_implILb1ES3_N6thrust23THRUST_200600_302600_NS10device_ptrIiEEPiiNS8_4plusIiEEEE10hipError_tPvRmT1_T2_T3_mT4_P12ihipStream_tbEUlT_E0_NS1_11comp_targetILNS1_3genE0ELNS1_11target_archE4294967295ELNS1_3gpuE0ELNS1_3repE0EEENS1_30default_config_static_selectorELNS0_4arch9wavefront6targetE1EEEvSH_,@function
_ZN7rocprim17ROCPRIM_400000_NS6detail17trampoline_kernelINS0_14default_configENS1_22reduce_config_selectorIiEEZNS1_11reduce_implILb1ES3_N6thrust23THRUST_200600_302600_NS10device_ptrIiEEPiiNS8_4plusIiEEEE10hipError_tPvRmT1_T2_T3_mT4_P12ihipStream_tbEUlT_E0_NS1_11comp_targetILNS1_3genE0ELNS1_11target_archE4294967295ELNS1_3gpuE0ELNS1_3repE0EEENS1_30default_config_static_selectorELNS0_4arch9wavefront6targetE1EEEvSH_: ; @_ZN7rocprim17ROCPRIM_400000_NS6detail17trampoline_kernelINS0_14default_configENS1_22reduce_config_selectorIiEEZNS1_11reduce_implILb1ES3_N6thrust23THRUST_200600_302600_NS10device_ptrIiEEPiiNS8_4plusIiEEEE10hipError_tPvRmT1_T2_T3_mT4_P12ihipStream_tbEUlT_E0_NS1_11comp_targetILNS1_3genE0ELNS1_11target_archE4294967295ELNS1_3gpuE0ELNS1_3repE0EEENS1_30default_config_static_selectorELNS0_4arch9wavefront6targetE1EEEvSH_
; %bb.0:
	s_load_dwordx8 s[4:11], s[0:1], 0x0
	s_load_dwordx4 s[12:15], s[0:1], 0x20
	v_lshlrev_b32_e32 v6, 2, v0
	v_mbcnt_lo_u32_b32 v1, -1, 0
	s_waitcnt lgkmcnt(0)
	s_lshl_b64 s[6:7], s[6:7], 2
	s_add_u32 s18, s4, s6
	s_addc_u32 s19, s5, s7
	s_lshl_b32 s4, s2, 10
	s_mov_b32 s5, 0
	s_lshr_b64 s[16:17], s[8:9], 10
	s_lshl_b64 s[6:7], s[4:5], 2
	s_add_u32 s6, s18, s6
	s_mov_b32 s3, s5
	s_addc_u32 s7, s19, s7
	s_cmp_lg_u64 s[16:17], s[2:3]
	s_cbranch_scc0 .LBB1127_6
; %bb.1:
	v_mov_b32_e32 v7, 0
	v_lshl_add_u64 v[2:3], s[6:7], 0, v[6:7]
	flat_load_dword v5, v[2:3]
	flat_load_dword v7, v[2:3] offset:1024
	flat_load_dword v8, v[2:3] offset:2048
	flat_load_dword v9, v[2:3] offset:3072
	v_mbcnt_hi_u32_b32 v3, -1, v1
	v_lshlrev_b32_e32 v4, 2, v3
	v_cmp_eq_u32_e32 vcc, 0, v3
	s_waitcnt vmcnt(0) lgkmcnt(0)
	v_add_u32_e32 v2, v7, v5
	v_or_b32_e32 v5, 0xfc, v4
	v_add3_u32 v2, v2, v8, v9
	s_nop 1
	v_add_u32_dpp v2, v2, v2 quad_perm:[1,0,3,2] row_mask:0xf bank_mask:0xf bound_ctrl:1
	s_nop 1
	v_add_u32_dpp v2, v2, v2 quad_perm:[2,3,0,1] row_mask:0xf bank_mask:0xf bound_ctrl:1
	s_nop 1
	v_add_u32_dpp v2, v2, v2 row_ror:4 row_mask:0xf bank_mask:0xf bound_ctrl:1
	s_nop 1
	v_add_u32_dpp v2, v2, v2 row_ror:8 row_mask:0xf bank_mask:0xf bound_ctrl:1
	s_nop 1
	v_add_u32_dpp v2, v2, v2 row_bcast:15 row_mask:0xf bank_mask:0xf bound_ctrl:1
	s_nop 1
	v_add_u32_dpp v2, v2, v2 row_bcast:31 row_mask:0xf bank_mask:0xf bound_ctrl:1
	ds_bpermute_b32 v2, v5, v2
	s_and_saveexec_b64 s[16:17], vcc
	s_cbranch_execz .LBB1127_3
; %bb.2:
	v_lshrrev_b32_e32 v5, 4, v0
	v_and_b32_e32 v5, 12, v5
	s_waitcnt lgkmcnt(0)
	ds_write_b32 v5, v2
.LBB1127_3:
	s_or_b64 exec, exec, s[16:17]
	v_cmp_gt_u32_e32 vcc, 64, v0
	s_waitcnt lgkmcnt(0)
	s_barrier
	s_and_saveexec_b64 s[16:17], vcc
	s_cbranch_execz .LBB1127_5
; %bb.4:
	v_and_b32_e32 v2, 3, v3
	v_lshlrev_b32_e32 v5, 2, v2
	ds_read_b32 v5, v5
	v_cmp_ne_u32_e32 vcc, 3, v2
	s_nop 1
	v_addc_co_u32_e32 v2, vcc, 0, v3, vcc
	v_lshlrev_b32_e32 v2, 2, v2
	s_waitcnt lgkmcnt(0)
	ds_bpermute_b32 v2, v2, v5
	v_or_b32_e32 v3, 8, v4
	s_waitcnt lgkmcnt(0)
	v_add_u32_e32 v2, v2, v5
	ds_bpermute_b32 v3, v3, v2
	s_waitcnt lgkmcnt(0)
	v_add_u32_e32 v2, v3, v2
.LBB1127_5:
	s_or_b64 exec, exec, s[16:17]
	s_load_dword s18, s[0:1], 0x30
	s_branch .LBB1127_20
.LBB1127_6:
                                        ; implicit-def: $vgpr2
	s_load_dword s18, s[0:1], 0x30
	s_cbranch_execz .LBB1127_20
; %bb.7:
	s_sub_i32 s19, s8, s4
	v_mov_b32_e32 v2, 0
	v_cmp_gt_u32_e32 vcc, s19, v0
	v_mov_b32_e32 v3, v2
	v_mov_b32_e32 v4, v2
	;; [unrolled: 1-line block ×3, first 2 shown]
	s_and_saveexec_b64 s[0:1], vcc
	s_cbranch_execz .LBB1127_9
; %bb.8:
	v_mov_b32_e32 v7, v2
	v_lshl_add_u64 v[4:5], s[6:7], 0, v[6:7]
	flat_load_dword v8, v[4:5]
	v_mov_b32_e32 v9, v2
	v_mov_b32_e32 v10, v2
	;; [unrolled: 1-line block ×3, first 2 shown]
	s_waitcnt vmcnt(0) lgkmcnt(0)
	v_mov_b64_e32 v[2:3], v[8:9]
	v_mov_b64_e32 v[4:5], v[10:11]
.LBB1127_9:
	s_or_b64 exec, exec, s[0:1]
	v_or_b32_e32 v7, 0x100, v0
	v_cmp_gt_u32_e32 vcc, s19, v7
	s_and_saveexec_b64 s[0:1], vcc
	s_cbranch_execz .LBB1127_11
; %bb.10:
	v_mov_b32_e32 v7, 0
	v_lshl_add_u64 v[8:9], s[6:7], 0, v[6:7]
	flat_load_dword v3, v[8:9] offset:1024
.LBB1127_11:
	s_or_b64 exec, exec, s[0:1]
	v_or_b32_e32 v7, 0x200, v0
	v_cmp_gt_u32_e64 s[0:1], s19, v7
	s_and_saveexec_b64 s[4:5], s[0:1]
	s_cbranch_execz .LBB1127_13
; %bb.12:
	v_mov_b32_e32 v7, 0
	v_lshl_add_u64 v[8:9], s[6:7], 0, v[6:7]
	flat_load_dword v4, v[8:9] offset:2048
.LBB1127_13:
	s_or_b64 exec, exec, s[4:5]
	v_or_b32_e32 v7, 0x300, v0
	v_cmp_gt_u32_e64 s[4:5], s19, v7
	s_and_saveexec_b64 s[16:17], s[4:5]
	s_cbranch_execz .LBB1127_15
; %bb.14:
	v_mov_b32_e32 v7, 0
	v_lshl_add_u64 v[6:7], s[6:7], 0, v[6:7]
	flat_load_dword v5, v[6:7] offset:3072
.LBB1127_15:
	s_or_b64 exec, exec, s[16:17]
	s_waitcnt vmcnt(0) lgkmcnt(0)
	v_cndmask_b32_e32 v3, 0, v3, vcc
	v_add_u32_e32 v2, v3, v2
	v_cndmask_b32_e64 v3, 0, v4, s[0:1]
	v_cndmask_b32_e64 v4, 0, v5, s[4:5]
	v_mbcnt_hi_u32_b32 v1, -1, v1
	v_add3_u32 v2, v2, v3, v4
	v_and_b32_e32 v4, 63, v1
	v_cmp_ne_u32_e32 vcc, 63, v4
	s_min_u32 s4, s19, 0x100
	v_and_b32_e32 v5, 0xc0, v0
	v_addc_co_u32_e32 v3, vcc, 0, v1, vcc
	v_lshlrev_b32_e32 v3, 2, v3
	ds_bpermute_b32 v3, v3, v2
	v_sub_u32_e64 v5, s4, v5 clamp
	v_add_u32_e32 v6, 1, v4
	v_cmp_lt_u32_e32 vcc, v6, v5
	v_add_u32_e32 v6, 2, v4
	s_waitcnt lgkmcnt(0)
	v_cndmask_b32_e32 v3, 0, v3, vcc
	v_cmp_gt_u32_e32 vcc, 62, v4
	v_add_u32_e32 v2, v3, v2
	s_nop 0
	v_cndmask_b32_e64 v3, 0, 2, vcc
	v_add_lshl_u32 v3, v3, v1, 2
	ds_bpermute_b32 v3, v3, v2
	v_cmp_lt_u32_e32 vcc, v6, v5
	v_add_u32_e32 v6, 4, v4
	s_waitcnt lgkmcnt(0)
	v_cndmask_b32_e32 v3, 0, v3, vcc
	v_cmp_gt_u32_e32 vcc, 60, v4
	v_add_u32_e32 v2, v2, v3
	s_nop 0
	v_cndmask_b32_e64 v3, 0, 4, vcc
	v_add_lshl_u32 v3, v3, v1, 2
	ds_bpermute_b32 v3, v3, v2
	;; [unrolled: 10-line block ×3, first 2 shown]
	v_cmp_lt_u32_e32 vcc, v6, v5
	v_add_u32_e32 v6, 16, v4
	s_waitcnt lgkmcnt(0)
	v_cndmask_b32_e32 v3, 0, v3, vcc
	v_cmp_gt_u32_e32 vcc, 48, v4
	v_add_u32_e32 v2, v2, v3
	v_add_u32_e32 v4, 32, v4
	v_cndmask_b32_e64 v3, 0, 16, vcc
	v_add_lshl_u32 v3, v3, v1, 2
	ds_bpermute_b32 v3, v3, v2
	v_cmp_lt_u32_e32 vcc, v6, v5
	s_waitcnt lgkmcnt(0)
	s_nop 0
	v_cndmask_b32_e32 v3, 0, v3, vcc
	v_add_u32_e32 v2, v2, v3
	v_lshlrev_b32_e32 v3, 2, v1
	v_or_b32_e32 v6, 0x80, v3
	ds_bpermute_b32 v6, v6, v2
	v_cmp_lt_u32_e32 vcc, v4, v5
	s_waitcnt lgkmcnt(0)
	s_nop 0
	v_cndmask_b32_e32 v4, 0, v6, vcc
	v_add_u32_e32 v2, v2, v4
	v_cmp_eq_u32_e32 vcc, 0, v1
	s_and_saveexec_b64 s[0:1], vcc
; %bb.16:
	v_lshrrev_b32_e32 v4, 4, v0
	v_and_b32_e32 v4, 12, v4
	ds_write_b32 v4, v2 offset:16
; %bb.17:
	s_or_b64 exec, exec, s[0:1]
	v_cmp_gt_u32_e32 vcc, 4, v0
	s_waitcnt lgkmcnt(0)
	s_barrier
	s_and_saveexec_b64 s[0:1], vcc
	s_cbranch_execz .LBB1127_19
; %bb.18:
	ds_read_b32 v2, v3 offset:16
	v_and_b32_e32 v4, 3, v1
	v_cmp_ne_u32_e32 vcc, 3, v4
	s_add_i32 s4, s4, 63
	s_lshr_b32 s4, s4, 6
	v_addc_co_u32_e32 v1, vcc, 0, v1, vcc
	v_lshlrev_b32_e32 v1, 2, v1
	s_waitcnt lgkmcnt(0)
	ds_bpermute_b32 v1, v1, v2
	v_add_u32_e32 v5, 1, v4
	v_cmp_gt_u32_e32 vcc, s4, v5
	s_waitcnt lgkmcnt(0)
	s_nop 0
	v_cndmask_b32_e32 v1, 0, v1, vcc
	v_add_u32_e32 v1, v1, v2
	v_or_b32_e32 v2, 8, v3
	ds_bpermute_b32 v2, v2, v1
	v_add_u32_e32 v3, 2, v4
	v_cmp_gt_u32_e32 vcc, s4, v3
	s_waitcnt lgkmcnt(0)
	s_nop 0
	v_cndmask_b32_e32 v2, 0, v2, vcc
	v_add_u32_e32 v2, v1, v2
.LBB1127_19:
	s_or_b64 exec, exec, s[0:1]
.LBB1127_20:
	v_cmp_eq_u32_e32 vcc, 0, v0
	s_and_saveexec_b64 s[0:1], vcc
	s_cbranch_execnz .LBB1127_22
; %bb.21:
	s_endpgm
.LBB1127_22:
	s_mul_i32 s0, s14, s13
	s_mul_hi_u32 s1, s14, s12
	s_add_i32 s0, s1, s0
	s_mul_i32 s1, s15, s12
	s_add_i32 s1, s0, s1
	s_mul_i32 s0, s14, s12
	s_lshl_b64 s[0:1], s[0:1], 2
	s_add_u32 s4, s10, s0
	s_addc_u32 s5, s11, s1
	s_cmp_eq_u64 s[8:9], 0
	s_cselect_b64 vcc, -1, 0
	s_lshl_b64 s[0:1], s[2:3], 2
	s_waitcnt lgkmcnt(0)
	v_mov_b32_e32 v0, s18
	s_add_u32 s0, s4, s0
	v_cndmask_b32_e32 v0, v2, v0, vcc
	s_addc_u32 s1, s5, s1
	v_mov_b32_e32 v1, 0
	global_store_dword v1, v0, s[0:1]
	s_endpgm
	.section	.rodata,"a",@progbits
	.p2align	6, 0x0
	.amdhsa_kernel _ZN7rocprim17ROCPRIM_400000_NS6detail17trampoline_kernelINS0_14default_configENS1_22reduce_config_selectorIiEEZNS1_11reduce_implILb1ES3_N6thrust23THRUST_200600_302600_NS10device_ptrIiEEPiiNS8_4plusIiEEEE10hipError_tPvRmT1_T2_T3_mT4_P12ihipStream_tbEUlT_E0_NS1_11comp_targetILNS1_3genE0ELNS1_11target_archE4294967295ELNS1_3gpuE0ELNS1_3repE0EEENS1_30default_config_static_selectorELNS0_4arch9wavefront6targetE1EEEvSH_
		.amdhsa_group_segment_fixed_size 32
		.amdhsa_private_segment_fixed_size 0
		.amdhsa_kernarg_size 56
		.amdhsa_user_sgpr_count 2
		.amdhsa_user_sgpr_dispatch_ptr 0
		.amdhsa_user_sgpr_queue_ptr 0
		.amdhsa_user_sgpr_kernarg_segment_ptr 1
		.amdhsa_user_sgpr_dispatch_id 0
		.amdhsa_user_sgpr_kernarg_preload_length 0
		.amdhsa_user_sgpr_kernarg_preload_offset 0
		.amdhsa_user_sgpr_private_segment_size 0
		.amdhsa_uses_dynamic_stack 0
		.amdhsa_enable_private_segment 0
		.amdhsa_system_sgpr_workgroup_id_x 1
		.amdhsa_system_sgpr_workgroup_id_y 0
		.amdhsa_system_sgpr_workgroup_id_z 0
		.amdhsa_system_sgpr_workgroup_info 0
		.amdhsa_system_vgpr_workitem_id 0
		.amdhsa_next_free_vgpr 12
		.amdhsa_next_free_sgpr 20
		.amdhsa_accum_offset 12
		.amdhsa_reserve_vcc 1
		.amdhsa_float_round_mode_32 0
		.amdhsa_float_round_mode_16_64 0
		.amdhsa_float_denorm_mode_32 3
		.amdhsa_float_denorm_mode_16_64 3
		.amdhsa_dx10_clamp 1
		.amdhsa_ieee_mode 1
		.amdhsa_fp16_overflow 0
		.amdhsa_tg_split 0
		.amdhsa_exception_fp_ieee_invalid_op 0
		.amdhsa_exception_fp_denorm_src 0
		.amdhsa_exception_fp_ieee_div_zero 0
		.amdhsa_exception_fp_ieee_overflow 0
		.amdhsa_exception_fp_ieee_underflow 0
		.amdhsa_exception_fp_ieee_inexact 0
		.amdhsa_exception_int_div_zero 0
	.end_amdhsa_kernel
	.section	.text._ZN7rocprim17ROCPRIM_400000_NS6detail17trampoline_kernelINS0_14default_configENS1_22reduce_config_selectorIiEEZNS1_11reduce_implILb1ES3_N6thrust23THRUST_200600_302600_NS10device_ptrIiEEPiiNS8_4plusIiEEEE10hipError_tPvRmT1_T2_T3_mT4_P12ihipStream_tbEUlT_E0_NS1_11comp_targetILNS1_3genE0ELNS1_11target_archE4294967295ELNS1_3gpuE0ELNS1_3repE0EEENS1_30default_config_static_selectorELNS0_4arch9wavefront6targetE1EEEvSH_,"axG",@progbits,_ZN7rocprim17ROCPRIM_400000_NS6detail17trampoline_kernelINS0_14default_configENS1_22reduce_config_selectorIiEEZNS1_11reduce_implILb1ES3_N6thrust23THRUST_200600_302600_NS10device_ptrIiEEPiiNS8_4plusIiEEEE10hipError_tPvRmT1_T2_T3_mT4_P12ihipStream_tbEUlT_E0_NS1_11comp_targetILNS1_3genE0ELNS1_11target_archE4294967295ELNS1_3gpuE0ELNS1_3repE0EEENS1_30default_config_static_selectorELNS0_4arch9wavefront6targetE1EEEvSH_,comdat
.Lfunc_end1127:
	.size	_ZN7rocprim17ROCPRIM_400000_NS6detail17trampoline_kernelINS0_14default_configENS1_22reduce_config_selectorIiEEZNS1_11reduce_implILb1ES3_N6thrust23THRUST_200600_302600_NS10device_ptrIiEEPiiNS8_4plusIiEEEE10hipError_tPvRmT1_T2_T3_mT4_P12ihipStream_tbEUlT_E0_NS1_11comp_targetILNS1_3genE0ELNS1_11target_archE4294967295ELNS1_3gpuE0ELNS1_3repE0EEENS1_30default_config_static_selectorELNS0_4arch9wavefront6targetE1EEEvSH_, .Lfunc_end1127-_ZN7rocprim17ROCPRIM_400000_NS6detail17trampoline_kernelINS0_14default_configENS1_22reduce_config_selectorIiEEZNS1_11reduce_implILb1ES3_N6thrust23THRUST_200600_302600_NS10device_ptrIiEEPiiNS8_4plusIiEEEE10hipError_tPvRmT1_T2_T3_mT4_P12ihipStream_tbEUlT_E0_NS1_11comp_targetILNS1_3genE0ELNS1_11target_archE4294967295ELNS1_3gpuE0ELNS1_3repE0EEENS1_30default_config_static_selectorELNS0_4arch9wavefront6targetE1EEEvSH_
                                        ; -- End function
	.set _ZN7rocprim17ROCPRIM_400000_NS6detail17trampoline_kernelINS0_14default_configENS1_22reduce_config_selectorIiEEZNS1_11reduce_implILb1ES3_N6thrust23THRUST_200600_302600_NS10device_ptrIiEEPiiNS8_4plusIiEEEE10hipError_tPvRmT1_T2_T3_mT4_P12ihipStream_tbEUlT_E0_NS1_11comp_targetILNS1_3genE0ELNS1_11target_archE4294967295ELNS1_3gpuE0ELNS1_3repE0EEENS1_30default_config_static_selectorELNS0_4arch9wavefront6targetE1EEEvSH_.num_vgpr, 12
	.set _ZN7rocprim17ROCPRIM_400000_NS6detail17trampoline_kernelINS0_14default_configENS1_22reduce_config_selectorIiEEZNS1_11reduce_implILb1ES3_N6thrust23THRUST_200600_302600_NS10device_ptrIiEEPiiNS8_4plusIiEEEE10hipError_tPvRmT1_T2_T3_mT4_P12ihipStream_tbEUlT_E0_NS1_11comp_targetILNS1_3genE0ELNS1_11target_archE4294967295ELNS1_3gpuE0ELNS1_3repE0EEENS1_30default_config_static_selectorELNS0_4arch9wavefront6targetE1EEEvSH_.num_agpr, 0
	.set _ZN7rocprim17ROCPRIM_400000_NS6detail17trampoline_kernelINS0_14default_configENS1_22reduce_config_selectorIiEEZNS1_11reduce_implILb1ES3_N6thrust23THRUST_200600_302600_NS10device_ptrIiEEPiiNS8_4plusIiEEEE10hipError_tPvRmT1_T2_T3_mT4_P12ihipStream_tbEUlT_E0_NS1_11comp_targetILNS1_3genE0ELNS1_11target_archE4294967295ELNS1_3gpuE0ELNS1_3repE0EEENS1_30default_config_static_selectorELNS0_4arch9wavefront6targetE1EEEvSH_.numbered_sgpr, 20
	.set _ZN7rocprim17ROCPRIM_400000_NS6detail17trampoline_kernelINS0_14default_configENS1_22reduce_config_selectorIiEEZNS1_11reduce_implILb1ES3_N6thrust23THRUST_200600_302600_NS10device_ptrIiEEPiiNS8_4plusIiEEEE10hipError_tPvRmT1_T2_T3_mT4_P12ihipStream_tbEUlT_E0_NS1_11comp_targetILNS1_3genE0ELNS1_11target_archE4294967295ELNS1_3gpuE0ELNS1_3repE0EEENS1_30default_config_static_selectorELNS0_4arch9wavefront6targetE1EEEvSH_.num_named_barrier, 0
	.set _ZN7rocprim17ROCPRIM_400000_NS6detail17trampoline_kernelINS0_14default_configENS1_22reduce_config_selectorIiEEZNS1_11reduce_implILb1ES3_N6thrust23THRUST_200600_302600_NS10device_ptrIiEEPiiNS8_4plusIiEEEE10hipError_tPvRmT1_T2_T3_mT4_P12ihipStream_tbEUlT_E0_NS1_11comp_targetILNS1_3genE0ELNS1_11target_archE4294967295ELNS1_3gpuE0ELNS1_3repE0EEENS1_30default_config_static_selectorELNS0_4arch9wavefront6targetE1EEEvSH_.private_seg_size, 0
	.set _ZN7rocprim17ROCPRIM_400000_NS6detail17trampoline_kernelINS0_14default_configENS1_22reduce_config_selectorIiEEZNS1_11reduce_implILb1ES3_N6thrust23THRUST_200600_302600_NS10device_ptrIiEEPiiNS8_4plusIiEEEE10hipError_tPvRmT1_T2_T3_mT4_P12ihipStream_tbEUlT_E0_NS1_11comp_targetILNS1_3genE0ELNS1_11target_archE4294967295ELNS1_3gpuE0ELNS1_3repE0EEENS1_30default_config_static_selectorELNS0_4arch9wavefront6targetE1EEEvSH_.uses_vcc, 1
	.set _ZN7rocprim17ROCPRIM_400000_NS6detail17trampoline_kernelINS0_14default_configENS1_22reduce_config_selectorIiEEZNS1_11reduce_implILb1ES3_N6thrust23THRUST_200600_302600_NS10device_ptrIiEEPiiNS8_4plusIiEEEE10hipError_tPvRmT1_T2_T3_mT4_P12ihipStream_tbEUlT_E0_NS1_11comp_targetILNS1_3genE0ELNS1_11target_archE4294967295ELNS1_3gpuE0ELNS1_3repE0EEENS1_30default_config_static_selectorELNS0_4arch9wavefront6targetE1EEEvSH_.uses_flat_scratch, 0
	.set _ZN7rocprim17ROCPRIM_400000_NS6detail17trampoline_kernelINS0_14default_configENS1_22reduce_config_selectorIiEEZNS1_11reduce_implILb1ES3_N6thrust23THRUST_200600_302600_NS10device_ptrIiEEPiiNS8_4plusIiEEEE10hipError_tPvRmT1_T2_T3_mT4_P12ihipStream_tbEUlT_E0_NS1_11comp_targetILNS1_3genE0ELNS1_11target_archE4294967295ELNS1_3gpuE0ELNS1_3repE0EEENS1_30default_config_static_selectorELNS0_4arch9wavefront6targetE1EEEvSH_.has_dyn_sized_stack, 0
	.set _ZN7rocprim17ROCPRIM_400000_NS6detail17trampoline_kernelINS0_14default_configENS1_22reduce_config_selectorIiEEZNS1_11reduce_implILb1ES3_N6thrust23THRUST_200600_302600_NS10device_ptrIiEEPiiNS8_4plusIiEEEE10hipError_tPvRmT1_T2_T3_mT4_P12ihipStream_tbEUlT_E0_NS1_11comp_targetILNS1_3genE0ELNS1_11target_archE4294967295ELNS1_3gpuE0ELNS1_3repE0EEENS1_30default_config_static_selectorELNS0_4arch9wavefront6targetE1EEEvSH_.has_recursion, 0
	.set _ZN7rocprim17ROCPRIM_400000_NS6detail17trampoline_kernelINS0_14default_configENS1_22reduce_config_selectorIiEEZNS1_11reduce_implILb1ES3_N6thrust23THRUST_200600_302600_NS10device_ptrIiEEPiiNS8_4plusIiEEEE10hipError_tPvRmT1_T2_T3_mT4_P12ihipStream_tbEUlT_E0_NS1_11comp_targetILNS1_3genE0ELNS1_11target_archE4294967295ELNS1_3gpuE0ELNS1_3repE0EEENS1_30default_config_static_selectorELNS0_4arch9wavefront6targetE1EEEvSH_.has_indirect_call, 0
	.section	.AMDGPU.csdata,"",@progbits
; Kernel info:
; codeLenInByte = 1236
; TotalNumSgprs: 26
; NumVgprs: 12
; NumAgprs: 0
; TotalNumVgprs: 12
; ScratchSize: 0
; MemoryBound: 0
; FloatMode: 240
; IeeeMode: 1
; LDSByteSize: 32 bytes/workgroup (compile time only)
; SGPRBlocks: 3
; VGPRBlocks: 1
; NumSGPRsForWavesPerEU: 26
; NumVGPRsForWavesPerEU: 12
; AccumOffset: 12
; Occupancy: 8
; WaveLimiterHint : 1
; COMPUTE_PGM_RSRC2:SCRATCH_EN: 0
; COMPUTE_PGM_RSRC2:USER_SGPR: 2
; COMPUTE_PGM_RSRC2:TRAP_HANDLER: 0
; COMPUTE_PGM_RSRC2:TGID_X_EN: 1
; COMPUTE_PGM_RSRC2:TGID_Y_EN: 0
; COMPUTE_PGM_RSRC2:TGID_Z_EN: 0
; COMPUTE_PGM_RSRC2:TIDIG_COMP_CNT: 0
; COMPUTE_PGM_RSRC3_GFX90A:ACCUM_OFFSET: 2
; COMPUTE_PGM_RSRC3_GFX90A:TG_SPLIT: 0
	.section	.text._ZN7rocprim17ROCPRIM_400000_NS6detail17trampoline_kernelINS0_14default_configENS1_22reduce_config_selectorIiEEZNS1_11reduce_implILb1ES3_N6thrust23THRUST_200600_302600_NS10device_ptrIiEEPiiNS8_4plusIiEEEE10hipError_tPvRmT1_T2_T3_mT4_P12ihipStream_tbEUlT_E0_NS1_11comp_targetILNS1_3genE5ELNS1_11target_archE942ELNS1_3gpuE9ELNS1_3repE0EEENS1_30default_config_static_selectorELNS0_4arch9wavefront6targetE1EEEvSH_,"axG",@progbits,_ZN7rocprim17ROCPRIM_400000_NS6detail17trampoline_kernelINS0_14default_configENS1_22reduce_config_selectorIiEEZNS1_11reduce_implILb1ES3_N6thrust23THRUST_200600_302600_NS10device_ptrIiEEPiiNS8_4plusIiEEEE10hipError_tPvRmT1_T2_T3_mT4_P12ihipStream_tbEUlT_E0_NS1_11comp_targetILNS1_3genE5ELNS1_11target_archE942ELNS1_3gpuE9ELNS1_3repE0EEENS1_30default_config_static_selectorELNS0_4arch9wavefront6targetE1EEEvSH_,comdat
	.protected	_ZN7rocprim17ROCPRIM_400000_NS6detail17trampoline_kernelINS0_14default_configENS1_22reduce_config_selectorIiEEZNS1_11reduce_implILb1ES3_N6thrust23THRUST_200600_302600_NS10device_ptrIiEEPiiNS8_4plusIiEEEE10hipError_tPvRmT1_T2_T3_mT4_P12ihipStream_tbEUlT_E0_NS1_11comp_targetILNS1_3genE5ELNS1_11target_archE942ELNS1_3gpuE9ELNS1_3repE0EEENS1_30default_config_static_selectorELNS0_4arch9wavefront6targetE1EEEvSH_ ; -- Begin function _ZN7rocprim17ROCPRIM_400000_NS6detail17trampoline_kernelINS0_14default_configENS1_22reduce_config_selectorIiEEZNS1_11reduce_implILb1ES3_N6thrust23THRUST_200600_302600_NS10device_ptrIiEEPiiNS8_4plusIiEEEE10hipError_tPvRmT1_T2_T3_mT4_P12ihipStream_tbEUlT_E0_NS1_11comp_targetILNS1_3genE5ELNS1_11target_archE942ELNS1_3gpuE9ELNS1_3repE0EEENS1_30default_config_static_selectorELNS0_4arch9wavefront6targetE1EEEvSH_
	.globl	_ZN7rocprim17ROCPRIM_400000_NS6detail17trampoline_kernelINS0_14default_configENS1_22reduce_config_selectorIiEEZNS1_11reduce_implILb1ES3_N6thrust23THRUST_200600_302600_NS10device_ptrIiEEPiiNS8_4plusIiEEEE10hipError_tPvRmT1_T2_T3_mT4_P12ihipStream_tbEUlT_E0_NS1_11comp_targetILNS1_3genE5ELNS1_11target_archE942ELNS1_3gpuE9ELNS1_3repE0EEENS1_30default_config_static_selectorELNS0_4arch9wavefront6targetE1EEEvSH_
	.p2align	8
	.type	_ZN7rocprim17ROCPRIM_400000_NS6detail17trampoline_kernelINS0_14default_configENS1_22reduce_config_selectorIiEEZNS1_11reduce_implILb1ES3_N6thrust23THRUST_200600_302600_NS10device_ptrIiEEPiiNS8_4plusIiEEEE10hipError_tPvRmT1_T2_T3_mT4_P12ihipStream_tbEUlT_E0_NS1_11comp_targetILNS1_3genE5ELNS1_11target_archE942ELNS1_3gpuE9ELNS1_3repE0EEENS1_30default_config_static_selectorELNS0_4arch9wavefront6targetE1EEEvSH_,@function
_ZN7rocprim17ROCPRIM_400000_NS6detail17trampoline_kernelINS0_14default_configENS1_22reduce_config_selectorIiEEZNS1_11reduce_implILb1ES3_N6thrust23THRUST_200600_302600_NS10device_ptrIiEEPiiNS8_4plusIiEEEE10hipError_tPvRmT1_T2_T3_mT4_P12ihipStream_tbEUlT_E0_NS1_11comp_targetILNS1_3genE5ELNS1_11target_archE942ELNS1_3gpuE9ELNS1_3repE0EEENS1_30default_config_static_selectorELNS0_4arch9wavefront6targetE1EEEvSH_: ; @_ZN7rocprim17ROCPRIM_400000_NS6detail17trampoline_kernelINS0_14default_configENS1_22reduce_config_selectorIiEEZNS1_11reduce_implILb1ES3_N6thrust23THRUST_200600_302600_NS10device_ptrIiEEPiiNS8_4plusIiEEEE10hipError_tPvRmT1_T2_T3_mT4_P12ihipStream_tbEUlT_E0_NS1_11comp_targetILNS1_3genE5ELNS1_11target_archE942ELNS1_3gpuE9ELNS1_3repE0EEENS1_30default_config_static_selectorELNS0_4arch9wavefront6targetE1EEEvSH_
; %bb.0:
	.section	.rodata,"a",@progbits
	.p2align	6, 0x0
	.amdhsa_kernel _ZN7rocprim17ROCPRIM_400000_NS6detail17trampoline_kernelINS0_14default_configENS1_22reduce_config_selectorIiEEZNS1_11reduce_implILb1ES3_N6thrust23THRUST_200600_302600_NS10device_ptrIiEEPiiNS8_4plusIiEEEE10hipError_tPvRmT1_T2_T3_mT4_P12ihipStream_tbEUlT_E0_NS1_11comp_targetILNS1_3genE5ELNS1_11target_archE942ELNS1_3gpuE9ELNS1_3repE0EEENS1_30default_config_static_selectorELNS0_4arch9wavefront6targetE1EEEvSH_
		.amdhsa_group_segment_fixed_size 0
		.amdhsa_private_segment_fixed_size 0
		.amdhsa_kernarg_size 56
		.amdhsa_user_sgpr_count 2
		.amdhsa_user_sgpr_dispatch_ptr 0
		.amdhsa_user_sgpr_queue_ptr 0
		.amdhsa_user_sgpr_kernarg_segment_ptr 1
		.amdhsa_user_sgpr_dispatch_id 0
		.amdhsa_user_sgpr_kernarg_preload_length 0
		.amdhsa_user_sgpr_kernarg_preload_offset 0
		.amdhsa_user_sgpr_private_segment_size 0
		.amdhsa_uses_dynamic_stack 0
		.amdhsa_enable_private_segment 0
		.amdhsa_system_sgpr_workgroup_id_x 1
		.amdhsa_system_sgpr_workgroup_id_y 0
		.amdhsa_system_sgpr_workgroup_id_z 0
		.amdhsa_system_sgpr_workgroup_info 0
		.amdhsa_system_vgpr_workitem_id 0
		.amdhsa_next_free_vgpr 1
		.amdhsa_next_free_sgpr 0
		.amdhsa_accum_offset 4
		.amdhsa_reserve_vcc 0
		.amdhsa_float_round_mode_32 0
		.amdhsa_float_round_mode_16_64 0
		.amdhsa_float_denorm_mode_32 3
		.amdhsa_float_denorm_mode_16_64 3
		.amdhsa_dx10_clamp 1
		.amdhsa_ieee_mode 1
		.amdhsa_fp16_overflow 0
		.amdhsa_tg_split 0
		.amdhsa_exception_fp_ieee_invalid_op 0
		.amdhsa_exception_fp_denorm_src 0
		.amdhsa_exception_fp_ieee_div_zero 0
		.amdhsa_exception_fp_ieee_overflow 0
		.amdhsa_exception_fp_ieee_underflow 0
		.amdhsa_exception_fp_ieee_inexact 0
		.amdhsa_exception_int_div_zero 0
	.end_amdhsa_kernel
	.section	.text._ZN7rocprim17ROCPRIM_400000_NS6detail17trampoline_kernelINS0_14default_configENS1_22reduce_config_selectorIiEEZNS1_11reduce_implILb1ES3_N6thrust23THRUST_200600_302600_NS10device_ptrIiEEPiiNS8_4plusIiEEEE10hipError_tPvRmT1_T2_T3_mT4_P12ihipStream_tbEUlT_E0_NS1_11comp_targetILNS1_3genE5ELNS1_11target_archE942ELNS1_3gpuE9ELNS1_3repE0EEENS1_30default_config_static_selectorELNS0_4arch9wavefront6targetE1EEEvSH_,"axG",@progbits,_ZN7rocprim17ROCPRIM_400000_NS6detail17trampoline_kernelINS0_14default_configENS1_22reduce_config_selectorIiEEZNS1_11reduce_implILb1ES3_N6thrust23THRUST_200600_302600_NS10device_ptrIiEEPiiNS8_4plusIiEEEE10hipError_tPvRmT1_T2_T3_mT4_P12ihipStream_tbEUlT_E0_NS1_11comp_targetILNS1_3genE5ELNS1_11target_archE942ELNS1_3gpuE9ELNS1_3repE0EEENS1_30default_config_static_selectorELNS0_4arch9wavefront6targetE1EEEvSH_,comdat
.Lfunc_end1128:
	.size	_ZN7rocprim17ROCPRIM_400000_NS6detail17trampoline_kernelINS0_14default_configENS1_22reduce_config_selectorIiEEZNS1_11reduce_implILb1ES3_N6thrust23THRUST_200600_302600_NS10device_ptrIiEEPiiNS8_4plusIiEEEE10hipError_tPvRmT1_T2_T3_mT4_P12ihipStream_tbEUlT_E0_NS1_11comp_targetILNS1_3genE5ELNS1_11target_archE942ELNS1_3gpuE9ELNS1_3repE0EEENS1_30default_config_static_selectorELNS0_4arch9wavefront6targetE1EEEvSH_, .Lfunc_end1128-_ZN7rocprim17ROCPRIM_400000_NS6detail17trampoline_kernelINS0_14default_configENS1_22reduce_config_selectorIiEEZNS1_11reduce_implILb1ES3_N6thrust23THRUST_200600_302600_NS10device_ptrIiEEPiiNS8_4plusIiEEEE10hipError_tPvRmT1_T2_T3_mT4_P12ihipStream_tbEUlT_E0_NS1_11comp_targetILNS1_3genE5ELNS1_11target_archE942ELNS1_3gpuE9ELNS1_3repE0EEENS1_30default_config_static_selectorELNS0_4arch9wavefront6targetE1EEEvSH_
                                        ; -- End function
	.set _ZN7rocprim17ROCPRIM_400000_NS6detail17trampoline_kernelINS0_14default_configENS1_22reduce_config_selectorIiEEZNS1_11reduce_implILb1ES3_N6thrust23THRUST_200600_302600_NS10device_ptrIiEEPiiNS8_4plusIiEEEE10hipError_tPvRmT1_T2_T3_mT4_P12ihipStream_tbEUlT_E0_NS1_11comp_targetILNS1_3genE5ELNS1_11target_archE942ELNS1_3gpuE9ELNS1_3repE0EEENS1_30default_config_static_selectorELNS0_4arch9wavefront6targetE1EEEvSH_.num_vgpr, 0
	.set _ZN7rocprim17ROCPRIM_400000_NS6detail17trampoline_kernelINS0_14default_configENS1_22reduce_config_selectorIiEEZNS1_11reduce_implILb1ES3_N6thrust23THRUST_200600_302600_NS10device_ptrIiEEPiiNS8_4plusIiEEEE10hipError_tPvRmT1_T2_T3_mT4_P12ihipStream_tbEUlT_E0_NS1_11comp_targetILNS1_3genE5ELNS1_11target_archE942ELNS1_3gpuE9ELNS1_3repE0EEENS1_30default_config_static_selectorELNS0_4arch9wavefront6targetE1EEEvSH_.num_agpr, 0
	.set _ZN7rocprim17ROCPRIM_400000_NS6detail17trampoline_kernelINS0_14default_configENS1_22reduce_config_selectorIiEEZNS1_11reduce_implILb1ES3_N6thrust23THRUST_200600_302600_NS10device_ptrIiEEPiiNS8_4plusIiEEEE10hipError_tPvRmT1_T2_T3_mT4_P12ihipStream_tbEUlT_E0_NS1_11comp_targetILNS1_3genE5ELNS1_11target_archE942ELNS1_3gpuE9ELNS1_3repE0EEENS1_30default_config_static_selectorELNS0_4arch9wavefront6targetE1EEEvSH_.numbered_sgpr, 0
	.set _ZN7rocprim17ROCPRIM_400000_NS6detail17trampoline_kernelINS0_14default_configENS1_22reduce_config_selectorIiEEZNS1_11reduce_implILb1ES3_N6thrust23THRUST_200600_302600_NS10device_ptrIiEEPiiNS8_4plusIiEEEE10hipError_tPvRmT1_T2_T3_mT4_P12ihipStream_tbEUlT_E0_NS1_11comp_targetILNS1_3genE5ELNS1_11target_archE942ELNS1_3gpuE9ELNS1_3repE0EEENS1_30default_config_static_selectorELNS0_4arch9wavefront6targetE1EEEvSH_.num_named_barrier, 0
	.set _ZN7rocprim17ROCPRIM_400000_NS6detail17trampoline_kernelINS0_14default_configENS1_22reduce_config_selectorIiEEZNS1_11reduce_implILb1ES3_N6thrust23THRUST_200600_302600_NS10device_ptrIiEEPiiNS8_4plusIiEEEE10hipError_tPvRmT1_T2_T3_mT4_P12ihipStream_tbEUlT_E0_NS1_11comp_targetILNS1_3genE5ELNS1_11target_archE942ELNS1_3gpuE9ELNS1_3repE0EEENS1_30default_config_static_selectorELNS0_4arch9wavefront6targetE1EEEvSH_.private_seg_size, 0
	.set _ZN7rocprim17ROCPRIM_400000_NS6detail17trampoline_kernelINS0_14default_configENS1_22reduce_config_selectorIiEEZNS1_11reduce_implILb1ES3_N6thrust23THRUST_200600_302600_NS10device_ptrIiEEPiiNS8_4plusIiEEEE10hipError_tPvRmT1_T2_T3_mT4_P12ihipStream_tbEUlT_E0_NS1_11comp_targetILNS1_3genE5ELNS1_11target_archE942ELNS1_3gpuE9ELNS1_3repE0EEENS1_30default_config_static_selectorELNS0_4arch9wavefront6targetE1EEEvSH_.uses_vcc, 0
	.set _ZN7rocprim17ROCPRIM_400000_NS6detail17trampoline_kernelINS0_14default_configENS1_22reduce_config_selectorIiEEZNS1_11reduce_implILb1ES3_N6thrust23THRUST_200600_302600_NS10device_ptrIiEEPiiNS8_4plusIiEEEE10hipError_tPvRmT1_T2_T3_mT4_P12ihipStream_tbEUlT_E0_NS1_11comp_targetILNS1_3genE5ELNS1_11target_archE942ELNS1_3gpuE9ELNS1_3repE0EEENS1_30default_config_static_selectorELNS0_4arch9wavefront6targetE1EEEvSH_.uses_flat_scratch, 0
	.set _ZN7rocprim17ROCPRIM_400000_NS6detail17trampoline_kernelINS0_14default_configENS1_22reduce_config_selectorIiEEZNS1_11reduce_implILb1ES3_N6thrust23THRUST_200600_302600_NS10device_ptrIiEEPiiNS8_4plusIiEEEE10hipError_tPvRmT1_T2_T3_mT4_P12ihipStream_tbEUlT_E0_NS1_11comp_targetILNS1_3genE5ELNS1_11target_archE942ELNS1_3gpuE9ELNS1_3repE0EEENS1_30default_config_static_selectorELNS0_4arch9wavefront6targetE1EEEvSH_.has_dyn_sized_stack, 0
	.set _ZN7rocprim17ROCPRIM_400000_NS6detail17trampoline_kernelINS0_14default_configENS1_22reduce_config_selectorIiEEZNS1_11reduce_implILb1ES3_N6thrust23THRUST_200600_302600_NS10device_ptrIiEEPiiNS8_4plusIiEEEE10hipError_tPvRmT1_T2_T3_mT4_P12ihipStream_tbEUlT_E0_NS1_11comp_targetILNS1_3genE5ELNS1_11target_archE942ELNS1_3gpuE9ELNS1_3repE0EEENS1_30default_config_static_selectorELNS0_4arch9wavefront6targetE1EEEvSH_.has_recursion, 0
	.set _ZN7rocprim17ROCPRIM_400000_NS6detail17trampoline_kernelINS0_14default_configENS1_22reduce_config_selectorIiEEZNS1_11reduce_implILb1ES3_N6thrust23THRUST_200600_302600_NS10device_ptrIiEEPiiNS8_4plusIiEEEE10hipError_tPvRmT1_T2_T3_mT4_P12ihipStream_tbEUlT_E0_NS1_11comp_targetILNS1_3genE5ELNS1_11target_archE942ELNS1_3gpuE9ELNS1_3repE0EEENS1_30default_config_static_selectorELNS0_4arch9wavefront6targetE1EEEvSH_.has_indirect_call, 0
	.section	.AMDGPU.csdata,"",@progbits
; Kernel info:
; codeLenInByte = 0
; TotalNumSgprs: 6
; NumVgprs: 0
; NumAgprs: 0
; TotalNumVgprs: 0
; ScratchSize: 0
; MemoryBound: 0
; FloatMode: 240
; IeeeMode: 1
; LDSByteSize: 0 bytes/workgroup (compile time only)
; SGPRBlocks: 0
; VGPRBlocks: 0
; NumSGPRsForWavesPerEU: 6
; NumVGPRsForWavesPerEU: 1
; AccumOffset: 4
; Occupancy: 8
; WaveLimiterHint : 0
; COMPUTE_PGM_RSRC2:SCRATCH_EN: 0
; COMPUTE_PGM_RSRC2:USER_SGPR: 2
; COMPUTE_PGM_RSRC2:TRAP_HANDLER: 0
; COMPUTE_PGM_RSRC2:TGID_X_EN: 1
; COMPUTE_PGM_RSRC2:TGID_Y_EN: 0
; COMPUTE_PGM_RSRC2:TGID_Z_EN: 0
; COMPUTE_PGM_RSRC2:TIDIG_COMP_CNT: 0
; COMPUTE_PGM_RSRC3_GFX90A:ACCUM_OFFSET: 0
; COMPUTE_PGM_RSRC3_GFX90A:TG_SPLIT: 0
	.section	.text._ZN7rocprim17ROCPRIM_400000_NS6detail17trampoline_kernelINS0_14default_configENS1_22reduce_config_selectorIiEEZNS1_11reduce_implILb1ES3_N6thrust23THRUST_200600_302600_NS10device_ptrIiEEPiiNS8_4plusIiEEEE10hipError_tPvRmT1_T2_T3_mT4_P12ihipStream_tbEUlT_E0_NS1_11comp_targetILNS1_3genE4ELNS1_11target_archE910ELNS1_3gpuE8ELNS1_3repE0EEENS1_30default_config_static_selectorELNS0_4arch9wavefront6targetE1EEEvSH_,"axG",@progbits,_ZN7rocprim17ROCPRIM_400000_NS6detail17trampoline_kernelINS0_14default_configENS1_22reduce_config_selectorIiEEZNS1_11reduce_implILb1ES3_N6thrust23THRUST_200600_302600_NS10device_ptrIiEEPiiNS8_4plusIiEEEE10hipError_tPvRmT1_T2_T3_mT4_P12ihipStream_tbEUlT_E0_NS1_11comp_targetILNS1_3genE4ELNS1_11target_archE910ELNS1_3gpuE8ELNS1_3repE0EEENS1_30default_config_static_selectorELNS0_4arch9wavefront6targetE1EEEvSH_,comdat
	.protected	_ZN7rocprim17ROCPRIM_400000_NS6detail17trampoline_kernelINS0_14default_configENS1_22reduce_config_selectorIiEEZNS1_11reduce_implILb1ES3_N6thrust23THRUST_200600_302600_NS10device_ptrIiEEPiiNS8_4plusIiEEEE10hipError_tPvRmT1_T2_T3_mT4_P12ihipStream_tbEUlT_E0_NS1_11comp_targetILNS1_3genE4ELNS1_11target_archE910ELNS1_3gpuE8ELNS1_3repE0EEENS1_30default_config_static_selectorELNS0_4arch9wavefront6targetE1EEEvSH_ ; -- Begin function _ZN7rocprim17ROCPRIM_400000_NS6detail17trampoline_kernelINS0_14default_configENS1_22reduce_config_selectorIiEEZNS1_11reduce_implILb1ES3_N6thrust23THRUST_200600_302600_NS10device_ptrIiEEPiiNS8_4plusIiEEEE10hipError_tPvRmT1_T2_T3_mT4_P12ihipStream_tbEUlT_E0_NS1_11comp_targetILNS1_3genE4ELNS1_11target_archE910ELNS1_3gpuE8ELNS1_3repE0EEENS1_30default_config_static_selectorELNS0_4arch9wavefront6targetE1EEEvSH_
	.globl	_ZN7rocprim17ROCPRIM_400000_NS6detail17trampoline_kernelINS0_14default_configENS1_22reduce_config_selectorIiEEZNS1_11reduce_implILb1ES3_N6thrust23THRUST_200600_302600_NS10device_ptrIiEEPiiNS8_4plusIiEEEE10hipError_tPvRmT1_T2_T3_mT4_P12ihipStream_tbEUlT_E0_NS1_11comp_targetILNS1_3genE4ELNS1_11target_archE910ELNS1_3gpuE8ELNS1_3repE0EEENS1_30default_config_static_selectorELNS0_4arch9wavefront6targetE1EEEvSH_
	.p2align	8
	.type	_ZN7rocprim17ROCPRIM_400000_NS6detail17trampoline_kernelINS0_14default_configENS1_22reduce_config_selectorIiEEZNS1_11reduce_implILb1ES3_N6thrust23THRUST_200600_302600_NS10device_ptrIiEEPiiNS8_4plusIiEEEE10hipError_tPvRmT1_T2_T3_mT4_P12ihipStream_tbEUlT_E0_NS1_11comp_targetILNS1_3genE4ELNS1_11target_archE910ELNS1_3gpuE8ELNS1_3repE0EEENS1_30default_config_static_selectorELNS0_4arch9wavefront6targetE1EEEvSH_,@function
_ZN7rocprim17ROCPRIM_400000_NS6detail17trampoline_kernelINS0_14default_configENS1_22reduce_config_selectorIiEEZNS1_11reduce_implILb1ES3_N6thrust23THRUST_200600_302600_NS10device_ptrIiEEPiiNS8_4plusIiEEEE10hipError_tPvRmT1_T2_T3_mT4_P12ihipStream_tbEUlT_E0_NS1_11comp_targetILNS1_3genE4ELNS1_11target_archE910ELNS1_3gpuE8ELNS1_3repE0EEENS1_30default_config_static_selectorELNS0_4arch9wavefront6targetE1EEEvSH_: ; @_ZN7rocprim17ROCPRIM_400000_NS6detail17trampoline_kernelINS0_14default_configENS1_22reduce_config_selectorIiEEZNS1_11reduce_implILb1ES3_N6thrust23THRUST_200600_302600_NS10device_ptrIiEEPiiNS8_4plusIiEEEE10hipError_tPvRmT1_T2_T3_mT4_P12ihipStream_tbEUlT_E0_NS1_11comp_targetILNS1_3genE4ELNS1_11target_archE910ELNS1_3gpuE8ELNS1_3repE0EEENS1_30default_config_static_selectorELNS0_4arch9wavefront6targetE1EEEvSH_
; %bb.0:
	.section	.rodata,"a",@progbits
	.p2align	6, 0x0
	.amdhsa_kernel _ZN7rocprim17ROCPRIM_400000_NS6detail17trampoline_kernelINS0_14default_configENS1_22reduce_config_selectorIiEEZNS1_11reduce_implILb1ES3_N6thrust23THRUST_200600_302600_NS10device_ptrIiEEPiiNS8_4plusIiEEEE10hipError_tPvRmT1_T2_T3_mT4_P12ihipStream_tbEUlT_E0_NS1_11comp_targetILNS1_3genE4ELNS1_11target_archE910ELNS1_3gpuE8ELNS1_3repE0EEENS1_30default_config_static_selectorELNS0_4arch9wavefront6targetE1EEEvSH_
		.amdhsa_group_segment_fixed_size 0
		.amdhsa_private_segment_fixed_size 0
		.amdhsa_kernarg_size 56
		.amdhsa_user_sgpr_count 2
		.amdhsa_user_sgpr_dispatch_ptr 0
		.amdhsa_user_sgpr_queue_ptr 0
		.amdhsa_user_sgpr_kernarg_segment_ptr 1
		.amdhsa_user_sgpr_dispatch_id 0
		.amdhsa_user_sgpr_kernarg_preload_length 0
		.amdhsa_user_sgpr_kernarg_preload_offset 0
		.amdhsa_user_sgpr_private_segment_size 0
		.amdhsa_uses_dynamic_stack 0
		.amdhsa_enable_private_segment 0
		.amdhsa_system_sgpr_workgroup_id_x 1
		.amdhsa_system_sgpr_workgroup_id_y 0
		.amdhsa_system_sgpr_workgroup_id_z 0
		.amdhsa_system_sgpr_workgroup_info 0
		.amdhsa_system_vgpr_workitem_id 0
		.amdhsa_next_free_vgpr 1
		.amdhsa_next_free_sgpr 0
		.amdhsa_accum_offset 4
		.amdhsa_reserve_vcc 0
		.amdhsa_float_round_mode_32 0
		.amdhsa_float_round_mode_16_64 0
		.amdhsa_float_denorm_mode_32 3
		.amdhsa_float_denorm_mode_16_64 3
		.amdhsa_dx10_clamp 1
		.amdhsa_ieee_mode 1
		.amdhsa_fp16_overflow 0
		.amdhsa_tg_split 0
		.amdhsa_exception_fp_ieee_invalid_op 0
		.amdhsa_exception_fp_denorm_src 0
		.amdhsa_exception_fp_ieee_div_zero 0
		.amdhsa_exception_fp_ieee_overflow 0
		.amdhsa_exception_fp_ieee_underflow 0
		.amdhsa_exception_fp_ieee_inexact 0
		.amdhsa_exception_int_div_zero 0
	.end_amdhsa_kernel
	.section	.text._ZN7rocprim17ROCPRIM_400000_NS6detail17trampoline_kernelINS0_14default_configENS1_22reduce_config_selectorIiEEZNS1_11reduce_implILb1ES3_N6thrust23THRUST_200600_302600_NS10device_ptrIiEEPiiNS8_4plusIiEEEE10hipError_tPvRmT1_T2_T3_mT4_P12ihipStream_tbEUlT_E0_NS1_11comp_targetILNS1_3genE4ELNS1_11target_archE910ELNS1_3gpuE8ELNS1_3repE0EEENS1_30default_config_static_selectorELNS0_4arch9wavefront6targetE1EEEvSH_,"axG",@progbits,_ZN7rocprim17ROCPRIM_400000_NS6detail17trampoline_kernelINS0_14default_configENS1_22reduce_config_selectorIiEEZNS1_11reduce_implILb1ES3_N6thrust23THRUST_200600_302600_NS10device_ptrIiEEPiiNS8_4plusIiEEEE10hipError_tPvRmT1_T2_T3_mT4_P12ihipStream_tbEUlT_E0_NS1_11comp_targetILNS1_3genE4ELNS1_11target_archE910ELNS1_3gpuE8ELNS1_3repE0EEENS1_30default_config_static_selectorELNS0_4arch9wavefront6targetE1EEEvSH_,comdat
.Lfunc_end1129:
	.size	_ZN7rocprim17ROCPRIM_400000_NS6detail17trampoline_kernelINS0_14default_configENS1_22reduce_config_selectorIiEEZNS1_11reduce_implILb1ES3_N6thrust23THRUST_200600_302600_NS10device_ptrIiEEPiiNS8_4plusIiEEEE10hipError_tPvRmT1_T2_T3_mT4_P12ihipStream_tbEUlT_E0_NS1_11comp_targetILNS1_3genE4ELNS1_11target_archE910ELNS1_3gpuE8ELNS1_3repE0EEENS1_30default_config_static_selectorELNS0_4arch9wavefront6targetE1EEEvSH_, .Lfunc_end1129-_ZN7rocprim17ROCPRIM_400000_NS6detail17trampoline_kernelINS0_14default_configENS1_22reduce_config_selectorIiEEZNS1_11reduce_implILb1ES3_N6thrust23THRUST_200600_302600_NS10device_ptrIiEEPiiNS8_4plusIiEEEE10hipError_tPvRmT1_T2_T3_mT4_P12ihipStream_tbEUlT_E0_NS1_11comp_targetILNS1_3genE4ELNS1_11target_archE910ELNS1_3gpuE8ELNS1_3repE0EEENS1_30default_config_static_selectorELNS0_4arch9wavefront6targetE1EEEvSH_
                                        ; -- End function
	.set _ZN7rocprim17ROCPRIM_400000_NS6detail17trampoline_kernelINS0_14default_configENS1_22reduce_config_selectorIiEEZNS1_11reduce_implILb1ES3_N6thrust23THRUST_200600_302600_NS10device_ptrIiEEPiiNS8_4plusIiEEEE10hipError_tPvRmT1_T2_T3_mT4_P12ihipStream_tbEUlT_E0_NS1_11comp_targetILNS1_3genE4ELNS1_11target_archE910ELNS1_3gpuE8ELNS1_3repE0EEENS1_30default_config_static_selectorELNS0_4arch9wavefront6targetE1EEEvSH_.num_vgpr, 0
	.set _ZN7rocprim17ROCPRIM_400000_NS6detail17trampoline_kernelINS0_14default_configENS1_22reduce_config_selectorIiEEZNS1_11reduce_implILb1ES3_N6thrust23THRUST_200600_302600_NS10device_ptrIiEEPiiNS8_4plusIiEEEE10hipError_tPvRmT1_T2_T3_mT4_P12ihipStream_tbEUlT_E0_NS1_11comp_targetILNS1_3genE4ELNS1_11target_archE910ELNS1_3gpuE8ELNS1_3repE0EEENS1_30default_config_static_selectorELNS0_4arch9wavefront6targetE1EEEvSH_.num_agpr, 0
	.set _ZN7rocprim17ROCPRIM_400000_NS6detail17trampoline_kernelINS0_14default_configENS1_22reduce_config_selectorIiEEZNS1_11reduce_implILb1ES3_N6thrust23THRUST_200600_302600_NS10device_ptrIiEEPiiNS8_4plusIiEEEE10hipError_tPvRmT1_T2_T3_mT4_P12ihipStream_tbEUlT_E0_NS1_11comp_targetILNS1_3genE4ELNS1_11target_archE910ELNS1_3gpuE8ELNS1_3repE0EEENS1_30default_config_static_selectorELNS0_4arch9wavefront6targetE1EEEvSH_.numbered_sgpr, 0
	.set _ZN7rocprim17ROCPRIM_400000_NS6detail17trampoline_kernelINS0_14default_configENS1_22reduce_config_selectorIiEEZNS1_11reduce_implILb1ES3_N6thrust23THRUST_200600_302600_NS10device_ptrIiEEPiiNS8_4plusIiEEEE10hipError_tPvRmT1_T2_T3_mT4_P12ihipStream_tbEUlT_E0_NS1_11comp_targetILNS1_3genE4ELNS1_11target_archE910ELNS1_3gpuE8ELNS1_3repE0EEENS1_30default_config_static_selectorELNS0_4arch9wavefront6targetE1EEEvSH_.num_named_barrier, 0
	.set _ZN7rocprim17ROCPRIM_400000_NS6detail17trampoline_kernelINS0_14default_configENS1_22reduce_config_selectorIiEEZNS1_11reduce_implILb1ES3_N6thrust23THRUST_200600_302600_NS10device_ptrIiEEPiiNS8_4plusIiEEEE10hipError_tPvRmT1_T2_T3_mT4_P12ihipStream_tbEUlT_E0_NS1_11comp_targetILNS1_3genE4ELNS1_11target_archE910ELNS1_3gpuE8ELNS1_3repE0EEENS1_30default_config_static_selectorELNS0_4arch9wavefront6targetE1EEEvSH_.private_seg_size, 0
	.set _ZN7rocprim17ROCPRIM_400000_NS6detail17trampoline_kernelINS0_14default_configENS1_22reduce_config_selectorIiEEZNS1_11reduce_implILb1ES3_N6thrust23THRUST_200600_302600_NS10device_ptrIiEEPiiNS8_4plusIiEEEE10hipError_tPvRmT1_T2_T3_mT4_P12ihipStream_tbEUlT_E0_NS1_11comp_targetILNS1_3genE4ELNS1_11target_archE910ELNS1_3gpuE8ELNS1_3repE0EEENS1_30default_config_static_selectorELNS0_4arch9wavefront6targetE1EEEvSH_.uses_vcc, 0
	.set _ZN7rocprim17ROCPRIM_400000_NS6detail17trampoline_kernelINS0_14default_configENS1_22reduce_config_selectorIiEEZNS1_11reduce_implILb1ES3_N6thrust23THRUST_200600_302600_NS10device_ptrIiEEPiiNS8_4plusIiEEEE10hipError_tPvRmT1_T2_T3_mT4_P12ihipStream_tbEUlT_E0_NS1_11comp_targetILNS1_3genE4ELNS1_11target_archE910ELNS1_3gpuE8ELNS1_3repE0EEENS1_30default_config_static_selectorELNS0_4arch9wavefront6targetE1EEEvSH_.uses_flat_scratch, 0
	.set _ZN7rocprim17ROCPRIM_400000_NS6detail17trampoline_kernelINS0_14default_configENS1_22reduce_config_selectorIiEEZNS1_11reduce_implILb1ES3_N6thrust23THRUST_200600_302600_NS10device_ptrIiEEPiiNS8_4plusIiEEEE10hipError_tPvRmT1_T2_T3_mT4_P12ihipStream_tbEUlT_E0_NS1_11comp_targetILNS1_3genE4ELNS1_11target_archE910ELNS1_3gpuE8ELNS1_3repE0EEENS1_30default_config_static_selectorELNS0_4arch9wavefront6targetE1EEEvSH_.has_dyn_sized_stack, 0
	.set _ZN7rocprim17ROCPRIM_400000_NS6detail17trampoline_kernelINS0_14default_configENS1_22reduce_config_selectorIiEEZNS1_11reduce_implILb1ES3_N6thrust23THRUST_200600_302600_NS10device_ptrIiEEPiiNS8_4plusIiEEEE10hipError_tPvRmT1_T2_T3_mT4_P12ihipStream_tbEUlT_E0_NS1_11comp_targetILNS1_3genE4ELNS1_11target_archE910ELNS1_3gpuE8ELNS1_3repE0EEENS1_30default_config_static_selectorELNS0_4arch9wavefront6targetE1EEEvSH_.has_recursion, 0
	.set _ZN7rocprim17ROCPRIM_400000_NS6detail17trampoline_kernelINS0_14default_configENS1_22reduce_config_selectorIiEEZNS1_11reduce_implILb1ES3_N6thrust23THRUST_200600_302600_NS10device_ptrIiEEPiiNS8_4plusIiEEEE10hipError_tPvRmT1_T2_T3_mT4_P12ihipStream_tbEUlT_E0_NS1_11comp_targetILNS1_3genE4ELNS1_11target_archE910ELNS1_3gpuE8ELNS1_3repE0EEENS1_30default_config_static_selectorELNS0_4arch9wavefront6targetE1EEEvSH_.has_indirect_call, 0
	.section	.AMDGPU.csdata,"",@progbits
; Kernel info:
; codeLenInByte = 0
; TotalNumSgprs: 6
; NumVgprs: 0
; NumAgprs: 0
; TotalNumVgprs: 0
; ScratchSize: 0
; MemoryBound: 0
; FloatMode: 240
; IeeeMode: 1
; LDSByteSize: 0 bytes/workgroup (compile time only)
; SGPRBlocks: 0
; VGPRBlocks: 0
; NumSGPRsForWavesPerEU: 6
; NumVGPRsForWavesPerEU: 1
; AccumOffset: 4
; Occupancy: 8
; WaveLimiterHint : 0
; COMPUTE_PGM_RSRC2:SCRATCH_EN: 0
; COMPUTE_PGM_RSRC2:USER_SGPR: 2
; COMPUTE_PGM_RSRC2:TRAP_HANDLER: 0
; COMPUTE_PGM_RSRC2:TGID_X_EN: 1
; COMPUTE_PGM_RSRC2:TGID_Y_EN: 0
; COMPUTE_PGM_RSRC2:TGID_Z_EN: 0
; COMPUTE_PGM_RSRC2:TIDIG_COMP_CNT: 0
; COMPUTE_PGM_RSRC3_GFX90A:ACCUM_OFFSET: 0
; COMPUTE_PGM_RSRC3_GFX90A:TG_SPLIT: 0
	.section	.text._ZN7rocprim17ROCPRIM_400000_NS6detail17trampoline_kernelINS0_14default_configENS1_22reduce_config_selectorIiEEZNS1_11reduce_implILb1ES3_N6thrust23THRUST_200600_302600_NS10device_ptrIiEEPiiNS8_4plusIiEEEE10hipError_tPvRmT1_T2_T3_mT4_P12ihipStream_tbEUlT_E0_NS1_11comp_targetILNS1_3genE3ELNS1_11target_archE908ELNS1_3gpuE7ELNS1_3repE0EEENS1_30default_config_static_selectorELNS0_4arch9wavefront6targetE1EEEvSH_,"axG",@progbits,_ZN7rocprim17ROCPRIM_400000_NS6detail17trampoline_kernelINS0_14default_configENS1_22reduce_config_selectorIiEEZNS1_11reduce_implILb1ES3_N6thrust23THRUST_200600_302600_NS10device_ptrIiEEPiiNS8_4plusIiEEEE10hipError_tPvRmT1_T2_T3_mT4_P12ihipStream_tbEUlT_E0_NS1_11comp_targetILNS1_3genE3ELNS1_11target_archE908ELNS1_3gpuE7ELNS1_3repE0EEENS1_30default_config_static_selectorELNS0_4arch9wavefront6targetE1EEEvSH_,comdat
	.protected	_ZN7rocprim17ROCPRIM_400000_NS6detail17trampoline_kernelINS0_14default_configENS1_22reduce_config_selectorIiEEZNS1_11reduce_implILb1ES3_N6thrust23THRUST_200600_302600_NS10device_ptrIiEEPiiNS8_4plusIiEEEE10hipError_tPvRmT1_T2_T3_mT4_P12ihipStream_tbEUlT_E0_NS1_11comp_targetILNS1_3genE3ELNS1_11target_archE908ELNS1_3gpuE7ELNS1_3repE0EEENS1_30default_config_static_selectorELNS0_4arch9wavefront6targetE1EEEvSH_ ; -- Begin function _ZN7rocprim17ROCPRIM_400000_NS6detail17trampoline_kernelINS0_14default_configENS1_22reduce_config_selectorIiEEZNS1_11reduce_implILb1ES3_N6thrust23THRUST_200600_302600_NS10device_ptrIiEEPiiNS8_4plusIiEEEE10hipError_tPvRmT1_T2_T3_mT4_P12ihipStream_tbEUlT_E0_NS1_11comp_targetILNS1_3genE3ELNS1_11target_archE908ELNS1_3gpuE7ELNS1_3repE0EEENS1_30default_config_static_selectorELNS0_4arch9wavefront6targetE1EEEvSH_
	.globl	_ZN7rocprim17ROCPRIM_400000_NS6detail17trampoline_kernelINS0_14default_configENS1_22reduce_config_selectorIiEEZNS1_11reduce_implILb1ES3_N6thrust23THRUST_200600_302600_NS10device_ptrIiEEPiiNS8_4plusIiEEEE10hipError_tPvRmT1_T2_T3_mT4_P12ihipStream_tbEUlT_E0_NS1_11comp_targetILNS1_3genE3ELNS1_11target_archE908ELNS1_3gpuE7ELNS1_3repE0EEENS1_30default_config_static_selectorELNS0_4arch9wavefront6targetE1EEEvSH_
	.p2align	8
	.type	_ZN7rocprim17ROCPRIM_400000_NS6detail17trampoline_kernelINS0_14default_configENS1_22reduce_config_selectorIiEEZNS1_11reduce_implILb1ES3_N6thrust23THRUST_200600_302600_NS10device_ptrIiEEPiiNS8_4plusIiEEEE10hipError_tPvRmT1_T2_T3_mT4_P12ihipStream_tbEUlT_E0_NS1_11comp_targetILNS1_3genE3ELNS1_11target_archE908ELNS1_3gpuE7ELNS1_3repE0EEENS1_30default_config_static_selectorELNS0_4arch9wavefront6targetE1EEEvSH_,@function
_ZN7rocprim17ROCPRIM_400000_NS6detail17trampoline_kernelINS0_14default_configENS1_22reduce_config_selectorIiEEZNS1_11reduce_implILb1ES3_N6thrust23THRUST_200600_302600_NS10device_ptrIiEEPiiNS8_4plusIiEEEE10hipError_tPvRmT1_T2_T3_mT4_P12ihipStream_tbEUlT_E0_NS1_11comp_targetILNS1_3genE3ELNS1_11target_archE908ELNS1_3gpuE7ELNS1_3repE0EEENS1_30default_config_static_selectorELNS0_4arch9wavefront6targetE1EEEvSH_: ; @_ZN7rocprim17ROCPRIM_400000_NS6detail17trampoline_kernelINS0_14default_configENS1_22reduce_config_selectorIiEEZNS1_11reduce_implILb1ES3_N6thrust23THRUST_200600_302600_NS10device_ptrIiEEPiiNS8_4plusIiEEEE10hipError_tPvRmT1_T2_T3_mT4_P12ihipStream_tbEUlT_E0_NS1_11comp_targetILNS1_3genE3ELNS1_11target_archE908ELNS1_3gpuE7ELNS1_3repE0EEENS1_30default_config_static_selectorELNS0_4arch9wavefront6targetE1EEEvSH_
; %bb.0:
	.section	.rodata,"a",@progbits
	.p2align	6, 0x0
	.amdhsa_kernel _ZN7rocprim17ROCPRIM_400000_NS6detail17trampoline_kernelINS0_14default_configENS1_22reduce_config_selectorIiEEZNS1_11reduce_implILb1ES3_N6thrust23THRUST_200600_302600_NS10device_ptrIiEEPiiNS8_4plusIiEEEE10hipError_tPvRmT1_T2_T3_mT4_P12ihipStream_tbEUlT_E0_NS1_11comp_targetILNS1_3genE3ELNS1_11target_archE908ELNS1_3gpuE7ELNS1_3repE0EEENS1_30default_config_static_selectorELNS0_4arch9wavefront6targetE1EEEvSH_
		.amdhsa_group_segment_fixed_size 0
		.amdhsa_private_segment_fixed_size 0
		.amdhsa_kernarg_size 56
		.amdhsa_user_sgpr_count 2
		.amdhsa_user_sgpr_dispatch_ptr 0
		.amdhsa_user_sgpr_queue_ptr 0
		.amdhsa_user_sgpr_kernarg_segment_ptr 1
		.amdhsa_user_sgpr_dispatch_id 0
		.amdhsa_user_sgpr_kernarg_preload_length 0
		.amdhsa_user_sgpr_kernarg_preload_offset 0
		.amdhsa_user_sgpr_private_segment_size 0
		.amdhsa_uses_dynamic_stack 0
		.amdhsa_enable_private_segment 0
		.amdhsa_system_sgpr_workgroup_id_x 1
		.amdhsa_system_sgpr_workgroup_id_y 0
		.amdhsa_system_sgpr_workgroup_id_z 0
		.amdhsa_system_sgpr_workgroup_info 0
		.amdhsa_system_vgpr_workitem_id 0
		.amdhsa_next_free_vgpr 1
		.amdhsa_next_free_sgpr 0
		.amdhsa_accum_offset 4
		.amdhsa_reserve_vcc 0
		.amdhsa_float_round_mode_32 0
		.amdhsa_float_round_mode_16_64 0
		.amdhsa_float_denorm_mode_32 3
		.amdhsa_float_denorm_mode_16_64 3
		.amdhsa_dx10_clamp 1
		.amdhsa_ieee_mode 1
		.amdhsa_fp16_overflow 0
		.amdhsa_tg_split 0
		.amdhsa_exception_fp_ieee_invalid_op 0
		.amdhsa_exception_fp_denorm_src 0
		.amdhsa_exception_fp_ieee_div_zero 0
		.amdhsa_exception_fp_ieee_overflow 0
		.amdhsa_exception_fp_ieee_underflow 0
		.amdhsa_exception_fp_ieee_inexact 0
		.amdhsa_exception_int_div_zero 0
	.end_amdhsa_kernel
	.section	.text._ZN7rocprim17ROCPRIM_400000_NS6detail17trampoline_kernelINS0_14default_configENS1_22reduce_config_selectorIiEEZNS1_11reduce_implILb1ES3_N6thrust23THRUST_200600_302600_NS10device_ptrIiEEPiiNS8_4plusIiEEEE10hipError_tPvRmT1_T2_T3_mT4_P12ihipStream_tbEUlT_E0_NS1_11comp_targetILNS1_3genE3ELNS1_11target_archE908ELNS1_3gpuE7ELNS1_3repE0EEENS1_30default_config_static_selectorELNS0_4arch9wavefront6targetE1EEEvSH_,"axG",@progbits,_ZN7rocprim17ROCPRIM_400000_NS6detail17trampoline_kernelINS0_14default_configENS1_22reduce_config_selectorIiEEZNS1_11reduce_implILb1ES3_N6thrust23THRUST_200600_302600_NS10device_ptrIiEEPiiNS8_4plusIiEEEE10hipError_tPvRmT1_T2_T3_mT4_P12ihipStream_tbEUlT_E0_NS1_11comp_targetILNS1_3genE3ELNS1_11target_archE908ELNS1_3gpuE7ELNS1_3repE0EEENS1_30default_config_static_selectorELNS0_4arch9wavefront6targetE1EEEvSH_,comdat
.Lfunc_end1130:
	.size	_ZN7rocprim17ROCPRIM_400000_NS6detail17trampoline_kernelINS0_14default_configENS1_22reduce_config_selectorIiEEZNS1_11reduce_implILb1ES3_N6thrust23THRUST_200600_302600_NS10device_ptrIiEEPiiNS8_4plusIiEEEE10hipError_tPvRmT1_T2_T3_mT4_P12ihipStream_tbEUlT_E0_NS1_11comp_targetILNS1_3genE3ELNS1_11target_archE908ELNS1_3gpuE7ELNS1_3repE0EEENS1_30default_config_static_selectorELNS0_4arch9wavefront6targetE1EEEvSH_, .Lfunc_end1130-_ZN7rocprim17ROCPRIM_400000_NS6detail17trampoline_kernelINS0_14default_configENS1_22reduce_config_selectorIiEEZNS1_11reduce_implILb1ES3_N6thrust23THRUST_200600_302600_NS10device_ptrIiEEPiiNS8_4plusIiEEEE10hipError_tPvRmT1_T2_T3_mT4_P12ihipStream_tbEUlT_E0_NS1_11comp_targetILNS1_3genE3ELNS1_11target_archE908ELNS1_3gpuE7ELNS1_3repE0EEENS1_30default_config_static_selectorELNS0_4arch9wavefront6targetE1EEEvSH_
                                        ; -- End function
	.set _ZN7rocprim17ROCPRIM_400000_NS6detail17trampoline_kernelINS0_14default_configENS1_22reduce_config_selectorIiEEZNS1_11reduce_implILb1ES3_N6thrust23THRUST_200600_302600_NS10device_ptrIiEEPiiNS8_4plusIiEEEE10hipError_tPvRmT1_T2_T3_mT4_P12ihipStream_tbEUlT_E0_NS1_11comp_targetILNS1_3genE3ELNS1_11target_archE908ELNS1_3gpuE7ELNS1_3repE0EEENS1_30default_config_static_selectorELNS0_4arch9wavefront6targetE1EEEvSH_.num_vgpr, 0
	.set _ZN7rocprim17ROCPRIM_400000_NS6detail17trampoline_kernelINS0_14default_configENS1_22reduce_config_selectorIiEEZNS1_11reduce_implILb1ES3_N6thrust23THRUST_200600_302600_NS10device_ptrIiEEPiiNS8_4plusIiEEEE10hipError_tPvRmT1_T2_T3_mT4_P12ihipStream_tbEUlT_E0_NS1_11comp_targetILNS1_3genE3ELNS1_11target_archE908ELNS1_3gpuE7ELNS1_3repE0EEENS1_30default_config_static_selectorELNS0_4arch9wavefront6targetE1EEEvSH_.num_agpr, 0
	.set _ZN7rocprim17ROCPRIM_400000_NS6detail17trampoline_kernelINS0_14default_configENS1_22reduce_config_selectorIiEEZNS1_11reduce_implILb1ES3_N6thrust23THRUST_200600_302600_NS10device_ptrIiEEPiiNS8_4plusIiEEEE10hipError_tPvRmT1_T2_T3_mT4_P12ihipStream_tbEUlT_E0_NS1_11comp_targetILNS1_3genE3ELNS1_11target_archE908ELNS1_3gpuE7ELNS1_3repE0EEENS1_30default_config_static_selectorELNS0_4arch9wavefront6targetE1EEEvSH_.numbered_sgpr, 0
	.set _ZN7rocprim17ROCPRIM_400000_NS6detail17trampoline_kernelINS0_14default_configENS1_22reduce_config_selectorIiEEZNS1_11reduce_implILb1ES3_N6thrust23THRUST_200600_302600_NS10device_ptrIiEEPiiNS8_4plusIiEEEE10hipError_tPvRmT1_T2_T3_mT4_P12ihipStream_tbEUlT_E0_NS1_11comp_targetILNS1_3genE3ELNS1_11target_archE908ELNS1_3gpuE7ELNS1_3repE0EEENS1_30default_config_static_selectorELNS0_4arch9wavefront6targetE1EEEvSH_.num_named_barrier, 0
	.set _ZN7rocprim17ROCPRIM_400000_NS6detail17trampoline_kernelINS0_14default_configENS1_22reduce_config_selectorIiEEZNS1_11reduce_implILb1ES3_N6thrust23THRUST_200600_302600_NS10device_ptrIiEEPiiNS8_4plusIiEEEE10hipError_tPvRmT1_T2_T3_mT4_P12ihipStream_tbEUlT_E0_NS1_11comp_targetILNS1_3genE3ELNS1_11target_archE908ELNS1_3gpuE7ELNS1_3repE0EEENS1_30default_config_static_selectorELNS0_4arch9wavefront6targetE1EEEvSH_.private_seg_size, 0
	.set _ZN7rocprim17ROCPRIM_400000_NS6detail17trampoline_kernelINS0_14default_configENS1_22reduce_config_selectorIiEEZNS1_11reduce_implILb1ES3_N6thrust23THRUST_200600_302600_NS10device_ptrIiEEPiiNS8_4plusIiEEEE10hipError_tPvRmT1_T2_T3_mT4_P12ihipStream_tbEUlT_E0_NS1_11comp_targetILNS1_3genE3ELNS1_11target_archE908ELNS1_3gpuE7ELNS1_3repE0EEENS1_30default_config_static_selectorELNS0_4arch9wavefront6targetE1EEEvSH_.uses_vcc, 0
	.set _ZN7rocprim17ROCPRIM_400000_NS6detail17trampoline_kernelINS0_14default_configENS1_22reduce_config_selectorIiEEZNS1_11reduce_implILb1ES3_N6thrust23THRUST_200600_302600_NS10device_ptrIiEEPiiNS8_4plusIiEEEE10hipError_tPvRmT1_T2_T3_mT4_P12ihipStream_tbEUlT_E0_NS1_11comp_targetILNS1_3genE3ELNS1_11target_archE908ELNS1_3gpuE7ELNS1_3repE0EEENS1_30default_config_static_selectorELNS0_4arch9wavefront6targetE1EEEvSH_.uses_flat_scratch, 0
	.set _ZN7rocprim17ROCPRIM_400000_NS6detail17trampoline_kernelINS0_14default_configENS1_22reduce_config_selectorIiEEZNS1_11reduce_implILb1ES3_N6thrust23THRUST_200600_302600_NS10device_ptrIiEEPiiNS8_4plusIiEEEE10hipError_tPvRmT1_T2_T3_mT4_P12ihipStream_tbEUlT_E0_NS1_11comp_targetILNS1_3genE3ELNS1_11target_archE908ELNS1_3gpuE7ELNS1_3repE0EEENS1_30default_config_static_selectorELNS0_4arch9wavefront6targetE1EEEvSH_.has_dyn_sized_stack, 0
	.set _ZN7rocprim17ROCPRIM_400000_NS6detail17trampoline_kernelINS0_14default_configENS1_22reduce_config_selectorIiEEZNS1_11reduce_implILb1ES3_N6thrust23THRUST_200600_302600_NS10device_ptrIiEEPiiNS8_4plusIiEEEE10hipError_tPvRmT1_T2_T3_mT4_P12ihipStream_tbEUlT_E0_NS1_11comp_targetILNS1_3genE3ELNS1_11target_archE908ELNS1_3gpuE7ELNS1_3repE0EEENS1_30default_config_static_selectorELNS0_4arch9wavefront6targetE1EEEvSH_.has_recursion, 0
	.set _ZN7rocprim17ROCPRIM_400000_NS6detail17trampoline_kernelINS0_14default_configENS1_22reduce_config_selectorIiEEZNS1_11reduce_implILb1ES3_N6thrust23THRUST_200600_302600_NS10device_ptrIiEEPiiNS8_4plusIiEEEE10hipError_tPvRmT1_T2_T3_mT4_P12ihipStream_tbEUlT_E0_NS1_11comp_targetILNS1_3genE3ELNS1_11target_archE908ELNS1_3gpuE7ELNS1_3repE0EEENS1_30default_config_static_selectorELNS0_4arch9wavefront6targetE1EEEvSH_.has_indirect_call, 0
	.section	.AMDGPU.csdata,"",@progbits
; Kernel info:
; codeLenInByte = 0
; TotalNumSgprs: 6
; NumVgprs: 0
; NumAgprs: 0
; TotalNumVgprs: 0
; ScratchSize: 0
; MemoryBound: 0
; FloatMode: 240
; IeeeMode: 1
; LDSByteSize: 0 bytes/workgroup (compile time only)
; SGPRBlocks: 0
; VGPRBlocks: 0
; NumSGPRsForWavesPerEU: 6
; NumVGPRsForWavesPerEU: 1
; AccumOffset: 4
; Occupancy: 8
; WaveLimiterHint : 0
; COMPUTE_PGM_RSRC2:SCRATCH_EN: 0
; COMPUTE_PGM_RSRC2:USER_SGPR: 2
; COMPUTE_PGM_RSRC2:TRAP_HANDLER: 0
; COMPUTE_PGM_RSRC2:TGID_X_EN: 1
; COMPUTE_PGM_RSRC2:TGID_Y_EN: 0
; COMPUTE_PGM_RSRC2:TGID_Z_EN: 0
; COMPUTE_PGM_RSRC2:TIDIG_COMP_CNT: 0
; COMPUTE_PGM_RSRC3_GFX90A:ACCUM_OFFSET: 0
; COMPUTE_PGM_RSRC3_GFX90A:TG_SPLIT: 0
	.section	.text._ZN7rocprim17ROCPRIM_400000_NS6detail17trampoline_kernelINS0_14default_configENS1_22reduce_config_selectorIiEEZNS1_11reduce_implILb1ES3_N6thrust23THRUST_200600_302600_NS10device_ptrIiEEPiiNS8_4plusIiEEEE10hipError_tPvRmT1_T2_T3_mT4_P12ihipStream_tbEUlT_E0_NS1_11comp_targetILNS1_3genE2ELNS1_11target_archE906ELNS1_3gpuE6ELNS1_3repE0EEENS1_30default_config_static_selectorELNS0_4arch9wavefront6targetE1EEEvSH_,"axG",@progbits,_ZN7rocprim17ROCPRIM_400000_NS6detail17trampoline_kernelINS0_14default_configENS1_22reduce_config_selectorIiEEZNS1_11reduce_implILb1ES3_N6thrust23THRUST_200600_302600_NS10device_ptrIiEEPiiNS8_4plusIiEEEE10hipError_tPvRmT1_T2_T3_mT4_P12ihipStream_tbEUlT_E0_NS1_11comp_targetILNS1_3genE2ELNS1_11target_archE906ELNS1_3gpuE6ELNS1_3repE0EEENS1_30default_config_static_selectorELNS0_4arch9wavefront6targetE1EEEvSH_,comdat
	.protected	_ZN7rocprim17ROCPRIM_400000_NS6detail17trampoline_kernelINS0_14default_configENS1_22reduce_config_selectorIiEEZNS1_11reduce_implILb1ES3_N6thrust23THRUST_200600_302600_NS10device_ptrIiEEPiiNS8_4plusIiEEEE10hipError_tPvRmT1_T2_T3_mT4_P12ihipStream_tbEUlT_E0_NS1_11comp_targetILNS1_3genE2ELNS1_11target_archE906ELNS1_3gpuE6ELNS1_3repE0EEENS1_30default_config_static_selectorELNS0_4arch9wavefront6targetE1EEEvSH_ ; -- Begin function _ZN7rocprim17ROCPRIM_400000_NS6detail17trampoline_kernelINS0_14default_configENS1_22reduce_config_selectorIiEEZNS1_11reduce_implILb1ES3_N6thrust23THRUST_200600_302600_NS10device_ptrIiEEPiiNS8_4plusIiEEEE10hipError_tPvRmT1_T2_T3_mT4_P12ihipStream_tbEUlT_E0_NS1_11comp_targetILNS1_3genE2ELNS1_11target_archE906ELNS1_3gpuE6ELNS1_3repE0EEENS1_30default_config_static_selectorELNS0_4arch9wavefront6targetE1EEEvSH_
	.globl	_ZN7rocprim17ROCPRIM_400000_NS6detail17trampoline_kernelINS0_14default_configENS1_22reduce_config_selectorIiEEZNS1_11reduce_implILb1ES3_N6thrust23THRUST_200600_302600_NS10device_ptrIiEEPiiNS8_4plusIiEEEE10hipError_tPvRmT1_T2_T3_mT4_P12ihipStream_tbEUlT_E0_NS1_11comp_targetILNS1_3genE2ELNS1_11target_archE906ELNS1_3gpuE6ELNS1_3repE0EEENS1_30default_config_static_selectorELNS0_4arch9wavefront6targetE1EEEvSH_
	.p2align	8
	.type	_ZN7rocprim17ROCPRIM_400000_NS6detail17trampoline_kernelINS0_14default_configENS1_22reduce_config_selectorIiEEZNS1_11reduce_implILb1ES3_N6thrust23THRUST_200600_302600_NS10device_ptrIiEEPiiNS8_4plusIiEEEE10hipError_tPvRmT1_T2_T3_mT4_P12ihipStream_tbEUlT_E0_NS1_11comp_targetILNS1_3genE2ELNS1_11target_archE906ELNS1_3gpuE6ELNS1_3repE0EEENS1_30default_config_static_selectorELNS0_4arch9wavefront6targetE1EEEvSH_,@function
_ZN7rocprim17ROCPRIM_400000_NS6detail17trampoline_kernelINS0_14default_configENS1_22reduce_config_selectorIiEEZNS1_11reduce_implILb1ES3_N6thrust23THRUST_200600_302600_NS10device_ptrIiEEPiiNS8_4plusIiEEEE10hipError_tPvRmT1_T2_T3_mT4_P12ihipStream_tbEUlT_E0_NS1_11comp_targetILNS1_3genE2ELNS1_11target_archE906ELNS1_3gpuE6ELNS1_3repE0EEENS1_30default_config_static_selectorELNS0_4arch9wavefront6targetE1EEEvSH_: ; @_ZN7rocprim17ROCPRIM_400000_NS6detail17trampoline_kernelINS0_14default_configENS1_22reduce_config_selectorIiEEZNS1_11reduce_implILb1ES3_N6thrust23THRUST_200600_302600_NS10device_ptrIiEEPiiNS8_4plusIiEEEE10hipError_tPvRmT1_T2_T3_mT4_P12ihipStream_tbEUlT_E0_NS1_11comp_targetILNS1_3genE2ELNS1_11target_archE906ELNS1_3gpuE6ELNS1_3repE0EEENS1_30default_config_static_selectorELNS0_4arch9wavefront6targetE1EEEvSH_
; %bb.0:
	.section	.rodata,"a",@progbits
	.p2align	6, 0x0
	.amdhsa_kernel _ZN7rocprim17ROCPRIM_400000_NS6detail17trampoline_kernelINS0_14default_configENS1_22reduce_config_selectorIiEEZNS1_11reduce_implILb1ES3_N6thrust23THRUST_200600_302600_NS10device_ptrIiEEPiiNS8_4plusIiEEEE10hipError_tPvRmT1_T2_T3_mT4_P12ihipStream_tbEUlT_E0_NS1_11comp_targetILNS1_3genE2ELNS1_11target_archE906ELNS1_3gpuE6ELNS1_3repE0EEENS1_30default_config_static_selectorELNS0_4arch9wavefront6targetE1EEEvSH_
		.amdhsa_group_segment_fixed_size 0
		.amdhsa_private_segment_fixed_size 0
		.amdhsa_kernarg_size 56
		.amdhsa_user_sgpr_count 2
		.amdhsa_user_sgpr_dispatch_ptr 0
		.amdhsa_user_sgpr_queue_ptr 0
		.amdhsa_user_sgpr_kernarg_segment_ptr 1
		.amdhsa_user_sgpr_dispatch_id 0
		.amdhsa_user_sgpr_kernarg_preload_length 0
		.amdhsa_user_sgpr_kernarg_preload_offset 0
		.amdhsa_user_sgpr_private_segment_size 0
		.amdhsa_uses_dynamic_stack 0
		.amdhsa_enable_private_segment 0
		.amdhsa_system_sgpr_workgroup_id_x 1
		.amdhsa_system_sgpr_workgroup_id_y 0
		.amdhsa_system_sgpr_workgroup_id_z 0
		.amdhsa_system_sgpr_workgroup_info 0
		.amdhsa_system_vgpr_workitem_id 0
		.amdhsa_next_free_vgpr 1
		.amdhsa_next_free_sgpr 0
		.amdhsa_accum_offset 4
		.amdhsa_reserve_vcc 0
		.amdhsa_float_round_mode_32 0
		.amdhsa_float_round_mode_16_64 0
		.amdhsa_float_denorm_mode_32 3
		.amdhsa_float_denorm_mode_16_64 3
		.amdhsa_dx10_clamp 1
		.amdhsa_ieee_mode 1
		.amdhsa_fp16_overflow 0
		.amdhsa_tg_split 0
		.amdhsa_exception_fp_ieee_invalid_op 0
		.amdhsa_exception_fp_denorm_src 0
		.amdhsa_exception_fp_ieee_div_zero 0
		.amdhsa_exception_fp_ieee_overflow 0
		.amdhsa_exception_fp_ieee_underflow 0
		.amdhsa_exception_fp_ieee_inexact 0
		.amdhsa_exception_int_div_zero 0
	.end_amdhsa_kernel
	.section	.text._ZN7rocprim17ROCPRIM_400000_NS6detail17trampoline_kernelINS0_14default_configENS1_22reduce_config_selectorIiEEZNS1_11reduce_implILb1ES3_N6thrust23THRUST_200600_302600_NS10device_ptrIiEEPiiNS8_4plusIiEEEE10hipError_tPvRmT1_T2_T3_mT4_P12ihipStream_tbEUlT_E0_NS1_11comp_targetILNS1_3genE2ELNS1_11target_archE906ELNS1_3gpuE6ELNS1_3repE0EEENS1_30default_config_static_selectorELNS0_4arch9wavefront6targetE1EEEvSH_,"axG",@progbits,_ZN7rocprim17ROCPRIM_400000_NS6detail17trampoline_kernelINS0_14default_configENS1_22reduce_config_selectorIiEEZNS1_11reduce_implILb1ES3_N6thrust23THRUST_200600_302600_NS10device_ptrIiEEPiiNS8_4plusIiEEEE10hipError_tPvRmT1_T2_T3_mT4_P12ihipStream_tbEUlT_E0_NS1_11comp_targetILNS1_3genE2ELNS1_11target_archE906ELNS1_3gpuE6ELNS1_3repE0EEENS1_30default_config_static_selectorELNS0_4arch9wavefront6targetE1EEEvSH_,comdat
.Lfunc_end1131:
	.size	_ZN7rocprim17ROCPRIM_400000_NS6detail17trampoline_kernelINS0_14default_configENS1_22reduce_config_selectorIiEEZNS1_11reduce_implILb1ES3_N6thrust23THRUST_200600_302600_NS10device_ptrIiEEPiiNS8_4plusIiEEEE10hipError_tPvRmT1_T2_T3_mT4_P12ihipStream_tbEUlT_E0_NS1_11comp_targetILNS1_3genE2ELNS1_11target_archE906ELNS1_3gpuE6ELNS1_3repE0EEENS1_30default_config_static_selectorELNS0_4arch9wavefront6targetE1EEEvSH_, .Lfunc_end1131-_ZN7rocprim17ROCPRIM_400000_NS6detail17trampoline_kernelINS0_14default_configENS1_22reduce_config_selectorIiEEZNS1_11reduce_implILb1ES3_N6thrust23THRUST_200600_302600_NS10device_ptrIiEEPiiNS8_4plusIiEEEE10hipError_tPvRmT1_T2_T3_mT4_P12ihipStream_tbEUlT_E0_NS1_11comp_targetILNS1_3genE2ELNS1_11target_archE906ELNS1_3gpuE6ELNS1_3repE0EEENS1_30default_config_static_selectorELNS0_4arch9wavefront6targetE1EEEvSH_
                                        ; -- End function
	.set _ZN7rocprim17ROCPRIM_400000_NS6detail17trampoline_kernelINS0_14default_configENS1_22reduce_config_selectorIiEEZNS1_11reduce_implILb1ES3_N6thrust23THRUST_200600_302600_NS10device_ptrIiEEPiiNS8_4plusIiEEEE10hipError_tPvRmT1_T2_T3_mT4_P12ihipStream_tbEUlT_E0_NS1_11comp_targetILNS1_3genE2ELNS1_11target_archE906ELNS1_3gpuE6ELNS1_3repE0EEENS1_30default_config_static_selectorELNS0_4arch9wavefront6targetE1EEEvSH_.num_vgpr, 0
	.set _ZN7rocprim17ROCPRIM_400000_NS6detail17trampoline_kernelINS0_14default_configENS1_22reduce_config_selectorIiEEZNS1_11reduce_implILb1ES3_N6thrust23THRUST_200600_302600_NS10device_ptrIiEEPiiNS8_4plusIiEEEE10hipError_tPvRmT1_T2_T3_mT4_P12ihipStream_tbEUlT_E0_NS1_11comp_targetILNS1_3genE2ELNS1_11target_archE906ELNS1_3gpuE6ELNS1_3repE0EEENS1_30default_config_static_selectorELNS0_4arch9wavefront6targetE1EEEvSH_.num_agpr, 0
	.set _ZN7rocprim17ROCPRIM_400000_NS6detail17trampoline_kernelINS0_14default_configENS1_22reduce_config_selectorIiEEZNS1_11reduce_implILb1ES3_N6thrust23THRUST_200600_302600_NS10device_ptrIiEEPiiNS8_4plusIiEEEE10hipError_tPvRmT1_T2_T3_mT4_P12ihipStream_tbEUlT_E0_NS1_11comp_targetILNS1_3genE2ELNS1_11target_archE906ELNS1_3gpuE6ELNS1_3repE0EEENS1_30default_config_static_selectorELNS0_4arch9wavefront6targetE1EEEvSH_.numbered_sgpr, 0
	.set _ZN7rocprim17ROCPRIM_400000_NS6detail17trampoline_kernelINS0_14default_configENS1_22reduce_config_selectorIiEEZNS1_11reduce_implILb1ES3_N6thrust23THRUST_200600_302600_NS10device_ptrIiEEPiiNS8_4plusIiEEEE10hipError_tPvRmT1_T2_T3_mT4_P12ihipStream_tbEUlT_E0_NS1_11comp_targetILNS1_3genE2ELNS1_11target_archE906ELNS1_3gpuE6ELNS1_3repE0EEENS1_30default_config_static_selectorELNS0_4arch9wavefront6targetE1EEEvSH_.num_named_barrier, 0
	.set _ZN7rocprim17ROCPRIM_400000_NS6detail17trampoline_kernelINS0_14default_configENS1_22reduce_config_selectorIiEEZNS1_11reduce_implILb1ES3_N6thrust23THRUST_200600_302600_NS10device_ptrIiEEPiiNS8_4plusIiEEEE10hipError_tPvRmT1_T2_T3_mT4_P12ihipStream_tbEUlT_E0_NS1_11comp_targetILNS1_3genE2ELNS1_11target_archE906ELNS1_3gpuE6ELNS1_3repE0EEENS1_30default_config_static_selectorELNS0_4arch9wavefront6targetE1EEEvSH_.private_seg_size, 0
	.set _ZN7rocprim17ROCPRIM_400000_NS6detail17trampoline_kernelINS0_14default_configENS1_22reduce_config_selectorIiEEZNS1_11reduce_implILb1ES3_N6thrust23THRUST_200600_302600_NS10device_ptrIiEEPiiNS8_4plusIiEEEE10hipError_tPvRmT1_T2_T3_mT4_P12ihipStream_tbEUlT_E0_NS1_11comp_targetILNS1_3genE2ELNS1_11target_archE906ELNS1_3gpuE6ELNS1_3repE0EEENS1_30default_config_static_selectorELNS0_4arch9wavefront6targetE1EEEvSH_.uses_vcc, 0
	.set _ZN7rocprim17ROCPRIM_400000_NS6detail17trampoline_kernelINS0_14default_configENS1_22reduce_config_selectorIiEEZNS1_11reduce_implILb1ES3_N6thrust23THRUST_200600_302600_NS10device_ptrIiEEPiiNS8_4plusIiEEEE10hipError_tPvRmT1_T2_T3_mT4_P12ihipStream_tbEUlT_E0_NS1_11comp_targetILNS1_3genE2ELNS1_11target_archE906ELNS1_3gpuE6ELNS1_3repE0EEENS1_30default_config_static_selectorELNS0_4arch9wavefront6targetE1EEEvSH_.uses_flat_scratch, 0
	.set _ZN7rocprim17ROCPRIM_400000_NS6detail17trampoline_kernelINS0_14default_configENS1_22reduce_config_selectorIiEEZNS1_11reduce_implILb1ES3_N6thrust23THRUST_200600_302600_NS10device_ptrIiEEPiiNS8_4plusIiEEEE10hipError_tPvRmT1_T2_T3_mT4_P12ihipStream_tbEUlT_E0_NS1_11comp_targetILNS1_3genE2ELNS1_11target_archE906ELNS1_3gpuE6ELNS1_3repE0EEENS1_30default_config_static_selectorELNS0_4arch9wavefront6targetE1EEEvSH_.has_dyn_sized_stack, 0
	.set _ZN7rocprim17ROCPRIM_400000_NS6detail17trampoline_kernelINS0_14default_configENS1_22reduce_config_selectorIiEEZNS1_11reduce_implILb1ES3_N6thrust23THRUST_200600_302600_NS10device_ptrIiEEPiiNS8_4plusIiEEEE10hipError_tPvRmT1_T2_T3_mT4_P12ihipStream_tbEUlT_E0_NS1_11comp_targetILNS1_3genE2ELNS1_11target_archE906ELNS1_3gpuE6ELNS1_3repE0EEENS1_30default_config_static_selectorELNS0_4arch9wavefront6targetE1EEEvSH_.has_recursion, 0
	.set _ZN7rocprim17ROCPRIM_400000_NS6detail17trampoline_kernelINS0_14default_configENS1_22reduce_config_selectorIiEEZNS1_11reduce_implILb1ES3_N6thrust23THRUST_200600_302600_NS10device_ptrIiEEPiiNS8_4plusIiEEEE10hipError_tPvRmT1_T2_T3_mT4_P12ihipStream_tbEUlT_E0_NS1_11comp_targetILNS1_3genE2ELNS1_11target_archE906ELNS1_3gpuE6ELNS1_3repE0EEENS1_30default_config_static_selectorELNS0_4arch9wavefront6targetE1EEEvSH_.has_indirect_call, 0
	.section	.AMDGPU.csdata,"",@progbits
; Kernel info:
; codeLenInByte = 0
; TotalNumSgprs: 6
; NumVgprs: 0
; NumAgprs: 0
; TotalNumVgprs: 0
; ScratchSize: 0
; MemoryBound: 0
; FloatMode: 240
; IeeeMode: 1
; LDSByteSize: 0 bytes/workgroup (compile time only)
; SGPRBlocks: 0
; VGPRBlocks: 0
; NumSGPRsForWavesPerEU: 6
; NumVGPRsForWavesPerEU: 1
; AccumOffset: 4
; Occupancy: 8
; WaveLimiterHint : 0
; COMPUTE_PGM_RSRC2:SCRATCH_EN: 0
; COMPUTE_PGM_RSRC2:USER_SGPR: 2
; COMPUTE_PGM_RSRC2:TRAP_HANDLER: 0
; COMPUTE_PGM_RSRC2:TGID_X_EN: 1
; COMPUTE_PGM_RSRC2:TGID_Y_EN: 0
; COMPUTE_PGM_RSRC2:TGID_Z_EN: 0
; COMPUTE_PGM_RSRC2:TIDIG_COMP_CNT: 0
; COMPUTE_PGM_RSRC3_GFX90A:ACCUM_OFFSET: 0
; COMPUTE_PGM_RSRC3_GFX90A:TG_SPLIT: 0
	.section	.text._ZN7rocprim17ROCPRIM_400000_NS6detail17trampoline_kernelINS0_14default_configENS1_22reduce_config_selectorIiEEZNS1_11reduce_implILb1ES3_N6thrust23THRUST_200600_302600_NS10device_ptrIiEEPiiNS8_4plusIiEEEE10hipError_tPvRmT1_T2_T3_mT4_P12ihipStream_tbEUlT_E0_NS1_11comp_targetILNS1_3genE10ELNS1_11target_archE1201ELNS1_3gpuE5ELNS1_3repE0EEENS1_30default_config_static_selectorELNS0_4arch9wavefront6targetE1EEEvSH_,"axG",@progbits,_ZN7rocprim17ROCPRIM_400000_NS6detail17trampoline_kernelINS0_14default_configENS1_22reduce_config_selectorIiEEZNS1_11reduce_implILb1ES3_N6thrust23THRUST_200600_302600_NS10device_ptrIiEEPiiNS8_4plusIiEEEE10hipError_tPvRmT1_T2_T3_mT4_P12ihipStream_tbEUlT_E0_NS1_11comp_targetILNS1_3genE10ELNS1_11target_archE1201ELNS1_3gpuE5ELNS1_3repE0EEENS1_30default_config_static_selectorELNS0_4arch9wavefront6targetE1EEEvSH_,comdat
	.protected	_ZN7rocprim17ROCPRIM_400000_NS6detail17trampoline_kernelINS0_14default_configENS1_22reduce_config_selectorIiEEZNS1_11reduce_implILb1ES3_N6thrust23THRUST_200600_302600_NS10device_ptrIiEEPiiNS8_4plusIiEEEE10hipError_tPvRmT1_T2_T3_mT4_P12ihipStream_tbEUlT_E0_NS1_11comp_targetILNS1_3genE10ELNS1_11target_archE1201ELNS1_3gpuE5ELNS1_3repE0EEENS1_30default_config_static_selectorELNS0_4arch9wavefront6targetE1EEEvSH_ ; -- Begin function _ZN7rocprim17ROCPRIM_400000_NS6detail17trampoline_kernelINS0_14default_configENS1_22reduce_config_selectorIiEEZNS1_11reduce_implILb1ES3_N6thrust23THRUST_200600_302600_NS10device_ptrIiEEPiiNS8_4plusIiEEEE10hipError_tPvRmT1_T2_T3_mT4_P12ihipStream_tbEUlT_E0_NS1_11comp_targetILNS1_3genE10ELNS1_11target_archE1201ELNS1_3gpuE5ELNS1_3repE0EEENS1_30default_config_static_selectorELNS0_4arch9wavefront6targetE1EEEvSH_
	.globl	_ZN7rocprim17ROCPRIM_400000_NS6detail17trampoline_kernelINS0_14default_configENS1_22reduce_config_selectorIiEEZNS1_11reduce_implILb1ES3_N6thrust23THRUST_200600_302600_NS10device_ptrIiEEPiiNS8_4plusIiEEEE10hipError_tPvRmT1_T2_T3_mT4_P12ihipStream_tbEUlT_E0_NS1_11comp_targetILNS1_3genE10ELNS1_11target_archE1201ELNS1_3gpuE5ELNS1_3repE0EEENS1_30default_config_static_selectorELNS0_4arch9wavefront6targetE1EEEvSH_
	.p2align	8
	.type	_ZN7rocprim17ROCPRIM_400000_NS6detail17trampoline_kernelINS0_14default_configENS1_22reduce_config_selectorIiEEZNS1_11reduce_implILb1ES3_N6thrust23THRUST_200600_302600_NS10device_ptrIiEEPiiNS8_4plusIiEEEE10hipError_tPvRmT1_T2_T3_mT4_P12ihipStream_tbEUlT_E0_NS1_11comp_targetILNS1_3genE10ELNS1_11target_archE1201ELNS1_3gpuE5ELNS1_3repE0EEENS1_30default_config_static_selectorELNS0_4arch9wavefront6targetE1EEEvSH_,@function
_ZN7rocprim17ROCPRIM_400000_NS6detail17trampoline_kernelINS0_14default_configENS1_22reduce_config_selectorIiEEZNS1_11reduce_implILb1ES3_N6thrust23THRUST_200600_302600_NS10device_ptrIiEEPiiNS8_4plusIiEEEE10hipError_tPvRmT1_T2_T3_mT4_P12ihipStream_tbEUlT_E0_NS1_11comp_targetILNS1_3genE10ELNS1_11target_archE1201ELNS1_3gpuE5ELNS1_3repE0EEENS1_30default_config_static_selectorELNS0_4arch9wavefront6targetE1EEEvSH_: ; @_ZN7rocprim17ROCPRIM_400000_NS6detail17trampoline_kernelINS0_14default_configENS1_22reduce_config_selectorIiEEZNS1_11reduce_implILb1ES3_N6thrust23THRUST_200600_302600_NS10device_ptrIiEEPiiNS8_4plusIiEEEE10hipError_tPvRmT1_T2_T3_mT4_P12ihipStream_tbEUlT_E0_NS1_11comp_targetILNS1_3genE10ELNS1_11target_archE1201ELNS1_3gpuE5ELNS1_3repE0EEENS1_30default_config_static_selectorELNS0_4arch9wavefront6targetE1EEEvSH_
; %bb.0:
	.section	.rodata,"a",@progbits
	.p2align	6, 0x0
	.amdhsa_kernel _ZN7rocprim17ROCPRIM_400000_NS6detail17trampoline_kernelINS0_14default_configENS1_22reduce_config_selectorIiEEZNS1_11reduce_implILb1ES3_N6thrust23THRUST_200600_302600_NS10device_ptrIiEEPiiNS8_4plusIiEEEE10hipError_tPvRmT1_T2_T3_mT4_P12ihipStream_tbEUlT_E0_NS1_11comp_targetILNS1_3genE10ELNS1_11target_archE1201ELNS1_3gpuE5ELNS1_3repE0EEENS1_30default_config_static_selectorELNS0_4arch9wavefront6targetE1EEEvSH_
		.amdhsa_group_segment_fixed_size 0
		.amdhsa_private_segment_fixed_size 0
		.amdhsa_kernarg_size 56
		.amdhsa_user_sgpr_count 2
		.amdhsa_user_sgpr_dispatch_ptr 0
		.amdhsa_user_sgpr_queue_ptr 0
		.amdhsa_user_sgpr_kernarg_segment_ptr 1
		.amdhsa_user_sgpr_dispatch_id 0
		.amdhsa_user_sgpr_kernarg_preload_length 0
		.amdhsa_user_sgpr_kernarg_preload_offset 0
		.amdhsa_user_sgpr_private_segment_size 0
		.amdhsa_uses_dynamic_stack 0
		.amdhsa_enable_private_segment 0
		.amdhsa_system_sgpr_workgroup_id_x 1
		.amdhsa_system_sgpr_workgroup_id_y 0
		.amdhsa_system_sgpr_workgroup_id_z 0
		.amdhsa_system_sgpr_workgroup_info 0
		.amdhsa_system_vgpr_workitem_id 0
		.amdhsa_next_free_vgpr 1
		.amdhsa_next_free_sgpr 0
		.amdhsa_accum_offset 4
		.amdhsa_reserve_vcc 0
		.amdhsa_float_round_mode_32 0
		.amdhsa_float_round_mode_16_64 0
		.amdhsa_float_denorm_mode_32 3
		.amdhsa_float_denorm_mode_16_64 3
		.amdhsa_dx10_clamp 1
		.amdhsa_ieee_mode 1
		.amdhsa_fp16_overflow 0
		.amdhsa_tg_split 0
		.amdhsa_exception_fp_ieee_invalid_op 0
		.amdhsa_exception_fp_denorm_src 0
		.amdhsa_exception_fp_ieee_div_zero 0
		.amdhsa_exception_fp_ieee_overflow 0
		.amdhsa_exception_fp_ieee_underflow 0
		.amdhsa_exception_fp_ieee_inexact 0
		.amdhsa_exception_int_div_zero 0
	.end_amdhsa_kernel
	.section	.text._ZN7rocprim17ROCPRIM_400000_NS6detail17trampoline_kernelINS0_14default_configENS1_22reduce_config_selectorIiEEZNS1_11reduce_implILb1ES3_N6thrust23THRUST_200600_302600_NS10device_ptrIiEEPiiNS8_4plusIiEEEE10hipError_tPvRmT1_T2_T3_mT4_P12ihipStream_tbEUlT_E0_NS1_11comp_targetILNS1_3genE10ELNS1_11target_archE1201ELNS1_3gpuE5ELNS1_3repE0EEENS1_30default_config_static_selectorELNS0_4arch9wavefront6targetE1EEEvSH_,"axG",@progbits,_ZN7rocprim17ROCPRIM_400000_NS6detail17trampoline_kernelINS0_14default_configENS1_22reduce_config_selectorIiEEZNS1_11reduce_implILb1ES3_N6thrust23THRUST_200600_302600_NS10device_ptrIiEEPiiNS8_4plusIiEEEE10hipError_tPvRmT1_T2_T3_mT4_P12ihipStream_tbEUlT_E0_NS1_11comp_targetILNS1_3genE10ELNS1_11target_archE1201ELNS1_3gpuE5ELNS1_3repE0EEENS1_30default_config_static_selectorELNS0_4arch9wavefront6targetE1EEEvSH_,comdat
.Lfunc_end1132:
	.size	_ZN7rocprim17ROCPRIM_400000_NS6detail17trampoline_kernelINS0_14default_configENS1_22reduce_config_selectorIiEEZNS1_11reduce_implILb1ES3_N6thrust23THRUST_200600_302600_NS10device_ptrIiEEPiiNS8_4plusIiEEEE10hipError_tPvRmT1_T2_T3_mT4_P12ihipStream_tbEUlT_E0_NS1_11comp_targetILNS1_3genE10ELNS1_11target_archE1201ELNS1_3gpuE5ELNS1_3repE0EEENS1_30default_config_static_selectorELNS0_4arch9wavefront6targetE1EEEvSH_, .Lfunc_end1132-_ZN7rocprim17ROCPRIM_400000_NS6detail17trampoline_kernelINS0_14default_configENS1_22reduce_config_selectorIiEEZNS1_11reduce_implILb1ES3_N6thrust23THRUST_200600_302600_NS10device_ptrIiEEPiiNS8_4plusIiEEEE10hipError_tPvRmT1_T2_T3_mT4_P12ihipStream_tbEUlT_E0_NS1_11comp_targetILNS1_3genE10ELNS1_11target_archE1201ELNS1_3gpuE5ELNS1_3repE0EEENS1_30default_config_static_selectorELNS0_4arch9wavefront6targetE1EEEvSH_
                                        ; -- End function
	.set _ZN7rocprim17ROCPRIM_400000_NS6detail17trampoline_kernelINS0_14default_configENS1_22reduce_config_selectorIiEEZNS1_11reduce_implILb1ES3_N6thrust23THRUST_200600_302600_NS10device_ptrIiEEPiiNS8_4plusIiEEEE10hipError_tPvRmT1_T2_T3_mT4_P12ihipStream_tbEUlT_E0_NS1_11comp_targetILNS1_3genE10ELNS1_11target_archE1201ELNS1_3gpuE5ELNS1_3repE0EEENS1_30default_config_static_selectorELNS0_4arch9wavefront6targetE1EEEvSH_.num_vgpr, 0
	.set _ZN7rocprim17ROCPRIM_400000_NS6detail17trampoline_kernelINS0_14default_configENS1_22reduce_config_selectorIiEEZNS1_11reduce_implILb1ES3_N6thrust23THRUST_200600_302600_NS10device_ptrIiEEPiiNS8_4plusIiEEEE10hipError_tPvRmT1_T2_T3_mT4_P12ihipStream_tbEUlT_E0_NS1_11comp_targetILNS1_3genE10ELNS1_11target_archE1201ELNS1_3gpuE5ELNS1_3repE0EEENS1_30default_config_static_selectorELNS0_4arch9wavefront6targetE1EEEvSH_.num_agpr, 0
	.set _ZN7rocprim17ROCPRIM_400000_NS6detail17trampoline_kernelINS0_14default_configENS1_22reduce_config_selectorIiEEZNS1_11reduce_implILb1ES3_N6thrust23THRUST_200600_302600_NS10device_ptrIiEEPiiNS8_4plusIiEEEE10hipError_tPvRmT1_T2_T3_mT4_P12ihipStream_tbEUlT_E0_NS1_11comp_targetILNS1_3genE10ELNS1_11target_archE1201ELNS1_3gpuE5ELNS1_3repE0EEENS1_30default_config_static_selectorELNS0_4arch9wavefront6targetE1EEEvSH_.numbered_sgpr, 0
	.set _ZN7rocprim17ROCPRIM_400000_NS6detail17trampoline_kernelINS0_14default_configENS1_22reduce_config_selectorIiEEZNS1_11reduce_implILb1ES3_N6thrust23THRUST_200600_302600_NS10device_ptrIiEEPiiNS8_4plusIiEEEE10hipError_tPvRmT1_T2_T3_mT4_P12ihipStream_tbEUlT_E0_NS1_11comp_targetILNS1_3genE10ELNS1_11target_archE1201ELNS1_3gpuE5ELNS1_3repE0EEENS1_30default_config_static_selectorELNS0_4arch9wavefront6targetE1EEEvSH_.num_named_barrier, 0
	.set _ZN7rocprim17ROCPRIM_400000_NS6detail17trampoline_kernelINS0_14default_configENS1_22reduce_config_selectorIiEEZNS1_11reduce_implILb1ES3_N6thrust23THRUST_200600_302600_NS10device_ptrIiEEPiiNS8_4plusIiEEEE10hipError_tPvRmT1_T2_T3_mT4_P12ihipStream_tbEUlT_E0_NS1_11comp_targetILNS1_3genE10ELNS1_11target_archE1201ELNS1_3gpuE5ELNS1_3repE0EEENS1_30default_config_static_selectorELNS0_4arch9wavefront6targetE1EEEvSH_.private_seg_size, 0
	.set _ZN7rocprim17ROCPRIM_400000_NS6detail17trampoline_kernelINS0_14default_configENS1_22reduce_config_selectorIiEEZNS1_11reduce_implILb1ES3_N6thrust23THRUST_200600_302600_NS10device_ptrIiEEPiiNS8_4plusIiEEEE10hipError_tPvRmT1_T2_T3_mT4_P12ihipStream_tbEUlT_E0_NS1_11comp_targetILNS1_3genE10ELNS1_11target_archE1201ELNS1_3gpuE5ELNS1_3repE0EEENS1_30default_config_static_selectorELNS0_4arch9wavefront6targetE1EEEvSH_.uses_vcc, 0
	.set _ZN7rocprim17ROCPRIM_400000_NS6detail17trampoline_kernelINS0_14default_configENS1_22reduce_config_selectorIiEEZNS1_11reduce_implILb1ES3_N6thrust23THRUST_200600_302600_NS10device_ptrIiEEPiiNS8_4plusIiEEEE10hipError_tPvRmT1_T2_T3_mT4_P12ihipStream_tbEUlT_E0_NS1_11comp_targetILNS1_3genE10ELNS1_11target_archE1201ELNS1_3gpuE5ELNS1_3repE0EEENS1_30default_config_static_selectorELNS0_4arch9wavefront6targetE1EEEvSH_.uses_flat_scratch, 0
	.set _ZN7rocprim17ROCPRIM_400000_NS6detail17trampoline_kernelINS0_14default_configENS1_22reduce_config_selectorIiEEZNS1_11reduce_implILb1ES3_N6thrust23THRUST_200600_302600_NS10device_ptrIiEEPiiNS8_4plusIiEEEE10hipError_tPvRmT1_T2_T3_mT4_P12ihipStream_tbEUlT_E0_NS1_11comp_targetILNS1_3genE10ELNS1_11target_archE1201ELNS1_3gpuE5ELNS1_3repE0EEENS1_30default_config_static_selectorELNS0_4arch9wavefront6targetE1EEEvSH_.has_dyn_sized_stack, 0
	.set _ZN7rocprim17ROCPRIM_400000_NS6detail17trampoline_kernelINS0_14default_configENS1_22reduce_config_selectorIiEEZNS1_11reduce_implILb1ES3_N6thrust23THRUST_200600_302600_NS10device_ptrIiEEPiiNS8_4plusIiEEEE10hipError_tPvRmT1_T2_T3_mT4_P12ihipStream_tbEUlT_E0_NS1_11comp_targetILNS1_3genE10ELNS1_11target_archE1201ELNS1_3gpuE5ELNS1_3repE0EEENS1_30default_config_static_selectorELNS0_4arch9wavefront6targetE1EEEvSH_.has_recursion, 0
	.set _ZN7rocprim17ROCPRIM_400000_NS6detail17trampoline_kernelINS0_14default_configENS1_22reduce_config_selectorIiEEZNS1_11reduce_implILb1ES3_N6thrust23THRUST_200600_302600_NS10device_ptrIiEEPiiNS8_4plusIiEEEE10hipError_tPvRmT1_T2_T3_mT4_P12ihipStream_tbEUlT_E0_NS1_11comp_targetILNS1_3genE10ELNS1_11target_archE1201ELNS1_3gpuE5ELNS1_3repE0EEENS1_30default_config_static_selectorELNS0_4arch9wavefront6targetE1EEEvSH_.has_indirect_call, 0
	.section	.AMDGPU.csdata,"",@progbits
; Kernel info:
; codeLenInByte = 0
; TotalNumSgprs: 6
; NumVgprs: 0
; NumAgprs: 0
; TotalNumVgprs: 0
; ScratchSize: 0
; MemoryBound: 0
; FloatMode: 240
; IeeeMode: 1
; LDSByteSize: 0 bytes/workgroup (compile time only)
; SGPRBlocks: 0
; VGPRBlocks: 0
; NumSGPRsForWavesPerEU: 6
; NumVGPRsForWavesPerEU: 1
; AccumOffset: 4
; Occupancy: 8
; WaveLimiterHint : 0
; COMPUTE_PGM_RSRC2:SCRATCH_EN: 0
; COMPUTE_PGM_RSRC2:USER_SGPR: 2
; COMPUTE_PGM_RSRC2:TRAP_HANDLER: 0
; COMPUTE_PGM_RSRC2:TGID_X_EN: 1
; COMPUTE_PGM_RSRC2:TGID_Y_EN: 0
; COMPUTE_PGM_RSRC2:TGID_Z_EN: 0
; COMPUTE_PGM_RSRC2:TIDIG_COMP_CNT: 0
; COMPUTE_PGM_RSRC3_GFX90A:ACCUM_OFFSET: 0
; COMPUTE_PGM_RSRC3_GFX90A:TG_SPLIT: 0
	.section	.text._ZN7rocprim17ROCPRIM_400000_NS6detail17trampoline_kernelINS0_14default_configENS1_22reduce_config_selectorIiEEZNS1_11reduce_implILb1ES3_N6thrust23THRUST_200600_302600_NS10device_ptrIiEEPiiNS8_4plusIiEEEE10hipError_tPvRmT1_T2_T3_mT4_P12ihipStream_tbEUlT_E0_NS1_11comp_targetILNS1_3genE10ELNS1_11target_archE1200ELNS1_3gpuE4ELNS1_3repE0EEENS1_30default_config_static_selectorELNS0_4arch9wavefront6targetE1EEEvSH_,"axG",@progbits,_ZN7rocprim17ROCPRIM_400000_NS6detail17trampoline_kernelINS0_14default_configENS1_22reduce_config_selectorIiEEZNS1_11reduce_implILb1ES3_N6thrust23THRUST_200600_302600_NS10device_ptrIiEEPiiNS8_4plusIiEEEE10hipError_tPvRmT1_T2_T3_mT4_P12ihipStream_tbEUlT_E0_NS1_11comp_targetILNS1_3genE10ELNS1_11target_archE1200ELNS1_3gpuE4ELNS1_3repE0EEENS1_30default_config_static_selectorELNS0_4arch9wavefront6targetE1EEEvSH_,comdat
	.protected	_ZN7rocprim17ROCPRIM_400000_NS6detail17trampoline_kernelINS0_14default_configENS1_22reduce_config_selectorIiEEZNS1_11reduce_implILb1ES3_N6thrust23THRUST_200600_302600_NS10device_ptrIiEEPiiNS8_4plusIiEEEE10hipError_tPvRmT1_T2_T3_mT4_P12ihipStream_tbEUlT_E0_NS1_11comp_targetILNS1_3genE10ELNS1_11target_archE1200ELNS1_3gpuE4ELNS1_3repE0EEENS1_30default_config_static_selectorELNS0_4arch9wavefront6targetE1EEEvSH_ ; -- Begin function _ZN7rocprim17ROCPRIM_400000_NS6detail17trampoline_kernelINS0_14default_configENS1_22reduce_config_selectorIiEEZNS1_11reduce_implILb1ES3_N6thrust23THRUST_200600_302600_NS10device_ptrIiEEPiiNS8_4plusIiEEEE10hipError_tPvRmT1_T2_T3_mT4_P12ihipStream_tbEUlT_E0_NS1_11comp_targetILNS1_3genE10ELNS1_11target_archE1200ELNS1_3gpuE4ELNS1_3repE0EEENS1_30default_config_static_selectorELNS0_4arch9wavefront6targetE1EEEvSH_
	.globl	_ZN7rocprim17ROCPRIM_400000_NS6detail17trampoline_kernelINS0_14default_configENS1_22reduce_config_selectorIiEEZNS1_11reduce_implILb1ES3_N6thrust23THRUST_200600_302600_NS10device_ptrIiEEPiiNS8_4plusIiEEEE10hipError_tPvRmT1_T2_T3_mT4_P12ihipStream_tbEUlT_E0_NS1_11comp_targetILNS1_3genE10ELNS1_11target_archE1200ELNS1_3gpuE4ELNS1_3repE0EEENS1_30default_config_static_selectorELNS0_4arch9wavefront6targetE1EEEvSH_
	.p2align	8
	.type	_ZN7rocprim17ROCPRIM_400000_NS6detail17trampoline_kernelINS0_14default_configENS1_22reduce_config_selectorIiEEZNS1_11reduce_implILb1ES3_N6thrust23THRUST_200600_302600_NS10device_ptrIiEEPiiNS8_4plusIiEEEE10hipError_tPvRmT1_T2_T3_mT4_P12ihipStream_tbEUlT_E0_NS1_11comp_targetILNS1_3genE10ELNS1_11target_archE1200ELNS1_3gpuE4ELNS1_3repE0EEENS1_30default_config_static_selectorELNS0_4arch9wavefront6targetE1EEEvSH_,@function
_ZN7rocprim17ROCPRIM_400000_NS6detail17trampoline_kernelINS0_14default_configENS1_22reduce_config_selectorIiEEZNS1_11reduce_implILb1ES3_N6thrust23THRUST_200600_302600_NS10device_ptrIiEEPiiNS8_4plusIiEEEE10hipError_tPvRmT1_T2_T3_mT4_P12ihipStream_tbEUlT_E0_NS1_11comp_targetILNS1_3genE10ELNS1_11target_archE1200ELNS1_3gpuE4ELNS1_3repE0EEENS1_30default_config_static_selectorELNS0_4arch9wavefront6targetE1EEEvSH_: ; @_ZN7rocprim17ROCPRIM_400000_NS6detail17trampoline_kernelINS0_14default_configENS1_22reduce_config_selectorIiEEZNS1_11reduce_implILb1ES3_N6thrust23THRUST_200600_302600_NS10device_ptrIiEEPiiNS8_4plusIiEEEE10hipError_tPvRmT1_T2_T3_mT4_P12ihipStream_tbEUlT_E0_NS1_11comp_targetILNS1_3genE10ELNS1_11target_archE1200ELNS1_3gpuE4ELNS1_3repE0EEENS1_30default_config_static_selectorELNS0_4arch9wavefront6targetE1EEEvSH_
; %bb.0:
	.section	.rodata,"a",@progbits
	.p2align	6, 0x0
	.amdhsa_kernel _ZN7rocprim17ROCPRIM_400000_NS6detail17trampoline_kernelINS0_14default_configENS1_22reduce_config_selectorIiEEZNS1_11reduce_implILb1ES3_N6thrust23THRUST_200600_302600_NS10device_ptrIiEEPiiNS8_4plusIiEEEE10hipError_tPvRmT1_T2_T3_mT4_P12ihipStream_tbEUlT_E0_NS1_11comp_targetILNS1_3genE10ELNS1_11target_archE1200ELNS1_3gpuE4ELNS1_3repE0EEENS1_30default_config_static_selectorELNS0_4arch9wavefront6targetE1EEEvSH_
		.amdhsa_group_segment_fixed_size 0
		.amdhsa_private_segment_fixed_size 0
		.amdhsa_kernarg_size 56
		.amdhsa_user_sgpr_count 2
		.amdhsa_user_sgpr_dispatch_ptr 0
		.amdhsa_user_sgpr_queue_ptr 0
		.amdhsa_user_sgpr_kernarg_segment_ptr 1
		.amdhsa_user_sgpr_dispatch_id 0
		.amdhsa_user_sgpr_kernarg_preload_length 0
		.amdhsa_user_sgpr_kernarg_preload_offset 0
		.amdhsa_user_sgpr_private_segment_size 0
		.amdhsa_uses_dynamic_stack 0
		.amdhsa_enable_private_segment 0
		.amdhsa_system_sgpr_workgroup_id_x 1
		.amdhsa_system_sgpr_workgroup_id_y 0
		.amdhsa_system_sgpr_workgroup_id_z 0
		.amdhsa_system_sgpr_workgroup_info 0
		.amdhsa_system_vgpr_workitem_id 0
		.amdhsa_next_free_vgpr 1
		.amdhsa_next_free_sgpr 0
		.amdhsa_accum_offset 4
		.amdhsa_reserve_vcc 0
		.amdhsa_float_round_mode_32 0
		.amdhsa_float_round_mode_16_64 0
		.amdhsa_float_denorm_mode_32 3
		.amdhsa_float_denorm_mode_16_64 3
		.amdhsa_dx10_clamp 1
		.amdhsa_ieee_mode 1
		.amdhsa_fp16_overflow 0
		.amdhsa_tg_split 0
		.amdhsa_exception_fp_ieee_invalid_op 0
		.amdhsa_exception_fp_denorm_src 0
		.amdhsa_exception_fp_ieee_div_zero 0
		.amdhsa_exception_fp_ieee_overflow 0
		.amdhsa_exception_fp_ieee_underflow 0
		.amdhsa_exception_fp_ieee_inexact 0
		.amdhsa_exception_int_div_zero 0
	.end_amdhsa_kernel
	.section	.text._ZN7rocprim17ROCPRIM_400000_NS6detail17trampoline_kernelINS0_14default_configENS1_22reduce_config_selectorIiEEZNS1_11reduce_implILb1ES3_N6thrust23THRUST_200600_302600_NS10device_ptrIiEEPiiNS8_4plusIiEEEE10hipError_tPvRmT1_T2_T3_mT4_P12ihipStream_tbEUlT_E0_NS1_11comp_targetILNS1_3genE10ELNS1_11target_archE1200ELNS1_3gpuE4ELNS1_3repE0EEENS1_30default_config_static_selectorELNS0_4arch9wavefront6targetE1EEEvSH_,"axG",@progbits,_ZN7rocprim17ROCPRIM_400000_NS6detail17trampoline_kernelINS0_14default_configENS1_22reduce_config_selectorIiEEZNS1_11reduce_implILb1ES3_N6thrust23THRUST_200600_302600_NS10device_ptrIiEEPiiNS8_4plusIiEEEE10hipError_tPvRmT1_T2_T3_mT4_P12ihipStream_tbEUlT_E0_NS1_11comp_targetILNS1_3genE10ELNS1_11target_archE1200ELNS1_3gpuE4ELNS1_3repE0EEENS1_30default_config_static_selectorELNS0_4arch9wavefront6targetE1EEEvSH_,comdat
.Lfunc_end1133:
	.size	_ZN7rocprim17ROCPRIM_400000_NS6detail17trampoline_kernelINS0_14default_configENS1_22reduce_config_selectorIiEEZNS1_11reduce_implILb1ES3_N6thrust23THRUST_200600_302600_NS10device_ptrIiEEPiiNS8_4plusIiEEEE10hipError_tPvRmT1_T2_T3_mT4_P12ihipStream_tbEUlT_E0_NS1_11comp_targetILNS1_3genE10ELNS1_11target_archE1200ELNS1_3gpuE4ELNS1_3repE0EEENS1_30default_config_static_selectorELNS0_4arch9wavefront6targetE1EEEvSH_, .Lfunc_end1133-_ZN7rocprim17ROCPRIM_400000_NS6detail17trampoline_kernelINS0_14default_configENS1_22reduce_config_selectorIiEEZNS1_11reduce_implILb1ES3_N6thrust23THRUST_200600_302600_NS10device_ptrIiEEPiiNS8_4plusIiEEEE10hipError_tPvRmT1_T2_T3_mT4_P12ihipStream_tbEUlT_E0_NS1_11comp_targetILNS1_3genE10ELNS1_11target_archE1200ELNS1_3gpuE4ELNS1_3repE0EEENS1_30default_config_static_selectorELNS0_4arch9wavefront6targetE1EEEvSH_
                                        ; -- End function
	.set _ZN7rocprim17ROCPRIM_400000_NS6detail17trampoline_kernelINS0_14default_configENS1_22reduce_config_selectorIiEEZNS1_11reduce_implILb1ES3_N6thrust23THRUST_200600_302600_NS10device_ptrIiEEPiiNS8_4plusIiEEEE10hipError_tPvRmT1_T2_T3_mT4_P12ihipStream_tbEUlT_E0_NS1_11comp_targetILNS1_3genE10ELNS1_11target_archE1200ELNS1_3gpuE4ELNS1_3repE0EEENS1_30default_config_static_selectorELNS0_4arch9wavefront6targetE1EEEvSH_.num_vgpr, 0
	.set _ZN7rocprim17ROCPRIM_400000_NS6detail17trampoline_kernelINS0_14default_configENS1_22reduce_config_selectorIiEEZNS1_11reduce_implILb1ES3_N6thrust23THRUST_200600_302600_NS10device_ptrIiEEPiiNS8_4plusIiEEEE10hipError_tPvRmT1_T2_T3_mT4_P12ihipStream_tbEUlT_E0_NS1_11comp_targetILNS1_3genE10ELNS1_11target_archE1200ELNS1_3gpuE4ELNS1_3repE0EEENS1_30default_config_static_selectorELNS0_4arch9wavefront6targetE1EEEvSH_.num_agpr, 0
	.set _ZN7rocprim17ROCPRIM_400000_NS6detail17trampoline_kernelINS0_14default_configENS1_22reduce_config_selectorIiEEZNS1_11reduce_implILb1ES3_N6thrust23THRUST_200600_302600_NS10device_ptrIiEEPiiNS8_4plusIiEEEE10hipError_tPvRmT1_T2_T3_mT4_P12ihipStream_tbEUlT_E0_NS1_11comp_targetILNS1_3genE10ELNS1_11target_archE1200ELNS1_3gpuE4ELNS1_3repE0EEENS1_30default_config_static_selectorELNS0_4arch9wavefront6targetE1EEEvSH_.numbered_sgpr, 0
	.set _ZN7rocprim17ROCPRIM_400000_NS6detail17trampoline_kernelINS0_14default_configENS1_22reduce_config_selectorIiEEZNS1_11reduce_implILb1ES3_N6thrust23THRUST_200600_302600_NS10device_ptrIiEEPiiNS8_4plusIiEEEE10hipError_tPvRmT1_T2_T3_mT4_P12ihipStream_tbEUlT_E0_NS1_11comp_targetILNS1_3genE10ELNS1_11target_archE1200ELNS1_3gpuE4ELNS1_3repE0EEENS1_30default_config_static_selectorELNS0_4arch9wavefront6targetE1EEEvSH_.num_named_barrier, 0
	.set _ZN7rocprim17ROCPRIM_400000_NS6detail17trampoline_kernelINS0_14default_configENS1_22reduce_config_selectorIiEEZNS1_11reduce_implILb1ES3_N6thrust23THRUST_200600_302600_NS10device_ptrIiEEPiiNS8_4plusIiEEEE10hipError_tPvRmT1_T2_T3_mT4_P12ihipStream_tbEUlT_E0_NS1_11comp_targetILNS1_3genE10ELNS1_11target_archE1200ELNS1_3gpuE4ELNS1_3repE0EEENS1_30default_config_static_selectorELNS0_4arch9wavefront6targetE1EEEvSH_.private_seg_size, 0
	.set _ZN7rocprim17ROCPRIM_400000_NS6detail17trampoline_kernelINS0_14default_configENS1_22reduce_config_selectorIiEEZNS1_11reduce_implILb1ES3_N6thrust23THRUST_200600_302600_NS10device_ptrIiEEPiiNS8_4plusIiEEEE10hipError_tPvRmT1_T2_T3_mT4_P12ihipStream_tbEUlT_E0_NS1_11comp_targetILNS1_3genE10ELNS1_11target_archE1200ELNS1_3gpuE4ELNS1_3repE0EEENS1_30default_config_static_selectorELNS0_4arch9wavefront6targetE1EEEvSH_.uses_vcc, 0
	.set _ZN7rocprim17ROCPRIM_400000_NS6detail17trampoline_kernelINS0_14default_configENS1_22reduce_config_selectorIiEEZNS1_11reduce_implILb1ES3_N6thrust23THRUST_200600_302600_NS10device_ptrIiEEPiiNS8_4plusIiEEEE10hipError_tPvRmT1_T2_T3_mT4_P12ihipStream_tbEUlT_E0_NS1_11comp_targetILNS1_3genE10ELNS1_11target_archE1200ELNS1_3gpuE4ELNS1_3repE0EEENS1_30default_config_static_selectorELNS0_4arch9wavefront6targetE1EEEvSH_.uses_flat_scratch, 0
	.set _ZN7rocprim17ROCPRIM_400000_NS6detail17trampoline_kernelINS0_14default_configENS1_22reduce_config_selectorIiEEZNS1_11reduce_implILb1ES3_N6thrust23THRUST_200600_302600_NS10device_ptrIiEEPiiNS8_4plusIiEEEE10hipError_tPvRmT1_T2_T3_mT4_P12ihipStream_tbEUlT_E0_NS1_11comp_targetILNS1_3genE10ELNS1_11target_archE1200ELNS1_3gpuE4ELNS1_3repE0EEENS1_30default_config_static_selectorELNS0_4arch9wavefront6targetE1EEEvSH_.has_dyn_sized_stack, 0
	.set _ZN7rocprim17ROCPRIM_400000_NS6detail17trampoline_kernelINS0_14default_configENS1_22reduce_config_selectorIiEEZNS1_11reduce_implILb1ES3_N6thrust23THRUST_200600_302600_NS10device_ptrIiEEPiiNS8_4plusIiEEEE10hipError_tPvRmT1_T2_T3_mT4_P12ihipStream_tbEUlT_E0_NS1_11comp_targetILNS1_3genE10ELNS1_11target_archE1200ELNS1_3gpuE4ELNS1_3repE0EEENS1_30default_config_static_selectorELNS0_4arch9wavefront6targetE1EEEvSH_.has_recursion, 0
	.set _ZN7rocprim17ROCPRIM_400000_NS6detail17trampoline_kernelINS0_14default_configENS1_22reduce_config_selectorIiEEZNS1_11reduce_implILb1ES3_N6thrust23THRUST_200600_302600_NS10device_ptrIiEEPiiNS8_4plusIiEEEE10hipError_tPvRmT1_T2_T3_mT4_P12ihipStream_tbEUlT_E0_NS1_11comp_targetILNS1_3genE10ELNS1_11target_archE1200ELNS1_3gpuE4ELNS1_3repE0EEENS1_30default_config_static_selectorELNS0_4arch9wavefront6targetE1EEEvSH_.has_indirect_call, 0
	.section	.AMDGPU.csdata,"",@progbits
; Kernel info:
; codeLenInByte = 0
; TotalNumSgprs: 6
; NumVgprs: 0
; NumAgprs: 0
; TotalNumVgprs: 0
; ScratchSize: 0
; MemoryBound: 0
; FloatMode: 240
; IeeeMode: 1
; LDSByteSize: 0 bytes/workgroup (compile time only)
; SGPRBlocks: 0
; VGPRBlocks: 0
; NumSGPRsForWavesPerEU: 6
; NumVGPRsForWavesPerEU: 1
; AccumOffset: 4
; Occupancy: 8
; WaveLimiterHint : 0
; COMPUTE_PGM_RSRC2:SCRATCH_EN: 0
; COMPUTE_PGM_RSRC2:USER_SGPR: 2
; COMPUTE_PGM_RSRC2:TRAP_HANDLER: 0
; COMPUTE_PGM_RSRC2:TGID_X_EN: 1
; COMPUTE_PGM_RSRC2:TGID_Y_EN: 0
; COMPUTE_PGM_RSRC2:TGID_Z_EN: 0
; COMPUTE_PGM_RSRC2:TIDIG_COMP_CNT: 0
; COMPUTE_PGM_RSRC3_GFX90A:ACCUM_OFFSET: 0
; COMPUTE_PGM_RSRC3_GFX90A:TG_SPLIT: 0
	.section	.text._ZN7rocprim17ROCPRIM_400000_NS6detail17trampoline_kernelINS0_14default_configENS1_22reduce_config_selectorIiEEZNS1_11reduce_implILb1ES3_N6thrust23THRUST_200600_302600_NS10device_ptrIiEEPiiNS8_4plusIiEEEE10hipError_tPvRmT1_T2_T3_mT4_P12ihipStream_tbEUlT_E0_NS1_11comp_targetILNS1_3genE9ELNS1_11target_archE1100ELNS1_3gpuE3ELNS1_3repE0EEENS1_30default_config_static_selectorELNS0_4arch9wavefront6targetE1EEEvSH_,"axG",@progbits,_ZN7rocprim17ROCPRIM_400000_NS6detail17trampoline_kernelINS0_14default_configENS1_22reduce_config_selectorIiEEZNS1_11reduce_implILb1ES3_N6thrust23THRUST_200600_302600_NS10device_ptrIiEEPiiNS8_4plusIiEEEE10hipError_tPvRmT1_T2_T3_mT4_P12ihipStream_tbEUlT_E0_NS1_11comp_targetILNS1_3genE9ELNS1_11target_archE1100ELNS1_3gpuE3ELNS1_3repE0EEENS1_30default_config_static_selectorELNS0_4arch9wavefront6targetE1EEEvSH_,comdat
	.protected	_ZN7rocprim17ROCPRIM_400000_NS6detail17trampoline_kernelINS0_14default_configENS1_22reduce_config_selectorIiEEZNS1_11reduce_implILb1ES3_N6thrust23THRUST_200600_302600_NS10device_ptrIiEEPiiNS8_4plusIiEEEE10hipError_tPvRmT1_T2_T3_mT4_P12ihipStream_tbEUlT_E0_NS1_11comp_targetILNS1_3genE9ELNS1_11target_archE1100ELNS1_3gpuE3ELNS1_3repE0EEENS1_30default_config_static_selectorELNS0_4arch9wavefront6targetE1EEEvSH_ ; -- Begin function _ZN7rocprim17ROCPRIM_400000_NS6detail17trampoline_kernelINS0_14default_configENS1_22reduce_config_selectorIiEEZNS1_11reduce_implILb1ES3_N6thrust23THRUST_200600_302600_NS10device_ptrIiEEPiiNS8_4plusIiEEEE10hipError_tPvRmT1_T2_T3_mT4_P12ihipStream_tbEUlT_E0_NS1_11comp_targetILNS1_3genE9ELNS1_11target_archE1100ELNS1_3gpuE3ELNS1_3repE0EEENS1_30default_config_static_selectorELNS0_4arch9wavefront6targetE1EEEvSH_
	.globl	_ZN7rocprim17ROCPRIM_400000_NS6detail17trampoline_kernelINS0_14default_configENS1_22reduce_config_selectorIiEEZNS1_11reduce_implILb1ES3_N6thrust23THRUST_200600_302600_NS10device_ptrIiEEPiiNS8_4plusIiEEEE10hipError_tPvRmT1_T2_T3_mT4_P12ihipStream_tbEUlT_E0_NS1_11comp_targetILNS1_3genE9ELNS1_11target_archE1100ELNS1_3gpuE3ELNS1_3repE0EEENS1_30default_config_static_selectorELNS0_4arch9wavefront6targetE1EEEvSH_
	.p2align	8
	.type	_ZN7rocprim17ROCPRIM_400000_NS6detail17trampoline_kernelINS0_14default_configENS1_22reduce_config_selectorIiEEZNS1_11reduce_implILb1ES3_N6thrust23THRUST_200600_302600_NS10device_ptrIiEEPiiNS8_4plusIiEEEE10hipError_tPvRmT1_T2_T3_mT4_P12ihipStream_tbEUlT_E0_NS1_11comp_targetILNS1_3genE9ELNS1_11target_archE1100ELNS1_3gpuE3ELNS1_3repE0EEENS1_30default_config_static_selectorELNS0_4arch9wavefront6targetE1EEEvSH_,@function
_ZN7rocprim17ROCPRIM_400000_NS6detail17trampoline_kernelINS0_14default_configENS1_22reduce_config_selectorIiEEZNS1_11reduce_implILb1ES3_N6thrust23THRUST_200600_302600_NS10device_ptrIiEEPiiNS8_4plusIiEEEE10hipError_tPvRmT1_T2_T3_mT4_P12ihipStream_tbEUlT_E0_NS1_11comp_targetILNS1_3genE9ELNS1_11target_archE1100ELNS1_3gpuE3ELNS1_3repE0EEENS1_30default_config_static_selectorELNS0_4arch9wavefront6targetE1EEEvSH_: ; @_ZN7rocprim17ROCPRIM_400000_NS6detail17trampoline_kernelINS0_14default_configENS1_22reduce_config_selectorIiEEZNS1_11reduce_implILb1ES3_N6thrust23THRUST_200600_302600_NS10device_ptrIiEEPiiNS8_4plusIiEEEE10hipError_tPvRmT1_T2_T3_mT4_P12ihipStream_tbEUlT_E0_NS1_11comp_targetILNS1_3genE9ELNS1_11target_archE1100ELNS1_3gpuE3ELNS1_3repE0EEENS1_30default_config_static_selectorELNS0_4arch9wavefront6targetE1EEEvSH_
; %bb.0:
	.section	.rodata,"a",@progbits
	.p2align	6, 0x0
	.amdhsa_kernel _ZN7rocprim17ROCPRIM_400000_NS6detail17trampoline_kernelINS0_14default_configENS1_22reduce_config_selectorIiEEZNS1_11reduce_implILb1ES3_N6thrust23THRUST_200600_302600_NS10device_ptrIiEEPiiNS8_4plusIiEEEE10hipError_tPvRmT1_T2_T3_mT4_P12ihipStream_tbEUlT_E0_NS1_11comp_targetILNS1_3genE9ELNS1_11target_archE1100ELNS1_3gpuE3ELNS1_3repE0EEENS1_30default_config_static_selectorELNS0_4arch9wavefront6targetE1EEEvSH_
		.amdhsa_group_segment_fixed_size 0
		.amdhsa_private_segment_fixed_size 0
		.amdhsa_kernarg_size 56
		.amdhsa_user_sgpr_count 2
		.amdhsa_user_sgpr_dispatch_ptr 0
		.amdhsa_user_sgpr_queue_ptr 0
		.amdhsa_user_sgpr_kernarg_segment_ptr 1
		.amdhsa_user_sgpr_dispatch_id 0
		.amdhsa_user_sgpr_kernarg_preload_length 0
		.amdhsa_user_sgpr_kernarg_preload_offset 0
		.amdhsa_user_sgpr_private_segment_size 0
		.amdhsa_uses_dynamic_stack 0
		.amdhsa_enable_private_segment 0
		.amdhsa_system_sgpr_workgroup_id_x 1
		.amdhsa_system_sgpr_workgroup_id_y 0
		.amdhsa_system_sgpr_workgroup_id_z 0
		.amdhsa_system_sgpr_workgroup_info 0
		.amdhsa_system_vgpr_workitem_id 0
		.amdhsa_next_free_vgpr 1
		.amdhsa_next_free_sgpr 0
		.amdhsa_accum_offset 4
		.amdhsa_reserve_vcc 0
		.amdhsa_float_round_mode_32 0
		.amdhsa_float_round_mode_16_64 0
		.amdhsa_float_denorm_mode_32 3
		.amdhsa_float_denorm_mode_16_64 3
		.amdhsa_dx10_clamp 1
		.amdhsa_ieee_mode 1
		.amdhsa_fp16_overflow 0
		.amdhsa_tg_split 0
		.amdhsa_exception_fp_ieee_invalid_op 0
		.amdhsa_exception_fp_denorm_src 0
		.amdhsa_exception_fp_ieee_div_zero 0
		.amdhsa_exception_fp_ieee_overflow 0
		.amdhsa_exception_fp_ieee_underflow 0
		.amdhsa_exception_fp_ieee_inexact 0
		.amdhsa_exception_int_div_zero 0
	.end_amdhsa_kernel
	.section	.text._ZN7rocprim17ROCPRIM_400000_NS6detail17trampoline_kernelINS0_14default_configENS1_22reduce_config_selectorIiEEZNS1_11reduce_implILb1ES3_N6thrust23THRUST_200600_302600_NS10device_ptrIiEEPiiNS8_4plusIiEEEE10hipError_tPvRmT1_T2_T3_mT4_P12ihipStream_tbEUlT_E0_NS1_11comp_targetILNS1_3genE9ELNS1_11target_archE1100ELNS1_3gpuE3ELNS1_3repE0EEENS1_30default_config_static_selectorELNS0_4arch9wavefront6targetE1EEEvSH_,"axG",@progbits,_ZN7rocprim17ROCPRIM_400000_NS6detail17trampoline_kernelINS0_14default_configENS1_22reduce_config_selectorIiEEZNS1_11reduce_implILb1ES3_N6thrust23THRUST_200600_302600_NS10device_ptrIiEEPiiNS8_4plusIiEEEE10hipError_tPvRmT1_T2_T3_mT4_P12ihipStream_tbEUlT_E0_NS1_11comp_targetILNS1_3genE9ELNS1_11target_archE1100ELNS1_3gpuE3ELNS1_3repE0EEENS1_30default_config_static_selectorELNS0_4arch9wavefront6targetE1EEEvSH_,comdat
.Lfunc_end1134:
	.size	_ZN7rocprim17ROCPRIM_400000_NS6detail17trampoline_kernelINS0_14default_configENS1_22reduce_config_selectorIiEEZNS1_11reduce_implILb1ES3_N6thrust23THRUST_200600_302600_NS10device_ptrIiEEPiiNS8_4plusIiEEEE10hipError_tPvRmT1_T2_T3_mT4_P12ihipStream_tbEUlT_E0_NS1_11comp_targetILNS1_3genE9ELNS1_11target_archE1100ELNS1_3gpuE3ELNS1_3repE0EEENS1_30default_config_static_selectorELNS0_4arch9wavefront6targetE1EEEvSH_, .Lfunc_end1134-_ZN7rocprim17ROCPRIM_400000_NS6detail17trampoline_kernelINS0_14default_configENS1_22reduce_config_selectorIiEEZNS1_11reduce_implILb1ES3_N6thrust23THRUST_200600_302600_NS10device_ptrIiEEPiiNS8_4plusIiEEEE10hipError_tPvRmT1_T2_T3_mT4_P12ihipStream_tbEUlT_E0_NS1_11comp_targetILNS1_3genE9ELNS1_11target_archE1100ELNS1_3gpuE3ELNS1_3repE0EEENS1_30default_config_static_selectorELNS0_4arch9wavefront6targetE1EEEvSH_
                                        ; -- End function
	.set _ZN7rocprim17ROCPRIM_400000_NS6detail17trampoline_kernelINS0_14default_configENS1_22reduce_config_selectorIiEEZNS1_11reduce_implILb1ES3_N6thrust23THRUST_200600_302600_NS10device_ptrIiEEPiiNS8_4plusIiEEEE10hipError_tPvRmT1_T2_T3_mT4_P12ihipStream_tbEUlT_E0_NS1_11comp_targetILNS1_3genE9ELNS1_11target_archE1100ELNS1_3gpuE3ELNS1_3repE0EEENS1_30default_config_static_selectorELNS0_4arch9wavefront6targetE1EEEvSH_.num_vgpr, 0
	.set _ZN7rocprim17ROCPRIM_400000_NS6detail17trampoline_kernelINS0_14default_configENS1_22reduce_config_selectorIiEEZNS1_11reduce_implILb1ES3_N6thrust23THRUST_200600_302600_NS10device_ptrIiEEPiiNS8_4plusIiEEEE10hipError_tPvRmT1_T2_T3_mT4_P12ihipStream_tbEUlT_E0_NS1_11comp_targetILNS1_3genE9ELNS1_11target_archE1100ELNS1_3gpuE3ELNS1_3repE0EEENS1_30default_config_static_selectorELNS0_4arch9wavefront6targetE1EEEvSH_.num_agpr, 0
	.set _ZN7rocprim17ROCPRIM_400000_NS6detail17trampoline_kernelINS0_14default_configENS1_22reduce_config_selectorIiEEZNS1_11reduce_implILb1ES3_N6thrust23THRUST_200600_302600_NS10device_ptrIiEEPiiNS8_4plusIiEEEE10hipError_tPvRmT1_T2_T3_mT4_P12ihipStream_tbEUlT_E0_NS1_11comp_targetILNS1_3genE9ELNS1_11target_archE1100ELNS1_3gpuE3ELNS1_3repE0EEENS1_30default_config_static_selectorELNS0_4arch9wavefront6targetE1EEEvSH_.numbered_sgpr, 0
	.set _ZN7rocprim17ROCPRIM_400000_NS6detail17trampoline_kernelINS0_14default_configENS1_22reduce_config_selectorIiEEZNS1_11reduce_implILb1ES3_N6thrust23THRUST_200600_302600_NS10device_ptrIiEEPiiNS8_4plusIiEEEE10hipError_tPvRmT1_T2_T3_mT4_P12ihipStream_tbEUlT_E0_NS1_11comp_targetILNS1_3genE9ELNS1_11target_archE1100ELNS1_3gpuE3ELNS1_3repE0EEENS1_30default_config_static_selectorELNS0_4arch9wavefront6targetE1EEEvSH_.num_named_barrier, 0
	.set _ZN7rocprim17ROCPRIM_400000_NS6detail17trampoline_kernelINS0_14default_configENS1_22reduce_config_selectorIiEEZNS1_11reduce_implILb1ES3_N6thrust23THRUST_200600_302600_NS10device_ptrIiEEPiiNS8_4plusIiEEEE10hipError_tPvRmT1_T2_T3_mT4_P12ihipStream_tbEUlT_E0_NS1_11comp_targetILNS1_3genE9ELNS1_11target_archE1100ELNS1_3gpuE3ELNS1_3repE0EEENS1_30default_config_static_selectorELNS0_4arch9wavefront6targetE1EEEvSH_.private_seg_size, 0
	.set _ZN7rocprim17ROCPRIM_400000_NS6detail17trampoline_kernelINS0_14default_configENS1_22reduce_config_selectorIiEEZNS1_11reduce_implILb1ES3_N6thrust23THRUST_200600_302600_NS10device_ptrIiEEPiiNS8_4plusIiEEEE10hipError_tPvRmT1_T2_T3_mT4_P12ihipStream_tbEUlT_E0_NS1_11comp_targetILNS1_3genE9ELNS1_11target_archE1100ELNS1_3gpuE3ELNS1_3repE0EEENS1_30default_config_static_selectorELNS0_4arch9wavefront6targetE1EEEvSH_.uses_vcc, 0
	.set _ZN7rocprim17ROCPRIM_400000_NS6detail17trampoline_kernelINS0_14default_configENS1_22reduce_config_selectorIiEEZNS1_11reduce_implILb1ES3_N6thrust23THRUST_200600_302600_NS10device_ptrIiEEPiiNS8_4plusIiEEEE10hipError_tPvRmT1_T2_T3_mT4_P12ihipStream_tbEUlT_E0_NS1_11comp_targetILNS1_3genE9ELNS1_11target_archE1100ELNS1_3gpuE3ELNS1_3repE0EEENS1_30default_config_static_selectorELNS0_4arch9wavefront6targetE1EEEvSH_.uses_flat_scratch, 0
	.set _ZN7rocprim17ROCPRIM_400000_NS6detail17trampoline_kernelINS0_14default_configENS1_22reduce_config_selectorIiEEZNS1_11reduce_implILb1ES3_N6thrust23THRUST_200600_302600_NS10device_ptrIiEEPiiNS8_4plusIiEEEE10hipError_tPvRmT1_T2_T3_mT4_P12ihipStream_tbEUlT_E0_NS1_11comp_targetILNS1_3genE9ELNS1_11target_archE1100ELNS1_3gpuE3ELNS1_3repE0EEENS1_30default_config_static_selectorELNS0_4arch9wavefront6targetE1EEEvSH_.has_dyn_sized_stack, 0
	.set _ZN7rocprim17ROCPRIM_400000_NS6detail17trampoline_kernelINS0_14default_configENS1_22reduce_config_selectorIiEEZNS1_11reduce_implILb1ES3_N6thrust23THRUST_200600_302600_NS10device_ptrIiEEPiiNS8_4plusIiEEEE10hipError_tPvRmT1_T2_T3_mT4_P12ihipStream_tbEUlT_E0_NS1_11comp_targetILNS1_3genE9ELNS1_11target_archE1100ELNS1_3gpuE3ELNS1_3repE0EEENS1_30default_config_static_selectorELNS0_4arch9wavefront6targetE1EEEvSH_.has_recursion, 0
	.set _ZN7rocprim17ROCPRIM_400000_NS6detail17trampoline_kernelINS0_14default_configENS1_22reduce_config_selectorIiEEZNS1_11reduce_implILb1ES3_N6thrust23THRUST_200600_302600_NS10device_ptrIiEEPiiNS8_4plusIiEEEE10hipError_tPvRmT1_T2_T3_mT4_P12ihipStream_tbEUlT_E0_NS1_11comp_targetILNS1_3genE9ELNS1_11target_archE1100ELNS1_3gpuE3ELNS1_3repE0EEENS1_30default_config_static_selectorELNS0_4arch9wavefront6targetE1EEEvSH_.has_indirect_call, 0
	.section	.AMDGPU.csdata,"",@progbits
; Kernel info:
; codeLenInByte = 0
; TotalNumSgprs: 6
; NumVgprs: 0
; NumAgprs: 0
; TotalNumVgprs: 0
; ScratchSize: 0
; MemoryBound: 0
; FloatMode: 240
; IeeeMode: 1
; LDSByteSize: 0 bytes/workgroup (compile time only)
; SGPRBlocks: 0
; VGPRBlocks: 0
; NumSGPRsForWavesPerEU: 6
; NumVGPRsForWavesPerEU: 1
; AccumOffset: 4
; Occupancy: 8
; WaveLimiterHint : 0
; COMPUTE_PGM_RSRC2:SCRATCH_EN: 0
; COMPUTE_PGM_RSRC2:USER_SGPR: 2
; COMPUTE_PGM_RSRC2:TRAP_HANDLER: 0
; COMPUTE_PGM_RSRC2:TGID_X_EN: 1
; COMPUTE_PGM_RSRC2:TGID_Y_EN: 0
; COMPUTE_PGM_RSRC2:TGID_Z_EN: 0
; COMPUTE_PGM_RSRC2:TIDIG_COMP_CNT: 0
; COMPUTE_PGM_RSRC3_GFX90A:ACCUM_OFFSET: 0
; COMPUTE_PGM_RSRC3_GFX90A:TG_SPLIT: 0
	.section	.text._ZN7rocprim17ROCPRIM_400000_NS6detail17trampoline_kernelINS0_14default_configENS1_22reduce_config_selectorIiEEZNS1_11reduce_implILb1ES3_N6thrust23THRUST_200600_302600_NS10device_ptrIiEEPiiNS8_4plusIiEEEE10hipError_tPvRmT1_T2_T3_mT4_P12ihipStream_tbEUlT_E0_NS1_11comp_targetILNS1_3genE8ELNS1_11target_archE1030ELNS1_3gpuE2ELNS1_3repE0EEENS1_30default_config_static_selectorELNS0_4arch9wavefront6targetE1EEEvSH_,"axG",@progbits,_ZN7rocprim17ROCPRIM_400000_NS6detail17trampoline_kernelINS0_14default_configENS1_22reduce_config_selectorIiEEZNS1_11reduce_implILb1ES3_N6thrust23THRUST_200600_302600_NS10device_ptrIiEEPiiNS8_4plusIiEEEE10hipError_tPvRmT1_T2_T3_mT4_P12ihipStream_tbEUlT_E0_NS1_11comp_targetILNS1_3genE8ELNS1_11target_archE1030ELNS1_3gpuE2ELNS1_3repE0EEENS1_30default_config_static_selectorELNS0_4arch9wavefront6targetE1EEEvSH_,comdat
	.protected	_ZN7rocprim17ROCPRIM_400000_NS6detail17trampoline_kernelINS0_14default_configENS1_22reduce_config_selectorIiEEZNS1_11reduce_implILb1ES3_N6thrust23THRUST_200600_302600_NS10device_ptrIiEEPiiNS8_4plusIiEEEE10hipError_tPvRmT1_T2_T3_mT4_P12ihipStream_tbEUlT_E0_NS1_11comp_targetILNS1_3genE8ELNS1_11target_archE1030ELNS1_3gpuE2ELNS1_3repE0EEENS1_30default_config_static_selectorELNS0_4arch9wavefront6targetE1EEEvSH_ ; -- Begin function _ZN7rocprim17ROCPRIM_400000_NS6detail17trampoline_kernelINS0_14default_configENS1_22reduce_config_selectorIiEEZNS1_11reduce_implILb1ES3_N6thrust23THRUST_200600_302600_NS10device_ptrIiEEPiiNS8_4plusIiEEEE10hipError_tPvRmT1_T2_T3_mT4_P12ihipStream_tbEUlT_E0_NS1_11comp_targetILNS1_3genE8ELNS1_11target_archE1030ELNS1_3gpuE2ELNS1_3repE0EEENS1_30default_config_static_selectorELNS0_4arch9wavefront6targetE1EEEvSH_
	.globl	_ZN7rocprim17ROCPRIM_400000_NS6detail17trampoline_kernelINS0_14default_configENS1_22reduce_config_selectorIiEEZNS1_11reduce_implILb1ES3_N6thrust23THRUST_200600_302600_NS10device_ptrIiEEPiiNS8_4plusIiEEEE10hipError_tPvRmT1_T2_T3_mT4_P12ihipStream_tbEUlT_E0_NS1_11comp_targetILNS1_3genE8ELNS1_11target_archE1030ELNS1_3gpuE2ELNS1_3repE0EEENS1_30default_config_static_selectorELNS0_4arch9wavefront6targetE1EEEvSH_
	.p2align	8
	.type	_ZN7rocprim17ROCPRIM_400000_NS6detail17trampoline_kernelINS0_14default_configENS1_22reduce_config_selectorIiEEZNS1_11reduce_implILb1ES3_N6thrust23THRUST_200600_302600_NS10device_ptrIiEEPiiNS8_4plusIiEEEE10hipError_tPvRmT1_T2_T3_mT4_P12ihipStream_tbEUlT_E0_NS1_11comp_targetILNS1_3genE8ELNS1_11target_archE1030ELNS1_3gpuE2ELNS1_3repE0EEENS1_30default_config_static_selectorELNS0_4arch9wavefront6targetE1EEEvSH_,@function
_ZN7rocprim17ROCPRIM_400000_NS6detail17trampoline_kernelINS0_14default_configENS1_22reduce_config_selectorIiEEZNS1_11reduce_implILb1ES3_N6thrust23THRUST_200600_302600_NS10device_ptrIiEEPiiNS8_4plusIiEEEE10hipError_tPvRmT1_T2_T3_mT4_P12ihipStream_tbEUlT_E0_NS1_11comp_targetILNS1_3genE8ELNS1_11target_archE1030ELNS1_3gpuE2ELNS1_3repE0EEENS1_30default_config_static_selectorELNS0_4arch9wavefront6targetE1EEEvSH_: ; @_ZN7rocprim17ROCPRIM_400000_NS6detail17trampoline_kernelINS0_14default_configENS1_22reduce_config_selectorIiEEZNS1_11reduce_implILb1ES3_N6thrust23THRUST_200600_302600_NS10device_ptrIiEEPiiNS8_4plusIiEEEE10hipError_tPvRmT1_T2_T3_mT4_P12ihipStream_tbEUlT_E0_NS1_11comp_targetILNS1_3genE8ELNS1_11target_archE1030ELNS1_3gpuE2ELNS1_3repE0EEENS1_30default_config_static_selectorELNS0_4arch9wavefront6targetE1EEEvSH_
; %bb.0:
	.section	.rodata,"a",@progbits
	.p2align	6, 0x0
	.amdhsa_kernel _ZN7rocprim17ROCPRIM_400000_NS6detail17trampoline_kernelINS0_14default_configENS1_22reduce_config_selectorIiEEZNS1_11reduce_implILb1ES3_N6thrust23THRUST_200600_302600_NS10device_ptrIiEEPiiNS8_4plusIiEEEE10hipError_tPvRmT1_T2_T3_mT4_P12ihipStream_tbEUlT_E0_NS1_11comp_targetILNS1_3genE8ELNS1_11target_archE1030ELNS1_3gpuE2ELNS1_3repE0EEENS1_30default_config_static_selectorELNS0_4arch9wavefront6targetE1EEEvSH_
		.amdhsa_group_segment_fixed_size 0
		.amdhsa_private_segment_fixed_size 0
		.amdhsa_kernarg_size 56
		.amdhsa_user_sgpr_count 2
		.amdhsa_user_sgpr_dispatch_ptr 0
		.amdhsa_user_sgpr_queue_ptr 0
		.amdhsa_user_sgpr_kernarg_segment_ptr 1
		.amdhsa_user_sgpr_dispatch_id 0
		.amdhsa_user_sgpr_kernarg_preload_length 0
		.amdhsa_user_sgpr_kernarg_preload_offset 0
		.amdhsa_user_sgpr_private_segment_size 0
		.amdhsa_uses_dynamic_stack 0
		.amdhsa_enable_private_segment 0
		.amdhsa_system_sgpr_workgroup_id_x 1
		.amdhsa_system_sgpr_workgroup_id_y 0
		.amdhsa_system_sgpr_workgroup_id_z 0
		.amdhsa_system_sgpr_workgroup_info 0
		.amdhsa_system_vgpr_workitem_id 0
		.amdhsa_next_free_vgpr 1
		.amdhsa_next_free_sgpr 0
		.amdhsa_accum_offset 4
		.amdhsa_reserve_vcc 0
		.amdhsa_float_round_mode_32 0
		.amdhsa_float_round_mode_16_64 0
		.amdhsa_float_denorm_mode_32 3
		.amdhsa_float_denorm_mode_16_64 3
		.amdhsa_dx10_clamp 1
		.amdhsa_ieee_mode 1
		.amdhsa_fp16_overflow 0
		.amdhsa_tg_split 0
		.amdhsa_exception_fp_ieee_invalid_op 0
		.amdhsa_exception_fp_denorm_src 0
		.amdhsa_exception_fp_ieee_div_zero 0
		.amdhsa_exception_fp_ieee_overflow 0
		.amdhsa_exception_fp_ieee_underflow 0
		.amdhsa_exception_fp_ieee_inexact 0
		.amdhsa_exception_int_div_zero 0
	.end_amdhsa_kernel
	.section	.text._ZN7rocprim17ROCPRIM_400000_NS6detail17trampoline_kernelINS0_14default_configENS1_22reduce_config_selectorIiEEZNS1_11reduce_implILb1ES3_N6thrust23THRUST_200600_302600_NS10device_ptrIiEEPiiNS8_4plusIiEEEE10hipError_tPvRmT1_T2_T3_mT4_P12ihipStream_tbEUlT_E0_NS1_11comp_targetILNS1_3genE8ELNS1_11target_archE1030ELNS1_3gpuE2ELNS1_3repE0EEENS1_30default_config_static_selectorELNS0_4arch9wavefront6targetE1EEEvSH_,"axG",@progbits,_ZN7rocprim17ROCPRIM_400000_NS6detail17trampoline_kernelINS0_14default_configENS1_22reduce_config_selectorIiEEZNS1_11reduce_implILb1ES3_N6thrust23THRUST_200600_302600_NS10device_ptrIiEEPiiNS8_4plusIiEEEE10hipError_tPvRmT1_T2_T3_mT4_P12ihipStream_tbEUlT_E0_NS1_11comp_targetILNS1_3genE8ELNS1_11target_archE1030ELNS1_3gpuE2ELNS1_3repE0EEENS1_30default_config_static_selectorELNS0_4arch9wavefront6targetE1EEEvSH_,comdat
.Lfunc_end1135:
	.size	_ZN7rocprim17ROCPRIM_400000_NS6detail17trampoline_kernelINS0_14default_configENS1_22reduce_config_selectorIiEEZNS1_11reduce_implILb1ES3_N6thrust23THRUST_200600_302600_NS10device_ptrIiEEPiiNS8_4plusIiEEEE10hipError_tPvRmT1_T2_T3_mT4_P12ihipStream_tbEUlT_E0_NS1_11comp_targetILNS1_3genE8ELNS1_11target_archE1030ELNS1_3gpuE2ELNS1_3repE0EEENS1_30default_config_static_selectorELNS0_4arch9wavefront6targetE1EEEvSH_, .Lfunc_end1135-_ZN7rocprim17ROCPRIM_400000_NS6detail17trampoline_kernelINS0_14default_configENS1_22reduce_config_selectorIiEEZNS1_11reduce_implILb1ES3_N6thrust23THRUST_200600_302600_NS10device_ptrIiEEPiiNS8_4plusIiEEEE10hipError_tPvRmT1_T2_T3_mT4_P12ihipStream_tbEUlT_E0_NS1_11comp_targetILNS1_3genE8ELNS1_11target_archE1030ELNS1_3gpuE2ELNS1_3repE0EEENS1_30default_config_static_selectorELNS0_4arch9wavefront6targetE1EEEvSH_
                                        ; -- End function
	.set _ZN7rocprim17ROCPRIM_400000_NS6detail17trampoline_kernelINS0_14default_configENS1_22reduce_config_selectorIiEEZNS1_11reduce_implILb1ES3_N6thrust23THRUST_200600_302600_NS10device_ptrIiEEPiiNS8_4plusIiEEEE10hipError_tPvRmT1_T2_T3_mT4_P12ihipStream_tbEUlT_E0_NS1_11comp_targetILNS1_3genE8ELNS1_11target_archE1030ELNS1_3gpuE2ELNS1_3repE0EEENS1_30default_config_static_selectorELNS0_4arch9wavefront6targetE1EEEvSH_.num_vgpr, 0
	.set _ZN7rocprim17ROCPRIM_400000_NS6detail17trampoline_kernelINS0_14default_configENS1_22reduce_config_selectorIiEEZNS1_11reduce_implILb1ES3_N6thrust23THRUST_200600_302600_NS10device_ptrIiEEPiiNS8_4plusIiEEEE10hipError_tPvRmT1_T2_T3_mT4_P12ihipStream_tbEUlT_E0_NS1_11comp_targetILNS1_3genE8ELNS1_11target_archE1030ELNS1_3gpuE2ELNS1_3repE0EEENS1_30default_config_static_selectorELNS0_4arch9wavefront6targetE1EEEvSH_.num_agpr, 0
	.set _ZN7rocprim17ROCPRIM_400000_NS6detail17trampoline_kernelINS0_14default_configENS1_22reduce_config_selectorIiEEZNS1_11reduce_implILb1ES3_N6thrust23THRUST_200600_302600_NS10device_ptrIiEEPiiNS8_4plusIiEEEE10hipError_tPvRmT1_T2_T3_mT4_P12ihipStream_tbEUlT_E0_NS1_11comp_targetILNS1_3genE8ELNS1_11target_archE1030ELNS1_3gpuE2ELNS1_3repE0EEENS1_30default_config_static_selectorELNS0_4arch9wavefront6targetE1EEEvSH_.numbered_sgpr, 0
	.set _ZN7rocprim17ROCPRIM_400000_NS6detail17trampoline_kernelINS0_14default_configENS1_22reduce_config_selectorIiEEZNS1_11reduce_implILb1ES3_N6thrust23THRUST_200600_302600_NS10device_ptrIiEEPiiNS8_4plusIiEEEE10hipError_tPvRmT1_T2_T3_mT4_P12ihipStream_tbEUlT_E0_NS1_11comp_targetILNS1_3genE8ELNS1_11target_archE1030ELNS1_3gpuE2ELNS1_3repE0EEENS1_30default_config_static_selectorELNS0_4arch9wavefront6targetE1EEEvSH_.num_named_barrier, 0
	.set _ZN7rocprim17ROCPRIM_400000_NS6detail17trampoline_kernelINS0_14default_configENS1_22reduce_config_selectorIiEEZNS1_11reduce_implILb1ES3_N6thrust23THRUST_200600_302600_NS10device_ptrIiEEPiiNS8_4plusIiEEEE10hipError_tPvRmT1_T2_T3_mT4_P12ihipStream_tbEUlT_E0_NS1_11comp_targetILNS1_3genE8ELNS1_11target_archE1030ELNS1_3gpuE2ELNS1_3repE0EEENS1_30default_config_static_selectorELNS0_4arch9wavefront6targetE1EEEvSH_.private_seg_size, 0
	.set _ZN7rocprim17ROCPRIM_400000_NS6detail17trampoline_kernelINS0_14default_configENS1_22reduce_config_selectorIiEEZNS1_11reduce_implILb1ES3_N6thrust23THRUST_200600_302600_NS10device_ptrIiEEPiiNS8_4plusIiEEEE10hipError_tPvRmT1_T2_T3_mT4_P12ihipStream_tbEUlT_E0_NS1_11comp_targetILNS1_3genE8ELNS1_11target_archE1030ELNS1_3gpuE2ELNS1_3repE0EEENS1_30default_config_static_selectorELNS0_4arch9wavefront6targetE1EEEvSH_.uses_vcc, 0
	.set _ZN7rocprim17ROCPRIM_400000_NS6detail17trampoline_kernelINS0_14default_configENS1_22reduce_config_selectorIiEEZNS1_11reduce_implILb1ES3_N6thrust23THRUST_200600_302600_NS10device_ptrIiEEPiiNS8_4plusIiEEEE10hipError_tPvRmT1_T2_T3_mT4_P12ihipStream_tbEUlT_E0_NS1_11comp_targetILNS1_3genE8ELNS1_11target_archE1030ELNS1_3gpuE2ELNS1_3repE0EEENS1_30default_config_static_selectorELNS0_4arch9wavefront6targetE1EEEvSH_.uses_flat_scratch, 0
	.set _ZN7rocprim17ROCPRIM_400000_NS6detail17trampoline_kernelINS0_14default_configENS1_22reduce_config_selectorIiEEZNS1_11reduce_implILb1ES3_N6thrust23THRUST_200600_302600_NS10device_ptrIiEEPiiNS8_4plusIiEEEE10hipError_tPvRmT1_T2_T3_mT4_P12ihipStream_tbEUlT_E0_NS1_11comp_targetILNS1_3genE8ELNS1_11target_archE1030ELNS1_3gpuE2ELNS1_3repE0EEENS1_30default_config_static_selectorELNS0_4arch9wavefront6targetE1EEEvSH_.has_dyn_sized_stack, 0
	.set _ZN7rocprim17ROCPRIM_400000_NS6detail17trampoline_kernelINS0_14default_configENS1_22reduce_config_selectorIiEEZNS1_11reduce_implILb1ES3_N6thrust23THRUST_200600_302600_NS10device_ptrIiEEPiiNS8_4plusIiEEEE10hipError_tPvRmT1_T2_T3_mT4_P12ihipStream_tbEUlT_E0_NS1_11comp_targetILNS1_3genE8ELNS1_11target_archE1030ELNS1_3gpuE2ELNS1_3repE0EEENS1_30default_config_static_selectorELNS0_4arch9wavefront6targetE1EEEvSH_.has_recursion, 0
	.set _ZN7rocprim17ROCPRIM_400000_NS6detail17trampoline_kernelINS0_14default_configENS1_22reduce_config_selectorIiEEZNS1_11reduce_implILb1ES3_N6thrust23THRUST_200600_302600_NS10device_ptrIiEEPiiNS8_4plusIiEEEE10hipError_tPvRmT1_T2_T3_mT4_P12ihipStream_tbEUlT_E0_NS1_11comp_targetILNS1_3genE8ELNS1_11target_archE1030ELNS1_3gpuE2ELNS1_3repE0EEENS1_30default_config_static_selectorELNS0_4arch9wavefront6targetE1EEEvSH_.has_indirect_call, 0
	.section	.AMDGPU.csdata,"",@progbits
; Kernel info:
; codeLenInByte = 0
; TotalNumSgprs: 6
; NumVgprs: 0
; NumAgprs: 0
; TotalNumVgprs: 0
; ScratchSize: 0
; MemoryBound: 0
; FloatMode: 240
; IeeeMode: 1
; LDSByteSize: 0 bytes/workgroup (compile time only)
; SGPRBlocks: 0
; VGPRBlocks: 0
; NumSGPRsForWavesPerEU: 6
; NumVGPRsForWavesPerEU: 1
; AccumOffset: 4
; Occupancy: 8
; WaveLimiterHint : 0
; COMPUTE_PGM_RSRC2:SCRATCH_EN: 0
; COMPUTE_PGM_RSRC2:USER_SGPR: 2
; COMPUTE_PGM_RSRC2:TRAP_HANDLER: 0
; COMPUTE_PGM_RSRC2:TGID_X_EN: 1
; COMPUTE_PGM_RSRC2:TGID_Y_EN: 0
; COMPUTE_PGM_RSRC2:TGID_Z_EN: 0
; COMPUTE_PGM_RSRC2:TIDIG_COMP_CNT: 0
; COMPUTE_PGM_RSRC3_GFX90A:ACCUM_OFFSET: 0
; COMPUTE_PGM_RSRC3_GFX90A:TG_SPLIT: 0
	.section	.text._ZN7rocprim17ROCPRIM_400000_NS6detail17trampoline_kernelINS0_14default_configENS1_22reduce_config_selectorIiEEZNS1_11reduce_implILb1ES3_N6thrust23THRUST_200600_302600_NS10device_ptrIiEEPiiNS8_4plusIiEEEE10hipError_tPvRmT1_T2_T3_mT4_P12ihipStream_tbEUlT_E1_NS1_11comp_targetILNS1_3genE0ELNS1_11target_archE4294967295ELNS1_3gpuE0ELNS1_3repE0EEENS1_30default_config_static_selectorELNS0_4arch9wavefront6targetE1EEEvSH_,"axG",@progbits,_ZN7rocprim17ROCPRIM_400000_NS6detail17trampoline_kernelINS0_14default_configENS1_22reduce_config_selectorIiEEZNS1_11reduce_implILb1ES3_N6thrust23THRUST_200600_302600_NS10device_ptrIiEEPiiNS8_4plusIiEEEE10hipError_tPvRmT1_T2_T3_mT4_P12ihipStream_tbEUlT_E1_NS1_11comp_targetILNS1_3genE0ELNS1_11target_archE4294967295ELNS1_3gpuE0ELNS1_3repE0EEENS1_30default_config_static_selectorELNS0_4arch9wavefront6targetE1EEEvSH_,comdat
	.protected	_ZN7rocprim17ROCPRIM_400000_NS6detail17trampoline_kernelINS0_14default_configENS1_22reduce_config_selectorIiEEZNS1_11reduce_implILb1ES3_N6thrust23THRUST_200600_302600_NS10device_ptrIiEEPiiNS8_4plusIiEEEE10hipError_tPvRmT1_T2_T3_mT4_P12ihipStream_tbEUlT_E1_NS1_11comp_targetILNS1_3genE0ELNS1_11target_archE4294967295ELNS1_3gpuE0ELNS1_3repE0EEENS1_30default_config_static_selectorELNS0_4arch9wavefront6targetE1EEEvSH_ ; -- Begin function _ZN7rocprim17ROCPRIM_400000_NS6detail17trampoline_kernelINS0_14default_configENS1_22reduce_config_selectorIiEEZNS1_11reduce_implILb1ES3_N6thrust23THRUST_200600_302600_NS10device_ptrIiEEPiiNS8_4plusIiEEEE10hipError_tPvRmT1_T2_T3_mT4_P12ihipStream_tbEUlT_E1_NS1_11comp_targetILNS1_3genE0ELNS1_11target_archE4294967295ELNS1_3gpuE0ELNS1_3repE0EEENS1_30default_config_static_selectorELNS0_4arch9wavefront6targetE1EEEvSH_
	.globl	_ZN7rocprim17ROCPRIM_400000_NS6detail17trampoline_kernelINS0_14default_configENS1_22reduce_config_selectorIiEEZNS1_11reduce_implILb1ES3_N6thrust23THRUST_200600_302600_NS10device_ptrIiEEPiiNS8_4plusIiEEEE10hipError_tPvRmT1_T2_T3_mT4_P12ihipStream_tbEUlT_E1_NS1_11comp_targetILNS1_3genE0ELNS1_11target_archE4294967295ELNS1_3gpuE0ELNS1_3repE0EEENS1_30default_config_static_selectorELNS0_4arch9wavefront6targetE1EEEvSH_
	.p2align	8
	.type	_ZN7rocprim17ROCPRIM_400000_NS6detail17trampoline_kernelINS0_14default_configENS1_22reduce_config_selectorIiEEZNS1_11reduce_implILb1ES3_N6thrust23THRUST_200600_302600_NS10device_ptrIiEEPiiNS8_4plusIiEEEE10hipError_tPvRmT1_T2_T3_mT4_P12ihipStream_tbEUlT_E1_NS1_11comp_targetILNS1_3genE0ELNS1_11target_archE4294967295ELNS1_3gpuE0ELNS1_3repE0EEENS1_30default_config_static_selectorELNS0_4arch9wavefront6targetE1EEEvSH_,@function
_ZN7rocprim17ROCPRIM_400000_NS6detail17trampoline_kernelINS0_14default_configENS1_22reduce_config_selectorIiEEZNS1_11reduce_implILb1ES3_N6thrust23THRUST_200600_302600_NS10device_ptrIiEEPiiNS8_4plusIiEEEE10hipError_tPvRmT1_T2_T3_mT4_P12ihipStream_tbEUlT_E1_NS1_11comp_targetILNS1_3genE0ELNS1_11target_archE4294967295ELNS1_3gpuE0ELNS1_3repE0EEENS1_30default_config_static_selectorELNS0_4arch9wavefront6targetE1EEEvSH_: ; @_ZN7rocprim17ROCPRIM_400000_NS6detail17trampoline_kernelINS0_14default_configENS1_22reduce_config_selectorIiEEZNS1_11reduce_implILb1ES3_N6thrust23THRUST_200600_302600_NS10device_ptrIiEEPiiNS8_4plusIiEEEE10hipError_tPvRmT1_T2_T3_mT4_P12ihipStream_tbEUlT_E1_NS1_11comp_targetILNS1_3genE0ELNS1_11target_archE4294967295ELNS1_3gpuE0ELNS1_3repE0EEENS1_30default_config_static_selectorELNS0_4arch9wavefront6targetE1EEEvSH_
; %bb.0:
	s_load_dword s33, s[0:1], 0x4
	s_load_dwordx4 s[68:71], s[0:1], 0x8
	s_waitcnt lgkmcnt(0)
	s_cmp_lt_i32 s33, 8
	s_cbranch_scc1 .LBB1136_11
; %bb.1:
	s_cmp_gt_i32 s33, 15
	s_cbranch_scc0 .LBB1136_12
; %bb.2:
	s_cmp_gt_i32 s33, 31
	s_cbranch_scc0 .LBB1136_13
; %bb.3:
	s_cmp_eq_u32 s33, 32
	s_mov_b64 s[66:67], 0
	s_cbranch_scc0 .LBB1136_14
; %bb.4:
	s_mov_b32 s3, 0
	s_lshl_b32 s4, s2, 13
	s_mov_b32 s5, s3
	s_lshr_b64 s[6:7], s[70:71], 13
	s_lshl_b64 s[8:9], s[4:5], 2
	s_add_u32 s72, s68, s8
	s_addc_u32 s73, s69, s9
	s_cmp_lg_u64 s[6:7], s[2:3]
	s_cbranch_scc0 .LBB1136_23
; %bb.5:
	v_lshlrev_b32_e32 v2, 2, v0
	v_mov_b32_e32 v3, 0
	v_lshl_add_u64 v[4:5], s[72:73], 0, v[2:3]
	global_load_dword v1, v2, s[72:73]
	global_load_dword v8, v2, s[72:73] offset:1024
	global_load_dword v9, v2, s[72:73] offset:2048
	global_load_dword v10, v2, s[72:73] offset:3072
	v_add_co_u32_e32 v2, vcc, 0x1000, v4
	s_waitcnt vmcnt(2)
	v_add_u32_e32 v1, v8, v1
	v_addc_co_u32_e32 v3, vcc, 0, v5, vcc
	v_add_co_u32_e32 v6, vcc, 0x2000, v4
	s_waitcnt vmcnt(0)
	v_add3_u32 v1, v1, v9, v10
	v_addc_co_u32_e32 v7, vcc, 0, v5, vcc
	global_load_dword v11, v[2:3], off
	global_load_dword v12, v[2:3], off offset:1024
	global_load_dword v13, v[2:3], off offset:2048
	global_load_dword v14, v[2:3], off offset:3072
	global_load_dword v15, v[6:7], off
	global_load_dword v16, v[6:7], off offset:1024
	global_load_dword v17, v[6:7], off offset:2048
	global_load_dword v18, v[6:7], off offset:3072
	v_add_co_u32_e32 v2, vcc, 0x3000, v4
	s_waitcnt vmcnt(6)
	v_add3_u32 v1, v1, v11, v12
	v_addc_co_u32_e32 v3, vcc, 0, v5, vcc
	v_add_co_u32_e32 v6, vcc, 0x4000, v4
	s_waitcnt vmcnt(4)
	v_add3_u32 v1, v1, v13, v14
	v_addc_co_u32_e32 v7, vcc, 0, v5, vcc
	global_load_dword v19, v[2:3], off
	global_load_dword v20, v[2:3], off offset:1024
	global_load_dword v21, v[2:3], off offset:2048
	global_load_dword v22, v[2:3], off offset:3072
	global_load_dword v23, v[6:7], off
	global_load_dword v24, v[6:7], off offset:1024
	global_load_dword v25, v[6:7], off offset:2048
	global_load_dword v26, v[6:7], off offset:3072
	v_add_co_u32_e32 v2, vcc, 0x5000, v4
	s_waitcnt vmcnt(10)
	v_add3_u32 v1, v1, v15, v16
	;; [unrolled: 16-line block ×3, first 2 shown]
	v_addc_co_u32_e32 v3, vcc, 0, v5, vcc
	global_load_dword v4, v[2:3], off
	global_load_dword v5, v[2:3], off offset:1024
	global_load_dword v6, v[2:3], off offset:2048
	;; [unrolled: 1-line block ×3, first 2 shown]
	s_waitcnt vmcnt(16)
	v_add3_u32 v1, v1, v21, v22
	s_waitcnt vmcnt(14)
	v_add3_u32 v1, v1, v23, v24
	;; [unrolled: 2-line block ×3, first 2 shown]
	v_mbcnt_lo_u32_b32 v2, -1, 0
	v_mbcnt_hi_u32_b32 v2, -1, v2
	v_lshlrev_b32_e32 v3, 2, v2
	v_cmp_eq_u32_e32 vcc, 0, v2
	s_waitcnt vmcnt(10)
	v_add3_u32 v1, v1, v27, v28
	s_waitcnt vmcnt(8)
	v_add3_u32 v1, v1, v29, v30
	s_waitcnt vmcnt(6)
	v_add3_u32 v1, v1, v31, v32
	s_waitcnt vmcnt(4)
	v_add3_u32 v1, v1, v33, v34
	s_waitcnt vmcnt(2)
	v_add3_u32 v1, v1, v4, v5
	v_or_b32_e32 v4, 0xfc, v3
	s_waitcnt vmcnt(0)
	v_add3_u32 v1, v1, v6, v7
	s_nop 1
	v_add_u32_dpp v1, v1, v1 quad_perm:[1,0,3,2] row_mask:0xf bank_mask:0xf bound_ctrl:1
	s_nop 1
	v_add_u32_dpp v1, v1, v1 quad_perm:[2,3,0,1] row_mask:0xf bank_mask:0xf bound_ctrl:1
	s_nop 1
	v_add_u32_dpp v1, v1, v1 row_ror:4 row_mask:0xf bank_mask:0xf bound_ctrl:1
	s_nop 1
	v_add_u32_dpp v1, v1, v1 row_ror:8 row_mask:0xf bank_mask:0xf bound_ctrl:1
	s_nop 1
	v_add_u32_dpp v1, v1, v1 row_bcast:15 row_mask:0xf bank_mask:0xf bound_ctrl:1
	s_nop 1
	v_add_u32_dpp v1, v1, v1 row_bcast:31 row_mask:0xf bank_mask:0xf bound_ctrl:1
	ds_bpermute_b32 v1, v4, v1
	s_and_saveexec_b64 s[6:7], vcc
	s_cbranch_execz .LBB1136_7
; %bb.6:
	v_lshrrev_b32_e32 v4, 4, v0
	v_and_b32_e32 v4, 12, v4
	s_waitcnt lgkmcnt(0)
	ds_write_b32 v4, v1 offset:48
.LBB1136_7:
	s_or_b64 exec, exec, s[6:7]
	v_cmp_gt_u32_e32 vcc, 64, v0
	s_waitcnt lgkmcnt(0)
	s_barrier
	s_and_saveexec_b64 s[6:7], vcc
	s_cbranch_execz .LBB1136_9
; %bb.8:
	v_and_b32_e32 v1, 3, v2
	v_lshlrev_b32_e32 v4, 2, v1
	ds_read_b32 v4, v4 offset:48
	v_cmp_ne_u32_e32 vcc, 3, v1
	s_nop 1
	v_addc_co_u32_e32 v1, vcc, 0, v2, vcc
	v_lshlrev_b32_e32 v1, 2, v1
	s_waitcnt lgkmcnt(0)
	ds_bpermute_b32 v1, v1, v4
	v_or_b32_e32 v2, 8, v3
	s_waitcnt lgkmcnt(0)
	v_add_u32_e32 v1, v1, v4
	ds_bpermute_b32 v2, v2, v1
	s_waitcnt lgkmcnt(0)
	v_add_u32_e32 v1, v2, v1
.LBB1136_9:
	s_or_b64 exec, exec, s[6:7]
.LBB1136_10:
	v_cmp_eq_u32_e64 s[4:5], 0, v0
	s_and_b64 vcc, exec, s[66:67]
	s_cbranch_vccnz .LBB1136_15
	s_branch .LBB1136_93
.LBB1136_11:
	s_mov_b64 s[4:5], 0
                                        ; implicit-def: $vgpr1
	s_cbranch_execnz .LBB1136_166
	s_branch .LBB1136_224
.LBB1136_12:
	s_mov_b64 s[4:5], 0
                                        ; implicit-def: $vgpr1
	s_cbranch_execnz .LBB1136_134
	s_branch .LBB1136_142
.LBB1136_13:
	s_mov_b64 s[66:67], -1
.LBB1136_14:
	s_mov_b64 s[4:5], 0
                                        ; implicit-def: $vgpr1
	s_and_b64 vcc, exec, s[66:67]
	s_cbranch_vccz .LBB1136_93
.LBB1136_15:
	s_cmp_eq_u32 s33, 16
	s_cbranch_scc0 .LBB1136_22
; %bb.16:
	s_mov_b32 s3, 0
	s_lshl_b32 s4, s2, 12
	s_mov_b32 s5, s3
	s_lshr_b64 s[6:7], s[70:71], 12
	s_lshl_b64 s[8:9], s[4:5], 2
	s_add_u32 s34, s68, s8
	s_addc_u32 s35, s69, s9
	s_cmp_lg_u64 s[6:7], s[2:3]
	s_cbranch_scc0 .LBB1136_94
; %bb.17:
	v_lshlrev_b32_e32 v2, 2, v0
	v_mov_b32_e32 v3, 0
	v_lshl_add_u64 v[4:5], s[34:35], 0, v[2:3]
	global_load_dword v1, v2, s[34:35]
	global_load_dword v8, v2, s[34:35] offset:1024
	global_load_dword v9, v2, s[34:35] offset:2048
	;; [unrolled: 1-line block ×3, first 2 shown]
	v_add_co_u32_e32 v2, vcc, 0x1000, v4
	s_waitcnt vmcnt(2)
	v_add_u32_e32 v1, v8, v1
	v_addc_co_u32_e32 v3, vcc, 0, v5, vcc
	v_add_co_u32_e32 v6, vcc, 0x2000, v4
	s_waitcnt vmcnt(0)
	v_add3_u32 v1, v1, v9, v10
	v_addc_co_u32_e32 v7, vcc, 0, v5, vcc
	global_load_dword v11, v[2:3], off
	global_load_dword v12, v[2:3], off offset:1024
	global_load_dword v13, v[2:3], off offset:2048
	;; [unrolled: 1-line block ×3, first 2 shown]
	global_load_dword v15, v[6:7], off
	global_load_dword v16, v[6:7], off offset:1024
	global_load_dword v17, v[6:7], off offset:2048
	;; [unrolled: 1-line block ×3, first 2 shown]
	v_add_co_u32_e32 v2, vcc, 0x3000, v4
	s_waitcnt vmcnt(6)
	v_add3_u32 v1, v1, v11, v12
	v_addc_co_u32_e32 v3, vcc, 0, v5, vcc
	global_load_dword v4, v[2:3], off
	global_load_dword v5, v[2:3], off offset:1024
	global_load_dword v6, v[2:3], off offset:2048
	;; [unrolled: 1-line block ×3, first 2 shown]
	s_waitcnt vmcnt(8)
	v_add3_u32 v1, v1, v13, v14
	s_waitcnt vmcnt(6)
	v_add3_u32 v1, v1, v15, v16
	;; [unrolled: 2-line block ×3, first 2 shown]
	v_mbcnt_lo_u32_b32 v2, -1, 0
	v_mbcnt_hi_u32_b32 v2, -1, v2
	v_lshlrev_b32_e32 v3, 2, v2
	v_cmp_eq_u32_e32 vcc, 0, v2
	s_waitcnt vmcnt(2)
	v_add3_u32 v1, v1, v4, v5
	v_or_b32_e32 v4, 0xfc, v3
	s_waitcnt vmcnt(0)
	v_add3_u32 v1, v1, v6, v7
	s_nop 1
	v_add_u32_dpp v1, v1, v1 quad_perm:[1,0,3,2] row_mask:0xf bank_mask:0xf bound_ctrl:1
	s_nop 1
	v_add_u32_dpp v1, v1, v1 quad_perm:[2,3,0,1] row_mask:0xf bank_mask:0xf bound_ctrl:1
	s_nop 1
	v_add_u32_dpp v1, v1, v1 row_ror:4 row_mask:0xf bank_mask:0xf bound_ctrl:1
	s_nop 1
	v_add_u32_dpp v1, v1, v1 row_ror:8 row_mask:0xf bank_mask:0xf bound_ctrl:1
	s_nop 1
	v_add_u32_dpp v1, v1, v1 row_bcast:15 row_mask:0xf bank_mask:0xf bound_ctrl:1
	s_nop 1
	v_add_u32_dpp v1, v1, v1 row_bcast:31 row_mask:0xf bank_mask:0xf bound_ctrl:1
	ds_bpermute_b32 v1, v4, v1
	s_and_saveexec_b64 s[6:7], vcc
	s_cbranch_execz .LBB1136_19
; %bb.18:
	v_lshrrev_b32_e32 v4, 4, v0
	v_and_b32_e32 v4, 12, v4
	s_waitcnt lgkmcnt(0)
	ds_write_b32 v4, v1
.LBB1136_19:
	s_or_b64 exec, exec, s[6:7]
	v_cmp_gt_u32_e32 vcc, 64, v0
	s_waitcnt lgkmcnt(0)
	s_barrier
	s_and_saveexec_b64 s[6:7], vcc
	s_cbranch_execz .LBB1136_21
; %bb.20:
	v_and_b32_e32 v1, 3, v2
	v_lshlrev_b32_e32 v4, 2, v1
	ds_read_b32 v4, v4
	v_cmp_ne_u32_e32 vcc, 3, v1
	s_nop 1
	v_addc_co_u32_e32 v1, vcc, 0, v2, vcc
	v_lshlrev_b32_e32 v1, 2, v1
	s_waitcnt lgkmcnt(0)
	ds_bpermute_b32 v1, v1, v4
	v_or_b32_e32 v2, 8, v3
	s_waitcnt lgkmcnt(0)
	v_add_u32_e32 v1, v1, v4
	ds_bpermute_b32 v2, v2, v1
	s_waitcnt lgkmcnt(0)
	v_add_u32_e32 v1, v2, v1
.LBB1136_21:
	s_or_b64 exec, exec, s[6:7]
	s_mov_b64 s[6:7], 0
	s_branch .LBB1136_95
.LBB1136_22:
                                        ; implicit-def: $vgpr1
	s_branch .LBB1136_142
.LBB1136_23:
                                        ; implicit-def: $vgpr1
	s_cbranch_execz .LBB1136_10
; %bb.24:
	s_sub_i32 s76, s70, s4
	v_mov_b32_e32 v2, 0
	v_cmp_gt_u32_e32 vcc, s76, v0
	v_mov_b32_e32 v3, v2
	v_mov_b32_e32 v4, v2
	;; [unrolled: 1-line block ×31, first 2 shown]
	s_and_saveexec_b64 s[4:5], vcc
	s_cbranch_execz .LBB1136_26
; %bb.25:
	v_lshlrev_b32_e32 v1, 2, v0
	global_load_dword v4, v1, s[72:73]
	v_mov_b32_e32 v5, v2
	v_mov_b32_e32 v6, v2
	;; [unrolled: 1-line block ×31, first 2 shown]
	s_waitcnt vmcnt(0)
	v_mov_b64_e32 v[2:3], v[4:5]
	v_mov_b64_e32 v[4:5], v[6:7]
	;; [unrolled: 1-line block ×16, first 2 shown]
.LBB1136_26:
	s_or_b64 exec, exec, s[4:5]
	v_or_b32_e32 v1, 0x100, v0
	v_cmp_gt_u32_e32 vcc, s76, v1
	s_and_saveexec_b64 s[4:5], vcc
	s_cbranch_execz .LBB1136_28
; %bb.27:
	v_lshlrev_b32_e32 v1, 2, v0
	global_load_dword v3, v1, s[72:73] offset:1024
.LBB1136_28:
	s_or_b64 exec, exec, s[4:5]
	v_or_b32_e32 v1, 0x200, v0
	v_cmp_gt_u32_e64 s[4:5], s76, v1
	s_and_saveexec_b64 s[6:7], s[4:5]
	s_cbranch_execz .LBB1136_30
; %bb.29:
	v_lshlrev_b32_e32 v1, 2, v0
	global_load_dword v4, v1, s[72:73] offset:2048
.LBB1136_30:
	s_or_b64 exec, exec, s[6:7]
	v_or_b32_e32 v1, 0x300, v0
	v_cmp_gt_u32_e64 s[6:7], s76, v1
	s_and_saveexec_b64 s[8:9], s[6:7]
	;; [unrolled: 9-line block ×3, first 2 shown]
	s_cbranch_execz .LBB1136_34
; %bb.33:
	v_lshlrev_b32_e32 v1, 2, v1
	global_load_dword v6, v1, s[72:73]
.LBB1136_34:
	s_or_b64 exec, exec, s[10:11]
	v_or_b32_e32 v1, 0x500, v0
	v_cmp_gt_u32_e64 s[10:11], s76, v1
	s_and_saveexec_b64 s[12:13], s[10:11]
	s_cbranch_execz .LBB1136_36
; %bb.35:
	v_lshlrev_b32_e32 v1, 2, v1
	global_load_dword v7, v1, s[72:73]
.LBB1136_36:
	s_or_b64 exec, exec, s[12:13]
	v_or_b32_e32 v1, 0x600, v0
	v_cmp_gt_u32_e64 s[12:13], s76, v1
	s_and_saveexec_b64 s[14:15], s[12:13]
	;; [unrolled: 9-line block ×27, first 2 shown]
	s_cbranch_execz .LBB1136_88
; %bb.87:
	v_lshlrev_b32_e32 v1, 2, v1
	global_load_dword v33, v1, s[72:73]
.LBB1136_88:
	s_or_b64 exec, exec, s[74:75]
	s_waitcnt vmcnt(0)
	v_cndmask_b32_e32 v1, 0, v3, vcc
	v_add_u32_e32 v1, v1, v2
	v_cndmask_b32_e64 v2, 0, v4, s[4:5]
	v_cndmask_b32_e64 v3, 0, v5, s[6:7]
	v_add3_u32 v1, v1, v2, v3
	v_cndmask_b32_e64 v2, 0, v6, s[8:9]
	v_cndmask_b32_e64 v3, 0, v7, s[10:11]
	v_add3_u32 v1, v1, v2, v3
	;; [unrolled: 3-line block ×15, first 2 shown]
	v_mbcnt_lo_u32_b32 v2, -1, 0
	v_mbcnt_hi_u32_b32 v2, -1, v2
	v_and_b32_e32 v4, 63, v2
	v_cmp_ne_u32_e32 vcc, 63, v4
	s_min_u32 s6, s76, 0x100
	v_and_b32_e32 v5, 0xc0, v0
	v_addc_co_u32_e32 v3, vcc, 0, v2, vcc
	v_lshlrev_b32_e32 v3, 2, v3
	ds_bpermute_b32 v3, v3, v1
	v_sub_u32_e64 v5, s6, v5 clamp
	v_add_u32_e32 v6, 1, v4
	v_cmp_lt_u32_e32 vcc, v6, v5
	v_add_u32_e32 v6, 2, v4
	s_waitcnt lgkmcnt(0)
	v_cndmask_b32_e32 v3, 0, v3, vcc
	v_cmp_gt_u32_e32 vcc, 62, v4
	v_add_u32_e32 v1, v1, v3
	s_nop 0
	v_cndmask_b32_e64 v3, 0, 2, vcc
	v_add_lshl_u32 v3, v3, v2, 2
	ds_bpermute_b32 v3, v3, v1
	v_cmp_lt_u32_e32 vcc, v6, v5
	v_add_u32_e32 v6, 4, v4
	s_waitcnt lgkmcnt(0)
	v_cndmask_b32_e32 v3, 0, v3, vcc
	v_cmp_gt_u32_e32 vcc, 60, v4
	v_add_u32_e32 v1, v1, v3
	s_nop 0
	v_cndmask_b32_e64 v3, 0, 4, vcc
	v_add_lshl_u32 v3, v3, v2, 2
	ds_bpermute_b32 v3, v3, v1
	v_cmp_lt_u32_e32 vcc, v6, v5
	v_add_u32_e32 v6, 8, v4
	s_waitcnt lgkmcnt(0)
	v_cndmask_b32_e32 v3, 0, v3, vcc
	v_cmp_gt_u32_e32 vcc, 56, v4
	v_add_u32_e32 v1, v1, v3
	s_nop 0
	v_cndmask_b32_e64 v3, 0, 8, vcc
	v_add_lshl_u32 v3, v3, v2, 2
	ds_bpermute_b32 v3, v3, v1
	v_cmp_lt_u32_e32 vcc, v6, v5
	v_add_u32_e32 v6, 16, v4
	s_waitcnt lgkmcnt(0)
	v_cndmask_b32_e32 v3, 0, v3, vcc
	v_cmp_gt_u32_e32 vcc, 48, v4
	v_add_u32_e32 v1, v1, v3
	v_add_u32_e32 v4, 32, v4
	v_cndmask_b32_e64 v3, 0, 16, vcc
	v_add_lshl_u32 v3, v3, v2, 2
	ds_bpermute_b32 v3, v3, v1
	v_cmp_lt_u32_e32 vcc, v6, v5
	s_waitcnt lgkmcnt(0)
	s_nop 0
	v_cndmask_b32_e32 v3, 0, v3, vcc
	v_add_u32_e32 v1, v1, v3
	v_lshlrev_b32_e32 v3, 2, v2
	v_or_b32_e32 v6, 0x80, v3
	ds_bpermute_b32 v6, v6, v1
	v_cmp_lt_u32_e32 vcc, v4, v5
	s_waitcnt lgkmcnt(0)
	s_nop 0
	v_cndmask_b32_e32 v4, 0, v6, vcc
	v_add_u32_e32 v1, v1, v4
	v_cmp_eq_u32_e32 vcc, 0, v2
	s_and_saveexec_b64 s[4:5], vcc
; %bb.89:
	v_lshrrev_b32_e32 v4, 4, v0
	v_and_b32_e32 v4, 12, v4
	ds_write_b32 v4, v1 offset:96
; %bb.90:
	s_or_b64 exec, exec, s[4:5]
	v_cmp_gt_u32_e32 vcc, 4, v0
	s_waitcnt lgkmcnt(0)
	s_barrier
	s_and_saveexec_b64 s[4:5], vcc
	s_cbranch_execz .LBB1136_92
; %bb.91:
	ds_read_b32 v1, v3 offset:96
	v_and_b32_e32 v4, 3, v2
	v_cmp_ne_u32_e32 vcc, 3, v4
	s_add_i32 s6, s6, 63
	s_lshr_b32 s6, s6, 6
	v_addc_co_u32_e32 v2, vcc, 0, v2, vcc
	v_lshlrev_b32_e32 v2, 2, v2
	s_waitcnt lgkmcnt(0)
	ds_bpermute_b32 v2, v2, v1
	v_add_u32_e32 v5, 1, v4
	v_cmp_gt_u32_e32 vcc, s6, v5
	s_waitcnt lgkmcnt(0)
	s_nop 0
	v_cndmask_b32_e32 v2, 0, v2, vcc
	v_add_u32_e32 v1, v2, v1
	v_or_b32_e32 v2, 8, v3
	ds_bpermute_b32 v2, v2, v1
	v_add_u32_e32 v3, 2, v4
	v_cmp_gt_u32_e32 vcc, s6, v3
	s_waitcnt lgkmcnt(0)
	s_nop 0
	v_cndmask_b32_e32 v2, 0, v2, vcc
	v_add_u32_e32 v1, v1, v2
.LBB1136_92:
	s_or_b64 exec, exec, s[4:5]
	v_cmp_eq_u32_e64 s[4:5], 0, v0
	s_and_b64 vcc, exec, s[66:67]
	s_cbranch_vccnz .LBB1136_15
.LBB1136_93:
	s_branch .LBB1136_142
.LBB1136_94:
	s_mov_b64 s[6:7], -1
                                        ; implicit-def: $vgpr1
.LBB1136_95:
	s_and_b64 vcc, exec, s[6:7]
	s_cbranch_vccz .LBB1136_133
; %bb.96:
	s_sub_i32 s38, s70, s4
	v_mov_b32_e32 v2, 0
	v_cmp_gt_u32_e32 vcc, s38, v0
	v_mov_b32_e32 v3, v2
	v_mov_b32_e32 v4, v2
	;; [unrolled: 1-line block ×15, first 2 shown]
	s_and_saveexec_b64 s[4:5], vcc
	s_cbranch_execz .LBB1136_98
; %bb.97:
	v_lshlrev_b32_e32 v1, 2, v0
	global_load_dword v4, v1, s[34:35]
	v_mov_b32_e32 v5, v2
	v_mov_b32_e32 v6, v2
	;; [unrolled: 1-line block ×15, first 2 shown]
	s_waitcnt vmcnt(0)
	v_mov_b64_e32 v[2:3], v[4:5]
	v_mov_b64_e32 v[4:5], v[6:7]
	;; [unrolled: 1-line block ×8, first 2 shown]
.LBB1136_98:
	s_or_b64 exec, exec, s[4:5]
	v_or_b32_e32 v1, 0x100, v0
	v_cmp_gt_u32_e32 vcc, s38, v1
	s_and_saveexec_b64 s[4:5], vcc
	s_cbranch_execz .LBB1136_100
; %bb.99:
	v_lshlrev_b32_e32 v1, 2, v0
	global_load_dword v3, v1, s[34:35] offset:1024
.LBB1136_100:
	s_or_b64 exec, exec, s[4:5]
	v_or_b32_e32 v1, 0x200, v0
	v_cmp_gt_u32_e64 s[4:5], s38, v1
	s_and_saveexec_b64 s[6:7], s[4:5]
	s_cbranch_execz .LBB1136_102
; %bb.101:
	v_lshlrev_b32_e32 v1, 2, v0
	global_load_dword v4, v1, s[34:35] offset:2048
.LBB1136_102:
	s_or_b64 exec, exec, s[6:7]
	v_or_b32_e32 v1, 0x300, v0
	v_cmp_gt_u32_e64 s[6:7], s38, v1
	s_and_saveexec_b64 s[8:9], s[6:7]
	;; [unrolled: 9-line block ×3, first 2 shown]
	s_cbranch_execz .LBB1136_106
; %bb.105:
	v_lshlrev_b32_e32 v1, 2, v1
	global_load_dword v6, v1, s[34:35]
.LBB1136_106:
	s_or_b64 exec, exec, s[10:11]
	v_or_b32_e32 v1, 0x500, v0
	v_cmp_gt_u32_e64 s[10:11], s38, v1
	s_and_saveexec_b64 s[12:13], s[10:11]
	s_cbranch_execz .LBB1136_108
; %bb.107:
	v_lshlrev_b32_e32 v1, 2, v1
	global_load_dword v7, v1, s[34:35]
.LBB1136_108:
	s_or_b64 exec, exec, s[12:13]
	v_or_b32_e32 v1, 0x600, v0
	v_cmp_gt_u32_e64 s[12:13], s38, v1
	s_and_saveexec_b64 s[14:15], s[12:13]
	;; [unrolled: 9-line block ×11, first 2 shown]
	s_cbranch_execz .LBB1136_128
; %bb.127:
	v_lshlrev_b32_e32 v1, 2, v1
	global_load_dword v17, v1, s[34:35]
.LBB1136_128:
	s_or_b64 exec, exec, s[36:37]
	s_waitcnt vmcnt(0)
	v_cndmask_b32_e32 v1, 0, v3, vcc
	v_add_u32_e32 v1, v1, v2
	v_cndmask_b32_e64 v2, 0, v4, s[4:5]
	v_cndmask_b32_e64 v3, 0, v5, s[6:7]
	v_add3_u32 v1, v1, v2, v3
	v_cndmask_b32_e64 v2, 0, v6, s[8:9]
	v_cndmask_b32_e64 v3, 0, v7, s[10:11]
	v_add3_u32 v1, v1, v2, v3
	;; [unrolled: 3-line block ×7, first 2 shown]
	v_mbcnt_lo_u32_b32 v2, -1, 0
	v_mbcnt_hi_u32_b32 v2, -1, v2
	v_and_b32_e32 v4, 63, v2
	v_cmp_ne_u32_e32 vcc, 63, v4
	s_min_u32 s6, s38, 0x100
	v_and_b32_e32 v5, 0xc0, v0
	v_addc_co_u32_e32 v3, vcc, 0, v2, vcc
	v_lshlrev_b32_e32 v3, 2, v3
	ds_bpermute_b32 v3, v3, v1
	v_sub_u32_e64 v5, s6, v5 clamp
	v_add_u32_e32 v6, 1, v4
	v_cmp_lt_u32_e32 vcc, v6, v5
	v_add_u32_e32 v6, 2, v4
	s_waitcnt lgkmcnt(0)
	v_cndmask_b32_e32 v3, 0, v3, vcc
	v_cmp_gt_u32_e32 vcc, 62, v4
	v_add_u32_e32 v1, v1, v3
	s_nop 0
	v_cndmask_b32_e64 v3, 0, 2, vcc
	v_add_lshl_u32 v3, v3, v2, 2
	ds_bpermute_b32 v3, v3, v1
	v_cmp_lt_u32_e32 vcc, v6, v5
	v_add_u32_e32 v6, 4, v4
	s_waitcnt lgkmcnt(0)
	v_cndmask_b32_e32 v3, 0, v3, vcc
	v_cmp_gt_u32_e32 vcc, 60, v4
	v_add_u32_e32 v1, v1, v3
	s_nop 0
	v_cndmask_b32_e64 v3, 0, 4, vcc
	v_add_lshl_u32 v3, v3, v2, 2
	ds_bpermute_b32 v3, v3, v1
	;; [unrolled: 10-line block ×3, first 2 shown]
	v_cmp_lt_u32_e32 vcc, v6, v5
	v_add_u32_e32 v6, 16, v4
	s_waitcnt lgkmcnt(0)
	v_cndmask_b32_e32 v3, 0, v3, vcc
	v_cmp_gt_u32_e32 vcc, 48, v4
	v_add_u32_e32 v1, v1, v3
	v_add_u32_e32 v4, 32, v4
	v_cndmask_b32_e64 v3, 0, 16, vcc
	v_add_lshl_u32 v3, v3, v2, 2
	ds_bpermute_b32 v3, v3, v1
	v_cmp_lt_u32_e32 vcc, v6, v5
	s_waitcnt lgkmcnt(0)
	s_nop 0
	v_cndmask_b32_e32 v3, 0, v3, vcc
	v_add_u32_e32 v1, v1, v3
	v_lshlrev_b32_e32 v3, 2, v2
	v_or_b32_e32 v6, 0x80, v3
	ds_bpermute_b32 v6, v6, v1
	v_cmp_lt_u32_e32 vcc, v4, v5
	s_waitcnt lgkmcnt(0)
	s_nop 0
	v_cndmask_b32_e32 v4, 0, v6, vcc
	v_add_u32_e32 v1, v1, v4
	v_cmp_eq_u32_e32 vcc, 0, v2
	s_and_saveexec_b64 s[4:5], vcc
; %bb.129:
	v_lshrrev_b32_e32 v4, 4, v0
	v_and_b32_e32 v4, 12, v4
	ds_write_b32 v4, v1 offset:96
; %bb.130:
	s_or_b64 exec, exec, s[4:5]
	v_cmp_gt_u32_e32 vcc, 4, v0
	s_waitcnt lgkmcnt(0)
	s_barrier
	s_and_saveexec_b64 s[4:5], vcc
	s_cbranch_execz .LBB1136_132
; %bb.131:
	ds_read_b32 v1, v3 offset:96
	v_and_b32_e32 v4, 3, v2
	v_cmp_ne_u32_e32 vcc, 3, v4
	s_add_i32 s6, s6, 63
	s_lshr_b32 s6, s6, 6
	v_addc_co_u32_e32 v2, vcc, 0, v2, vcc
	v_lshlrev_b32_e32 v2, 2, v2
	s_waitcnt lgkmcnt(0)
	ds_bpermute_b32 v2, v2, v1
	v_add_u32_e32 v5, 1, v4
	v_cmp_gt_u32_e32 vcc, s6, v5
	s_waitcnt lgkmcnt(0)
	s_nop 0
	v_cndmask_b32_e32 v2, 0, v2, vcc
	v_add_u32_e32 v1, v2, v1
	v_or_b32_e32 v2, 8, v3
	ds_bpermute_b32 v2, v2, v1
	v_add_u32_e32 v3, 2, v4
	v_cmp_gt_u32_e32 vcc, s6, v3
	s_waitcnt lgkmcnt(0)
	s_nop 0
	v_cndmask_b32_e32 v2, 0, v2, vcc
	v_add_u32_e32 v1, v1, v2
.LBB1136_132:
	s_or_b64 exec, exec, s[4:5]
.LBB1136_133:
	v_cmp_eq_u32_e64 s[4:5], 0, v0
	s_branch .LBB1136_142
.LBB1136_134:
	s_cmp_eq_u32 s33, 8
	s_cbranch_scc0 .LBB1136_141
; %bb.135:
	s_mov_b32 s3, 0
	s_lshl_b32 s4, s2, 11
	s_mov_b32 s5, s3
	s_lshr_b64 s[6:7], s[70:71], 11
	s_lshl_b64 s[8:9], s[4:5], 2
	s_add_u32 s16, s68, s8
	s_addc_u32 s17, s69, s9
	s_cmp_lg_u64 s[6:7], s[2:3]
	s_cbranch_scc0 .LBB1136_143
; %bb.136:
	v_lshlrev_b32_e32 v2, 2, v0
	v_mov_b32_e32 v3, 0
	v_lshl_add_u64 v[4:5], s[16:17], 0, v[2:3]
	v_add_co_u32_e32 v4, vcc, 0x1000, v4
	s_nop 1
	v_addc_co_u32_e32 v5, vcc, 0, v5, vcc
	global_load_dword v1, v2, s[16:17]
	global_load_dword v6, v2, s[16:17] offset:1024
	global_load_dword v7, v2, s[16:17] offset:2048
	global_load_dword v8, v2, s[16:17] offset:3072
	global_load_dword v9, v[4:5], off
	global_load_dword v10, v[4:5], off offset:1024
	global_load_dword v11, v[4:5], off offset:2048
	;; [unrolled: 1-line block ×3, first 2 shown]
	v_mbcnt_lo_u32_b32 v2, -1, 0
	v_mbcnt_hi_u32_b32 v2, -1, v2
	v_lshlrev_b32_e32 v3, 2, v2
	v_or_b32_e32 v4, 0xfc, v3
	v_cmp_eq_u32_e32 vcc, 0, v2
	s_waitcnt vmcnt(6)
	v_add_u32_e32 v1, v6, v1
	s_waitcnt vmcnt(4)
	v_add3_u32 v1, v1, v7, v8
	s_waitcnt vmcnt(2)
	v_add3_u32 v1, v1, v9, v10
	;; [unrolled: 2-line block ×3, first 2 shown]
	s_nop 1
	v_add_u32_dpp v1, v1, v1 quad_perm:[1,0,3,2] row_mask:0xf bank_mask:0xf bound_ctrl:1
	s_nop 1
	v_add_u32_dpp v1, v1, v1 quad_perm:[2,3,0,1] row_mask:0xf bank_mask:0xf bound_ctrl:1
	s_nop 1
	v_add_u32_dpp v1, v1, v1 row_ror:4 row_mask:0xf bank_mask:0xf bound_ctrl:1
	s_nop 1
	v_add_u32_dpp v1, v1, v1 row_ror:8 row_mask:0xf bank_mask:0xf bound_ctrl:1
	s_nop 1
	v_add_u32_dpp v1, v1, v1 row_bcast:15 row_mask:0xf bank_mask:0xf bound_ctrl:1
	s_nop 1
	v_add_u32_dpp v1, v1, v1 row_bcast:31 row_mask:0xf bank_mask:0xf bound_ctrl:1
	ds_bpermute_b32 v1, v4, v1
	s_and_saveexec_b64 s[6:7], vcc
	s_cbranch_execz .LBB1136_138
; %bb.137:
	v_lshrrev_b32_e32 v4, 4, v0
	v_and_b32_e32 v4, 12, v4
	s_waitcnt lgkmcnt(0)
	ds_write_b32 v4, v1 offset:80
.LBB1136_138:
	s_or_b64 exec, exec, s[6:7]
	v_cmp_gt_u32_e32 vcc, 64, v0
	s_waitcnt lgkmcnt(0)
	s_barrier
	s_and_saveexec_b64 s[6:7], vcc
	s_cbranch_execz .LBB1136_140
; %bb.139:
	v_and_b32_e32 v1, 3, v2
	v_lshlrev_b32_e32 v4, 2, v1
	ds_read_b32 v4, v4 offset:80
	v_cmp_ne_u32_e32 vcc, 3, v1
	s_nop 1
	v_addc_co_u32_e32 v1, vcc, 0, v2, vcc
	v_lshlrev_b32_e32 v1, 2, v1
	s_waitcnt lgkmcnt(0)
	ds_bpermute_b32 v1, v1, v4
	v_or_b32_e32 v2, 8, v3
	s_waitcnt lgkmcnt(0)
	v_add_u32_e32 v1, v1, v4
	ds_bpermute_b32 v2, v2, v1
	s_waitcnt lgkmcnt(0)
	v_add_u32_e32 v1, v2, v1
.LBB1136_140:
	s_or_b64 exec, exec, s[6:7]
	s_branch .LBB1136_165
.LBB1136_141:
                                        ; implicit-def: $vgpr1
.LBB1136_142:
	s_branch .LBB1136_224
.LBB1136_143:
                                        ; implicit-def: $vgpr1
	s_cbranch_execz .LBB1136_165
; %bb.144:
	s_sub_i32 s20, s70, s4
	v_mov_b32_e32 v2, 0
	v_cmp_gt_u32_e32 vcc, s20, v0
	v_mov_b32_e32 v3, v2
	v_mov_b32_e32 v4, v2
	v_mov_b32_e32 v5, v2
	v_mov_b32_e32 v6, v2
	v_mov_b32_e32 v7, v2
	v_mov_b32_e32 v8, v2
	v_mov_b32_e32 v9, v2
	s_and_saveexec_b64 s[4:5], vcc
	s_cbranch_execz .LBB1136_146
; %bb.145:
	v_lshlrev_b32_e32 v1, 2, v0
	global_load_dword v4, v1, s[16:17]
	v_mov_b32_e32 v5, v2
	v_mov_b32_e32 v6, v2
	;; [unrolled: 1-line block ×7, first 2 shown]
	s_waitcnt vmcnt(0)
	v_mov_b64_e32 v[2:3], v[4:5]
	v_mov_b64_e32 v[4:5], v[6:7]
	;; [unrolled: 1-line block ×4, first 2 shown]
.LBB1136_146:
	s_or_b64 exec, exec, s[4:5]
	v_or_b32_e32 v1, 0x100, v0
	v_cmp_gt_u32_e32 vcc, s20, v1
	s_and_saveexec_b64 s[4:5], vcc
	s_cbranch_execz .LBB1136_148
; %bb.147:
	v_lshlrev_b32_e32 v1, 2, v0
	global_load_dword v3, v1, s[16:17] offset:1024
.LBB1136_148:
	s_or_b64 exec, exec, s[4:5]
	v_or_b32_e32 v1, 0x200, v0
	v_cmp_gt_u32_e64 s[4:5], s20, v1
	s_and_saveexec_b64 s[6:7], s[4:5]
	s_cbranch_execz .LBB1136_150
; %bb.149:
	v_lshlrev_b32_e32 v1, 2, v0
	global_load_dword v4, v1, s[16:17] offset:2048
.LBB1136_150:
	s_or_b64 exec, exec, s[6:7]
	v_or_b32_e32 v1, 0x300, v0
	v_cmp_gt_u32_e64 s[6:7], s20, v1
	s_and_saveexec_b64 s[8:9], s[6:7]
	;; [unrolled: 9-line block ×3, first 2 shown]
	s_cbranch_execz .LBB1136_154
; %bb.153:
	v_lshlrev_b32_e32 v1, 2, v1
	global_load_dword v6, v1, s[16:17]
.LBB1136_154:
	s_or_b64 exec, exec, s[10:11]
	v_or_b32_e32 v1, 0x500, v0
	v_cmp_gt_u32_e64 s[10:11], s20, v1
	s_and_saveexec_b64 s[12:13], s[10:11]
	s_cbranch_execz .LBB1136_156
; %bb.155:
	v_lshlrev_b32_e32 v1, 2, v1
	global_load_dword v7, v1, s[16:17]
.LBB1136_156:
	s_or_b64 exec, exec, s[12:13]
	v_or_b32_e32 v1, 0x600, v0
	v_cmp_gt_u32_e64 s[12:13], s20, v1
	s_and_saveexec_b64 s[14:15], s[12:13]
	;; [unrolled: 9-line block ×3, first 2 shown]
	s_cbranch_execz .LBB1136_160
; %bb.159:
	v_lshlrev_b32_e32 v1, 2, v1
	global_load_dword v9, v1, s[16:17]
.LBB1136_160:
	s_or_b64 exec, exec, s[18:19]
	s_waitcnt vmcnt(0)
	v_cndmask_b32_e32 v1, 0, v3, vcc
	v_add_u32_e32 v1, v1, v2
	v_cndmask_b32_e64 v2, 0, v4, s[4:5]
	v_cndmask_b32_e64 v3, 0, v5, s[6:7]
	v_add3_u32 v1, v1, v2, v3
	v_cndmask_b32_e64 v2, 0, v6, s[8:9]
	v_cndmask_b32_e64 v3, 0, v7, s[10:11]
	v_add3_u32 v1, v1, v2, v3
	;; [unrolled: 3-line block ×3, first 2 shown]
	v_mbcnt_lo_u32_b32 v2, -1, 0
	v_mbcnt_hi_u32_b32 v2, -1, v2
	v_and_b32_e32 v4, 63, v2
	v_cmp_ne_u32_e32 vcc, 63, v4
	s_min_u32 s6, s20, 0x100
	v_and_b32_e32 v5, 0xc0, v0
	v_addc_co_u32_e32 v3, vcc, 0, v2, vcc
	v_lshlrev_b32_e32 v3, 2, v3
	ds_bpermute_b32 v3, v3, v1
	v_sub_u32_e64 v5, s6, v5 clamp
	v_add_u32_e32 v6, 1, v4
	v_cmp_lt_u32_e32 vcc, v6, v5
	v_add_u32_e32 v6, 2, v4
	s_waitcnt lgkmcnt(0)
	v_cndmask_b32_e32 v3, 0, v3, vcc
	v_cmp_gt_u32_e32 vcc, 62, v4
	v_add_u32_e32 v1, v1, v3
	s_nop 0
	v_cndmask_b32_e64 v3, 0, 2, vcc
	v_add_lshl_u32 v3, v3, v2, 2
	ds_bpermute_b32 v3, v3, v1
	v_cmp_lt_u32_e32 vcc, v6, v5
	v_add_u32_e32 v6, 4, v4
	s_waitcnt lgkmcnt(0)
	v_cndmask_b32_e32 v3, 0, v3, vcc
	v_cmp_gt_u32_e32 vcc, 60, v4
	v_add_u32_e32 v1, v1, v3
	s_nop 0
	v_cndmask_b32_e64 v3, 0, 4, vcc
	v_add_lshl_u32 v3, v3, v2, 2
	ds_bpermute_b32 v3, v3, v1
	v_cmp_lt_u32_e32 vcc, v6, v5
	v_add_u32_e32 v6, 8, v4
	s_waitcnt lgkmcnt(0)
	v_cndmask_b32_e32 v3, 0, v3, vcc
	v_cmp_gt_u32_e32 vcc, 56, v4
	v_add_u32_e32 v1, v1, v3
	s_nop 0
	v_cndmask_b32_e64 v3, 0, 8, vcc
	v_add_lshl_u32 v3, v3, v2, 2
	ds_bpermute_b32 v3, v3, v1
	v_cmp_lt_u32_e32 vcc, v6, v5
	v_add_u32_e32 v6, 16, v4
	s_waitcnt lgkmcnt(0)
	v_cndmask_b32_e32 v3, 0, v3, vcc
	v_cmp_gt_u32_e32 vcc, 48, v4
	v_add_u32_e32 v1, v1, v3
	v_add_u32_e32 v4, 32, v4
	v_cndmask_b32_e64 v3, 0, 16, vcc
	v_add_lshl_u32 v3, v3, v2, 2
	ds_bpermute_b32 v3, v3, v1
	v_cmp_lt_u32_e32 vcc, v6, v5
	s_waitcnt lgkmcnt(0)
	s_nop 0
	v_cndmask_b32_e32 v3, 0, v3, vcc
	v_add_u32_e32 v1, v1, v3
	v_lshlrev_b32_e32 v3, 2, v2
	v_or_b32_e32 v6, 0x80, v3
	ds_bpermute_b32 v6, v6, v1
	v_cmp_lt_u32_e32 vcc, v4, v5
	s_waitcnt lgkmcnt(0)
	s_nop 0
	v_cndmask_b32_e32 v4, 0, v6, vcc
	v_add_u32_e32 v1, v1, v4
	v_cmp_eq_u32_e32 vcc, 0, v2
	s_and_saveexec_b64 s[4:5], vcc
; %bb.161:
	v_lshrrev_b32_e32 v4, 4, v0
	v_and_b32_e32 v4, 12, v4
	ds_write_b32 v4, v1 offset:96
; %bb.162:
	s_or_b64 exec, exec, s[4:5]
	v_cmp_gt_u32_e32 vcc, 4, v0
	s_waitcnt lgkmcnt(0)
	s_barrier
	s_and_saveexec_b64 s[4:5], vcc
	s_cbranch_execz .LBB1136_164
; %bb.163:
	ds_read_b32 v1, v3 offset:96
	v_and_b32_e32 v4, 3, v2
	v_cmp_ne_u32_e32 vcc, 3, v4
	s_add_i32 s6, s6, 63
	s_lshr_b32 s6, s6, 6
	v_addc_co_u32_e32 v2, vcc, 0, v2, vcc
	v_lshlrev_b32_e32 v2, 2, v2
	s_waitcnt lgkmcnt(0)
	ds_bpermute_b32 v2, v2, v1
	v_add_u32_e32 v5, 1, v4
	v_cmp_gt_u32_e32 vcc, s6, v5
	s_waitcnt lgkmcnt(0)
	s_nop 0
	v_cndmask_b32_e32 v2, 0, v2, vcc
	v_add_u32_e32 v1, v2, v1
	v_or_b32_e32 v2, 8, v3
	ds_bpermute_b32 v2, v2, v1
	v_add_u32_e32 v3, 2, v4
	v_cmp_gt_u32_e32 vcc, s6, v3
	s_waitcnt lgkmcnt(0)
	s_nop 0
	v_cndmask_b32_e32 v2, 0, v2, vcc
	v_add_u32_e32 v1, v1, v2
.LBB1136_164:
	s_or_b64 exec, exec, s[4:5]
.LBB1136_165:
	v_cmp_eq_u32_e64 s[4:5], 0, v0
	s_branch .LBB1136_224
.LBB1136_166:
	s_cmp_gt_i32 s33, 1
	s_cbranch_scc0 .LBB1136_175
; %bb.167:
	s_cmp_gt_i32 s33, 3
	s_cbranch_scc0 .LBB1136_176
; %bb.168:
	s_cmp_eq_u32 s33, 4
	s_cbranch_scc0 .LBB1136_177
; %bb.169:
	s_mov_b32 s3, 0
	s_lshl_b32 s4, s2, 10
	s_mov_b32 s5, s3
	s_lshr_b64 s[6:7], s[70:71], 10
	s_lshl_b64 s[8:9], s[4:5], 2
	s_add_u32 s8, s68, s8
	s_addc_u32 s9, s69, s9
	s_cmp_lg_u64 s[6:7], s[2:3]
	s_cbranch_scc0 .LBB1136_179
; %bb.170:
	v_lshlrev_b32_e32 v1, 2, v0
	global_load_dword v4, v1, s[8:9]
	global_load_dword v5, v1, s[8:9] offset:1024
	global_load_dword v6, v1, s[8:9] offset:2048
	global_load_dword v7, v1, s[8:9] offset:3072
	v_mbcnt_lo_u32_b32 v1, -1, 0
	v_mbcnt_hi_u32_b32 v2, -1, v1
	v_lshlrev_b32_e32 v3, 2, v2
	v_cmp_eq_u32_e32 vcc, 0, v2
	s_waitcnt vmcnt(2)
	v_add_u32_e32 v1, v5, v4
	v_or_b32_e32 v4, 0xfc, v3
	s_waitcnt vmcnt(0)
	v_add3_u32 v1, v1, v6, v7
	s_nop 1
	v_add_u32_dpp v1, v1, v1 quad_perm:[1,0,3,2] row_mask:0xf bank_mask:0xf bound_ctrl:1
	s_nop 1
	v_add_u32_dpp v1, v1, v1 quad_perm:[2,3,0,1] row_mask:0xf bank_mask:0xf bound_ctrl:1
	s_nop 1
	v_add_u32_dpp v1, v1, v1 row_ror:4 row_mask:0xf bank_mask:0xf bound_ctrl:1
	s_nop 1
	v_add_u32_dpp v1, v1, v1 row_ror:8 row_mask:0xf bank_mask:0xf bound_ctrl:1
	s_nop 1
	v_add_u32_dpp v1, v1, v1 row_bcast:15 row_mask:0xf bank_mask:0xf bound_ctrl:1
	s_nop 1
	v_add_u32_dpp v1, v1, v1 row_bcast:31 row_mask:0xf bank_mask:0xf bound_ctrl:1
	ds_bpermute_b32 v1, v4, v1
	s_and_saveexec_b64 s[6:7], vcc
	s_cbranch_execz .LBB1136_172
; %bb.171:
	v_lshrrev_b32_e32 v4, 4, v0
	v_and_b32_e32 v4, 12, v4
	s_waitcnt lgkmcnt(0)
	ds_write_b32 v4, v1 offset:64
.LBB1136_172:
	s_or_b64 exec, exec, s[6:7]
	v_cmp_gt_u32_e32 vcc, 64, v0
	s_waitcnt lgkmcnt(0)
	s_barrier
	s_and_saveexec_b64 s[6:7], vcc
	s_cbranch_execz .LBB1136_174
; %bb.173:
	v_and_b32_e32 v1, 3, v2
	v_lshlrev_b32_e32 v4, 2, v1
	ds_read_b32 v4, v4 offset:64
	v_cmp_ne_u32_e32 vcc, 3, v1
	s_nop 1
	v_addc_co_u32_e32 v1, vcc, 0, v2, vcc
	v_lshlrev_b32_e32 v1, 2, v1
	s_waitcnt lgkmcnt(0)
	ds_bpermute_b32 v1, v1, v4
	v_or_b32_e32 v2, 8, v3
	s_waitcnt lgkmcnt(0)
	v_add_u32_e32 v1, v1, v4
	ds_bpermute_b32 v2, v2, v1
	s_waitcnt lgkmcnt(0)
	v_add_u32_e32 v1, v2, v1
.LBB1136_174:
	s_or_b64 exec, exec, s[6:7]
	s_mov_b64 s[6:7], 0
	s_branch .LBB1136_180
.LBB1136_175:
                                        ; implicit-def: $vgpr1
	s_cbranch_execnz .LBB1136_215
	s_branch .LBB1136_224
.LBB1136_176:
                                        ; implicit-def: $vgpr1
	s_cbranch_execz .LBB1136_178
	s_branch .LBB1136_195
.LBB1136_177:
                                        ; implicit-def: $vgpr1
.LBB1136_178:
	s_branch .LBB1136_224
.LBB1136_179:
	s_mov_b64 s[6:7], -1
                                        ; implicit-def: $vgpr1
.LBB1136_180:
	s_and_b64 vcc, exec, s[6:7]
	s_cbranch_vccz .LBB1136_194
; %bb.181:
	s_sub_i32 s12, s70, s4
	v_mov_b32_e32 v2, 0
	v_cmp_gt_u32_e32 vcc, s12, v0
	v_mov_b32_e32 v3, v2
	v_mov_b32_e32 v4, v2
	;; [unrolled: 1-line block ×3, first 2 shown]
	s_and_saveexec_b64 s[4:5], vcc
	s_cbranch_execz .LBB1136_183
; %bb.182:
	v_lshlrev_b32_e32 v1, 2, v0
	global_load_dword v4, v1, s[8:9]
	v_mov_b32_e32 v5, v2
	v_mov_b32_e32 v6, v2
	;; [unrolled: 1-line block ×3, first 2 shown]
	s_waitcnt vmcnt(0)
	v_mov_b64_e32 v[2:3], v[4:5]
	v_mov_b64_e32 v[4:5], v[6:7]
.LBB1136_183:
	s_or_b64 exec, exec, s[4:5]
	v_or_b32_e32 v1, 0x100, v0
	v_cmp_gt_u32_e32 vcc, s12, v1
	s_and_saveexec_b64 s[4:5], vcc
	s_cbranch_execz .LBB1136_185
; %bb.184:
	v_lshlrev_b32_e32 v1, 2, v0
	global_load_dword v3, v1, s[8:9] offset:1024
.LBB1136_185:
	s_or_b64 exec, exec, s[4:5]
	v_or_b32_e32 v1, 0x200, v0
	v_cmp_gt_u32_e64 s[4:5], s12, v1
	s_and_saveexec_b64 s[6:7], s[4:5]
	s_cbranch_execz .LBB1136_187
; %bb.186:
	v_lshlrev_b32_e32 v1, 2, v0
	global_load_dword v4, v1, s[8:9] offset:2048
.LBB1136_187:
	s_or_b64 exec, exec, s[6:7]
	v_or_b32_e32 v1, 0x300, v0
	v_cmp_gt_u32_e64 s[6:7], s12, v1
	s_and_saveexec_b64 s[10:11], s[6:7]
	s_cbranch_execz .LBB1136_189
; %bb.188:
	v_lshlrev_b32_e32 v1, 2, v0
	global_load_dword v5, v1, s[8:9] offset:3072
.LBB1136_189:
	s_or_b64 exec, exec, s[10:11]
	s_waitcnt vmcnt(0)
	v_cndmask_b32_e32 v1, 0, v3, vcc
	v_add_u32_e32 v1, v1, v2
	v_cndmask_b32_e64 v2, 0, v4, s[4:5]
	v_cndmask_b32_e64 v3, 0, v5, s[6:7]
	v_add3_u32 v1, v1, v2, v3
	v_mbcnt_lo_u32_b32 v2, -1, 0
	v_mbcnt_hi_u32_b32 v2, -1, v2
	v_and_b32_e32 v4, 63, v2
	v_cmp_ne_u32_e32 vcc, 63, v4
	s_min_u32 s6, s12, 0x100
	v_and_b32_e32 v5, 0xc0, v0
	v_addc_co_u32_e32 v3, vcc, 0, v2, vcc
	v_lshlrev_b32_e32 v3, 2, v3
	ds_bpermute_b32 v3, v3, v1
	v_sub_u32_e64 v5, s6, v5 clamp
	v_add_u32_e32 v6, 1, v4
	v_cmp_lt_u32_e32 vcc, v6, v5
	v_add_u32_e32 v6, 2, v4
	s_waitcnt lgkmcnt(0)
	v_cndmask_b32_e32 v3, 0, v3, vcc
	v_cmp_gt_u32_e32 vcc, 62, v4
	v_add_u32_e32 v1, v3, v1
	s_nop 0
	v_cndmask_b32_e64 v3, 0, 2, vcc
	v_add_lshl_u32 v3, v3, v2, 2
	ds_bpermute_b32 v3, v3, v1
	v_cmp_lt_u32_e32 vcc, v6, v5
	v_add_u32_e32 v6, 4, v4
	s_waitcnt lgkmcnt(0)
	v_cndmask_b32_e32 v3, 0, v3, vcc
	v_cmp_gt_u32_e32 vcc, 60, v4
	v_add_u32_e32 v1, v1, v3
	s_nop 0
	v_cndmask_b32_e64 v3, 0, 4, vcc
	v_add_lshl_u32 v3, v3, v2, 2
	ds_bpermute_b32 v3, v3, v1
	;; [unrolled: 10-line block ×3, first 2 shown]
	v_cmp_lt_u32_e32 vcc, v6, v5
	v_add_u32_e32 v6, 16, v4
	s_waitcnt lgkmcnt(0)
	v_cndmask_b32_e32 v3, 0, v3, vcc
	v_cmp_gt_u32_e32 vcc, 48, v4
	v_add_u32_e32 v1, v1, v3
	v_add_u32_e32 v4, 32, v4
	v_cndmask_b32_e64 v3, 0, 16, vcc
	v_add_lshl_u32 v3, v3, v2, 2
	ds_bpermute_b32 v3, v3, v1
	v_cmp_lt_u32_e32 vcc, v6, v5
	s_waitcnt lgkmcnt(0)
	s_nop 0
	v_cndmask_b32_e32 v3, 0, v3, vcc
	v_add_u32_e32 v1, v1, v3
	v_lshlrev_b32_e32 v3, 2, v2
	v_or_b32_e32 v6, 0x80, v3
	ds_bpermute_b32 v6, v6, v1
	v_cmp_lt_u32_e32 vcc, v4, v5
	s_waitcnt lgkmcnt(0)
	s_nop 0
	v_cndmask_b32_e32 v4, 0, v6, vcc
	v_add_u32_e32 v1, v1, v4
	v_cmp_eq_u32_e32 vcc, 0, v2
	s_and_saveexec_b64 s[4:5], vcc
; %bb.190:
	v_lshrrev_b32_e32 v4, 4, v0
	v_and_b32_e32 v4, 12, v4
	ds_write_b32 v4, v1 offset:96
; %bb.191:
	s_or_b64 exec, exec, s[4:5]
	v_cmp_gt_u32_e32 vcc, 4, v0
	s_waitcnt lgkmcnt(0)
	s_barrier
	s_and_saveexec_b64 s[4:5], vcc
	s_cbranch_execz .LBB1136_193
; %bb.192:
	ds_read_b32 v1, v3 offset:96
	v_and_b32_e32 v4, 3, v2
	v_cmp_ne_u32_e32 vcc, 3, v4
	s_add_i32 s6, s6, 63
	s_lshr_b32 s6, s6, 6
	v_addc_co_u32_e32 v2, vcc, 0, v2, vcc
	v_lshlrev_b32_e32 v2, 2, v2
	s_waitcnt lgkmcnt(0)
	ds_bpermute_b32 v2, v2, v1
	v_add_u32_e32 v5, 1, v4
	v_cmp_gt_u32_e32 vcc, s6, v5
	s_waitcnt lgkmcnt(0)
	s_nop 0
	v_cndmask_b32_e32 v2, 0, v2, vcc
	v_add_u32_e32 v1, v2, v1
	v_or_b32_e32 v2, 8, v3
	ds_bpermute_b32 v2, v2, v1
	v_add_u32_e32 v3, 2, v4
	v_cmp_gt_u32_e32 vcc, s6, v3
	s_waitcnt lgkmcnt(0)
	s_nop 0
	v_cndmask_b32_e32 v2, 0, v2, vcc
	v_add_u32_e32 v1, v1, v2
.LBB1136_193:
	s_or_b64 exec, exec, s[4:5]
.LBB1136_194:
	v_cmp_eq_u32_e64 s[4:5], 0, v0
	s_branch .LBB1136_178
.LBB1136_195:
	s_cmp_eq_u32 s33, 2
	s_cbranch_scc0 .LBB1136_202
; %bb.196:
	s_mov_b32 s3, 0
	s_lshl_b32 s6, s2, 9
	s_mov_b32 s7, s3
	s_lshr_b64 s[8:9], s[70:71], 9
	s_lshl_b64 s[4:5], s[6:7], 2
	s_add_u32 s4, s68, s4
	s_addc_u32 s5, s69, s5
	s_cmp_lg_u64 s[8:9], s[2:3]
	s_cbranch_scc0 .LBB1136_203
; %bb.197:
	v_lshlrev_b32_e32 v1, 2, v0
	global_load_dword v4, v1, s[4:5]
	global_load_dword v5, v1, s[4:5] offset:1024
	v_mbcnt_lo_u32_b32 v1, -1, 0
	v_mbcnt_hi_u32_b32 v2, -1, v1
	v_lshlrev_b32_e32 v3, 2, v2
	v_cmp_eq_u32_e32 vcc, 0, v2
	s_waitcnt vmcnt(0)
	v_add_u32_e32 v1, v5, v4
	s_nop 1
	v_add_u32_dpp v1, v1, v1 quad_perm:[1,0,3,2] row_mask:0xf bank_mask:0xf bound_ctrl:1
	v_or_b32_e32 v4, 0xfc, v3
	s_nop 0
	v_add_u32_dpp v1, v1, v1 quad_perm:[2,3,0,1] row_mask:0xf bank_mask:0xf bound_ctrl:1
	s_nop 1
	v_add_u32_dpp v1, v1, v1 row_ror:4 row_mask:0xf bank_mask:0xf bound_ctrl:1
	s_nop 1
	v_add_u32_dpp v1, v1, v1 row_ror:8 row_mask:0xf bank_mask:0xf bound_ctrl:1
	s_nop 1
	v_add_u32_dpp v1, v1, v1 row_bcast:15 row_mask:0xf bank_mask:0xf bound_ctrl:1
	s_nop 1
	v_add_u32_dpp v1, v1, v1 row_bcast:31 row_mask:0xf bank_mask:0xf bound_ctrl:1
	ds_bpermute_b32 v1, v4, v1
	s_and_saveexec_b64 s[8:9], vcc
	s_cbranch_execz .LBB1136_199
; %bb.198:
	v_lshrrev_b32_e32 v4, 4, v0
	v_and_b32_e32 v4, 12, v4
	s_waitcnt lgkmcnt(0)
	ds_write_b32 v4, v1 offset:32
.LBB1136_199:
	s_or_b64 exec, exec, s[8:9]
	v_cmp_gt_u32_e32 vcc, 64, v0
	s_waitcnt lgkmcnt(0)
	s_barrier
	s_and_saveexec_b64 s[8:9], vcc
	s_cbranch_execz .LBB1136_201
; %bb.200:
	v_and_b32_e32 v1, 3, v2
	v_lshlrev_b32_e32 v4, 2, v1
	ds_read_b32 v4, v4 offset:32
	v_cmp_ne_u32_e32 vcc, 3, v1
	s_nop 1
	v_addc_co_u32_e32 v1, vcc, 0, v2, vcc
	v_lshlrev_b32_e32 v1, 2, v1
	s_waitcnt lgkmcnt(0)
	ds_bpermute_b32 v1, v1, v4
	v_or_b32_e32 v2, 8, v3
	s_waitcnt lgkmcnt(0)
	v_add_u32_e32 v1, v1, v4
	ds_bpermute_b32 v2, v2, v1
	s_waitcnt lgkmcnt(0)
	v_add_u32_e32 v1, v2, v1
.LBB1136_201:
	s_or_b64 exec, exec, s[8:9]
	s_mov_b64 s[8:9], 0
	s_branch .LBB1136_204
.LBB1136_202:
                                        ; implicit-def: $vgpr1
	s_branch .LBB1136_224
.LBB1136_203:
	s_mov_b64 s[8:9], -1
                                        ; implicit-def: $vgpr1
.LBB1136_204:
	s_and_b64 vcc, exec, s[8:9]
	s_cbranch_vccz .LBB1136_214
; %bb.205:
	s_sub_i32 s8, s70, s6
	v_mov_b32_e32 v2, 0
	v_cmp_gt_u32_e32 vcc, s8, v0
	v_mov_b32_e32 v3, v2
	s_and_saveexec_b64 s[6:7], vcc
	s_cbranch_execz .LBB1136_207
; %bb.206:
	v_lshlrev_b32_e32 v1, 2, v0
	global_load_dword v4, v1, s[4:5]
	v_mov_b32_e32 v5, v2
	s_waitcnt vmcnt(0)
	v_mov_b64_e32 v[2:3], v[4:5]
.LBB1136_207:
	s_or_b64 exec, exec, s[6:7]
	v_or_b32_e32 v1, 0x100, v0
	v_cmp_gt_u32_e32 vcc, s8, v1
	s_and_saveexec_b64 s[6:7], vcc
	s_cbranch_execz .LBB1136_209
; %bb.208:
	v_lshlrev_b32_e32 v1, 2, v0
	global_load_dword v3, v1, s[4:5] offset:1024
.LBB1136_209:
	s_or_b64 exec, exec, s[6:7]
	s_waitcnt vmcnt(0)
	v_cndmask_b32_e32 v1, 0, v3, vcc
	v_add_u32_e32 v1, v1, v2
	v_mbcnt_lo_u32_b32 v2, -1, 0
	v_mbcnt_hi_u32_b32 v2, -1, v2
	v_and_b32_e32 v4, 63, v2
	v_cmp_ne_u32_e32 vcc, 63, v4
	s_min_u32 s6, s8, 0x100
	v_and_b32_e32 v5, 0xc0, v0
	v_addc_co_u32_e32 v3, vcc, 0, v2, vcc
	v_lshlrev_b32_e32 v3, 2, v3
	ds_bpermute_b32 v3, v3, v1
	v_sub_u32_e64 v5, s6, v5 clamp
	v_add_u32_e32 v6, 1, v4
	v_cmp_lt_u32_e32 vcc, v6, v5
	v_add_u32_e32 v6, 2, v4
	s_waitcnt lgkmcnt(0)
	v_cndmask_b32_e32 v3, 0, v3, vcc
	v_cmp_gt_u32_e32 vcc, 62, v4
	v_add_u32_e32 v1, v3, v1
	s_nop 0
	v_cndmask_b32_e64 v3, 0, 2, vcc
	v_add_lshl_u32 v3, v3, v2, 2
	ds_bpermute_b32 v3, v3, v1
	v_cmp_lt_u32_e32 vcc, v6, v5
	v_add_u32_e32 v6, 4, v4
	s_waitcnt lgkmcnt(0)
	v_cndmask_b32_e32 v3, 0, v3, vcc
	v_cmp_gt_u32_e32 vcc, 60, v4
	v_add_u32_e32 v1, v1, v3
	s_nop 0
	v_cndmask_b32_e64 v3, 0, 4, vcc
	v_add_lshl_u32 v3, v3, v2, 2
	ds_bpermute_b32 v3, v3, v1
	;; [unrolled: 10-line block ×3, first 2 shown]
	v_cmp_lt_u32_e32 vcc, v6, v5
	v_add_u32_e32 v6, 16, v4
	s_waitcnt lgkmcnt(0)
	v_cndmask_b32_e32 v3, 0, v3, vcc
	v_cmp_gt_u32_e32 vcc, 48, v4
	v_add_u32_e32 v1, v1, v3
	v_add_u32_e32 v4, 32, v4
	v_cndmask_b32_e64 v3, 0, 16, vcc
	v_add_lshl_u32 v3, v3, v2, 2
	ds_bpermute_b32 v3, v3, v1
	v_cmp_lt_u32_e32 vcc, v6, v5
	s_waitcnt lgkmcnt(0)
	s_nop 0
	v_cndmask_b32_e32 v3, 0, v3, vcc
	v_add_u32_e32 v1, v1, v3
	v_lshlrev_b32_e32 v3, 2, v2
	v_or_b32_e32 v6, 0x80, v3
	ds_bpermute_b32 v6, v6, v1
	v_cmp_lt_u32_e32 vcc, v4, v5
	s_waitcnt lgkmcnt(0)
	s_nop 0
	v_cndmask_b32_e32 v4, 0, v6, vcc
	v_add_u32_e32 v1, v1, v4
	v_cmp_eq_u32_e32 vcc, 0, v2
	s_and_saveexec_b64 s[4:5], vcc
; %bb.210:
	v_lshrrev_b32_e32 v4, 4, v0
	v_and_b32_e32 v4, 12, v4
	ds_write_b32 v4, v1 offset:96
; %bb.211:
	s_or_b64 exec, exec, s[4:5]
	v_cmp_gt_u32_e32 vcc, 4, v0
	s_waitcnt lgkmcnt(0)
	s_barrier
	s_and_saveexec_b64 s[4:5], vcc
	s_cbranch_execz .LBB1136_213
; %bb.212:
	ds_read_b32 v1, v3 offset:96
	v_and_b32_e32 v4, 3, v2
	v_cmp_ne_u32_e32 vcc, 3, v4
	s_add_i32 s6, s6, 63
	s_lshr_b32 s6, s6, 6
	v_addc_co_u32_e32 v2, vcc, 0, v2, vcc
	v_lshlrev_b32_e32 v2, 2, v2
	s_waitcnt lgkmcnt(0)
	ds_bpermute_b32 v2, v2, v1
	v_add_u32_e32 v5, 1, v4
	v_cmp_gt_u32_e32 vcc, s6, v5
	s_waitcnt lgkmcnt(0)
	s_nop 0
	v_cndmask_b32_e32 v2, 0, v2, vcc
	v_add_u32_e32 v1, v2, v1
	v_or_b32_e32 v2, 8, v3
	ds_bpermute_b32 v2, v2, v1
	v_add_u32_e32 v3, 2, v4
	v_cmp_gt_u32_e32 vcc, s6, v3
	s_waitcnt lgkmcnt(0)
	s_nop 0
	v_cndmask_b32_e32 v2, 0, v2, vcc
	v_add_u32_e32 v1, v1, v2
.LBB1136_213:
	s_or_b64 exec, exec, s[4:5]
.LBB1136_214:
	v_cmp_eq_u32_e64 s[4:5], 0, v0
	s_branch .LBB1136_224
.LBB1136_215:
	s_cmp_eq_u32 s33, 1
	s_cbranch_scc0 .LBB1136_223
; %bb.216:
	s_mov_b32 s5, 0
	s_lshl_b32 s4, s2, 8
	s_mov_b32 s3, s5
	s_lshr_b64 s[6:7], s[70:71], 8
	s_cmp_lg_u64 s[6:7], s[2:3]
	v_mbcnt_lo_u32_b32 v2, -1, 0
	s_cbranch_scc0 .LBB1136_227
; %bb.217:
	s_lshl_b64 s[6:7], s[4:5], 2
	s_add_u32 s6, s68, s6
	s_addc_u32 s7, s69, s7
	v_lshlrev_b32_e32 v1, 2, v0
	global_load_dword v1, v1, s[6:7]
	v_mbcnt_hi_u32_b32 v3, -1, v2
	v_lshlrev_b32_e32 v4, 2, v3
	v_or_b32_e32 v5, 0xfc, v4
	v_cmp_eq_u32_e32 vcc, 0, v3
	s_waitcnt vmcnt(0)
	v_add_u32_dpp v1, v1, v1 quad_perm:[1,0,3,2] row_mask:0xf bank_mask:0xf bound_ctrl:1
	s_nop 1
	v_add_u32_dpp v1, v1, v1 quad_perm:[2,3,0,1] row_mask:0xf bank_mask:0xf bound_ctrl:1
	s_nop 1
	v_add_u32_dpp v1, v1, v1 row_ror:4 row_mask:0xf bank_mask:0xf bound_ctrl:1
	s_nop 1
	v_add_u32_dpp v1, v1, v1 row_ror:8 row_mask:0xf bank_mask:0xf bound_ctrl:1
	s_nop 1
	v_add_u32_dpp v1, v1, v1 row_bcast:15 row_mask:0xf bank_mask:0xf bound_ctrl:1
	s_nop 1
	v_add_u32_dpp v1, v1, v1 row_bcast:31 row_mask:0xf bank_mask:0xf bound_ctrl:1
	ds_bpermute_b32 v1, v5, v1
	s_and_saveexec_b64 s[6:7], vcc
	s_cbranch_execz .LBB1136_219
; %bb.218:
	v_lshrrev_b32_e32 v5, 4, v0
	v_and_b32_e32 v5, 12, v5
	s_waitcnt lgkmcnt(0)
	ds_write_b32 v5, v1 offset:16
.LBB1136_219:
	s_or_b64 exec, exec, s[6:7]
	v_cmp_gt_u32_e32 vcc, 64, v0
	s_waitcnt lgkmcnt(0)
	s_barrier
	s_and_saveexec_b64 s[6:7], vcc
	s_cbranch_execz .LBB1136_221
; %bb.220:
	v_and_b32_e32 v1, 3, v3
	v_lshlrev_b32_e32 v5, 2, v1
	ds_read_b32 v5, v5 offset:16
	v_cmp_ne_u32_e32 vcc, 3, v1
	s_nop 1
	v_addc_co_u32_e32 v1, vcc, 0, v3, vcc
	v_lshlrev_b32_e32 v1, 2, v1
	s_waitcnt lgkmcnt(0)
	ds_bpermute_b32 v1, v1, v5
	v_or_b32_e32 v3, 8, v4
	s_waitcnt lgkmcnt(0)
	v_add_u32_e32 v1, v1, v5
	ds_bpermute_b32 v3, v3, v1
	s_waitcnt lgkmcnt(0)
	v_add_u32_e32 v1, v3, v1
.LBB1136_221:
	s_or_b64 exec, exec, s[6:7]
.LBB1136_222:
	v_cmp_eq_u32_e64 s[4:5], 0, v0
	s_and_saveexec_b64 s[6:7], s[4:5]
	s_cbranch_execnz .LBB1136_225
	s_branch .LBB1136_226
.LBB1136_223:
                                        ; implicit-def: $vgpr1
                                        ; implicit-def: $sgpr2_sgpr3
.LBB1136_224:
	s_and_saveexec_b64 s[6:7], s[4:5]
	s_cbranch_execz .LBB1136_226
.LBB1136_225:
	s_load_dwordx2 s[4:5], s[0:1], 0x18
	s_load_dword s6, s[0:1], 0x20
	s_lshl_b64 s[0:1], s[2:3], 2
	v_mov_b32_e32 v0, 0
	s_waitcnt lgkmcnt(0)
	s_add_u32 s0, s4, s0
	s_addc_u32 s1, s5, s1
	s_cmp_lg_u64 s[70:71], 0
	s_cselect_b64 vcc, -1, 0
	v_cndmask_b32_e32 v1, 0, v1, vcc
	v_add_u32_e32 v1, s6, v1
	global_store_dword v0, v1, s[0:1]
.LBB1136_226:
	s_endpgm
.LBB1136_227:
                                        ; implicit-def: $vgpr1
	s_cbranch_execz .LBB1136_222
; %bb.228:
	s_sub_i32 s8, s70, s4
	v_cmp_gt_u32_e32 vcc, s8, v0
                                        ; implicit-def: $vgpr1
	s_and_saveexec_b64 s[6:7], vcc
	s_cbranch_execz .LBB1136_230
; %bb.229:
	s_lshl_b64 s[4:5], s[4:5], 2
	s_add_u32 s4, s68, s4
	s_addc_u32 s5, s69, s5
	v_lshlrev_b32_e32 v1, 2, v0
	global_load_dword v1, v1, s[4:5]
.LBB1136_230:
	s_or_b64 exec, exec, s[6:7]
	v_mbcnt_hi_u32_b32 v2, -1, v2
	v_and_b32_e32 v4, 63, v2
	v_cmp_ne_u32_e32 vcc, 63, v4
	s_min_u32 s6, s8, 0x100
	v_and_b32_e32 v5, 0xc0, v0
	v_addc_co_u32_e32 v3, vcc, 0, v2, vcc
	v_lshlrev_b32_e32 v3, 2, v3
	s_waitcnt vmcnt(0)
	ds_bpermute_b32 v3, v3, v1
	v_sub_u32_e64 v5, s6, v5 clamp
	v_add_u32_e32 v6, 1, v4
	v_cmp_lt_u32_e32 vcc, v6, v5
	v_add_u32_e32 v6, 2, v4
	s_waitcnt lgkmcnt(0)
	v_cndmask_b32_e32 v3, 0, v3, vcc
	v_cmp_gt_u32_e32 vcc, 62, v4
	v_add_u32_e32 v1, v3, v1
	s_nop 0
	v_cndmask_b32_e64 v3, 0, 2, vcc
	v_add_lshl_u32 v3, v3, v2, 2
	ds_bpermute_b32 v3, v3, v1
	v_cmp_lt_u32_e32 vcc, v6, v5
	v_add_u32_e32 v6, 4, v4
	s_waitcnt lgkmcnt(0)
	v_cndmask_b32_e32 v3, 0, v3, vcc
	v_cmp_gt_u32_e32 vcc, 60, v4
	v_add_u32_e32 v1, v1, v3
	s_nop 0
	v_cndmask_b32_e64 v3, 0, 4, vcc
	v_add_lshl_u32 v3, v3, v2, 2
	ds_bpermute_b32 v3, v3, v1
	;; [unrolled: 10-line block ×3, first 2 shown]
	v_cmp_lt_u32_e32 vcc, v6, v5
	v_add_u32_e32 v6, 16, v4
	s_waitcnt lgkmcnt(0)
	v_cndmask_b32_e32 v3, 0, v3, vcc
	v_cmp_gt_u32_e32 vcc, 48, v4
	v_add_u32_e32 v1, v1, v3
	v_add_u32_e32 v4, 32, v4
	v_cndmask_b32_e64 v3, 0, 16, vcc
	v_add_lshl_u32 v3, v3, v2, 2
	ds_bpermute_b32 v3, v3, v1
	v_cmp_lt_u32_e32 vcc, v6, v5
	s_waitcnt lgkmcnt(0)
	s_nop 0
	v_cndmask_b32_e32 v3, 0, v3, vcc
	v_add_u32_e32 v1, v1, v3
	v_lshlrev_b32_e32 v3, 2, v2
	v_or_b32_e32 v6, 0x80, v3
	ds_bpermute_b32 v6, v6, v1
	v_cmp_lt_u32_e32 vcc, v4, v5
	s_waitcnt lgkmcnt(0)
	s_nop 0
	v_cndmask_b32_e32 v4, 0, v6, vcc
	v_add_u32_e32 v1, v1, v4
	v_cmp_eq_u32_e32 vcc, 0, v2
	s_and_saveexec_b64 s[4:5], vcc
; %bb.231:
	v_lshrrev_b32_e32 v4, 4, v0
	v_and_b32_e32 v4, 12, v4
	ds_write_b32 v4, v1 offset:96
; %bb.232:
	s_or_b64 exec, exec, s[4:5]
	v_cmp_gt_u32_e32 vcc, 4, v0
	s_waitcnt lgkmcnt(0)
	s_barrier
	s_and_saveexec_b64 s[4:5], vcc
	s_cbranch_execz .LBB1136_234
; %bb.233:
	ds_read_b32 v1, v3 offset:96
	v_and_b32_e32 v4, 3, v2
	v_cmp_ne_u32_e32 vcc, 3, v4
	s_add_i32 s6, s6, 63
	s_lshr_b32 s6, s6, 6
	v_addc_co_u32_e32 v2, vcc, 0, v2, vcc
	v_lshlrev_b32_e32 v2, 2, v2
	s_waitcnt lgkmcnt(0)
	ds_bpermute_b32 v2, v2, v1
	v_add_u32_e32 v5, 1, v4
	v_cmp_gt_u32_e32 vcc, s6, v5
	s_waitcnt lgkmcnt(0)
	s_nop 0
	v_cndmask_b32_e32 v2, 0, v2, vcc
	v_add_u32_e32 v1, v2, v1
	v_or_b32_e32 v2, 8, v3
	ds_bpermute_b32 v2, v2, v1
	v_add_u32_e32 v3, 2, v4
	v_cmp_gt_u32_e32 vcc, s6, v3
	s_waitcnt lgkmcnt(0)
	s_nop 0
	v_cndmask_b32_e32 v2, 0, v2, vcc
	v_add_u32_e32 v1, v1, v2
.LBB1136_234:
	s_or_b64 exec, exec, s[4:5]
	v_cmp_eq_u32_e64 s[4:5], 0, v0
	s_and_saveexec_b64 s[6:7], s[4:5]
	s_cbranch_execnz .LBB1136_225
	s_branch .LBB1136_226
	.section	.rodata,"a",@progbits
	.p2align	6, 0x0
	.amdhsa_kernel _ZN7rocprim17ROCPRIM_400000_NS6detail17trampoline_kernelINS0_14default_configENS1_22reduce_config_selectorIiEEZNS1_11reduce_implILb1ES3_N6thrust23THRUST_200600_302600_NS10device_ptrIiEEPiiNS8_4plusIiEEEE10hipError_tPvRmT1_T2_T3_mT4_P12ihipStream_tbEUlT_E1_NS1_11comp_targetILNS1_3genE0ELNS1_11target_archE4294967295ELNS1_3gpuE0ELNS1_3repE0EEENS1_30default_config_static_selectorELNS0_4arch9wavefront6targetE1EEEvSH_
		.amdhsa_group_segment_fixed_size 112
		.amdhsa_private_segment_fixed_size 0
		.amdhsa_kernarg_size 40
		.amdhsa_user_sgpr_count 2
		.amdhsa_user_sgpr_dispatch_ptr 0
		.amdhsa_user_sgpr_queue_ptr 0
		.amdhsa_user_sgpr_kernarg_segment_ptr 1
		.amdhsa_user_sgpr_dispatch_id 0
		.amdhsa_user_sgpr_kernarg_preload_length 0
		.amdhsa_user_sgpr_kernarg_preload_offset 0
		.amdhsa_user_sgpr_private_segment_size 0
		.amdhsa_uses_dynamic_stack 0
		.amdhsa_enable_private_segment 0
		.amdhsa_system_sgpr_workgroup_id_x 1
		.amdhsa_system_sgpr_workgroup_id_y 0
		.amdhsa_system_sgpr_workgroup_id_z 0
		.amdhsa_system_sgpr_workgroup_info 0
		.amdhsa_system_vgpr_workitem_id 0
		.amdhsa_next_free_vgpr 36
		.amdhsa_next_free_sgpr 77
		.amdhsa_accum_offset 36
		.amdhsa_reserve_vcc 1
		.amdhsa_float_round_mode_32 0
		.amdhsa_float_round_mode_16_64 0
		.amdhsa_float_denorm_mode_32 3
		.amdhsa_float_denorm_mode_16_64 3
		.amdhsa_dx10_clamp 1
		.amdhsa_ieee_mode 1
		.amdhsa_fp16_overflow 0
		.amdhsa_tg_split 0
		.amdhsa_exception_fp_ieee_invalid_op 0
		.amdhsa_exception_fp_denorm_src 0
		.amdhsa_exception_fp_ieee_div_zero 0
		.amdhsa_exception_fp_ieee_overflow 0
		.amdhsa_exception_fp_ieee_underflow 0
		.amdhsa_exception_fp_ieee_inexact 0
		.amdhsa_exception_int_div_zero 0
	.end_amdhsa_kernel
	.section	.text._ZN7rocprim17ROCPRIM_400000_NS6detail17trampoline_kernelINS0_14default_configENS1_22reduce_config_selectorIiEEZNS1_11reduce_implILb1ES3_N6thrust23THRUST_200600_302600_NS10device_ptrIiEEPiiNS8_4plusIiEEEE10hipError_tPvRmT1_T2_T3_mT4_P12ihipStream_tbEUlT_E1_NS1_11comp_targetILNS1_3genE0ELNS1_11target_archE4294967295ELNS1_3gpuE0ELNS1_3repE0EEENS1_30default_config_static_selectorELNS0_4arch9wavefront6targetE1EEEvSH_,"axG",@progbits,_ZN7rocprim17ROCPRIM_400000_NS6detail17trampoline_kernelINS0_14default_configENS1_22reduce_config_selectorIiEEZNS1_11reduce_implILb1ES3_N6thrust23THRUST_200600_302600_NS10device_ptrIiEEPiiNS8_4plusIiEEEE10hipError_tPvRmT1_T2_T3_mT4_P12ihipStream_tbEUlT_E1_NS1_11comp_targetILNS1_3genE0ELNS1_11target_archE4294967295ELNS1_3gpuE0ELNS1_3repE0EEENS1_30default_config_static_selectorELNS0_4arch9wavefront6targetE1EEEvSH_,comdat
.Lfunc_end1136:
	.size	_ZN7rocprim17ROCPRIM_400000_NS6detail17trampoline_kernelINS0_14default_configENS1_22reduce_config_selectorIiEEZNS1_11reduce_implILb1ES3_N6thrust23THRUST_200600_302600_NS10device_ptrIiEEPiiNS8_4plusIiEEEE10hipError_tPvRmT1_T2_T3_mT4_P12ihipStream_tbEUlT_E1_NS1_11comp_targetILNS1_3genE0ELNS1_11target_archE4294967295ELNS1_3gpuE0ELNS1_3repE0EEENS1_30default_config_static_selectorELNS0_4arch9wavefront6targetE1EEEvSH_, .Lfunc_end1136-_ZN7rocprim17ROCPRIM_400000_NS6detail17trampoline_kernelINS0_14default_configENS1_22reduce_config_selectorIiEEZNS1_11reduce_implILb1ES3_N6thrust23THRUST_200600_302600_NS10device_ptrIiEEPiiNS8_4plusIiEEEE10hipError_tPvRmT1_T2_T3_mT4_P12ihipStream_tbEUlT_E1_NS1_11comp_targetILNS1_3genE0ELNS1_11target_archE4294967295ELNS1_3gpuE0ELNS1_3repE0EEENS1_30default_config_static_selectorELNS0_4arch9wavefront6targetE1EEEvSH_
                                        ; -- End function
	.set _ZN7rocprim17ROCPRIM_400000_NS6detail17trampoline_kernelINS0_14default_configENS1_22reduce_config_selectorIiEEZNS1_11reduce_implILb1ES3_N6thrust23THRUST_200600_302600_NS10device_ptrIiEEPiiNS8_4plusIiEEEE10hipError_tPvRmT1_T2_T3_mT4_P12ihipStream_tbEUlT_E1_NS1_11comp_targetILNS1_3genE0ELNS1_11target_archE4294967295ELNS1_3gpuE0ELNS1_3repE0EEENS1_30default_config_static_selectorELNS0_4arch9wavefront6targetE1EEEvSH_.num_vgpr, 36
	.set _ZN7rocprim17ROCPRIM_400000_NS6detail17trampoline_kernelINS0_14default_configENS1_22reduce_config_selectorIiEEZNS1_11reduce_implILb1ES3_N6thrust23THRUST_200600_302600_NS10device_ptrIiEEPiiNS8_4plusIiEEEE10hipError_tPvRmT1_T2_T3_mT4_P12ihipStream_tbEUlT_E1_NS1_11comp_targetILNS1_3genE0ELNS1_11target_archE4294967295ELNS1_3gpuE0ELNS1_3repE0EEENS1_30default_config_static_selectorELNS0_4arch9wavefront6targetE1EEEvSH_.num_agpr, 0
	.set _ZN7rocprim17ROCPRIM_400000_NS6detail17trampoline_kernelINS0_14default_configENS1_22reduce_config_selectorIiEEZNS1_11reduce_implILb1ES3_N6thrust23THRUST_200600_302600_NS10device_ptrIiEEPiiNS8_4plusIiEEEE10hipError_tPvRmT1_T2_T3_mT4_P12ihipStream_tbEUlT_E1_NS1_11comp_targetILNS1_3genE0ELNS1_11target_archE4294967295ELNS1_3gpuE0ELNS1_3repE0EEENS1_30default_config_static_selectorELNS0_4arch9wavefront6targetE1EEEvSH_.numbered_sgpr, 77
	.set _ZN7rocprim17ROCPRIM_400000_NS6detail17trampoline_kernelINS0_14default_configENS1_22reduce_config_selectorIiEEZNS1_11reduce_implILb1ES3_N6thrust23THRUST_200600_302600_NS10device_ptrIiEEPiiNS8_4plusIiEEEE10hipError_tPvRmT1_T2_T3_mT4_P12ihipStream_tbEUlT_E1_NS1_11comp_targetILNS1_3genE0ELNS1_11target_archE4294967295ELNS1_3gpuE0ELNS1_3repE0EEENS1_30default_config_static_selectorELNS0_4arch9wavefront6targetE1EEEvSH_.num_named_barrier, 0
	.set _ZN7rocprim17ROCPRIM_400000_NS6detail17trampoline_kernelINS0_14default_configENS1_22reduce_config_selectorIiEEZNS1_11reduce_implILb1ES3_N6thrust23THRUST_200600_302600_NS10device_ptrIiEEPiiNS8_4plusIiEEEE10hipError_tPvRmT1_T2_T3_mT4_P12ihipStream_tbEUlT_E1_NS1_11comp_targetILNS1_3genE0ELNS1_11target_archE4294967295ELNS1_3gpuE0ELNS1_3repE0EEENS1_30default_config_static_selectorELNS0_4arch9wavefront6targetE1EEEvSH_.private_seg_size, 0
	.set _ZN7rocprim17ROCPRIM_400000_NS6detail17trampoline_kernelINS0_14default_configENS1_22reduce_config_selectorIiEEZNS1_11reduce_implILb1ES3_N6thrust23THRUST_200600_302600_NS10device_ptrIiEEPiiNS8_4plusIiEEEE10hipError_tPvRmT1_T2_T3_mT4_P12ihipStream_tbEUlT_E1_NS1_11comp_targetILNS1_3genE0ELNS1_11target_archE4294967295ELNS1_3gpuE0ELNS1_3repE0EEENS1_30default_config_static_selectorELNS0_4arch9wavefront6targetE1EEEvSH_.uses_vcc, 1
	.set _ZN7rocprim17ROCPRIM_400000_NS6detail17trampoline_kernelINS0_14default_configENS1_22reduce_config_selectorIiEEZNS1_11reduce_implILb1ES3_N6thrust23THRUST_200600_302600_NS10device_ptrIiEEPiiNS8_4plusIiEEEE10hipError_tPvRmT1_T2_T3_mT4_P12ihipStream_tbEUlT_E1_NS1_11comp_targetILNS1_3genE0ELNS1_11target_archE4294967295ELNS1_3gpuE0ELNS1_3repE0EEENS1_30default_config_static_selectorELNS0_4arch9wavefront6targetE1EEEvSH_.uses_flat_scratch, 0
	.set _ZN7rocprim17ROCPRIM_400000_NS6detail17trampoline_kernelINS0_14default_configENS1_22reduce_config_selectorIiEEZNS1_11reduce_implILb1ES3_N6thrust23THRUST_200600_302600_NS10device_ptrIiEEPiiNS8_4plusIiEEEE10hipError_tPvRmT1_T2_T3_mT4_P12ihipStream_tbEUlT_E1_NS1_11comp_targetILNS1_3genE0ELNS1_11target_archE4294967295ELNS1_3gpuE0ELNS1_3repE0EEENS1_30default_config_static_selectorELNS0_4arch9wavefront6targetE1EEEvSH_.has_dyn_sized_stack, 0
	.set _ZN7rocprim17ROCPRIM_400000_NS6detail17trampoline_kernelINS0_14default_configENS1_22reduce_config_selectorIiEEZNS1_11reduce_implILb1ES3_N6thrust23THRUST_200600_302600_NS10device_ptrIiEEPiiNS8_4plusIiEEEE10hipError_tPvRmT1_T2_T3_mT4_P12ihipStream_tbEUlT_E1_NS1_11comp_targetILNS1_3genE0ELNS1_11target_archE4294967295ELNS1_3gpuE0ELNS1_3repE0EEENS1_30default_config_static_selectorELNS0_4arch9wavefront6targetE1EEEvSH_.has_recursion, 0
	.set _ZN7rocprim17ROCPRIM_400000_NS6detail17trampoline_kernelINS0_14default_configENS1_22reduce_config_selectorIiEEZNS1_11reduce_implILb1ES3_N6thrust23THRUST_200600_302600_NS10device_ptrIiEEPiiNS8_4plusIiEEEE10hipError_tPvRmT1_T2_T3_mT4_P12ihipStream_tbEUlT_E1_NS1_11comp_targetILNS1_3genE0ELNS1_11target_archE4294967295ELNS1_3gpuE0ELNS1_3repE0EEENS1_30default_config_static_selectorELNS0_4arch9wavefront6targetE1EEEvSH_.has_indirect_call, 0
	.section	.AMDGPU.csdata,"",@progbits
; Kernel info:
; codeLenInByte = 9884
; TotalNumSgprs: 83
; NumVgprs: 36
; NumAgprs: 0
; TotalNumVgprs: 36
; ScratchSize: 0
; MemoryBound: 0
; FloatMode: 240
; IeeeMode: 1
; LDSByteSize: 112 bytes/workgroup (compile time only)
; SGPRBlocks: 10
; VGPRBlocks: 4
; NumSGPRsForWavesPerEU: 83
; NumVGPRsForWavesPerEU: 36
; AccumOffset: 36
; Occupancy: 8
; WaveLimiterHint : 1
; COMPUTE_PGM_RSRC2:SCRATCH_EN: 0
; COMPUTE_PGM_RSRC2:USER_SGPR: 2
; COMPUTE_PGM_RSRC2:TRAP_HANDLER: 0
; COMPUTE_PGM_RSRC2:TGID_X_EN: 1
; COMPUTE_PGM_RSRC2:TGID_Y_EN: 0
; COMPUTE_PGM_RSRC2:TGID_Z_EN: 0
; COMPUTE_PGM_RSRC2:TIDIG_COMP_CNT: 0
; COMPUTE_PGM_RSRC3_GFX90A:ACCUM_OFFSET: 8
; COMPUTE_PGM_RSRC3_GFX90A:TG_SPLIT: 0
	.section	.text._ZN7rocprim17ROCPRIM_400000_NS6detail17trampoline_kernelINS0_14default_configENS1_22reduce_config_selectorIiEEZNS1_11reduce_implILb1ES3_N6thrust23THRUST_200600_302600_NS10device_ptrIiEEPiiNS8_4plusIiEEEE10hipError_tPvRmT1_T2_T3_mT4_P12ihipStream_tbEUlT_E1_NS1_11comp_targetILNS1_3genE5ELNS1_11target_archE942ELNS1_3gpuE9ELNS1_3repE0EEENS1_30default_config_static_selectorELNS0_4arch9wavefront6targetE1EEEvSH_,"axG",@progbits,_ZN7rocprim17ROCPRIM_400000_NS6detail17trampoline_kernelINS0_14default_configENS1_22reduce_config_selectorIiEEZNS1_11reduce_implILb1ES3_N6thrust23THRUST_200600_302600_NS10device_ptrIiEEPiiNS8_4plusIiEEEE10hipError_tPvRmT1_T2_T3_mT4_P12ihipStream_tbEUlT_E1_NS1_11comp_targetILNS1_3genE5ELNS1_11target_archE942ELNS1_3gpuE9ELNS1_3repE0EEENS1_30default_config_static_selectorELNS0_4arch9wavefront6targetE1EEEvSH_,comdat
	.protected	_ZN7rocprim17ROCPRIM_400000_NS6detail17trampoline_kernelINS0_14default_configENS1_22reduce_config_selectorIiEEZNS1_11reduce_implILb1ES3_N6thrust23THRUST_200600_302600_NS10device_ptrIiEEPiiNS8_4plusIiEEEE10hipError_tPvRmT1_T2_T3_mT4_P12ihipStream_tbEUlT_E1_NS1_11comp_targetILNS1_3genE5ELNS1_11target_archE942ELNS1_3gpuE9ELNS1_3repE0EEENS1_30default_config_static_selectorELNS0_4arch9wavefront6targetE1EEEvSH_ ; -- Begin function _ZN7rocprim17ROCPRIM_400000_NS6detail17trampoline_kernelINS0_14default_configENS1_22reduce_config_selectorIiEEZNS1_11reduce_implILb1ES3_N6thrust23THRUST_200600_302600_NS10device_ptrIiEEPiiNS8_4plusIiEEEE10hipError_tPvRmT1_T2_T3_mT4_P12ihipStream_tbEUlT_E1_NS1_11comp_targetILNS1_3genE5ELNS1_11target_archE942ELNS1_3gpuE9ELNS1_3repE0EEENS1_30default_config_static_selectorELNS0_4arch9wavefront6targetE1EEEvSH_
	.globl	_ZN7rocprim17ROCPRIM_400000_NS6detail17trampoline_kernelINS0_14default_configENS1_22reduce_config_selectorIiEEZNS1_11reduce_implILb1ES3_N6thrust23THRUST_200600_302600_NS10device_ptrIiEEPiiNS8_4plusIiEEEE10hipError_tPvRmT1_T2_T3_mT4_P12ihipStream_tbEUlT_E1_NS1_11comp_targetILNS1_3genE5ELNS1_11target_archE942ELNS1_3gpuE9ELNS1_3repE0EEENS1_30default_config_static_selectorELNS0_4arch9wavefront6targetE1EEEvSH_
	.p2align	8
	.type	_ZN7rocprim17ROCPRIM_400000_NS6detail17trampoline_kernelINS0_14default_configENS1_22reduce_config_selectorIiEEZNS1_11reduce_implILb1ES3_N6thrust23THRUST_200600_302600_NS10device_ptrIiEEPiiNS8_4plusIiEEEE10hipError_tPvRmT1_T2_T3_mT4_P12ihipStream_tbEUlT_E1_NS1_11comp_targetILNS1_3genE5ELNS1_11target_archE942ELNS1_3gpuE9ELNS1_3repE0EEENS1_30default_config_static_selectorELNS0_4arch9wavefront6targetE1EEEvSH_,@function
_ZN7rocprim17ROCPRIM_400000_NS6detail17trampoline_kernelINS0_14default_configENS1_22reduce_config_selectorIiEEZNS1_11reduce_implILb1ES3_N6thrust23THRUST_200600_302600_NS10device_ptrIiEEPiiNS8_4plusIiEEEE10hipError_tPvRmT1_T2_T3_mT4_P12ihipStream_tbEUlT_E1_NS1_11comp_targetILNS1_3genE5ELNS1_11target_archE942ELNS1_3gpuE9ELNS1_3repE0EEENS1_30default_config_static_selectorELNS0_4arch9wavefront6targetE1EEEvSH_: ; @_ZN7rocprim17ROCPRIM_400000_NS6detail17trampoline_kernelINS0_14default_configENS1_22reduce_config_selectorIiEEZNS1_11reduce_implILb1ES3_N6thrust23THRUST_200600_302600_NS10device_ptrIiEEPiiNS8_4plusIiEEEE10hipError_tPvRmT1_T2_T3_mT4_P12ihipStream_tbEUlT_E1_NS1_11comp_targetILNS1_3genE5ELNS1_11target_archE942ELNS1_3gpuE9ELNS1_3repE0EEENS1_30default_config_static_selectorELNS0_4arch9wavefront6targetE1EEEvSH_
; %bb.0:
	.section	.rodata,"a",@progbits
	.p2align	6, 0x0
	.amdhsa_kernel _ZN7rocprim17ROCPRIM_400000_NS6detail17trampoline_kernelINS0_14default_configENS1_22reduce_config_selectorIiEEZNS1_11reduce_implILb1ES3_N6thrust23THRUST_200600_302600_NS10device_ptrIiEEPiiNS8_4plusIiEEEE10hipError_tPvRmT1_T2_T3_mT4_P12ihipStream_tbEUlT_E1_NS1_11comp_targetILNS1_3genE5ELNS1_11target_archE942ELNS1_3gpuE9ELNS1_3repE0EEENS1_30default_config_static_selectorELNS0_4arch9wavefront6targetE1EEEvSH_
		.amdhsa_group_segment_fixed_size 0
		.amdhsa_private_segment_fixed_size 0
		.amdhsa_kernarg_size 40
		.amdhsa_user_sgpr_count 2
		.amdhsa_user_sgpr_dispatch_ptr 0
		.amdhsa_user_sgpr_queue_ptr 0
		.amdhsa_user_sgpr_kernarg_segment_ptr 1
		.amdhsa_user_sgpr_dispatch_id 0
		.amdhsa_user_sgpr_kernarg_preload_length 0
		.amdhsa_user_sgpr_kernarg_preload_offset 0
		.amdhsa_user_sgpr_private_segment_size 0
		.amdhsa_uses_dynamic_stack 0
		.amdhsa_enable_private_segment 0
		.amdhsa_system_sgpr_workgroup_id_x 1
		.amdhsa_system_sgpr_workgroup_id_y 0
		.amdhsa_system_sgpr_workgroup_id_z 0
		.amdhsa_system_sgpr_workgroup_info 0
		.amdhsa_system_vgpr_workitem_id 0
		.amdhsa_next_free_vgpr 1
		.amdhsa_next_free_sgpr 0
		.amdhsa_accum_offset 4
		.amdhsa_reserve_vcc 0
		.amdhsa_float_round_mode_32 0
		.amdhsa_float_round_mode_16_64 0
		.amdhsa_float_denorm_mode_32 3
		.amdhsa_float_denorm_mode_16_64 3
		.amdhsa_dx10_clamp 1
		.amdhsa_ieee_mode 1
		.amdhsa_fp16_overflow 0
		.amdhsa_tg_split 0
		.amdhsa_exception_fp_ieee_invalid_op 0
		.amdhsa_exception_fp_denorm_src 0
		.amdhsa_exception_fp_ieee_div_zero 0
		.amdhsa_exception_fp_ieee_overflow 0
		.amdhsa_exception_fp_ieee_underflow 0
		.amdhsa_exception_fp_ieee_inexact 0
		.amdhsa_exception_int_div_zero 0
	.end_amdhsa_kernel
	.section	.text._ZN7rocprim17ROCPRIM_400000_NS6detail17trampoline_kernelINS0_14default_configENS1_22reduce_config_selectorIiEEZNS1_11reduce_implILb1ES3_N6thrust23THRUST_200600_302600_NS10device_ptrIiEEPiiNS8_4plusIiEEEE10hipError_tPvRmT1_T2_T3_mT4_P12ihipStream_tbEUlT_E1_NS1_11comp_targetILNS1_3genE5ELNS1_11target_archE942ELNS1_3gpuE9ELNS1_3repE0EEENS1_30default_config_static_selectorELNS0_4arch9wavefront6targetE1EEEvSH_,"axG",@progbits,_ZN7rocprim17ROCPRIM_400000_NS6detail17trampoline_kernelINS0_14default_configENS1_22reduce_config_selectorIiEEZNS1_11reduce_implILb1ES3_N6thrust23THRUST_200600_302600_NS10device_ptrIiEEPiiNS8_4plusIiEEEE10hipError_tPvRmT1_T2_T3_mT4_P12ihipStream_tbEUlT_E1_NS1_11comp_targetILNS1_3genE5ELNS1_11target_archE942ELNS1_3gpuE9ELNS1_3repE0EEENS1_30default_config_static_selectorELNS0_4arch9wavefront6targetE1EEEvSH_,comdat
.Lfunc_end1137:
	.size	_ZN7rocprim17ROCPRIM_400000_NS6detail17trampoline_kernelINS0_14default_configENS1_22reduce_config_selectorIiEEZNS1_11reduce_implILb1ES3_N6thrust23THRUST_200600_302600_NS10device_ptrIiEEPiiNS8_4plusIiEEEE10hipError_tPvRmT1_T2_T3_mT4_P12ihipStream_tbEUlT_E1_NS1_11comp_targetILNS1_3genE5ELNS1_11target_archE942ELNS1_3gpuE9ELNS1_3repE0EEENS1_30default_config_static_selectorELNS0_4arch9wavefront6targetE1EEEvSH_, .Lfunc_end1137-_ZN7rocprim17ROCPRIM_400000_NS6detail17trampoline_kernelINS0_14default_configENS1_22reduce_config_selectorIiEEZNS1_11reduce_implILb1ES3_N6thrust23THRUST_200600_302600_NS10device_ptrIiEEPiiNS8_4plusIiEEEE10hipError_tPvRmT1_T2_T3_mT4_P12ihipStream_tbEUlT_E1_NS1_11comp_targetILNS1_3genE5ELNS1_11target_archE942ELNS1_3gpuE9ELNS1_3repE0EEENS1_30default_config_static_selectorELNS0_4arch9wavefront6targetE1EEEvSH_
                                        ; -- End function
	.set _ZN7rocprim17ROCPRIM_400000_NS6detail17trampoline_kernelINS0_14default_configENS1_22reduce_config_selectorIiEEZNS1_11reduce_implILb1ES3_N6thrust23THRUST_200600_302600_NS10device_ptrIiEEPiiNS8_4plusIiEEEE10hipError_tPvRmT1_T2_T3_mT4_P12ihipStream_tbEUlT_E1_NS1_11comp_targetILNS1_3genE5ELNS1_11target_archE942ELNS1_3gpuE9ELNS1_3repE0EEENS1_30default_config_static_selectorELNS0_4arch9wavefront6targetE1EEEvSH_.num_vgpr, 0
	.set _ZN7rocprim17ROCPRIM_400000_NS6detail17trampoline_kernelINS0_14default_configENS1_22reduce_config_selectorIiEEZNS1_11reduce_implILb1ES3_N6thrust23THRUST_200600_302600_NS10device_ptrIiEEPiiNS8_4plusIiEEEE10hipError_tPvRmT1_T2_T3_mT4_P12ihipStream_tbEUlT_E1_NS1_11comp_targetILNS1_3genE5ELNS1_11target_archE942ELNS1_3gpuE9ELNS1_3repE0EEENS1_30default_config_static_selectorELNS0_4arch9wavefront6targetE1EEEvSH_.num_agpr, 0
	.set _ZN7rocprim17ROCPRIM_400000_NS6detail17trampoline_kernelINS0_14default_configENS1_22reduce_config_selectorIiEEZNS1_11reduce_implILb1ES3_N6thrust23THRUST_200600_302600_NS10device_ptrIiEEPiiNS8_4plusIiEEEE10hipError_tPvRmT1_T2_T3_mT4_P12ihipStream_tbEUlT_E1_NS1_11comp_targetILNS1_3genE5ELNS1_11target_archE942ELNS1_3gpuE9ELNS1_3repE0EEENS1_30default_config_static_selectorELNS0_4arch9wavefront6targetE1EEEvSH_.numbered_sgpr, 0
	.set _ZN7rocprim17ROCPRIM_400000_NS6detail17trampoline_kernelINS0_14default_configENS1_22reduce_config_selectorIiEEZNS1_11reduce_implILb1ES3_N6thrust23THRUST_200600_302600_NS10device_ptrIiEEPiiNS8_4plusIiEEEE10hipError_tPvRmT1_T2_T3_mT4_P12ihipStream_tbEUlT_E1_NS1_11comp_targetILNS1_3genE5ELNS1_11target_archE942ELNS1_3gpuE9ELNS1_3repE0EEENS1_30default_config_static_selectorELNS0_4arch9wavefront6targetE1EEEvSH_.num_named_barrier, 0
	.set _ZN7rocprim17ROCPRIM_400000_NS6detail17trampoline_kernelINS0_14default_configENS1_22reduce_config_selectorIiEEZNS1_11reduce_implILb1ES3_N6thrust23THRUST_200600_302600_NS10device_ptrIiEEPiiNS8_4plusIiEEEE10hipError_tPvRmT1_T2_T3_mT4_P12ihipStream_tbEUlT_E1_NS1_11comp_targetILNS1_3genE5ELNS1_11target_archE942ELNS1_3gpuE9ELNS1_3repE0EEENS1_30default_config_static_selectorELNS0_4arch9wavefront6targetE1EEEvSH_.private_seg_size, 0
	.set _ZN7rocprim17ROCPRIM_400000_NS6detail17trampoline_kernelINS0_14default_configENS1_22reduce_config_selectorIiEEZNS1_11reduce_implILb1ES3_N6thrust23THRUST_200600_302600_NS10device_ptrIiEEPiiNS8_4plusIiEEEE10hipError_tPvRmT1_T2_T3_mT4_P12ihipStream_tbEUlT_E1_NS1_11comp_targetILNS1_3genE5ELNS1_11target_archE942ELNS1_3gpuE9ELNS1_3repE0EEENS1_30default_config_static_selectorELNS0_4arch9wavefront6targetE1EEEvSH_.uses_vcc, 0
	.set _ZN7rocprim17ROCPRIM_400000_NS6detail17trampoline_kernelINS0_14default_configENS1_22reduce_config_selectorIiEEZNS1_11reduce_implILb1ES3_N6thrust23THRUST_200600_302600_NS10device_ptrIiEEPiiNS8_4plusIiEEEE10hipError_tPvRmT1_T2_T3_mT4_P12ihipStream_tbEUlT_E1_NS1_11comp_targetILNS1_3genE5ELNS1_11target_archE942ELNS1_3gpuE9ELNS1_3repE0EEENS1_30default_config_static_selectorELNS0_4arch9wavefront6targetE1EEEvSH_.uses_flat_scratch, 0
	.set _ZN7rocprim17ROCPRIM_400000_NS6detail17trampoline_kernelINS0_14default_configENS1_22reduce_config_selectorIiEEZNS1_11reduce_implILb1ES3_N6thrust23THRUST_200600_302600_NS10device_ptrIiEEPiiNS8_4plusIiEEEE10hipError_tPvRmT1_T2_T3_mT4_P12ihipStream_tbEUlT_E1_NS1_11comp_targetILNS1_3genE5ELNS1_11target_archE942ELNS1_3gpuE9ELNS1_3repE0EEENS1_30default_config_static_selectorELNS0_4arch9wavefront6targetE1EEEvSH_.has_dyn_sized_stack, 0
	.set _ZN7rocprim17ROCPRIM_400000_NS6detail17trampoline_kernelINS0_14default_configENS1_22reduce_config_selectorIiEEZNS1_11reduce_implILb1ES3_N6thrust23THRUST_200600_302600_NS10device_ptrIiEEPiiNS8_4plusIiEEEE10hipError_tPvRmT1_T2_T3_mT4_P12ihipStream_tbEUlT_E1_NS1_11comp_targetILNS1_3genE5ELNS1_11target_archE942ELNS1_3gpuE9ELNS1_3repE0EEENS1_30default_config_static_selectorELNS0_4arch9wavefront6targetE1EEEvSH_.has_recursion, 0
	.set _ZN7rocprim17ROCPRIM_400000_NS6detail17trampoline_kernelINS0_14default_configENS1_22reduce_config_selectorIiEEZNS1_11reduce_implILb1ES3_N6thrust23THRUST_200600_302600_NS10device_ptrIiEEPiiNS8_4plusIiEEEE10hipError_tPvRmT1_T2_T3_mT4_P12ihipStream_tbEUlT_E1_NS1_11comp_targetILNS1_3genE5ELNS1_11target_archE942ELNS1_3gpuE9ELNS1_3repE0EEENS1_30default_config_static_selectorELNS0_4arch9wavefront6targetE1EEEvSH_.has_indirect_call, 0
	.section	.AMDGPU.csdata,"",@progbits
; Kernel info:
; codeLenInByte = 0
; TotalNumSgprs: 6
; NumVgprs: 0
; NumAgprs: 0
; TotalNumVgprs: 0
; ScratchSize: 0
; MemoryBound: 0
; FloatMode: 240
; IeeeMode: 1
; LDSByteSize: 0 bytes/workgroup (compile time only)
; SGPRBlocks: 0
; VGPRBlocks: 0
; NumSGPRsForWavesPerEU: 6
; NumVGPRsForWavesPerEU: 1
; AccumOffset: 4
; Occupancy: 8
; WaveLimiterHint : 0
; COMPUTE_PGM_RSRC2:SCRATCH_EN: 0
; COMPUTE_PGM_RSRC2:USER_SGPR: 2
; COMPUTE_PGM_RSRC2:TRAP_HANDLER: 0
; COMPUTE_PGM_RSRC2:TGID_X_EN: 1
; COMPUTE_PGM_RSRC2:TGID_Y_EN: 0
; COMPUTE_PGM_RSRC2:TGID_Z_EN: 0
; COMPUTE_PGM_RSRC2:TIDIG_COMP_CNT: 0
; COMPUTE_PGM_RSRC3_GFX90A:ACCUM_OFFSET: 0
; COMPUTE_PGM_RSRC3_GFX90A:TG_SPLIT: 0
	.section	.text._ZN7rocprim17ROCPRIM_400000_NS6detail17trampoline_kernelINS0_14default_configENS1_22reduce_config_selectorIiEEZNS1_11reduce_implILb1ES3_N6thrust23THRUST_200600_302600_NS10device_ptrIiEEPiiNS8_4plusIiEEEE10hipError_tPvRmT1_T2_T3_mT4_P12ihipStream_tbEUlT_E1_NS1_11comp_targetILNS1_3genE4ELNS1_11target_archE910ELNS1_3gpuE8ELNS1_3repE0EEENS1_30default_config_static_selectorELNS0_4arch9wavefront6targetE1EEEvSH_,"axG",@progbits,_ZN7rocprim17ROCPRIM_400000_NS6detail17trampoline_kernelINS0_14default_configENS1_22reduce_config_selectorIiEEZNS1_11reduce_implILb1ES3_N6thrust23THRUST_200600_302600_NS10device_ptrIiEEPiiNS8_4plusIiEEEE10hipError_tPvRmT1_T2_T3_mT4_P12ihipStream_tbEUlT_E1_NS1_11comp_targetILNS1_3genE4ELNS1_11target_archE910ELNS1_3gpuE8ELNS1_3repE0EEENS1_30default_config_static_selectorELNS0_4arch9wavefront6targetE1EEEvSH_,comdat
	.protected	_ZN7rocprim17ROCPRIM_400000_NS6detail17trampoline_kernelINS0_14default_configENS1_22reduce_config_selectorIiEEZNS1_11reduce_implILb1ES3_N6thrust23THRUST_200600_302600_NS10device_ptrIiEEPiiNS8_4plusIiEEEE10hipError_tPvRmT1_T2_T3_mT4_P12ihipStream_tbEUlT_E1_NS1_11comp_targetILNS1_3genE4ELNS1_11target_archE910ELNS1_3gpuE8ELNS1_3repE0EEENS1_30default_config_static_selectorELNS0_4arch9wavefront6targetE1EEEvSH_ ; -- Begin function _ZN7rocprim17ROCPRIM_400000_NS6detail17trampoline_kernelINS0_14default_configENS1_22reduce_config_selectorIiEEZNS1_11reduce_implILb1ES3_N6thrust23THRUST_200600_302600_NS10device_ptrIiEEPiiNS8_4plusIiEEEE10hipError_tPvRmT1_T2_T3_mT4_P12ihipStream_tbEUlT_E1_NS1_11comp_targetILNS1_3genE4ELNS1_11target_archE910ELNS1_3gpuE8ELNS1_3repE0EEENS1_30default_config_static_selectorELNS0_4arch9wavefront6targetE1EEEvSH_
	.globl	_ZN7rocprim17ROCPRIM_400000_NS6detail17trampoline_kernelINS0_14default_configENS1_22reduce_config_selectorIiEEZNS1_11reduce_implILb1ES3_N6thrust23THRUST_200600_302600_NS10device_ptrIiEEPiiNS8_4plusIiEEEE10hipError_tPvRmT1_T2_T3_mT4_P12ihipStream_tbEUlT_E1_NS1_11comp_targetILNS1_3genE4ELNS1_11target_archE910ELNS1_3gpuE8ELNS1_3repE0EEENS1_30default_config_static_selectorELNS0_4arch9wavefront6targetE1EEEvSH_
	.p2align	8
	.type	_ZN7rocprim17ROCPRIM_400000_NS6detail17trampoline_kernelINS0_14default_configENS1_22reduce_config_selectorIiEEZNS1_11reduce_implILb1ES3_N6thrust23THRUST_200600_302600_NS10device_ptrIiEEPiiNS8_4plusIiEEEE10hipError_tPvRmT1_T2_T3_mT4_P12ihipStream_tbEUlT_E1_NS1_11comp_targetILNS1_3genE4ELNS1_11target_archE910ELNS1_3gpuE8ELNS1_3repE0EEENS1_30default_config_static_selectorELNS0_4arch9wavefront6targetE1EEEvSH_,@function
_ZN7rocprim17ROCPRIM_400000_NS6detail17trampoline_kernelINS0_14default_configENS1_22reduce_config_selectorIiEEZNS1_11reduce_implILb1ES3_N6thrust23THRUST_200600_302600_NS10device_ptrIiEEPiiNS8_4plusIiEEEE10hipError_tPvRmT1_T2_T3_mT4_P12ihipStream_tbEUlT_E1_NS1_11comp_targetILNS1_3genE4ELNS1_11target_archE910ELNS1_3gpuE8ELNS1_3repE0EEENS1_30default_config_static_selectorELNS0_4arch9wavefront6targetE1EEEvSH_: ; @_ZN7rocprim17ROCPRIM_400000_NS6detail17trampoline_kernelINS0_14default_configENS1_22reduce_config_selectorIiEEZNS1_11reduce_implILb1ES3_N6thrust23THRUST_200600_302600_NS10device_ptrIiEEPiiNS8_4plusIiEEEE10hipError_tPvRmT1_T2_T3_mT4_P12ihipStream_tbEUlT_E1_NS1_11comp_targetILNS1_3genE4ELNS1_11target_archE910ELNS1_3gpuE8ELNS1_3repE0EEENS1_30default_config_static_selectorELNS0_4arch9wavefront6targetE1EEEvSH_
; %bb.0:
	.section	.rodata,"a",@progbits
	.p2align	6, 0x0
	.amdhsa_kernel _ZN7rocprim17ROCPRIM_400000_NS6detail17trampoline_kernelINS0_14default_configENS1_22reduce_config_selectorIiEEZNS1_11reduce_implILb1ES3_N6thrust23THRUST_200600_302600_NS10device_ptrIiEEPiiNS8_4plusIiEEEE10hipError_tPvRmT1_T2_T3_mT4_P12ihipStream_tbEUlT_E1_NS1_11comp_targetILNS1_3genE4ELNS1_11target_archE910ELNS1_3gpuE8ELNS1_3repE0EEENS1_30default_config_static_selectorELNS0_4arch9wavefront6targetE1EEEvSH_
		.amdhsa_group_segment_fixed_size 0
		.amdhsa_private_segment_fixed_size 0
		.amdhsa_kernarg_size 40
		.amdhsa_user_sgpr_count 2
		.amdhsa_user_sgpr_dispatch_ptr 0
		.amdhsa_user_sgpr_queue_ptr 0
		.amdhsa_user_sgpr_kernarg_segment_ptr 1
		.amdhsa_user_sgpr_dispatch_id 0
		.amdhsa_user_sgpr_kernarg_preload_length 0
		.amdhsa_user_sgpr_kernarg_preload_offset 0
		.amdhsa_user_sgpr_private_segment_size 0
		.amdhsa_uses_dynamic_stack 0
		.amdhsa_enable_private_segment 0
		.amdhsa_system_sgpr_workgroup_id_x 1
		.amdhsa_system_sgpr_workgroup_id_y 0
		.amdhsa_system_sgpr_workgroup_id_z 0
		.amdhsa_system_sgpr_workgroup_info 0
		.amdhsa_system_vgpr_workitem_id 0
		.amdhsa_next_free_vgpr 1
		.amdhsa_next_free_sgpr 0
		.amdhsa_accum_offset 4
		.amdhsa_reserve_vcc 0
		.amdhsa_float_round_mode_32 0
		.amdhsa_float_round_mode_16_64 0
		.amdhsa_float_denorm_mode_32 3
		.amdhsa_float_denorm_mode_16_64 3
		.amdhsa_dx10_clamp 1
		.amdhsa_ieee_mode 1
		.amdhsa_fp16_overflow 0
		.amdhsa_tg_split 0
		.amdhsa_exception_fp_ieee_invalid_op 0
		.amdhsa_exception_fp_denorm_src 0
		.amdhsa_exception_fp_ieee_div_zero 0
		.amdhsa_exception_fp_ieee_overflow 0
		.amdhsa_exception_fp_ieee_underflow 0
		.amdhsa_exception_fp_ieee_inexact 0
		.amdhsa_exception_int_div_zero 0
	.end_amdhsa_kernel
	.section	.text._ZN7rocprim17ROCPRIM_400000_NS6detail17trampoline_kernelINS0_14default_configENS1_22reduce_config_selectorIiEEZNS1_11reduce_implILb1ES3_N6thrust23THRUST_200600_302600_NS10device_ptrIiEEPiiNS8_4plusIiEEEE10hipError_tPvRmT1_T2_T3_mT4_P12ihipStream_tbEUlT_E1_NS1_11comp_targetILNS1_3genE4ELNS1_11target_archE910ELNS1_3gpuE8ELNS1_3repE0EEENS1_30default_config_static_selectorELNS0_4arch9wavefront6targetE1EEEvSH_,"axG",@progbits,_ZN7rocprim17ROCPRIM_400000_NS6detail17trampoline_kernelINS0_14default_configENS1_22reduce_config_selectorIiEEZNS1_11reduce_implILb1ES3_N6thrust23THRUST_200600_302600_NS10device_ptrIiEEPiiNS8_4plusIiEEEE10hipError_tPvRmT1_T2_T3_mT4_P12ihipStream_tbEUlT_E1_NS1_11comp_targetILNS1_3genE4ELNS1_11target_archE910ELNS1_3gpuE8ELNS1_3repE0EEENS1_30default_config_static_selectorELNS0_4arch9wavefront6targetE1EEEvSH_,comdat
.Lfunc_end1138:
	.size	_ZN7rocprim17ROCPRIM_400000_NS6detail17trampoline_kernelINS0_14default_configENS1_22reduce_config_selectorIiEEZNS1_11reduce_implILb1ES3_N6thrust23THRUST_200600_302600_NS10device_ptrIiEEPiiNS8_4plusIiEEEE10hipError_tPvRmT1_T2_T3_mT4_P12ihipStream_tbEUlT_E1_NS1_11comp_targetILNS1_3genE4ELNS1_11target_archE910ELNS1_3gpuE8ELNS1_3repE0EEENS1_30default_config_static_selectorELNS0_4arch9wavefront6targetE1EEEvSH_, .Lfunc_end1138-_ZN7rocprim17ROCPRIM_400000_NS6detail17trampoline_kernelINS0_14default_configENS1_22reduce_config_selectorIiEEZNS1_11reduce_implILb1ES3_N6thrust23THRUST_200600_302600_NS10device_ptrIiEEPiiNS8_4plusIiEEEE10hipError_tPvRmT1_T2_T3_mT4_P12ihipStream_tbEUlT_E1_NS1_11comp_targetILNS1_3genE4ELNS1_11target_archE910ELNS1_3gpuE8ELNS1_3repE0EEENS1_30default_config_static_selectorELNS0_4arch9wavefront6targetE1EEEvSH_
                                        ; -- End function
	.set _ZN7rocprim17ROCPRIM_400000_NS6detail17trampoline_kernelINS0_14default_configENS1_22reduce_config_selectorIiEEZNS1_11reduce_implILb1ES3_N6thrust23THRUST_200600_302600_NS10device_ptrIiEEPiiNS8_4plusIiEEEE10hipError_tPvRmT1_T2_T3_mT4_P12ihipStream_tbEUlT_E1_NS1_11comp_targetILNS1_3genE4ELNS1_11target_archE910ELNS1_3gpuE8ELNS1_3repE0EEENS1_30default_config_static_selectorELNS0_4arch9wavefront6targetE1EEEvSH_.num_vgpr, 0
	.set _ZN7rocprim17ROCPRIM_400000_NS6detail17trampoline_kernelINS0_14default_configENS1_22reduce_config_selectorIiEEZNS1_11reduce_implILb1ES3_N6thrust23THRUST_200600_302600_NS10device_ptrIiEEPiiNS8_4plusIiEEEE10hipError_tPvRmT1_T2_T3_mT4_P12ihipStream_tbEUlT_E1_NS1_11comp_targetILNS1_3genE4ELNS1_11target_archE910ELNS1_3gpuE8ELNS1_3repE0EEENS1_30default_config_static_selectorELNS0_4arch9wavefront6targetE1EEEvSH_.num_agpr, 0
	.set _ZN7rocprim17ROCPRIM_400000_NS6detail17trampoline_kernelINS0_14default_configENS1_22reduce_config_selectorIiEEZNS1_11reduce_implILb1ES3_N6thrust23THRUST_200600_302600_NS10device_ptrIiEEPiiNS8_4plusIiEEEE10hipError_tPvRmT1_T2_T3_mT4_P12ihipStream_tbEUlT_E1_NS1_11comp_targetILNS1_3genE4ELNS1_11target_archE910ELNS1_3gpuE8ELNS1_3repE0EEENS1_30default_config_static_selectorELNS0_4arch9wavefront6targetE1EEEvSH_.numbered_sgpr, 0
	.set _ZN7rocprim17ROCPRIM_400000_NS6detail17trampoline_kernelINS0_14default_configENS1_22reduce_config_selectorIiEEZNS1_11reduce_implILb1ES3_N6thrust23THRUST_200600_302600_NS10device_ptrIiEEPiiNS8_4plusIiEEEE10hipError_tPvRmT1_T2_T3_mT4_P12ihipStream_tbEUlT_E1_NS1_11comp_targetILNS1_3genE4ELNS1_11target_archE910ELNS1_3gpuE8ELNS1_3repE0EEENS1_30default_config_static_selectorELNS0_4arch9wavefront6targetE1EEEvSH_.num_named_barrier, 0
	.set _ZN7rocprim17ROCPRIM_400000_NS6detail17trampoline_kernelINS0_14default_configENS1_22reduce_config_selectorIiEEZNS1_11reduce_implILb1ES3_N6thrust23THRUST_200600_302600_NS10device_ptrIiEEPiiNS8_4plusIiEEEE10hipError_tPvRmT1_T2_T3_mT4_P12ihipStream_tbEUlT_E1_NS1_11comp_targetILNS1_3genE4ELNS1_11target_archE910ELNS1_3gpuE8ELNS1_3repE0EEENS1_30default_config_static_selectorELNS0_4arch9wavefront6targetE1EEEvSH_.private_seg_size, 0
	.set _ZN7rocprim17ROCPRIM_400000_NS6detail17trampoline_kernelINS0_14default_configENS1_22reduce_config_selectorIiEEZNS1_11reduce_implILb1ES3_N6thrust23THRUST_200600_302600_NS10device_ptrIiEEPiiNS8_4plusIiEEEE10hipError_tPvRmT1_T2_T3_mT4_P12ihipStream_tbEUlT_E1_NS1_11comp_targetILNS1_3genE4ELNS1_11target_archE910ELNS1_3gpuE8ELNS1_3repE0EEENS1_30default_config_static_selectorELNS0_4arch9wavefront6targetE1EEEvSH_.uses_vcc, 0
	.set _ZN7rocprim17ROCPRIM_400000_NS6detail17trampoline_kernelINS0_14default_configENS1_22reduce_config_selectorIiEEZNS1_11reduce_implILb1ES3_N6thrust23THRUST_200600_302600_NS10device_ptrIiEEPiiNS8_4plusIiEEEE10hipError_tPvRmT1_T2_T3_mT4_P12ihipStream_tbEUlT_E1_NS1_11comp_targetILNS1_3genE4ELNS1_11target_archE910ELNS1_3gpuE8ELNS1_3repE0EEENS1_30default_config_static_selectorELNS0_4arch9wavefront6targetE1EEEvSH_.uses_flat_scratch, 0
	.set _ZN7rocprim17ROCPRIM_400000_NS6detail17trampoline_kernelINS0_14default_configENS1_22reduce_config_selectorIiEEZNS1_11reduce_implILb1ES3_N6thrust23THRUST_200600_302600_NS10device_ptrIiEEPiiNS8_4plusIiEEEE10hipError_tPvRmT1_T2_T3_mT4_P12ihipStream_tbEUlT_E1_NS1_11comp_targetILNS1_3genE4ELNS1_11target_archE910ELNS1_3gpuE8ELNS1_3repE0EEENS1_30default_config_static_selectorELNS0_4arch9wavefront6targetE1EEEvSH_.has_dyn_sized_stack, 0
	.set _ZN7rocprim17ROCPRIM_400000_NS6detail17trampoline_kernelINS0_14default_configENS1_22reduce_config_selectorIiEEZNS1_11reduce_implILb1ES3_N6thrust23THRUST_200600_302600_NS10device_ptrIiEEPiiNS8_4plusIiEEEE10hipError_tPvRmT1_T2_T3_mT4_P12ihipStream_tbEUlT_E1_NS1_11comp_targetILNS1_3genE4ELNS1_11target_archE910ELNS1_3gpuE8ELNS1_3repE0EEENS1_30default_config_static_selectorELNS0_4arch9wavefront6targetE1EEEvSH_.has_recursion, 0
	.set _ZN7rocprim17ROCPRIM_400000_NS6detail17trampoline_kernelINS0_14default_configENS1_22reduce_config_selectorIiEEZNS1_11reduce_implILb1ES3_N6thrust23THRUST_200600_302600_NS10device_ptrIiEEPiiNS8_4plusIiEEEE10hipError_tPvRmT1_T2_T3_mT4_P12ihipStream_tbEUlT_E1_NS1_11comp_targetILNS1_3genE4ELNS1_11target_archE910ELNS1_3gpuE8ELNS1_3repE0EEENS1_30default_config_static_selectorELNS0_4arch9wavefront6targetE1EEEvSH_.has_indirect_call, 0
	.section	.AMDGPU.csdata,"",@progbits
; Kernel info:
; codeLenInByte = 0
; TotalNumSgprs: 6
; NumVgprs: 0
; NumAgprs: 0
; TotalNumVgprs: 0
; ScratchSize: 0
; MemoryBound: 0
; FloatMode: 240
; IeeeMode: 1
; LDSByteSize: 0 bytes/workgroup (compile time only)
; SGPRBlocks: 0
; VGPRBlocks: 0
; NumSGPRsForWavesPerEU: 6
; NumVGPRsForWavesPerEU: 1
; AccumOffset: 4
; Occupancy: 8
; WaveLimiterHint : 0
; COMPUTE_PGM_RSRC2:SCRATCH_EN: 0
; COMPUTE_PGM_RSRC2:USER_SGPR: 2
; COMPUTE_PGM_RSRC2:TRAP_HANDLER: 0
; COMPUTE_PGM_RSRC2:TGID_X_EN: 1
; COMPUTE_PGM_RSRC2:TGID_Y_EN: 0
; COMPUTE_PGM_RSRC2:TGID_Z_EN: 0
; COMPUTE_PGM_RSRC2:TIDIG_COMP_CNT: 0
; COMPUTE_PGM_RSRC3_GFX90A:ACCUM_OFFSET: 0
; COMPUTE_PGM_RSRC3_GFX90A:TG_SPLIT: 0
	.section	.text._ZN7rocprim17ROCPRIM_400000_NS6detail17trampoline_kernelINS0_14default_configENS1_22reduce_config_selectorIiEEZNS1_11reduce_implILb1ES3_N6thrust23THRUST_200600_302600_NS10device_ptrIiEEPiiNS8_4plusIiEEEE10hipError_tPvRmT1_T2_T3_mT4_P12ihipStream_tbEUlT_E1_NS1_11comp_targetILNS1_3genE3ELNS1_11target_archE908ELNS1_3gpuE7ELNS1_3repE0EEENS1_30default_config_static_selectorELNS0_4arch9wavefront6targetE1EEEvSH_,"axG",@progbits,_ZN7rocprim17ROCPRIM_400000_NS6detail17trampoline_kernelINS0_14default_configENS1_22reduce_config_selectorIiEEZNS1_11reduce_implILb1ES3_N6thrust23THRUST_200600_302600_NS10device_ptrIiEEPiiNS8_4plusIiEEEE10hipError_tPvRmT1_T2_T3_mT4_P12ihipStream_tbEUlT_E1_NS1_11comp_targetILNS1_3genE3ELNS1_11target_archE908ELNS1_3gpuE7ELNS1_3repE0EEENS1_30default_config_static_selectorELNS0_4arch9wavefront6targetE1EEEvSH_,comdat
	.protected	_ZN7rocprim17ROCPRIM_400000_NS6detail17trampoline_kernelINS0_14default_configENS1_22reduce_config_selectorIiEEZNS1_11reduce_implILb1ES3_N6thrust23THRUST_200600_302600_NS10device_ptrIiEEPiiNS8_4plusIiEEEE10hipError_tPvRmT1_T2_T3_mT4_P12ihipStream_tbEUlT_E1_NS1_11comp_targetILNS1_3genE3ELNS1_11target_archE908ELNS1_3gpuE7ELNS1_3repE0EEENS1_30default_config_static_selectorELNS0_4arch9wavefront6targetE1EEEvSH_ ; -- Begin function _ZN7rocprim17ROCPRIM_400000_NS6detail17trampoline_kernelINS0_14default_configENS1_22reduce_config_selectorIiEEZNS1_11reduce_implILb1ES3_N6thrust23THRUST_200600_302600_NS10device_ptrIiEEPiiNS8_4plusIiEEEE10hipError_tPvRmT1_T2_T3_mT4_P12ihipStream_tbEUlT_E1_NS1_11comp_targetILNS1_3genE3ELNS1_11target_archE908ELNS1_3gpuE7ELNS1_3repE0EEENS1_30default_config_static_selectorELNS0_4arch9wavefront6targetE1EEEvSH_
	.globl	_ZN7rocprim17ROCPRIM_400000_NS6detail17trampoline_kernelINS0_14default_configENS1_22reduce_config_selectorIiEEZNS1_11reduce_implILb1ES3_N6thrust23THRUST_200600_302600_NS10device_ptrIiEEPiiNS8_4plusIiEEEE10hipError_tPvRmT1_T2_T3_mT4_P12ihipStream_tbEUlT_E1_NS1_11comp_targetILNS1_3genE3ELNS1_11target_archE908ELNS1_3gpuE7ELNS1_3repE0EEENS1_30default_config_static_selectorELNS0_4arch9wavefront6targetE1EEEvSH_
	.p2align	8
	.type	_ZN7rocprim17ROCPRIM_400000_NS6detail17trampoline_kernelINS0_14default_configENS1_22reduce_config_selectorIiEEZNS1_11reduce_implILb1ES3_N6thrust23THRUST_200600_302600_NS10device_ptrIiEEPiiNS8_4plusIiEEEE10hipError_tPvRmT1_T2_T3_mT4_P12ihipStream_tbEUlT_E1_NS1_11comp_targetILNS1_3genE3ELNS1_11target_archE908ELNS1_3gpuE7ELNS1_3repE0EEENS1_30default_config_static_selectorELNS0_4arch9wavefront6targetE1EEEvSH_,@function
_ZN7rocprim17ROCPRIM_400000_NS6detail17trampoline_kernelINS0_14default_configENS1_22reduce_config_selectorIiEEZNS1_11reduce_implILb1ES3_N6thrust23THRUST_200600_302600_NS10device_ptrIiEEPiiNS8_4plusIiEEEE10hipError_tPvRmT1_T2_T3_mT4_P12ihipStream_tbEUlT_E1_NS1_11comp_targetILNS1_3genE3ELNS1_11target_archE908ELNS1_3gpuE7ELNS1_3repE0EEENS1_30default_config_static_selectorELNS0_4arch9wavefront6targetE1EEEvSH_: ; @_ZN7rocprim17ROCPRIM_400000_NS6detail17trampoline_kernelINS0_14default_configENS1_22reduce_config_selectorIiEEZNS1_11reduce_implILb1ES3_N6thrust23THRUST_200600_302600_NS10device_ptrIiEEPiiNS8_4plusIiEEEE10hipError_tPvRmT1_T2_T3_mT4_P12ihipStream_tbEUlT_E1_NS1_11comp_targetILNS1_3genE3ELNS1_11target_archE908ELNS1_3gpuE7ELNS1_3repE0EEENS1_30default_config_static_selectorELNS0_4arch9wavefront6targetE1EEEvSH_
; %bb.0:
	.section	.rodata,"a",@progbits
	.p2align	6, 0x0
	.amdhsa_kernel _ZN7rocprim17ROCPRIM_400000_NS6detail17trampoline_kernelINS0_14default_configENS1_22reduce_config_selectorIiEEZNS1_11reduce_implILb1ES3_N6thrust23THRUST_200600_302600_NS10device_ptrIiEEPiiNS8_4plusIiEEEE10hipError_tPvRmT1_T2_T3_mT4_P12ihipStream_tbEUlT_E1_NS1_11comp_targetILNS1_3genE3ELNS1_11target_archE908ELNS1_3gpuE7ELNS1_3repE0EEENS1_30default_config_static_selectorELNS0_4arch9wavefront6targetE1EEEvSH_
		.amdhsa_group_segment_fixed_size 0
		.amdhsa_private_segment_fixed_size 0
		.amdhsa_kernarg_size 40
		.amdhsa_user_sgpr_count 2
		.amdhsa_user_sgpr_dispatch_ptr 0
		.amdhsa_user_sgpr_queue_ptr 0
		.amdhsa_user_sgpr_kernarg_segment_ptr 1
		.amdhsa_user_sgpr_dispatch_id 0
		.amdhsa_user_sgpr_kernarg_preload_length 0
		.amdhsa_user_sgpr_kernarg_preload_offset 0
		.amdhsa_user_sgpr_private_segment_size 0
		.amdhsa_uses_dynamic_stack 0
		.amdhsa_enable_private_segment 0
		.amdhsa_system_sgpr_workgroup_id_x 1
		.amdhsa_system_sgpr_workgroup_id_y 0
		.amdhsa_system_sgpr_workgroup_id_z 0
		.amdhsa_system_sgpr_workgroup_info 0
		.amdhsa_system_vgpr_workitem_id 0
		.amdhsa_next_free_vgpr 1
		.amdhsa_next_free_sgpr 0
		.amdhsa_accum_offset 4
		.amdhsa_reserve_vcc 0
		.amdhsa_float_round_mode_32 0
		.amdhsa_float_round_mode_16_64 0
		.amdhsa_float_denorm_mode_32 3
		.amdhsa_float_denorm_mode_16_64 3
		.amdhsa_dx10_clamp 1
		.amdhsa_ieee_mode 1
		.amdhsa_fp16_overflow 0
		.amdhsa_tg_split 0
		.amdhsa_exception_fp_ieee_invalid_op 0
		.amdhsa_exception_fp_denorm_src 0
		.amdhsa_exception_fp_ieee_div_zero 0
		.amdhsa_exception_fp_ieee_overflow 0
		.amdhsa_exception_fp_ieee_underflow 0
		.amdhsa_exception_fp_ieee_inexact 0
		.amdhsa_exception_int_div_zero 0
	.end_amdhsa_kernel
	.section	.text._ZN7rocprim17ROCPRIM_400000_NS6detail17trampoline_kernelINS0_14default_configENS1_22reduce_config_selectorIiEEZNS1_11reduce_implILb1ES3_N6thrust23THRUST_200600_302600_NS10device_ptrIiEEPiiNS8_4plusIiEEEE10hipError_tPvRmT1_T2_T3_mT4_P12ihipStream_tbEUlT_E1_NS1_11comp_targetILNS1_3genE3ELNS1_11target_archE908ELNS1_3gpuE7ELNS1_3repE0EEENS1_30default_config_static_selectorELNS0_4arch9wavefront6targetE1EEEvSH_,"axG",@progbits,_ZN7rocprim17ROCPRIM_400000_NS6detail17trampoline_kernelINS0_14default_configENS1_22reduce_config_selectorIiEEZNS1_11reduce_implILb1ES3_N6thrust23THRUST_200600_302600_NS10device_ptrIiEEPiiNS8_4plusIiEEEE10hipError_tPvRmT1_T2_T3_mT4_P12ihipStream_tbEUlT_E1_NS1_11comp_targetILNS1_3genE3ELNS1_11target_archE908ELNS1_3gpuE7ELNS1_3repE0EEENS1_30default_config_static_selectorELNS0_4arch9wavefront6targetE1EEEvSH_,comdat
.Lfunc_end1139:
	.size	_ZN7rocprim17ROCPRIM_400000_NS6detail17trampoline_kernelINS0_14default_configENS1_22reduce_config_selectorIiEEZNS1_11reduce_implILb1ES3_N6thrust23THRUST_200600_302600_NS10device_ptrIiEEPiiNS8_4plusIiEEEE10hipError_tPvRmT1_T2_T3_mT4_P12ihipStream_tbEUlT_E1_NS1_11comp_targetILNS1_3genE3ELNS1_11target_archE908ELNS1_3gpuE7ELNS1_3repE0EEENS1_30default_config_static_selectorELNS0_4arch9wavefront6targetE1EEEvSH_, .Lfunc_end1139-_ZN7rocprim17ROCPRIM_400000_NS6detail17trampoline_kernelINS0_14default_configENS1_22reduce_config_selectorIiEEZNS1_11reduce_implILb1ES3_N6thrust23THRUST_200600_302600_NS10device_ptrIiEEPiiNS8_4plusIiEEEE10hipError_tPvRmT1_T2_T3_mT4_P12ihipStream_tbEUlT_E1_NS1_11comp_targetILNS1_3genE3ELNS1_11target_archE908ELNS1_3gpuE7ELNS1_3repE0EEENS1_30default_config_static_selectorELNS0_4arch9wavefront6targetE1EEEvSH_
                                        ; -- End function
	.set _ZN7rocprim17ROCPRIM_400000_NS6detail17trampoline_kernelINS0_14default_configENS1_22reduce_config_selectorIiEEZNS1_11reduce_implILb1ES3_N6thrust23THRUST_200600_302600_NS10device_ptrIiEEPiiNS8_4plusIiEEEE10hipError_tPvRmT1_T2_T3_mT4_P12ihipStream_tbEUlT_E1_NS1_11comp_targetILNS1_3genE3ELNS1_11target_archE908ELNS1_3gpuE7ELNS1_3repE0EEENS1_30default_config_static_selectorELNS0_4arch9wavefront6targetE1EEEvSH_.num_vgpr, 0
	.set _ZN7rocprim17ROCPRIM_400000_NS6detail17trampoline_kernelINS0_14default_configENS1_22reduce_config_selectorIiEEZNS1_11reduce_implILb1ES3_N6thrust23THRUST_200600_302600_NS10device_ptrIiEEPiiNS8_4plusIiEEEE10hipError_tPvRmT1_T2_T3_mT4_P12ihipStream_tbEUlT_E1_NS1_11comp_targetILNS1_3genE3ELNS1_11target_archE908ELNS1_3gpuE7ELNS1_3repE0EEENS1_30default_config_static_selectorELNS0_4arch9wavefront6targetE1EEEvSH_.num_agpr, 0
	.set _ZN7rocprim17ROCPRIM_400000_NS6detail17trampoline_kernelINS0_14default_configENS1_22reduce_config_selectorIiEEZNS1_11reduce_implILb1ES3_N6thrust23THRUST_200600_302600_NS10device_ptrIiEEPiiNS8_4plusIiEEEE10hipError_tPvRmT1_T2_T3_mT4_P12ihipStream_tbEUlT_E1_NS1_11comp_targetILNS1_3genE3ELNS1_11target_archE908ELNS1_3gpuE7ELNS1_3repE0EEENS1_30default_config_static_selectorELNS0_4arch9wavefront6targetE1EEEvSH_.numbered_sgpr, 0
	.set _ZN7rocprim17ROCPRIM_400000_NS6detail17trampoline_kernelINS0_14default_configENS1_22reduce_config_selectorIiEEZNS1_11reduce_implILb1ES3_N6thrust23THRUST_200600_302600_NS10device_ptrIiEEPiiNS8_4plusIiEEEE10hipError_tPvRmT1_T2_T3_mT4_P12ihipStream_tbEUlT_E1_NS1_11comp_targetILNS1_3genE3ELNS1_11target_archE908ELNS1_3gpuE7ELNS1_3repE0EEENS1_30default_config_static_selectorELNS0_4arch9wavefront6targetE1EEEvSH_.num_named_barrier, 0
	.set _ZN7rocprim17ROCPRIM_400000_NS6detail17trampoline_kernelINS0_14default_configENS1_22reduce_config_selectorIiEEZNS1_11reduce_implILb1ES3_N6thrust23THRUST_200600_302600_NS10device_ptrIiEEPiiNS8_4plusIiEEEE10hipError_tPvRmT1_T2_T3_mT4_P12ihipStream_tbEUlT_E1_NS1_11comp_targetILNS1_3genE3ELNS1_11target_archE908ELNS1_3gpuE7ELNS1_3repE0EEENS1_30default_config_static_selectorELNS0_4arch9wavefront6targetE1EEEvSH_.private_seg_size, 0
	.set _ZN7rocprim17ROCPRIM_400000_NS6detail17trampoline_kernelINS0_14default_configENS1_22reduce_config_selectorIiEEZNS1_11reduce_implILb1ES3_N6thrust23THRUST_200600_302600_NS10device_ptrIiEEPiiNS8_4plusIiEEEE10hipError_tPvRmT1_T2_T3_mT4_P12ihipStream_tbEUlT_E1_NS1_11comp_targetILNS1_3genE3ELNS1_11target_archE908ELNS1_3gpuE7ELNS1_3repE0EEENS1_30default_config_static_selectorELNS0_4arch9wavefront6targetE1EEEvSH_.uses_vcc, 0
	.set _ZN7rocprim17ROCPRIM_400000_NS6detail17trampoline_kernelINS0_14default_configENS1_22reduce_config_selectorIiEEZNS1_11reduce_implILb1ES3_N6thrust23THRUST_200600_302600_NS10device_ptrIiEEPiiNS8_4plusIiEEEE10hipError_tPvRmT1_T2_T3_mT4_P12ihipStream_tbEUlT_E1_NS1_11comp_targetILNS1_3genE3ELNS1_11target_archE908ELNS1_3gpuE7ELNS1_3repE0EEENS1_30default_config_static_selectorELNS0_4arch9wavefront6targetE1EEEvSH_.uses_flat_scratch, 0
	.set _ZN7rocprim17ROCPRIM_400000_NS6detail17trampoline_kernelINS0_14default_configENS1_22reduce_config_selectorIiEEZNS1_11reduce_implILb1ES3_N6thrust23THRUST_200600_302600_NS10device_ptrIiEEPiiNS8_4plusIiEEEE10hipError_tPvRmT1_T2_T3_mT4_P12ihipStream_tbEUlT_E1_NS1_11comp_targetILNS1_3genE3ELNS1_11target_archE908ELNS1_3gpuE7ELNS1_3repE0EEENS1_30default_config_static_selectorELNS0_4arch9wavefront6targetE1EEEvSH_.has_dyn_sized_stack, 0
	.set _ZN7rocprim17ROCPRIM_400000_NS6detail17trampoline_kernelINS0_14default_configENS1_22reduce_config_selectorIiEEZNS1_11reduce_implILb1ES3_N6thrust23THRUST_200600_302600_NS10device_ptrIiEEPiiNS8_4plusIiEEEE10hipError_tPvRmT1_T2_T3_mT4_P12ihipStream_tbEUlT_E1_NS1_11comp_targetILNS1_3genE3ELNS1_11target_archE908ELNS1_3gpuE7ELNS1_3repE0EEENS1_30default_config_static_selectorELNS0_4arch9wavefront6targetE1EEEvSH_.has_recursion, 0
	.set _ZN7rocprim17ROCPRIM_400000_NS6detail17trampoline_kernelINS0_14default_configENS1_22reduce_config_selectorIiEEZNS1_11reduce_implILb1ES3_N6thrust23THRUST_200600_302600_NS10device_ptrIiEEPiiNS8_4plusIiEEEE10hipError_tPvRmT1_T2_T3_mT4_P12ihipStream_tbEUlT_E1_NS1_11comp_targetILNS1_3genE3ELNS1_11target_archE908ELNS1_3gpuE7ELNS1_3repE0EEENS1_30default_config_static_selectorELNS0_4arch9wavefront6targetE1EEEvSH_.has_indirect_call, 0
	.section	.AMDGPU.csdata,"",@progbits
; Kernel info:
; codeLenInByte = 0
; TotalNumSgprs: 6
; NumVgprs: 0
; NumAgprs: 0
; TotalNumVgprs: 0
; ScratchSize: 0
; MemoryBound: 0
; FloatMode: 240
; IeeeMode: 1
; LDSByteSize: 0 bytes/workgroup (compile time only)
; SGPRBlocks: 0
; VGPRBlocks: 0
; NumSGPRsForWavesPerEU: 6
; NumVGPRsForWavesPerEU: 1
; AccumOffset: 4
; Occupancy: 8
; WaveLimiterHint : 0
; COMPUTE_PGM_RSRC2:SCRATCH_EN: 0
; COMPUTE_PGM_RSRC2:USER_SGPR: 2
; COMPUTE_PGM_RSRC2:TRAP_HANDLER: 0
; COMPUTE_PGM_RSRC2:TGID_X_EN: 1
; COMPUTE_PGM_RSRC2:TGID_Y_EN: 0
; COMPUTE_PGM_RSRC2:TGID_Z_EN: 0
; COMPUTE_PGM_RSRC2:TIDIG_COMP_CNT: 0
; COMPUTE_PGM_RSRC3_GFX90A:ACCUM_OFFSET: 0
; COMPUTE_PGM_RSRC3_GFX90A:TG_SPLIT: 0
	.section	.text._ZN7rocprim17ROCPRIM_400000_NS6detail17trampoline_kernelINS0_14default_configENS1_22reduce_config_selectorIiEEZNS1_11reduce_implILb1ES3_N6thrust23THRUST_200600_302600_NS10device_ptrIiEEPiiNS8_4plusIiEEEE10hipError_tPvRmT1_T2_T3_mT4_P12ihipStream_tbEUlT_E1_NS1_11comp_targetILNS1_3genE2ELNS1_11target_archE906ELNS1_3gpuE6ELNS1_3repE0EEENS1_30default_config_static_selectorELNS0_4arch9wavefront6targetE1EEEvSH_,"axG",@progbits,_ZN7rocprim17ROCPRIM_400000_NS6detail17trampoline_kernelINS0_14default_configENS1_22reduce_config_selectorIiEEZNS1_11reduce_implILb1ES3_N6thrust23THRUST_200600_302600_NS10device_ptrIiEEPiiNS8_4plusIiEEEE10hipError_tPvRmT1_T2_T3_mT4_P12ihipStream_tbEUlT_E1_NS1_11comp_targetILNS1_3genE2ELNS1_11target_archE906ELNS1_3gpuE6ELNS1_3repE0EEENS1_30default_config_static_selectorELNS0_4arch9wavefront6targetE1EEEvSH_,comdat
	.protected	_ZN7rocprim17ROCPRIM_400000_NS6detail17trampoline_kernelINS0_14default_configENS1_22reduce_config_selectorIiEEZNS1_11reduce_implILb1ES3_N6thrust23THRUST_200600_302600_NS10device_ptrIiEEPiiNS8_4plusIiEEEE10hipError_tPvRmT1_T2_T3_mT4_P12ihipStream_tbEUlT_E1_NS1_11comp_targetILNS1_3genE2ELNS1_11target_archE906ELNS1_3gpuE6ELNS1_3repE0EEENS1_30default_config_static_selectorELNS0_4arch9wavefront6targetE1EEEvSH_ ; -- Begin function _ZN7rocprim17ROCPRIM_400000_NS6detail17trampoline_kernelINS0_14default_configENS1_22reduce_config_selectorIiEEZNS1_11reduce_implILb1ES3_N6thrust23THRUST_200600_302600_NS10device_ptrIiEEPiiNS8_4plusIiEEEE10hipError_tPvRmT1_T2_T3_mT4_P12ihipStream_tbEUlT_E1_NS1_11comp_targetILNS1_3genE2ELNS1_11target_archE906ELNS1_3gpuE6ELNS1_3repE0EEENS1_30default_config_static_selectorELNS0_4arch9wavefront6targetE1EEEvSH_
	.globl	_ZN7rocprim17ROCPRIM_400000_NS6detail17trampoline_kernelINS0_14default_configENS1_22reduce_config_selectorIiEEZNS1_11reduce_implILb1ES3_N6thrust23THRUST_200600_302600_NS10device_ptrIiEEPiiNS8_4plusIiEEEE10hipError_tPvRmT1_T2_T3_mT4_P12ihipStream_tbEUlT_E1_NS1_11comp_targetILNS1_3genE2ELNS1_11target_archE906ELNS1_3gpuE6ELNS1_3repE0EEENS1_30default_config_static_selectorELNS0_4arch9wavefront6targetE1EEEvSH_
	.p2align	8
	.type	_ZN7rocprim17ROCPRIM_400000_NS6detail17trampoline_kernelINS0_14default_configENS1_22reduce_config_selectorIiEEZNS1_11reduce_implILb1ES3_N6thrust23THRUST_200600_302600_NS10device_ptrIiEEPiiNS8_4plusIiEEEE10hipError_tPvRmT1_T2_T3_mT4_P12ihipStream_tbEUlT_E1_NS1_11comp_targetILNS1_3genE2ELNS1_11target_archE906ELNS1_3gpuE6ELNS1_3repE0EEENS1_30default_config_static_selectorELNS0_4arch9wavefront6targetE1EEEvSH_,@function
_ZN7rocprim17ROCPRIM_400000_NS6detail17trampoline_kernelINS0_14default_configENS1_22reduce_config_selectorIiEEZNS1_11reduce_implILb1ES3_N6thrust23THRUST_200600_302600_NS10device_ptrIiEEPiiNS8_4plusIiEEEE10hipError_tPvRmT1_T2_T3_mT4_P12ihipStream_tbEUlT_E1_NS1_11comp_targetILNS1_3genE2ELNS1_11target_archE906ELNS1_3gpuE6ELNS1_3repE0EEENS1_30default_config_static_selectorELNS0_4arch9wavefront6targetE1EEEvSH_: ; @_ZN7rocprim17ROCPRIM_400000_NS6detail17trampoline_kernelINS0_14default_configENS1_22reduce_config_selectorIiEEZNS1_11reduce_implILb1ES3_N6thrust23THRUST_200600_302600_NS10device_ptrIiEEPiiNS8_4plusIiEEEE10hipError_tPvRmT1_T2_T3_mT4_P12ihipStream_tbEUlT_E1_NS1_11comp_targetILNS1_3genE2ELNS1_11target_archE906ELNS1_3gpuE6ELNS1_3repE0EEENS1_30default_config_static_selectorELNS0_4arch9wavefront6targetE1EEEvSH_
; %bb.0:
	.section	.rodata,"a",@progbits
	.p2align	6, 0x0
	.amdhsa_kernel _ZN7rocprim17ROCPRIM_400000_NS6detail17trampoline_kernelINS0_14default_configENS1_22reduce_config_selectorIiEEZNS1_11reduce_implILb1ES3_N6thrust23THRUST_200600_302600_NS10device_ptrIiEEPiiNS8_4plusIiEEEE10hipError_tPvRmT1_T2_T3_mT4_P12ihipStream_tbEUlT_E1_NS1_11comp_targetILNS1_3genE2ELNS1_11target_archE906ELNS1_3gpuE6ELNS1_3repE0EEENS1_30default_config_static_selectorELNS0_4arch9wavefront6targetE1EEEvSH_
		.amdhsa_group_segment_fixed_size 0
		.amdhsa_private_segment_fixed_size 0
		.amdhsa_kernarg_size 40
		.amdhsa_user_sgpr_count 2
		.amdhsa_user_sgpr_dispatch_ptr 0
		.amdhsa_user_sgpr_queue_ptr 0
		.amdhsa_user_sgpr_kernarg_segment_ptr 1
		.amdhsa_user_sgpr_dispatch_id 0
		.amdhsa_user_sgpr_kernarg_preload_length 0
		.amdhsa_user_sgpr_kernarg_preload_offset 0
		.amdhsa_user_sgpr_private_segment_size 0
		.amdhsa_uses_dynamic_stack 0
		.amdhsa_enable_private_segment 0
		.amdhsa_system_sgpr_workgroup_id_x 1
		.amdhsa_system_sgpr_workgroup_id_y 0
		.amdhsa_system_sgpr_workgroup_id_z 0
		.amdhsa_system_sgpr_workgroup_info 0
		.amdhsa_system_vgpr_workitem_id 0
		.amdhsa_next_free_vgpr 1
		.amdhsa_next_free_sgpr 0
		.amdhsa_accum_offset 4
		.amdhsa_reserve_vcc 0
		.amdhsa_float_round_mode_32 0
		.amdhsa_float_round_mode_16_64 0
		.amdhsa_float_denorm_mode_32 3
		.amdhsa_float_denorm_mode_16_64 3
		.amdhsa_dx10_clamp 1
		.amdhsa_ieee_mode 1
		.amdhsa_fp16_overflow 0
		.amdhsa_tg_split 0
		.amdhsa_exception_fp_ieee_invalid_op 0
		.amdhsa_exception_fp_denorm_src 0
		.amdhsa_exception_fp_ieee_div_zero 0
		.amdhsa_exception_fp_ieee_overflow 0
		.amdhsa_exception_fp_ieee_underflow 0
		.amdhsa_exception_fp_ieee_inexact 0
		.amdhsa_exception_int_div_zero 0
	.end_amdhsa_kernel
	.section	.text._ZN7rocprim17ROCPRIM_400000_NS6detail17trampoline_kernelINS0_14default_configENS1_22reduce_config_selectorIiEEZNS1_11reduce_implILb1ES3_N6thrust23THRUST_200600_302600_NS10device_ptrIiEEPiiNS8_4plusIiEEEE10hipError_tPvRmT1_T2_T3_mT4_P12ihipStream_tbEUlT_E1_NS1_11comp_targetILNS1_3genE2ELNS1_11target_archE906ELNS1_3gpuE6ELNS1_3repE0EEENS1_30default_config_static_selectorELNS0_4arch9wavefront6targetE1EEEvSH_,"axG",@progbits,_ZN7rocprim17ROCPRIM_400000_NS6detail17trampoline_kernelINS0_14default_configENS1_22reduce_config_selectorIiEEZNS1_11reduce_implILb1ES3_N6thrust23THRUST_200600_302600_NS10device_ptrIiEEPiiNS8_4plusIiEEEE10hipError_tPvRmT1_T2_T3_mT4_P12ihipStream_tbEUlT_E1_NS1_11comp_targetILNS1_3genE2ELNS1_11target_archE906ELNS1_3gpuE6ELNS1_3repE0EEENS1_30default_config_static_selectorELNS0_4arch9wavefront6targetE1EEEvSH_,comdat
.Lfunc_end1140:
	.size	_ZN7rocprim17ROCPRIM_400000_NS6detail17trampoline_kernelINS0_14default_configENS1_22reduce_config_selectorIiEEZNS1_11reduce_implILb1ES3_N6thrust23THRUST_200600_302600_NS10device_ptrIiEEPiiNS8_4plusIiEEEE10hipError_tPvRmT1_T2_T3_mT4_P12ihipStream_tbEUlT_E1_NS1_11comp_targetILNS1_3genE2ELNS1_11target_archE906ELNS1_3gpuE6ELNS1_3repE0EEENS1_30default_config_static_selectorELNS0_4arch9wavefront6targetE1EEEvSH_, .Lfunc_end1140-_ZN7rocprim17ROCPRIM_400000_NS6detail17trampoline_kernelINS0_14default_configENS1_22reduce_config_selectorIiEEZNS1_11reduce_implILb1ES3_N6thrust23THRUST_200600_302600_NS10device_ptrIiEEPiiNS8_4plusIiEEEE10hipError_tPvRmT1_T2_T3_mT4_P12ihipStream_tbEUlT_E1_NS1_11comp_targetILNS1_3genE2ELNS1_11target_archE906ELNS1_3gpuE6ELNS1_3repE0EEENS1_30default_config_static_selectorELNS0_4arch9wavefront6targetE1EEEvSH_
                                        ; -- End function
	.set _ZN7rocprim17ROCPRIM_400000_NS6detail17trampoline_kernelINS0_14default_configENS1_22reduce_config_selectorIiEEZNS1_11reduce_implILb1ES3_N6thrust23THRUST_200600_302600_NS10device_ptrIiEEPiiNS8_4plusIiEEEE10hipError_tPvRmT1_T2_T3_mT4_P12ihipStream_tbEUlT_E1_NS1_11comp_targetILNS1_3genE2ELNS1_11target_archE906ELNS1_3gpuE6ELNS1_3repE0EEENS1_30default_config_static_selectorELNS0_4arch9wavefront6targetE1EEEvSH_.num_vgpr, 0
	.set _ZN7rocprim17ROCPRIM_400000_NS6detail17trampoline_kernelINS0_14default_configENS1_22reduce_config_selectorIiEEZNS1_11reduce_implILb1ES3_N6thrust23THRUST_200600_302600_NS10device_ptrIiEEPiiNS8_4plusIiEEEE10hipError_tPvRmT1_T2_T3_mT4_P12ihipStream_tbEUlT_E1_NS1_11comp_targetILNS1_3genE2ELNS1_11target_archE906ELNS1_3gpuE6ELNS1_3repE0EEENS1_30default_config_static_selectorELNS0_4arch9wavefront6targetE1EEEvSH_.num_agpr, 0
	.set _ZN7rocprim17ROCPRIM_400000_NS6detail17trampoline_kernelINS0_14default_configENS1_22reduce_config_selectorIiEEZNS1_11reduce_implILb1ES3_N6thrust23THRUST_200600_302600_NS10device_ptrIiEEPiiNS8_4plusIiEEEE10hipError_tPvRmT1_T2_T3_mT4_P12ihipStream_tbEUlT_E1_NS1_11comp_targetILNS1_3genE2ELNS1_11target_archE906ELNS1_3gpuE6ELNS1_3repE0EEENS1_30default_config_static_selectorELNS0_4arch9wavefront6targetE1EEEvSH_.numbered_sgpr, 0
	.set _ZN7rocprim17ROCPRIM_400000_NS6detail17trampoline_kernelINS0_14default_configENS1_22reduce_config_selectorIiEEZNS1_11reduce_implILb1ES3_N6thrust23THRUST_200600_302600_NS10device_ptrIiEEPiiNS8_4plusIiEEEE10hipError_tPvRmT1_T2_T3_mT4_P12ihipStream_tbEUlT_E1_NS1_11comp_targetILNS1_3genE2ELNS1_11target_archE906ELNS1_3gpuE6ELNS1_3repE0EEENS1_30default_config_static_selectorELNS0_4arch9wavefront6targetE1EEEvSH_.num_named_barrier, 0
	.set _ZN7rocprim17ROCPRIM_400000_NS6detail17trampoline_kernelINS0_14default_configENS1_22reduce_config_selectorIiEEZNS1_11reduce_implILb1ES3_N6thrust23THRUST_200600_302600_NS10device_ptrIiEEPiiNS8_4plusIiEEEE10hipError_tPvRmT1_T2_T3_mT4_P12ihipStream_tbEUlT_E1_NS1_11comp_targetILNS1_3genE2ELNS1_11target_archE906ELNS1_3gpuE6ELNS1_3repE0EEENS1_30default_config_static_selectorELNS0_4arch9wavefront6targetE1EEEvSH_.private_seg_size, 0
	.set _ZN7rocprim17ROCPRIM_400000_NS6detail17trampoline_kernelINS0_14default_configENS1_22reduce_config_selectorIiEEZNS1_11reduce_implILb1ES3_N6thrust23THRUST_200600_302600_NS10device_ptrIiEEPiiNS8_4plusIiEEEE10hipError_tPvRmT1_T2_T3_mT4_P12ihipStream_tbEUlT_E1_NS1_11comp_targetILNS1_3genE2ELNS1_11target_archE906ELNS1_3gpuE6ELNS1_3repE0EEENS1_30default_config_static_selectorELNS0_4arch9wavefront6targetE1EEEvSH_.uses_vcc, 0
	.set _ZN7rocprim17ROCPRIM_400000_NS6detail17trampoline_kernelINS0_14default_configENS1_22reduce_config_selectorIiEEZNS1_11reduce_implILb1ES3_N6thrust23THRUST_200600_302600_NS10device_ptrIiEEPiiNS8_4plusIiEEEE10hipError_tPvRmT1_T2_T3_mT4_P12ihipStream_tbEUlT_E1_NS1_11comp_targetILNS1_3genE2ELNS1_11target_archE906ELNS1_3gpuE6ELNS1_3repE0EEENS1_30default_config_static_selectorELNS0_4arch9wavefront6targetE1EEEvSH_.uses_flat_scratch, 0
	.set _ZN7rocprim17ROCPRIM_400000_NS6detail17trampoline_kernelINS0_14default_configENS1_22reduce_config_selectorIiEEZNS1_11reduce_implILb1ES3_N6thrust23THRUST_200600_302600_NS10device_ptrIiEEPiiNS8_4plusIiEEEE10hipError_tPvRmT1_T2_T3_mT4_P12ihipStream_tbEUlT_E1_NS1_11comp_targetILNS1_3genE2ELNS1_11target_archE906ELNS1_3gpuE6ELNS1_3repE0EEENS1_30default_config_static_selectorELNS0_4arch9wavefront6targetE1EEEvSH_.has_dyn_sized_stack, 0
	.set _ZN7rocprim17ROCPRIM_400000_NS6detail17trampoline_kernelINS0_14default_configENS1_22reduce_config_selectorIiEEZNS1_11reduce_implILb1ES3_N6thrust23THRUST_200600_302600_NS10device_ptrIiEEPiiNS8_4plusIiEEEE10hipError_tPvRmT1_T2_T3_mT4_P12ihipStream_tbEUlT_E1_NS1_11comp_targetILNS1_3genE2ELNS1_11target_archE906ELNS1_3gpuE6ELNS1_3repE0EEENS1_30default_config_static_selectorELNS0_4arch9wavefront6targetE1EEEvSH_.has_recursion, 0
	.set _ZN7rocprim17ROCPRIM_400000_NS6detail17trampoline_kernelINS0_14default_configENS1_22reduce_config_selectorIiEEZNS1_11reduce_implILb1ES3_N6thrust23THRUST_200600_302600_NS10device_ptrIiEEPiiNS8_4plusIiEEEE10hipError_tPvRmT1_T2_T3_mT4_P12ihipStream_tbEUlT_E1_NS1_11comp_targetILNS1_3genE2ELNS1_11target_archE906ELNS1_3gpuE6ELNS1_3repE0EEENS1_30default_config_static_selectorELNS0_4arch9wavefront6targetE1EEEvSH_.has_indirect_call, 0
	.section	.AMDGPU.csdata,"",@progbits
; Kernel info:
; codeLenInByte = 0
; TotalNumSgprs: 6
; NumVgprs: 0
; NumAgprs: 0
; TotalNumVgprs: 0
; ScratchSize: 0
; MemoryBound: 0
; FloatMode: 240
; IeeeMode: 1
; LDSByteSize: 0 bytes/workgroup (compile time only)
; SGPRBlocks: 0
; VGPRBlocks: 0
; NumSGPRsForWavesPerEU: 6
; NumVGPRsForWavesPerEU: 1
; AccumOffset: 4
; Occupancy: 8
; WaveLimiterHint : 0
; COMPUTE_PGM_RSRC2:SCRATCH_EN: 0
; COMPUTE_PGM_RSRC2:USER_SGPR: 2
; COMPUTE_PGM_RSRC2:TRAP_HANDLER: 0
; COMPUTE_PGM_RSRC2:TGID_X_EN: 1
; COMPUTE_PGM_RSRC2:TGID_Y_EN: 0
; COMPUTE_PGM_RSRC2:TGID_Z_EN: 0
; COMPUTE_PGM_RSRC2:TIDIG_COMP_CNT: 0
; COMPUTE_PGM_RSRC3_GFX90A:ACCUM_OFFSET: 0
; COMPUTE_PGM_RSRC3_GFX90A:TG_SPLIT: 0
	.section	.text._ZN7rocprim17ROCPRIM_400000_NS6detail17trampoline_kernelINS0_14default_configENS1_22reduce_config_selectorIiEEZNS1_11reduce_implILb1ES3_N6thrust23THRUST_200600_302600_NS10device_ptrIiEEPiiNS8_4plusIiEEEE10hipError_tPvRmT1_T2_T3_mT4_P12ihipStream_tbEUlT_E1_NS1_11comp_targetILNS1_3genE10ELNS1_11target_archE1201ELNS1_3gpuE5ELNS1_3repE0EEENS1_30default_config_static_selectorELNS0_4arch9wavefront6targetE1EEEvSH_,"axG",@progbits,_ZN7rocprim17ROCPRIM_400000_NS6detail17trampoline_kernelINS0_14default_configENS1_22reduce_config_selectorIiEEZNS1_11reduce_implILb1ES3_N6thrust23THRUST_200600_302600_NS10device_ptrIiEEPiiNS8_4plusIiEEEE10hipError_tPvRmT1_T2_T3_mT4_P12ihipStream_tbEUlT_E1_NS1_11comp_targetILNS1_3genE10ELNS1_11target_archE1201ELNS1_3gpuE5ELNS1_3repE0EEENS1_30default_config_static_selectorELNS0_4arch9wavefront6targetE1EEEvSH_,comdat
	.protected	_ZN7rocprim17ROCPRIM_400000_NS6detail17trampoline_kernelINS0_14default_configENS1_22reduce_config_selectorIiEEZNS1_11reduce_implILb1ES3_N6thrust23THRUST_200600_302600_NS10device_ptrIiEEPiiNS8_4plusIiEEEE10hipError_tPvRmT1_T2_T3_mT4_P12ihipStream_tbEUlT_E1_NS1_11comp_targetILNS1_3genE10ELNS1_11target_archE1201ELNS1_3gpuE5ELNS1_3repE0EEENS1_30default_config_static_selectorELNS0_4arch9wavefront6targetE1EEEvSH_ ; -- Begin function _ZN7rocprim17ROCPRIM_400000_NS6detail17trampoline_kernelINS0_14default_configENS1_22reduce_config_selectorIiEEZNS1_11reduce_implILb1ES3_N6thrust23THRUST_200600_302600_NS10device_ptrIiEEPiiNS8_4plusIiEEEE10hipError_tPvRmT1_T2_T3_mT4_P12ihipStream_tbEUlT_E1_NS1_11comp_targetILNS1_3genE10ELNS1_11target_archE1201ELNS1_3gpuE5ELNS1_3repE0EEENS1_30default_config_static_selectorELNS0_4arch9wavefront6targetE1EEEvSH_
	.globl	_ZN7rocprim17ROCPRIM_400000_NS6detail17trampoline_kernelINS0_14default_configENS1_22reduce_config_selectorIiEEZNS1_11reduce_implILb1ES3_N6thrust23THRUST_200600_302600_NS10device_ptrIiEEPiiNS8_4plusIiEEEE10hipError_tPvRmT1_T2_T3_mT4_P12ihipStream_tbEUlT_E1_NS1_11comp_targetILNS1_3genE10ELNS1_11target_archE1201ELNS1_3gpuE5ELNS1_3repE0EEENS1_30default_config_static_selectorELNS0_4arch9wavefront6targetE1EEEvSH_
	.p2align	8
	.type	_ZN7rocprim17ROCPRIM_400000_NS6detail17trampoline_kernelINS0_14default_configENS1_22reduce_config_selectorIiEEZNS1_11reduce_implILb1ES3_N6thrust23THRUST_200600_302600_NS10device_ptrIiEEPiiNS8_4plusIiEEEE10hipError_tPvRmT1_T2_T3_mT4_P12ihipStream_tbEUlT_E1_NS1_11comp_targetILNS1_3genE10ELNS1_11target_archE1201ELNS1_3gpuE5ELNS1_3repE0EEENS1_30default_config_static_selectorELNS0_4arch9wavefront6targetE1EEEvSH_,@function
_ZN7rocprim17ROCPRIM_400000_NS6detail17trampoline_kernelINS0_14default_configENS1_22reduce_config_selectorIiEEZNS1_11reduce_implILb1ES3_N6thrust23THRUST_200600_302600_NS10device_ptrIiEEPiiNS8_4plusIiEEEE10hipError_tPvRmT1_T2_T3_mT4_P12ihipStream_tbEUlT_E1_NS1_11comp_targetILNS1_3genE10ELNS1_11target_archE1201ELNS1_3gpuE5ELNS1_3repE0EEENS1_30default_config_static_selectorELNS0_4arch9wavefront6targetE1EEEvSH_: ; @_ZN7rocprim17ROCPRIM_400000_NS6detail17trampoline_kernelINS0_14default_configENS1_22reduce_config_selectorIiEEZNS1_11reduce_implILb1ES3_N6thrust23THRUST_200600_302600_NS10device_ptrIiEEPiiNS8_4plusIiEEEE10hipError_tPvRmT1_T2_T3_mT4_P12ihipStream_tbEUlT_E1_NS1_11comp_targetILNS1_3genE10ELNS1_11target_archE1201ELNS1_3gpuE5ELNS1_3repE0EEENS1_30default_config_static_selectorELNS0_4arch9wavefront6targetE1EEEvSH_
; %bb.0:
	.section	.rodata,"a",@progbits
	.p2align	6, 0x0
	.amdhsa_kernel _ZN7rocprim17ROCPRIM_400000_NS6detail17trampoline_kernelINS0_14default_configENS1_22reduce_config_selectorIiEEZNS1_11reduce_implILb1ES3_N6thrust23THRUST_200600_302600_NS10device_ptrIiEEPiiNS8_4plusIiEEEE10hipError_tPvRmT1_T2_T3_mT4_P12ihipStream_tbEUlT_E1_NS1_11comp_targetILNS1_3genE10ELNS1_11target_archE1201ELNS1_3gpuE5ELNS1_3repE0EEENS1_30default_config_static_selectorELNS0_4arch9wavefront6targetE1EEEvSH_
		.amdhsa_group_segment_fixed_size 0
		.amdhsa_private_segment_fixed_size 0
		.amdhsa_kernarg_size 40
		.amdhsa_user_sgpr_count 2
		.amdhsa_user_sgpr_dispatch_ptr 0
		.amdhsa_user_sgpr_queue_ptr 0
		.amdhsa_user_sgpr_kernarg_segment_ptr 1
		.amdhsa_user_sgpr_dispatch_id 0
		.amdhsa_user_sgpr_kernarg_preload_length 0
		.amdhsa_user_sgpr_kernarg_preload_offset 0
		.amdhsa_user_sgpr_private_segment_size 0
		.amdhsa_uses_dynamic_stack 0
		.amdhsa_enable_private_segment 0
		.amdhsa_system_sgpr_workgroup_id_x 1
		.amdhsa_system_sgpr_workgroup_id_y 0
		.amdhsa_system_sgpr_workgroup_id_z 0
		.amdhsa_system_sgpr_workgroup_info 0
		.amdhsa_system_vgpr_workitem_id 0
		.amdhsa_next_free_vgpr 1
		.amdhsa_next_free_sgpr 0
		.amdhsa_accum_offset 4
		.amdhsa_reserve_vcc 0
		.amdhsa_float_round_mode_32 0
		.amdhsa_float_round_mode_16_64 0
		.amdhsa_float_denorm_mode_32 3
		.amdhsa_float_denorm_mode_16_64 3
		.amdhsa_dx10_clamp 1
		.amdhsa_ieee_mode 1
		.amdhsa_fp16_overflow 0
		.amdhsa_tg_split 0
		.amdhsa_exception_fp_ieee_invalid_op 0
		.amdhsa_exception_fp_denorm_src 0
		.amdhsa_exception_fp_ieee_div_zero 0
		.amdhsa_exception_fp_ieee_overflow 0
		.amdhsa_exception_fp_ieee_underflow 0
		.amdhsa_exception_fp_ieee_inexact 0
		.amdhsa_exception_int_div_zero 0
	.end_amdhsa_kernel
	.section	.text._ZN7rocprim17ROCPRIM_400000_NS6detail17trampoline_kernelINS0_14default_configENS1_22reduce_config_selectorIiEEZNS1_11reduce_implILb1ES3_N6thrust23THRUST_200600_302600_NS10device_ptrIiEEPiiNS8_4plusIiEEEE10hipError_tPvRmT1_T2_T3_mT4_P12ihipStream_tbEUlT_E1_NS1_11comp_targetILNS1_3genE10ELNS1_11target_archE1201ELNS1_3gpuE5ELNS1_3repE0EEENS1_30default_config_static_selectorELNS0_4arch9wavefront6targetE1EEEvSH_,"axG",@progbits,_ZN7rocprim17ROCPRIM_400000_NS6detail17trampoline_kernelINS0_14default_configENS1_22reduce_config_selectorIiEEZNS1_11reduce_implILb1ES3_N6thrust23THRUST_200600_302600_NS10device_ptrIiEEPiiNS8_4plusIiEEEE10hipError_tPvRmT1_T2_T3_mT4_P12ihipStream_tbEUlT_E1_NS1_11comp_targetILNS1_3genE10ELNS1_11target_archE1201ELNS1_3gpuE5ELNS1_3repE0EEENS1_30default_config_static_selectorELNS0_4arch9wavefront6targetE1EEEvSH_,comdat
.Lfunc_end1141:
	.size	_ZN7rocprim17ROCPRIM_400000_NS6detail17trampoline_kernelINS0_14default_configENS1_22reduce_config_selectorIiEEZNS1_11reduce_implILb1ES3_N6thrust23THRUST_200600_302600_NS10device_ptrIiEEPiiNS8_4plusIiEEEE10hipError_tPvRmT1_T2_T3_mT4_P12ihipStream_tbEUlT_E1_NS1_11comp_targetILNS1_3genE10ELNS1_11target_archE1201ELNS1_3gpuE5ELNS1_3repE0EEENS1_30default_config_static_selectorELNS0_4arch9wavefront6targetE1EEEvSH_, .Lfunc_end1141-_ZN7rocprim17ROCPRIM_400000_NS6detail17trampoline_kernelINS0_14default_configENS1_22reduce_config_selectorIiEEZNS1_11reduce_implILb1ES3_N6thrust23THRUST_200600_302600_NS10device_ptrIiEEPiiNS8_4plusIiEEEE10hipError_tPvRmT1_T2_T3_mT4_P12ihipStream_tbEUlT_E1_NS1_11comp_targetILNS1_3genE10ELNS1_11target_archE1201ELNS1_3gpuE5ELNS1_3repE0EEENS1_30default_config_static_selectorELNS0_4arch9wavefront6targetE1EEEvSH_
                                        ; -- End function
	.set _ZN7rocprim17ROCPRIM_400000_NS6detail17trampoline_kernelINS0_14default_configENS1_22reduce_config_selectorIiEEZNS1_11reduce_implILb1ES3_N6thrust23THRUST_200600_302600_NS10device_ptrIiEEPiiNS8_4plusIiEEEE10hipError_tPvRmT1_T2_T3_mT4_P12ihipStream_tbEUlT_E1_NS1_11comp_targetILNS1_3genE10ELNS1_11target_archE1201ELNS1_3gpuE5ELNS1_3repE0EEENS1_30default_config_static_selectorELNS0_4arch9wavefront6targetE1EEEvSH_.num_vgpr, 0
	.set _ZN7rocprim17ROCPRIM_400000_NS6detail17trampoline_kernelINS0_14default_configENS1_22reduce_config_selectorIiEEZNS1_11reduce_implILb1ES3_N6thrust23THRUST_200600_302600_NS10device_ptrIiEEPiiNS8_4plusIiEEEE10hipError_tPvRmT1_T2_T3_mT4_P12ihipStream_tbEUlT_E1_NS1_11comp_targetILNS1_3genE10ELNS1_11target_archE1201ELNS1_3gpuE5ELNS1_3repE0EEENS1_30default_config_static_selectorELNS0_4arch9wavefront6targetE1EEEvSH_.num_agpr, 0
	.set _ZN7rocprim17ROCPRIM_400000_NS6detail17trampoline_kernelINS0_14default_configENS1_22reduce_config_selectorIiEEZNS1_11reduce_implILb1ES3_N6thrust23THRUST_200600_302600_NS10device_ptrIiEEPiiNS8_4plusIiEEEE10hipError_tPvRmT1_T2_T3_mT4_P12ihipStream_tbEUlT_E1_NS1_11comp_targetILNS1_3genE10ELNS1_11target_archE1201ELNS1_3gpuE5ELNS1_3repE0EEENS1_30default_config_static_selectorELNS0_4arch9wavefront6targetE1EEEvSH_.numbered_sgpr, 0
	.set _ZN7rocprim17ROCPRIM_400000_NS6detail17trampoline_kernelINS0_14default_configENS1_22reduce_config_selectorIiEEZNS1_11reduce_implILb1ES3_N6thrust23THRUST_200600_302600_NS10device_ptrIiEEPiiNS8_4plusIiEEEE10hipError_tPvRmT1_T2_T3_mT4_P12ihipStream_tbEUlT_E1_NS1_11comp_targetILNS1_3genE10ELNS1_11target_archE1201ELNS1_3gpuE5ELNS1_3repE0EEENS1_30default_config_static_selectorELNS0_4arch9wavefront6targetE1EEEvSH_.num_named_barrier, 0
	.set _ZN7rocprim17ROCPRIM_400000_NS6detail17trampoline_kernelINS0_14default_configENS1_22reduce_config_selectorIiEEZNS1_11reduce_implILb1ES3_N6thrust23THRUST_200600_302600_NS10device_ptrIiEEPiiNS8_4plusIiEEEE10hipError_tPvRmT1_T2_T3_mT4_P12ihipStream_tbEUlT_E1_NS1_11comp_targetILNS1_3genE10ELNS1_11target_archE1201ELNS1_3gpuE5ELNS1_3repE0EEENS1_30default_config_static_selectorELNS0_4arch9wavefront6targetE1EEEvSH_.private_seg_size, 0
	.set _ZN7rocprim17ROCPRIM_400000_NS6detail17trampoline_kernelINS0_14default_configENS1_22reduce_config_selectorIiEEZNS1_11reduce_implILb1ES3_N6thrust23THRUST_200600_302600_NS10device_ptrIiEEPiiNS8_4plusIiEEEE10hipError_tPvRmT1_T2_T3_mT4_P12ihipStream_tbEUlT_E1_NS1_11comp_targetILNS1_3genE10ELNS1_11target_archE1201ELNS1_3gpuE5ELNS1_3repE0EEENS1_30default_config_static_selectorELNS0_4arch9wavefront6targetE1EEEvSH_.uses_vcc, 0
	.set _ZN7rocprim17ROCPRIM_400000_NS6detail17trampoline_kernelINS0_14default_configENS1_22reduce_config_selectorIiEEZNS1_11reduce_implILb1ES3_N6thrust23THRUST_200600_302600_NS10device_ptrIiEEPiiNS8_4plusIiEEEE10hipError_tPvRmT1_T2_T3_mT4_P12ihipStream_tbEUlT_E1_NS1_11comp_targetILNS1_3genE10ELNS1_11target_archE1201ELNS1_3gpuE5ELNS1_3repE0EEENS1_30default_config_static_selectorELNS0_4arch9wavefront6targetE1EEEvSH_.uses_flat_scratch, 0
	.set _ZN7rocprim17ROCPRIM_400000_NS6detail17trampoline_kernelINS0_14default_configENS1_22reduce_config_selectorIiEEZNS1_11reduce_implILb1ES3_N6thrust23THRUST_200600_302600_NS10device_ptrIiEEPiiNS8_4plusIiEEEE10hipError_tPvRmT1_T2_T3_mT4_P12ihipStream_tbEUlT_E1_NS1_11comp_targetILNS1_3genE10ELNS1_11target_archE1201ELNS1_3gpuE5ELNS1_3repE0EEENS1_30default_config_static_selectorELNS0_4arch9wavefront6targetE1EEEvSH_.has_dyn_sized_stack, 0
	.set _ZN7rocprim17ROCPRIM_400000_NS6detail17trampoline_kernelINS0_14default_configENS1_22reduce_config_selectorIiEEZNS1_11reduce_implILb1ES3_N6thrust23THRUST_200600_302600_NS10device_ptrIiEEPiiNS8_4plusIiEEEE10hipError_tPvRmT1_T2_T3_mT4_P12ihipStream_tbEUlT_E1_NS1_11comp_targetILNS1_3genE10ELNS1_11target_archE1201ELNS1_3gpuE5ELNS1_3repE0EEENS1_30default_config_static_selectorELNS0_4arch9wavefront6targetE1EEEvSH_.has_recursion, 0
	.set _ZN7rocprim17ROCPRIM_400000_NS6detail17trampoline_kernelINS0_14default_configENS1_22reduce_config_selectorIiEEZNS1_11reduce_implILb1ES3_N6thrust23THRUST_200600_302600_NS10device_ptrIiEEPiiNS8_4plusIiEEEE10hipError_tPvRmT1_T2_T3_mT4_P12ihipStream_tbEUlT_E1_NS1_11comp_targetILNS1_3genE10ELNS1_11target_archE1201ELNS1_3gpuE5ELNS1_3repE0EEENS1_30default_config_static_selectorELNS0_4arch9wavefront6targetE1EEEvSH_.has_indirect_call, 0
	.section	.AMDGPU.csdata,"",@progbits
; Kernel info:
; codeLenInByte = 0
; TotalNumSgprs: 6
; NumVgprs: 0
; NumAgprs: 0
; TotalNumVgprs: 0
; ScratchSize: 0
; MemoryBound: 0
; FloatMode: 240
; IeeeMode: 1
; LDSByteSize: 0 bytes/workgroup (compile time only)
; SGPRBlocks: 0
; VGPRBlocks: 0
; NumSGPRsForWavesPerEU: 6
; NumVGPRsForWavesPerEU: 1
; AccumOffset: 4
; Occupancy: 8
; WaveLimiterHint : 0
; COMPUTE_PGM_RSRC2:SCRATCH_EN: 0
; COMPUTE_PGM_RSRC2:USER_SGPR: 2
; COMPUTE_PGM_RSRC2:TRAP_HANDLER: 0
; COMPUTE_PGM_RSRC2:TGID_X_EN: 1
; COMPUTE_PGM_RSRC2:TGID_Y_EN: 0
; COMPUTE_PGM_RSRC2:TGID_Z_EN: 0
; COMPUTE_PGM_RSRC2:TIDIG_COMP_CNT: 0
; COMPUTE_PGM_RSRC3_GFX90A:ACCUM_OFFSET: 0
; COMPUTE_PGM_RSRC3_GFX90A:TG_SPLIT: 0
	.section	.text._ZN7rocprim17ROCPRIM_400000_NS6detail17trampoline_kernelINS0_14default_configENS1_22reduce_config_selectorIiEEZNS1_11reduce_implILb1ES3_N6thrust23THRUST_200600_302600_NS10device_ptrIiEEPiiNS8_4plusIiEEEE10hipError_tPvRmT1_T2_T3_mT4_P12ihipStream_tbEUlT_E1_NS1_11comp_targetILNS1_3genE10ELNS1_11target_archE1200ELNS1_3gpuE4ELNS1_3repE0EEENS1_30default_config_static_selectorELNS0_4arch9wavefront6targetE1EEEvSH_,"axG",@progbits,_ZN7rocprim17ROCPRIM_400000_NS6detail17trampoline_kernelINS0_14default_configENS1_22reduce_config_selectorIiEEZNS1_11reduce_implILb1ES3_N6thrust23THRUST_200600_302600_NS10device_ptrIiEEPiiNS8_4plusIiEEEE10hipError_tPvRmT1_T2_T3_mT4_P12ihipStream_tbEUlT_E1_NS1_11comp_targetILNS1_3genE10ELNS1_11target_archE1200ELNS1_3gpuE4ELNS1_3repE0EEENS1_30default_config_static_selectorELNS0_4arch9wavefront6targetE1EEEvSH_,comdat
	.protected	_ZN7rocprim17ROCPRIM_400000_NS6detail17trampoline_kernelINS0_14default_configENS1_22reduce_config_selectorIiEEZNS1_11reduce_implILb1ES3_N6thrust23THRUST_200600_302600_NS10device_ptrIiEEPiiNS8_4plusIiEEEE10hipError_tPvRmT1_T2_T3_mT4_P12ihipStream_tbEUlT_E1_NS1_11comp_targetILNS1_3genE10ELNS1_11target_archE1200ELNS1_3gpuE4ELNS1_3repE0EEENS1_30default_config_static_selectorELNS0_4arch9wavefront6targetE1EEEvSH_ ; -- Begin function _ZN7rocprim17ROCPRIM_400000_NS6detail17trampoline_kernelINS0_14default_configENS1_22reduce_config_selectorIiEEZNS1_11reduce_implILb1ES3_N6thrust23THRUST_200600_302600_NS10device_ptrIiEEPiiNS8_4plusIiEEEE10hipError_tPvRmT1_T2_T3_mT4_P12ihipStream_tbEUlT_E1_NS1_11comp_targetILNS1_3genE10ELNS1_11target_archE1200ELNS1_3gpuE4ELNS1_3repE0EEENS1_30default_config_static_selectorELNS0_4arch9wavefront6targetE1EEEvSH_
	.globl	_ZN7rocprim17ROCPRIM_400000_NS6detail17trampoline_kernelINS0_14default_configENS1_22reduce_config_selectorIiEEZNS1_11reduce_implILb1ES3_N6thrust23THRUST_200600_302600_NS10device_ptrIiEEPiiNS8_4plusIiEEEE10hipError_tPvRmT1_T2_T3_mT4_P12ihipStream_tbEUlT_E1_NS1_11comp_targetILNS1_3genE10ELNS1_11target_archE1200ELNS1_3gpuE4ELNS1_3repE0EEENS1_30default_config_static_selectorELNS0_4arch9wavefront6targetE1EEEvSH_
	.p2align	8
	.type	_ZN7rocprim17ROCPRIM_400000_NS6detail17trampoline_kernelINS0_14default_configENS1_22reduce_config_selectorIiEEZNS1_11reduce_implILb1ES3_N6thrust23THRUST_200600_302600_NS10device_ptrIiEEPiiNS8_4plusIiEEEE10hipError_tPvRmT1_T2_T3_mT4_P12ihipStream_tbEUlT_E1_NS1_11comp_targetILNS1_3genE10ELNS1_11target_archE1200ELNS1_3gpuE4ELNS1_3repE0EEENS1_30default_config_static_selectorELNS0_4arch9wavefront6targetE1EEEvSH_,@function
_ZN7rocprim17ROCPRIM_400000_NS6detail17trampoline_kernelINS0_14default_configENS1_22reduce_config_selectorIiEEZNS1_11reduce_implILb1ES3_N6thrust23THRUST_200600_302600_NS10device_ptrIiEEPiiNS8_4plusIiEEEE10hipError_tPvRmT1_T2_T3_mT4_P12ihipStream_tbEUlT_E1_NS1_11comp_targetILNS1_3genE10ELNS1_11target_archE1200ELNS1_3gpuE4ELNS1_3repE0EEENS1_30default_config_static_selectorELNS0_4arch9wavefront6targetE1EEEvSH_: ; @_ZN7rocprim17ROCPRIM_400000_NS6detail17trampoline_kernelINS0_14default_configENS1_22reduce_config_selectorIiEEZNS1_11reduce_implILb1ES3_N6thrust23THRUST_200600_302600_NS10device_ptrIiEEPiiNS8_4plusIiEEEE10hipError_tPvRmT1_T2_T3_mT4_P12ihipStream_tbEUlT_E1_NS1_11comp_targetILNS1_3genE10ELNS1_11target_archE1200ELNS1_3gpuE4ELNS1_3repE0EEENS1_30default_config_static_selectorELNS0_4arch9wavefront6targetE1EEEvSH_
; %bb.0:
	.section	.rodata,"a",@progbits
	.p2align	6, 0x0
	.amdhsa_kernel _ZN7rocprim17ROCPRIM_400000_NS6detail17trampoline_kernelINS0_14default_configENS1_22reduce_config_selectorIiEEZNS1_11reduce_implILb1ES3_N6thrust23THRUST_200600_302600_NS10device_ptrIiEEPiiNS8_4plusIiEEEE10hipError_tPvRmT1_T2_T3_mT4_P12ihipStream_tbEUlT_E1_NS1_11comp_targetILNS1_3genE10ELNS1_11target_archE1200ELNS1_3gpuE4ELNS1_3repE0EEENS1_30default_config_static_selectorELNS0_4arch9wavefront6targetE1EEEvSH_
		.amdhsa_group_segment_fixed_size 0
		.amdhsa_private_segment_fixed_size 0
		.amdhsa_kernarg_size 40
		.amdhsa_user_sgpr_count 2
		.amdhsa_user_sgpr_dispatch_ptr 0
		.amdhsa_user_sgpr_queue_ptr 0
		.amdhsa_user_sgpr_kernarg_segment_ptr 1
		.amdhsa_user_sgpr_dispatch_id 0
		.amdhsa_user_sgpr_kernarg_preload_length 0
		.amdhsa_user_sgpr_kernarg_preload_offset 0
		.amdhsa_user_sgpr_private_segment_size 0
		.amdhsa_uses_dynamic_stack 0
		.amdhsa_enable_private_segment 0
		.amdhsa_system_sgpr_workgroup_id_x 1
		.amdhsa_system_sgpr_workgroup_id_y 0
		.amdhsa_system_sgpr_workgroup_id_z 0
		.amdhsa_system_sgpr_workgroup_info 0
		.amdhsa_system_vgpr_workitem_id 0
		.amdhsa_next_free_vgpr 1
		.amdhsa_next_free_sgpr 0
		.amdhsa_accum_offset 4
		.amdhsa_reserve_vcc 0
		.amdhsa_float_round_mode_32 0
		.amdhsa_float_round_mode_16_64 0
		.amdhsa_float_denorm_mode_32 3
		.amdhsa_float_denorm_mode_16_64 3
		.amdhsa_dx10_clamp 1
		.amdhsa_ieee_mode 1
		.amdhsa_fp16_overflow 0
		.amdhsa_tg_split 0
		.amdhsa_exception_fp_ieee_invalid_op 0
		.amdhsa_exception_fp_denorm_src 0
		.amdhsa_exception_fp_ieee_div_zero 0
		.amdhsa_exception_fp_ieee_overflow 0
		.amdhsa_exception_fp_ieee_underflow 0
		.amdhsa_exception_fp_ieee_inexact 0
		.amdhsa_exception_int_div_zero 0
	.end_amdhsa_kernel
	.section	.text._ZN7rocprim17ROCPRIM_400000_NS6detail17trampoline_kernelINS0_14default_configENS1_22reduce_config_selectorIiEEZNS1_11reduce_implILb1ES3_N6thrust23THRUST_200600_302600_NS10device_ptrIiEEPiiNS8_4plusIiEEEE10hipError_tPvRmT1_T2_T3_mT4_P12ihipStream_tbEUlT_E1_NS1_11comp_targetILNS1_3genE10ELNS1_11target_archE1200ELNS1_3gpuE4ELNS1_3repE0EEENS1_30default_config_static_selectorELNS0_4arch9wavefront6targetE1EEEvSH_,"axG",@progbits,_ZN7rocprim17ROCPRIM_400000_NS6detail17trampoline_kernelINS0_14default_configENS1_22reduce_config_selectorIiEEZNS1_11reduce_implILb1ES3_N6thrust23THRUST_200600_302600_NS10device_ptrIiEEPiiNS8_4plusIiEEEE10hipError_tPvRmT1_T2_T3_mT4_P12ihipStream_tbEUlT_E1_NS1_11comp_targetILNS1_3genE10ELNS1_11target_archE1200ELNS1_3gpuE4ELNS1_3repE0EEENS1_30default_config_static_selectorELNS0_4arch9wavefront6targetE1EEEvSH_,comdat
.Lfunc_end1142:
	.size	_ZN7rocprim17ROCPRIM_400000_NS6detail17trampoline_kernelINS0_14default_configENS1_22reduce_config_selectorIiEEZNS1_11reduce_implILb1ES3_N6thrust23THRUST_200600_302600_NS10device_ptrIiEEPiiNS8_4plusIiEEEE10hipError_tPvRmT1_T2_T3_mT4_P12ihipStream_tbEUlT_E1_NS1_11comp_targetILNS1_3genE10ELNS1_11target_archE1200ELNS1_3gpuE4ELNS1_3repE0EEENS1_30default_config_static_selectorELNS0_4arch9wavefront6targetE1EEEvSH_, .Lfunc_end1142-_ZN7rocprim17ROCPRIM_400000_NS6detail17trampoline_kernelINS0_14default_configENS1_22reduce_config_selectorIiEEZNS1_11reduce_implILb1ES3_N6thrust23THRUST_200600_302600_NS10device_ptrIiEEPiiNS8_4plusIiEEEE10hipError_tPvRmT1_T2_T3_mT4_P12ihipStream_tbEUlT_E1_NS1_11comp_targetILNS1_3genE10ELNS1_11target_archE1200ELNS1_3gpuE4ELNS1_3repE0EEENS1_30default_config_static_selectorELNS0_4arch9wavefront6targetE1EEEvSH_
                                        ; -- End function
	.set _ZN7rocprim17ROCPRIM_400000_NS6detail17trampoline_kernelINS0_14default_configENS1_22reduce_config_selectorIiEEZNS1_11reduce_implILb1ES3_N6thrust23THRUST_200600_302600_NS10device_ptrIiEEPiiNS8_4plusIiEEEE10hipError_tPvRmT1_T2_T3_mT4_P12ihipStream_tbEUlT_E1_NS1_11comp_targetILNS1_3genE10ELNS1_11target_archE1200ELNS1_3gpuE4ELNS1_3repE0EEENS1_30default_config_static_selectorELNS0_4arch9wavefront6targetE1EEEvSH_.num_vgpr, 0
	.set _ZN7rocprim17ROCPRIM_400000_NS6detail17trampoline_kernelINS0_14default_configENS1_22reduce_config_selectorIiEEZNS1_11reduce_implILb1ES3_N6thrust23THRUST_200600_302600_NS10device_ptrIiEEPiiNS8_4plusIiEEEE10hipError_tPvRmT1_T2_T3_mT4_P12ihipStream_tbEUlT_E1_NS1_11comp_targetILNS1_3genE10ELNS1_11target_archE1200ELNS1_3gpuE4ELNS1_3repE0EEENS1_30default_config_static_selectorELNS0_4arch9wavefront6targetE1EEEvSH_.num_agpr, 0
	.set _ZN7rocprim17ROCPRIM_400000_NS6detail17trampoline_kernelINS0_14default_configENS1_22reduce_config_selectorIiEEZNS1_11reduce_implILb1ES3_N6thrust23THRUST_200600_302600_NS10device_ptrIiEEPiiNS8_4plusIiEEEE10hipError_tPvRmT1_T2_T3_mT4_P12ihipStream_tbEUlT_E1_NS1_11comp_targetILNS1_3genE10ELNS1_11target_archE1200ELNS1_3gpuE4ELNS1_3repE0EEENS1_30default_config_static_selectorELNS0_4arch9wavefront6targetE1EEEvSH_.numbered_sgpr, 0
	.set _ZN7rocprim17ROCPRIM_400000_NS6detail17trampoline_kernelINS0_14default_configENS1_22reduce_config_selectorIiEEZNS1_11reduce_implILb1ES3_N6thrust23THRUST_200600_302600_NS10device_ptrIiEEPiiNS8_4plusIiEEEE10hipError_tPvRmT1_T2_T3_mT4_P12ihipStream_tbEUlT_E1_NS1_11comp_targetILNS1_3genE10ELNS1_11target_archE1200ELNS1_3gpuE4ELNS1_3repE0EEENS1_30default_config_static_selectorELNS0_4arch9wavefront6targetE1EEEvSH_.num_named_barrier, 0
	.set _ZN7rocprim17ROCPRIM_400000_NS6detail17trampoline_kernelINS0_14default_configENS1_22reduce_config_selectorIiEEZNS1_11reduce_implILb1ES3_N6thrust23THRUST_200600_302600_NS10device_ptrIiEEPiiNS8_4plusIiEEEE10hipError_tPvRmT1_T2_T3_mT4_P12ihipStream_tbEUlT_E1_NS1_11comp_targetILNS1_3genE10ELNS1_11target_archE1200ELNS1_3gpuE4ELNS1_3repE0EEENS1_30default_config_static_selectorELNS0_4arch9wavefront6targetE1EEEvSH_.private_seg_size, 0
	.set _ZN7rocprim17ROCPRIM_400000_NS6detail17trampoline_kernelINS0_14default_configENS1_22reduce_config_selectorIiEEZNS1_11reduce_implILb1ES3_N6thrust23THRUST_200600_302600_NS10device_ptrIiEEPiiNS8_4plusIiEEEE10hipError_tPvRmT1_T2_T3_mT4_P12ihipStream_tbEUlT_E1_NS1_11comp_targetILNS1_3genE10ELNS1_11target_archE1200ELNS1_3gpuE4ELNS1_3repE0EEENS1_30default_config_static_selectorELNS0_4arch9wavefront6targetE1EEEvSH_.uses_vcc, 0
	.set _ZN7rocprim17ROCPRIM_400000_NS6detail17trampoline_kernelINS0_14default_configENS1_22reduce_config_selectorIiEEZNS1_11reduce_implILb1ES3_N6thrust23THRUST_200600_302600_NS10device_ptrIiEEPiiNS8_4plusIiEEEE10hipError_tPvRmT1_T2_T3_mT4_P12ihipStream_tbEUlT_E1_NS1_11comp_targetILNS1_3genE10ELNS1_11target_archE1200ELNS1_3gpuE4ELNS1_3repE0EEENS1_30default_config_static_selectorELNS0_4arch9wavefront6targetE1EEEvSH_.uses_flat_scratch, 0
	.set _ZN7rocprim17ROCPRIM_400000_NS6detail17trampoline_kernelINS0_14default_configENS1_22reduce_config_selectorIiEEZNS1_11reduce_implILb1ES3_N6thrust23THRUST_200600_302600_NS10device_ptrIiEEPiiNS8_4plusIiEEEE10hipError_tPvRmT1_T2_T3_mT4_P12ihipStream_tbEUlT_E1_NS1_11comp_targetILNS1_3genE10ELNS1_11target_archE1200ELNS1_3gpuE4ELNS1_3repE0EEENS1_30default_config_static_selectorELNS0_4arch9wavefront6targetE1EEEvSH_.has_dyn_sized_stack, 0
	.set _ZN7rocprim17ROCPRIM_400000_NS6detail17trampoline_kernelINS0_14default_configENS1_22reduce_config_selectorIiEEZNS1_11reduce_implILb1ES3_N6thrust23THRUST_200600_302600_NS10device_ptrIiEEPiiNS8_4plusIiEEEE10hipError_tPvRmT1_T2_T3_mT4_P12ihipStream_tbEUlT_E1_NS1_11comp_targetILNS1_3genE10ELNS1_11target_archE1200ELNS1_3gpuE4ELNS1_3repE0EEENS1_30default_config_static_selectorELNS0_4arch9wavefront6targetE1EEEvSH_.has_recursion, 0
	.set _ZN7rocprim17ROCPRIM_400000_NS6detail17trampoline_kernelINS0_14default_configENS1_22reduce_config_selectorIiEEZNS1_11reduce_implILb1ES3_N6thrust23THRUST_200600_302600_NS10device_ptrIiEEPiiNS8_4plusIiEEEE10hipError_tPvRmT1_T2_T3_mT4_P12ihipStream_tbEUlT_E1_NS1_11comp_targetILNS1_3genE10ELNS1_11target_archE1200ELNS1_3gpuE4ELNS1_3repE0EEENS1_30default_config_static_selectorELNS0_4arch9wavefront6targetE1EEEvSH_.has_indirect_call, 0
	.section	.AMDGPU.csdata,"",@progbits
; Kernel info:
; codeLenInByte = 0
; TotalNumSgprs: 6
; NumVgprs: 0
; NumAgprs: 0
; TotalNumVgprs: 0
; ScratchSize: 0
; MemoryBound: 0
; FloatMode: 240
; IeeeMode: 1
; LDSByteSize: 0 bytes/workgroup (compile time only)
; SGPRBlocks: 0
; VGPRBlocks: 0
; NumSGPRsForWavesPerEU: 6
; NumVGPRsForWavesPerEU: 1
; AccumOffset: 4
; Occupancy: 8
; WaveLimiterHint : 0
; COMPUTE_PGM_RSRC2:SCRATCH_EN: 0
; COMPUTE_PGM_RSRC2:USER_SGPR: 2
; COMPUTE_PGM_RSRC2:TRAP_HANDLER: 0
; COMPUTE_PGM_RSRC2:TGID_X_EN: 1
; COMPUTE_PGM_RSRC2:TGID_Y_EN: 0
; COMPUTE_PGM_RSRC2:TGID_Z_EN: 0
; COMPUTE_PGM_RSRC2:TIDIG_COMP_CNT: 0
; COMPUTE_PGM_RSRC3_GFX90A:ACCUM_OFFSET: 0
; COMPUTE_PGM_RSRC3_GFX90A:TG_SPLIT: 0
	.section	.text._ZN7rocprim17ROCPRIM_400000_NS6detail17trampoline_kernelINS0_14default_configENS1_22reduce_config_selectorIiEEZNS1_11reduce_implILb1ES3_N6thrust23THRUST_200600_302600_NS10device_ptrIiEEPiiNS8_4plusIiEEEE10hipError_tPvRmT1_T2_T3_mT4_P12ihipStream_tbEUlT_E1_NS1_11comp_targetILNS1_3genE9ELNS1_11target_archE1100ELNS1_3gpuE3ELNS1_3repE0EEENS1_30default_config_static_selectorELNS0_4arch9wavefront6targetE1EEEvSH_,"axG",@progbits,_ZN7rocprim17ROCPRIM_400000_NS6detail17trampoline_kernelINS0_14default_configENS1_22reduce_config_selectorIiEEZNS1_11reduce_implILb1ES3_N6thrust23THRUST_200600_302600_NS10device_ptrIiEEPiiNS8_4plusIiEEEE10hipError_tPvRmT1_T2_T3_mT4_P12ihipStream_tbEUlT_E1_NS1_11comp_targetILNS1_3genE9ELNS1_11target_archE1100ELNS1_3gpuE3ELNS1_3repE0EEENS1_30default_config_static_selectorELNS0_4arch9wavefront6targetE1EEEvSH_,comdat
	.protected	_ZN7rocprim17ROCPRIM_400000_NS6detail17trampoline_kernelINS0_14default_configENS1_22reduce_config_selectorIiEEZNS1_11reduce_implILb1ES3_N6thrust23THRUST_200600_302600_NS10device_ptrIiEEPiiNS8_4plusIiEEEE10hipError_tPvRmT1_T2_T3_mT4_P12ihipStream_tbEUlT_E1_NS1_11comp_targetILNS1_3genE9ELNS1_11target_archE1100ELNS1_3gpuE3ELNS1_3repE0EEENS1_30default_config_static_selectorELNS0_4arch9wavefront6targetE1EEEvSH_ ; -- Begin function _ZN7rocprim17ROCPRIM_400000_NS6detail17trampoline_kernelINS0_14default_configENS1_22reduce_config_selectorIiEEZNS1_11reduce_implILb1ES3_N6thrust23THRUST_200600_302600_NS10device_ptrIiEEPiiNS8_4plusIiEEEE10hipError_tPvRmT1_T2_T3_mT4_P12ihipStream_tbEUlT_E1_NS1_11comp_targetILNS1_3genE9ELNS1_11target_archE1100ELNS1_3gpuE3ELNS1_3repE0EEENS1_30default_config_static_selectorELNS0_4arch9wavefront6targetE1EEEvSH_
	.globl	_ZN7rocprim17ROCPRIM_400000_NS6detail17trampoline_kernelINS0_14default_configENS1_22reduce_config_selectorIiEEZNS1_11reduce_implILb1ES3_N6thrust23THRUST_200600_302600_NS10device_ptrIiEEPiiNS8_4plusIiEEEE10hipError_tPvRmT1_T2_T3_mT4_P12ihipStream_tbEUlT_E1_NS1_11comp_targetILNS1_3genE9ELNS1_11target_archE1100ELNS1_3gpuE3ELNS1_3repE0EEENS1_30default_config_static_selectorELNS0_4arch9wavefront6targetE1EEEvSH_
	.p2align	8
	.type	_ZN7rocprim17ROCPRIM_400000_NS6detail17trampoline_kernelINS0_14default_configENS1_22reduce_config_selectorIiEEZNS1_11reduce_implILb1ES3_N6thrust23THRUST_200600_302600_NS10device_ptrIiEEPiiNS8_4plusIiEEEE10hipError_tPvRmT1_T2_T3_mT4_P12ihipStream_tbEUlT_E1_NS1_11comp_targetILNS1_3genE9ELNS1_11target_archE1100ELNS1_3gpuE3ELNS1_3repE0EEENS1_30default_config_static_selectorELNS0_4arch9wavefront6targetE1EEEvSH_,@function
_ZN7rocprim17ROCPRIM_400000_NS6detail17trampoline_kernelINS0_14default_configENS1_22reduce_config_selectorIiEEZNS1_11reduce_implILb1ES3_N6thrust23THRUST_200600_302600_NS10device_ptrIiEEPiiNS8_4plusIiEEEE10hipError_tPvRmT1_T2_T3_mT4_P12ihipStream_tbEUlT_E1_NS1_11comp_targetILNS1_3genE9ELNS1_11target_archE1100ELNS1_3gpuE3ELNS1_3repE0EEENS1_30default_config_static_selectorELNS0_4arch9wavefront6targetE1EEEvSH_: ; @_ZN7rocprim17ROCPRIM_400000_NS6detail17trampoline_kernelINS0_14default_configENS1_22reduce_config_selectorIiEEZNS1_11reduce_implILb1ES3_N6thrust23THRUST_200600_302600_NS10device_ptrIiEEPiiNS8_4plusIiEEEE10hipError_tPvRmT1_T2_T3_mT4_P12ihipStream_tbEUlT_E1_NS1_11comp_targetILNS1_3genE9ELNS1_11target_archE1100ELNS1_3gpuE3ELNS1_3repE0EEENS1_30default_config_static_selectorELNS0_4arch9wavefront6targetE1EEEvSH_
; %bb.0:
	.section	.rodata,"a",@progbits
	.p2align	6, 0x0
	.amdhsa_kernel _ZN7rocprim17ROCPRIM_400000_NS6detail17trampoline_kernelINS0_14default_configENS1_22reduce_config_selectorIiEEZNS1_11reduce_implILb1ES3_N6thrust23THRUST_200600_302600_NS10device_ptrIiEEPiiNS8_4plusIiEEEE10hipError_tPvRmT1_T2_T3_mT4_P12ihipStream_tbEUlT_E1_NS1_11comp_targetILNS1_3genE9ELNS1_11target_archE1100ELNS1_3gpuE3ELNS1_3repE0EEENS1_30default_config_static_selectorELNS0_4arch9wavefront6targetE1EEEvSH_
		.amdhsa_group_segment_fixed_size 0
		.amdhsa_private_segment_fixed_size 0
		.amdhsa_kernarg_size 40
		.amdhsa_user_sgpr_count 2
		.amdhsa_user_sgpr_dispatch_ptr 0
		.amdhsa_user_sgpr_queue_ptr 0
		.amdhsa_user_sgpr_kernarg_segment_ptr 1
		.amdhsa_user_sgpr_dispatch_id 0
		.amdhsa_user_sgpr_kernarg_preload_length 0
		.amdhsa_user_sgpr_kernarg_preload_offset 0
		.amdhsa_user_sgpr_private_segment_size 0
		.amdhsa_uses_dynamic_stack 0
		.amdhsa_enable_private_segment 0
		.amdhsa_system_sgpr_workgroup_id_x 1
		.amdhsa_system_sgpr_workgroup_id_y 0
		.amdhsa_system_sgpr_workgroup_id_z 0
		.amdhsa_system_sgpr_workgroup_info 0
		.amdhsa_system_vgpr_workitem_id 0
		.amdhsa_next_free_vgpr 1
		.amdhsa_next_free_sgpr 0
		.amdhsa_accum_offset 4
		.amdhsa_reserve_vcc 0
		.amdhsa_float_round_mode_32 0
		.amdhsa_float_round_mode_16_64 0
		.amdhsa_float_denorm_mode_32 3
		.amdhsa_float_denorm_mode_16_64 3
		.amdhsa_dx10_clamp 1
		.amdhsa_ieee_mode 1
		.amdhsa_fp16_overflow 0
		.amdhsa_tg_split 0
		.amdhsa_exception_fp_ieee_invalid_op 0
		.amdhsa_exception_fp_denorm_src 0
		.amdhsa_exception_fp_ieee_div_zero 0
		.amdhsa_exception_fp_ieee_overflow 0
		.amdhsa_exception_fp_ieee_underflow 0
		.amdhsa_exception_fp_ieee_inexact 0
		.amdhsa_exception_int_div_zero 0
	.end_amdhsa_kernel
	.section	.text._ZN7rocprim17ROCPRIM_400000_NS6detail17trampoline_kernelINS0_14default_configENS1_22reduce_config_selectorIiEEZNS1_11reduce_implILb1ES3_N6thrust23THRUST_200600_302600_NS10device_ptrIiEEPiiNS8_4plusIiEEEE10hipError_tPvRmT1_T2_T3_mT4_P12ihipStream_tbEUlT_E1_NS1_11comp_targetILNS1_3genE9ELNS1_11target_archE1100ELNS1_3gpuE3ELNS1_3repE0EEENS1_30default_config_static_selectorELNS0_4arch9wavefront6targetE1EEEvSH_,"axG",@progbits,_ZN7rocprim17ROCPRIM_400000_NS6detail17trampoline_kernelINS0_14default_configENS1_22reduce_config_selectorIiEEZNS1_11reduce_implILb1ES3_N6thrust23THRUST_200600_302600_NS10device_ptrIiEEPiiNS8_4plusIiEEEE10hipError_tPvRmT1_T2_T3_mT4_P12ihipStream_tbEUlT_E1_NS1_11comp_targetILNS1_3genE9ELNS1_11target_archE1100ELNS1_3gpuE3ELNS1_3repE0EEENS1_30default_config_static_selectorELNS0_4arch9wavefront6targetE1EEEvSH_,comdat
.Lfunc_end1143:
	.size	_ZN7rocprim17ROCPRIM_400000_NS6detail17trampoline_kernelINS0_14default_configENS1_22reduce_config_selectorIiEEZNS1_11reduce_implILb1ES3_N6thrust23THRUST_200600_302600_NS10device_ptrIiEEPiiNS8_4plusIiEEEE10hipError_tPvRmT1_T2_T3_mT4_P12ihipStream_tbEUlT_E1_NS1_11comp_targetILNS1_3genE9ELNS1_11target_archE1100ELNS1_3gpuE3ELNS1_3repE0EEENS1_30default_config_static_selectorELNS0_4arch9wavefront6targetE1EEEvSH_, .Lfunc_end1143-_ZN7rocprim17ROCPRIM_400000_NS6detail17trampoline_kernelINS0_14default_configENS1_22reduce_config_selectorIiEEZNS1_11reduce_implILb1ES3_N6thrust23THRUST_200600_302600_NS10device_ptrIiEEPiiNS8_4plusIiEEEE10hipError_tPvRmT1_T2_T3_mT4_P12ihipStream_tbEUlT_E1_NS1_11comp_targetILNS1_3genE9ELNS1_11target_archE1100ELNS1_3gpuE3ELNS1_3repE0EEENS1_30default_config_static_selectorELNS0_4arch9wavefront6targetE1EEEvSH_
                                        ; -- End function
	.set _ZN7rocprim17ROCPRIM_400000_NS6detail17trampoline_kernelINS0_14default_configENS1_22reduce_config_selectorIiEEZNS1_11reduce_implILb1ES3_N6thrust23THRUST_200600_302600_NS10device_ptrIiEEPiiNS8_4plusIiEEEE10hipError_tPvRmT1_T2_T3_mT4_P12ihipStream_tbEUlT_E1_NS1_11comp_targetILNS1_3genE9ELNS1_11target_archE1100ELNS1_3gpuE3ELNS1_3repE0EEENS1_30default_config_static_selectorELNS0_4arch9wavefront6targetE1EEEvSH_.num_vgpr, 0
	.set _ZN7rocprim17ROCPRIM_400000_NS6detail17trampoline_kernelINS0_14default_configENS1_22reduce_config_selectorIiEEZNS1_11reduce_implILb1ES3_N6thrust23THRUST_200600_302600_NS10device_ptrIiEEPiiNS8_4plusIiEEEE10hipError_tPvRmT1_T2_T3_mT4_P12ihipStream_tbEUlT_E1_NS1_11comp_targetILNS1_3genE9ELNS1_11target_archE1100ELNS1_3gpuE3ELNS1_3repE0EEENS1_30default_config_static_selectorELNS0_4arch9wavefront6targetE1EEEvSH_.num_agpr, 0
	.set _ZN7rocprim17ROCPRIM_400000_NS6detail17trampoline_kernelINS0_14default_configENS1_22reduce_config_selectorIiEEZNS1_11reduce_implILb1ES3_N6thrust23THRUST_200600_302600_NS10device_ptrIiEEPiiNS8_4plusIiEEEE10hipError_tPvRmT1_T2_T3_mT4_P12ihipStream_tbEUlT_E1_NS1_11comp_targetILNS1_3genE9ELNS1_11target_archE1100ELNS1_3gpuE3ELNS1_3repE0EEENS1_30default_config_static_selectorELNS0_4arch9wavefront6targetE1EEEvSH_.numbered_sgpr, 0
	.set _ZN7rocprim17ROCPRIM_400000_NS6detail17trampoline_kernelINS0_14default_configENS1_22reduce_config_selectorIiEEZNS1_11reduce_implILb1ES3_N6thrust23THRUST_200600_302600_NS10device_ptrIiEEPiiNS8_4plusIiEEEE10hipError_tPvRmT1_T2_T3_mT4_P12ihipStream_tbEUlT_E1_NS1_11comp_targetILNS1_3genE9ELNS1_11target_archE1100ELNS1_3gpuE3ELNS1_3repE0EEENS1_30default_config_static_selectorELNS0_4arch9wavefront6targetE1EEEvSH_.num_named_barrier, 0
	.set _ZN7rocprim17ROCPRIM_400000_NS6detail17trampoline_kernelINS0_14default_configENS1_22reduce_config_selectorIiEEZNS1_11reduce_implILb1ES3_N6thrust23THRUST_200600_302600_NS10device_ptrIiEEPiiNS8_4plusIiEEEE10hipError_tPvRmT1_T2_T3_mT4_P12ihipStream_tbEUlT_E1_NS1_11comp_targetILNS1_3genE9ELNS1_11target_archE1100ELNS1_3gpuE3ELNS1_3repE0EEENS1_30default_config_static_selectorELNS0_4arch9wavefront6targetE1EEEvSH_.private_seg_size, 0
	.set _ZN7rocprim17ROCPRIM_400000_NS6detail17trampoline_kernelINS0_14default_configENS1_22reduce_config_selectorIiEEZNS1_11reduce_implILb1ES3_N6thrust23THRUST_200600_302600_NS10device_ptrIiEEPiiNS8_4plusIiEEEE10hipError_tPvRmT1_T2_T3_mT4_P12ihipStream_tbEUlT_E1_NS1_11comp_targetILNS1_3genE9ELNS1_11target_archE1100ELNS1_3gpuE3ELNS1_3repE0EEENS1_30default_config_static_selectorELNS0_4arch9wavefront6targetE1EEEvSH_.uses_vcc, 0
	.set _ZN7rocprim17ROCPRIM_400000_NS6detail17trampoline_kernelINS0_14default_configENS1_22reduce_config_selectorIiEEZNS1_11reduce_implILb1ES3_N6thrust23THRUST_200600_302600_NS10device_ptrIiEEPiiNS8_4plusIiEEEE10hipError_tPvRmT1_T2_T3_mT4_P12ihipStream_tbEUlT_E1_NS1_11comp_targetILNS1_3genE9ELNS1_11target_archE1100ELNS1_3gpuE3ELNS1_3repE0EEENS1_30default_config_static_selectorELNS0_4arch9wavefront6targetE1EEEvSH_.uses_flat_scratch, 0
	.set _ZN7rocprim17ROCPRIM_400000_NS6detail17trampoline_kernelINS0_14default_configENS1_22reduce_config_selectorIiEEZNS1_11reduce_implILb1ES3_N6thrust23THRUST_200600_302600_NS10device_ptrIiEEPiiNS8_4plusIiEEEE10hipError_tPvRmT1_T2_T3_mT4_P12ihipStream_tbEUlT_E1_NS1_11comp_targetILNS1_3genE9ELNS1_11target_archE1100ELNS1_3gpuE3ELNS1_3repE0EEENS1_30default_config_static_selectorELNS0_4arch9wavefront6targetE1EEEvSH_.has_dyn_sized_stack, 0
	.set _ZN7rocprim17ROCPRIM_400000_NS6detail17trampoline_kernelINS0_14default_configENS1_22reduce_config_selectorIiEEZNS1_11reduce_implILb1ES3_N6thrust23THRUST_200600_302600_NS10device_ptrIiEEPiiNS8_4plusIiEEEE10hipError_tPvRmT1_T2_T3_mT4_P12ihipStream_tbEUlT_E1_NS1_11comp_targetILNS1_3genE9ELNS1_11target_archE1100ELNS1_3gpuE3ELNS1_3repE0EEENS1_30default_config_static_selectorELNS0_4arch9wavefront6targetE1EEEvSH_.has_recursion, 0
	.set _ZN7rocprim17ROCPRIM_400000_NS6detail17trampoline_kernelINS0_14default_configENS1_22reduce_config_selectorIiEEZNS1_11reduce_implILb1ES3_N6thrust23THRUST_200600_302600_NS10device_ptrIiEEPiiNS8_4plusIiEEEE10hipError_tPvRmT1_T2_T3_mT4_P12ihipStream_tbEUlT_E1_NS1_11comp_targetILNS1_3genE9ELNS1_11target_archE1100ELNS1_3gpuE3ELNS1_3repE0EEENS1_30default_config_static_selectorELNS0_4arch9wavefront6targetE1EEEvSH_.has_indirect_call, 0
	.section	.AMDGPU.csdata,"",@progbits
; Kernel info:
; codeLenInByte = 0
; TotalNumSgprs: 6
; NumVgprs: 0
; NumAgprs: 0
; TotalNumVgprs: 0
; ScratchSize: 0
; MemoryBound: 0
; FloatMode: 240
; IeeeMode: 1
; LDSByteSize: 0 bytes/workgroup (compile time only)
; SGPRBlocks: 0
; VGPRBlocks: 0
; NumSGPRsForWavesPerEU: 6
; NumVGPRsForWavesPerEU: 1
; AccumOffset: 4
; Occupancy: 8
; WaveLimiterHint : 0
; COMPUTE_PGM_RSRC2:SCRATCH_EN: 0
; COMPUTE_PGM_RSRC2:USER_SGPR: 2
; COMPUTE_PGM_RSRC2:TRAP_HANDLER: 0
; COMPUTE_PGM_RSRC2:TGID_X_EN: 1
; COMPUTE_PGM_RSRC2:TGID_Y_EN: 0
; COMPUTE_PGM_RSRC2:TGID_Z_EN: 0
; COMPUTE_PGM_RSRC2:TIDIG_COMP_CNT: 0
; COMPUTE_PGM_RSRC3_GFX90A:ACCUM_OFFSET: 0
; COMPUTE_PGM_RSRC3_GFX90A:TG_SPLIT: 0
	.section	.text._ZN7rocprim17ROCPRIM_400000_NS6detail17trampoline_kernelINS0_14default_configENS1_22reduce_config_selectorIiEEZNS1_11reduce_implILb1ES3_N6thrust23THRUST_200600_302600_NS10device_ptrIiEEPiiNS8_4plusIiEEEE10hipError_tPvRmT1_T2_T3_mT4_P12ihipStream_tbEUlT_E1_NS1_11comp_targetILNS1_3genE8ELNS1_11target_archE1030ELNS1_3gpuE2ELNS1_3repE0EEENS1_30default_config_static_selectorELNS0_4arch9wavefront6targetE1EEEvSH_,"axG",@progbits,_ZN7rocprim17ROCPRIM_400000_NS6detail17trampoline_kernelINS0_14default_configENS1_22reduce_config_selectorIiEEZNS1_11reduce_implILb1ES3_N6thrust23THRUST_200600_302600_NS10device_ptrIiEEPiiNS8_4plusIiEEEE10hipError_tPvRmT1_T2_T3_mT4_P12ihipStream_tbEUlT_E1_NS1_11comp_targetILNS1_3genE8ELNS1_11target_archE1030ELNS1_3gpuE2ELNS1_3repE0EEENS1_30default_config_static_selectorELNS0_4arch9wavefront6targetE1EEEvSH_,comdat
	.protected	_ZN7rocprim17ROCPRIM_400000_NS6detail17trampoline_kernelINS0_14default_configENS1_22reduce_config_selectorIiEEZNS1_11reduce_implILb1ES3_N6thrust23THRUST_200600_302600_NS10device_ptrIiEEPiiNS8_4plusIiEEEE10hipError_tPvRmT1_T2_T3_mT4_P12ihipStream_tbEUlT_E1_NS1_11comp_targetILNS1_3genE8ELNS1_11target_archE1030ELNS1_3gpuE2ELNS1_3repE0EEENS1_30default_config_static_selectorELNS0_4arch9wavefront6targetE1EEEvSH_ ; -- Begin function _ZN7rocprim17ROCPRIM_400000_NS6detail17trampoline_kernelINS0_14default_configENS1_22reduce_config_selectorIiEEZNS1_11reduce_implILb1ES3_N6thrust23THRUST_200600_302600_NS10device_ptrIiEEPiiNS8_4plusIiEEEE10hipError_tPvRmT1_T2_T3_mT4_P12ihipStream_tbEUlT_E1_NS1_11comp_targetILNS1_3genE8ELNS1_11target_archE1030ELNS1_3gpuE2ELNS1_3repE0EEENS1_30default_config_static_selectorELNS0_4arch9wavefront6targetE1EEEvSH_
	.globl	_ZN7rocprim17ROCPRIM_400000_NS6detail17trampoline_kernelINS0_14default_configENS1_22reduce_config_selectorIiEEZNS1_11reduce_implILb1ES3_N6thrust23THRUST_200600_302600_NS10device_ptrIiEEPiiNS8_4plusIiEEEE10hipError_tPvRmT1_T2_T3_mT4_P12ihipStream_tbEUlT_E1_NS1_11comp_targetILNS1_3genE8ELNS1_11target_archE1030ELNS1_3gpuE2ELNS1_3repE0EEENS1_30default_config_static_selectorELNS0_4arch9wavefront6targetE1EEEvSH_
	.p2align	8
	.type	_ZN7rocprim17ROCPRIM_400000_NS6detail17trampoline_kernelINS0_14default_configENS1_22reduce_config_selectorIiEEZNS1_11reduce_implILb1ES3_N6thrust23THRUST_200600_302600_NS10device_ptrIiEEPiiNS8_4plusIiEEEE10hipError_tPvRmT1_T2_T3_mT4_P12ihipStream_tbEUlT_E1_NS1_11comp_targetILNS1_3genE8ELNS1_11target_archE1030ELNS1_3gpuE2ELNS1_3repE0EEENS1_30default_config_static_selectorELNS0_4arch9wavefront6targetE1EEEvSH_,@function
_ZN7rocprim17ROCPRIM_400000_NS6detail17trampoline_kernelINS0_14default_configENS1_22reduce_config_selectorIiEEZNS1_11reduce_implILb1ES3_N6thrust23THRUST_200600_302600_NS10device_ptrIiEEPiiNS8_4plusIiEEEE10hipError_tPvRmT1_T2_T3_mT4_P12ihipStream_tbEUlT_E1_NS1_11comp_targetILNS1_3genE8ELNS1_11target_archE1030ELNS1_3gpuE2ELNS1_3repE0EEENS1_30default_config_static_selectorELNS0_4arch9wavefront6targetE1EEEvSH_: ; @_ZN7rocprim17ROCPRIM_400000_NS6detail17trampoline_kernelINS0_14default_configENS1_22reduce_config_selectorIiEEZNS1_11reduce_implILb1ES3_N6thrust23THRUST_200600_302600_NS10device_ptrIiEEPiiNS8_4plusIiEEEE10hipError_tPvRmT1_T2_T3_mT4_P12ihipStream_tbEUlT_E1_NS1_11comp_targetILNS1_3genE8ELNS1_11target_archE1030ELNS1_3gpuE2ELNS1_3repE0EEENS1_30default_config_static_selectorELNS0_4arch9wavefront6targetE1EEEvSH_
; %bb.0:
	.section	.rodata,"a",@progbits
	.p2align	6, 0x0
	.amdhsa_kernel _ZN7rocprim17ROCPRIM_400000_NS6detail17trampoline_kernelINS0_14default_configENS1_22reduce_config_selectorIiEEZNS1_11reduce_implILb1ES3_N6thrust23THRUST_200600_302600_NS10device_ptrIiEEPiiNS8_4plusIiEEEE10hipError_tPvRmT1_T2_T3_mT4_P12ihipStream_tbEUlT_E1_NS1_11comp_targetILNS1_3genE8ELNS1_11target_archE1030ELNS1_3gpuE2ELNS1_3repE0EEENS1_30default_config_static_selectorELNS0_4arch9wavefront6targetE1EEEvSH_
		.amdhsa_group_segment_fixed_size 0
		.amdhsa_private_segment_fixed_size 0
		.amdhsa_kernarg_size 40
		.amdhsa_user_sgpr_count 2
		.amdhsa_user_sgpr_dispatch_ptr 0
		.amdhsa_user_sgpr_queue_ptr 0
		.amdhsa_user_sgpr_kernarg_segment_ptr 1
		.amdhsa_user_sgpr_dispatch_id 0
		.amdhsa_user_sgpr_kernarg_preload_length 0
		.amdhsa_user_sgpr_kernarg_preload_offset 0
		.amdhsa_user_sgpr_private_segment_size 0
		.amdhsa_uses_dynamic_stack 0
		.amdhsa_enable_private_segment 0
		.amdhsa_system_sgpr_workgroup_id_x 1
		.amdhsa_system_sgpr_workgroup_id_y 0
		.amdhsa_system_sgpr_workgroup_id_z 0
		.amdhsa_system_sgpr_workgroup_info 0
		.amdhsa_system_vgpr_workitem_id 0
		.amdhsa_next_free_vgpr 1
		.amdhsa_next_free_sgpr 0
		.amdhsa_accum_offset 4
		.amdhsa_reserve_vcc 0
		.amdhsa_float_round_mode_32 0
		.amdhsa_float_round_mode_16_64 0
		.amdhsa_float_denorm_mode_32 3
		.amdhsa_float_denorm_mode_16_64 3
		.amdhsa_dx10_clamp 1
		.amdhsa_ieee_mode 1
		.amdhsa_fp16_overflow 0
		.amdhsa_tg_split 0
		.amdhsa_exception_fp_ieee_invalid_op 0
		.amdhsa_exception_fp_denorm_src 0
		.amdhsa_exception_fp_ieee_div_zero 0
		.amdhsa_exception_fp_ieee_overflow 0
		.amdhsa_exception_fp_ieee_underflow 0
		.amdhsa_exception_fp_ieee_inexact 0
		.amdhsa_exception_int_div_zero 0
	.end_amdhsa_kernel
	.section	.text._ZN7rocprim17ROCPRIM_400000_NS6detail17trampoline_kernelINS0_14default_configENS1_22reduce_config_selectorIiEEZNS1_11reduce_implILb1ES3_N6thrust23THRUST_200600_302600_NS10device_ptrIiEEPiiNS8_4plusIiEEEE10hipError_tPvRmT1_T2_T3_mT4_P12ihipStream_tbEUlT_E1_NS1_11comp_targetILNS1_3genE8ELNS1_11target_archE1030ELNS1_3gpuE2ELNS1_3repE0EEENS1_30default_config_static_selectorELNS0_4arch9wavefront6targetE1EEEvSH_,"axG",@progbits,_ZN7rocprim17ROCPRIM_400000_NS6detail17trampoline_kernelINS0_14default_configENS1_22reduce_config_selectorIiEEZNS1_11reduce_implILb1ES3_N6thrust23THRUST_200600_302600_NS10device_ptrIiEEPiiNS8_4plusIiEEEE10hipError_tPvRmT1_T2_T3_mT4_P12ihipStream_tbEUlT_E1_NS1_11comp_targetILNS1_3genE8ELNS1_11target_archE1030ELNS1_3gpuE2ELNS1_3repE0EEENS1_30default_config_static_selectorELNS0_4arch9wavefront6targetE1EEEvSH_,comdat
.Lfunc_end1144:
	.size	_ZN7rocprim17ROCPRIM_400000_NS6detail17trampoline_kernelINS0_14default_configENS1_22reduce_config_selectorIiEEZNS1_11reduce_implILb1ES3_N6thrust23THRUST_200600_302600_NS10device_ptrIiEEPiiNS8_4plusIiEEEE10hipError_tPvRmT1_T2_T3_mT4_P12ihipStream_tbEUlT_E1_NS1_11comp_targetILNS1_3genE8ELNS1_11target_archE1030ELNS1_3gpuE2ELNS1_3repE0EEENS1_30default_config_static_selectorELNS0_4arch9wavefront6targetE1EEEvSH_, .Lfunc_end1144-_ZN7rocprim17ROCPRIM_400000_NS6detail17trampoline_kernelINS0_14default_configENS1_22reduce_config_selectorIiEEZNS1_11reduce_implILb1ES3_N6thrust23THRUST_200600_302600_NS10device_ptrIiEEPiiNS8_4plusIiEEEE10hipError_tPvRmT1_T2_T3_mT4_P12ihipStream_tbEUlT_E1_NS1_11comp_targetILNS1_3genE8ELNS1_11target_archE1030ELNS1_3gpuE2ELNS1_3repE0EEENS1_30default_config_static_selectorELNS0_4arch9wavefront6targetE1EEEvSH_
                                        ; -- End function
	.set _ZN7rocprim17ROCPRIM_400000_NS6detail17trampoline_kernelINS0_14default_configENS1_22reduce_config_selectorIiEEZNS1_11reduce_implILb1ES3_N6thrust23THRUST_200600_302600_NS10device_ptrIiEEPiiNS8_4plusIiEEEE10hipError_tPvRmT1_T2_T3_mT4_P12ihipStream_tbEUlT_E1_NS1_11comp_targetILNS1_3genE8ELNS1_11target_archE1030ELNS1_3gpuE2ELNS1_3repE0EEENS1_30default_config_static_selectorELNS0_4arch9wavefront6targetE1EEEvSH_.num_vgpr, 0
	.set _ZN7rocprim17ROCPRIM_400000_NS6detail17trampoline_kernelINS0_14default_configENS1_22reduce_config_selectorIiEEZNS1_11reduce_implILb1ES3_N6thrust23THRUST_200600_302600_NS10device_ptrIiEEPiiNS8_4plusIiEEEE10hipError_tPvRmT1_T2_T3_mT4_P12ihipStream_tbEUlT_E1_NS1_11comp_targetILNS1_3genE8ELNS1_11target_archE1030ELNS1_3gpuE2ELNS1_3repE0EEENS1_30default_config_static_selectorELNS0_4arch9wavefront6targetE1EEEvSH_.num_agpr, 0
	.set _ZN7rocprim17ROCPRIM_400000_NS6detail17trampoline_kernelINS0_14default_configENS1_22reduce_config_selectorIiEEZNS1_11reduce_implILb1ES3_N6thrust23THRUST_200600_302600_NS10device_ptrIiEEPiiNS8_4plusIiEEEE10hipError_tPvRmT1_T2_T3_mT4_P12ihipStream_tbEUlT_E1_NS1_11comp_targetILNS1_3genE8ELNS1_11target_archE1030ELNS1_3gpuE2ELNS1_3repE0EEENS1_30default_config_static_selectorELNS0_4arch9wavefront6targetE1EEEvSH_.numbered_sgpr, 0
	.set _ZN7rocprim17ROCPRIM_400000_NS6detail17trampoline_kernelINS0_14default_configENS1_22reduce_config_selectorIiEEZNS1_11reduce_implILb1ES3_N6thrust23THRUST_200600_302600_NS10device_ptrIiEEPiiNS8_4plusIiEEEE10hipError_tPvRmT1_T2_T3_mT4_P12ihipStream_tbEUlT_E1_NS1_11comp_targetILNS1_3genE8ELNS1_11target_archE1030ELNS1_3gpuE2ELNS1_3repE0EEENS1_30default_config_static_selectorELNS0_4arch9wavefront6targetE1EEEvSH_.num_named_barrier, 0
	.set _ZN7rocprim17ROCPRIM_400000_NS6detail17trampoline_kernelINS0_14default_configENS1_22reduce_config_selectorIiEEZNS1_11reduce_implILb1ES3_N6thrust23THRUST_200600_302600_NS10device_ptrIiEEPiiNS8_4plusIiEEEE10hipError_tPvRmT1_T2_T3_mT4_P12ihipStream_tbEUlT_E1_NS1_11comp_targetILNS1_3genE8ELNS1_11target_archE1030ELNS1_3gpuE2ELNS1_3repE0EEENS1_30default_config_static_selectorELNS0_4arch9wavefront6targetE1EEEvSH_.private_seg_size, 0
	.set _ZN7rocprim17ROCPRIM_400000_NS6detail17trampoline_kernelINS0_14default_configENS1_22reduce_config_selectorIiEEZNS1_11reduce_implILb1ES3_N6thrust23THRUST_200600_302600_NS10device_ptrIiEEPiiNS8_4plusIiEEEE10hipError_tPvRmT1_T2_T3_mT4_P12ihipStream_tbEUlT_E1_NS1_11comp_targetILNS1_3genE8ELNS1_11target_archE1030ELNS1_3gpuE2ELNS1_3repE0EEENS1_30default_config_static_selectorELNS0_4arch9wavefront6targetE1EEEvSH_.uses_vcc, 0
	.set _ZN7rocprim17ROCPRIM_400000_NS6detail17trampoline_kernelINS0_14default_configENS1_22reduce_config_selectorIiEEZNS1_11reduce_implILb1ES3_N6thrust23THRUST_200600_302600_NS10device_ptrIiEEPiiNS8_4plusIiEEEE10hipError_tPvRmT1_T2_T3_mT4_P12ihipStream_tbEUlT_E1_NS1_11comp_targetILNS1_3genE8ELNS1_11target_archE1030ELNS1_3gpuE2ELNS1_3repE0EEENS1_30default_config_static_selectorELNS0_4arch9wavefront6targetE1EEEvSH_.uses_flat_scratch, 0
	.set _ZN7rocprim17ROCPRIM_400000_NS6detail17trampoline_kernelINS0_14default_configENS1_22reduce_config_selectorIiEEZNS1_11reduce_implILb1ES3_N6thrust23THRUST_200600_302600_NS10device_ptrIiEEPiiNS8_4plusIiEEEE10hipError_tPvRmT1_T2_T3_mT4_P12ihipStream_tbEUlT_E1_NS1_11comp_targetILNS1_3genE8ELNS1_11target_archE1030ELNS1_3gpuE2ELNS1_3repE0EEENS1_30default_config_static_selectorELNS0_4arch9wavefront6targetE1EEEvSH_.has_dyn_sized_stack, 0
	.set _ZN7rocprim17ROCPRIM_400000_NS6detail17trampoline_kernelINS0_14default_configENS1_22reduce_config_selectorIiEEZNS1_11reduce_implILb1ES3_N6thrust23THRUST_200600_302600_NS10device_ptrIiEEPiiNS8_4plusIiEEEE10hipError_tPvRmT1_T2_T3_mT4_P12ihipStream_tbEUlT_E1_NS1_11comp_targetILNS1_3genE8ELNS1_11target_archE1030ELNS1_3gpuE2ELNS1_3repE0EEENS1_30default_config_static_selectorELNS0_4arch9wavefront6targetE1EEEvSH_.has_recursion, 0
	.set _ZN7rocprim17ROCPRIM_400000_NS6detail17trampoline_kernelINS0_14default_configENS1_22reduce_config_selectorIiEEZNS1_11reduce_implILb1ES3_N6thrust23THRUST_200600_302600_NS10device_ptrIiEEPiiNS8_4plusIiEEEE10hipError_tPvRmT1_T2_T3_mT4_P12ihipStream_tbEUlT_E1_NS1_11comp_targetILNS1_3genE8ELNS1_11target_archE1030ELNS1_3gpuE2ELNS1_3repE0EEENS1_30default_config_static_selectorELNS0_4arch9wavefront6targetE1EEEvSH_.has_indirect_call, 0
	.section	.AMDGPU.csdata,"",@progbits
; Kernel info:
; codeLenInByte = 0
; TotalNumSgprs: 6
; NumVgprs: 0
; NumAgprs: 0
; TotalNumVgprs: 0
; ScratchSize: 0
; MemoryBound: 0
; FloatMode: 240
; IeeeMode: 1
; LDSByteSize: 0 bytes/workgroup (compile time only)
; SGPRBlocks: 0
; VGPRBlocks: 0
; NumSGPRsForWavesPerEU: 6
; NumVGPRsForWavesPerEU: 1
; AccumOffset: 4
; Occupancy: 8
; WaveLimiterHint : 0
; COMPUTE_PGM_RSRC2:SCRATCH_EN: 0
; COMPUTE_PGM_RSRC2:USER_SGPR: 2
; COMPUTE_PGM_RSRC2:TRAP_HANDLER: 0
; COMPUTE_PGM_RSRC2:TGID_X_EN: 1
; COMPUTE_PGM_RSRC2:TGID_Y_EN: 0
; COMPUTE_PGM_RSRC2:TGID_Z_EN: 0
; COMPUTE_PGM_RSRC2:TIDIG_COMP_CNT: 0
; COMPUTE_PGM_RSRC3_GFX90A:ACCUM_OFFSET: 0
; COMPUTE_PGM_RSRC3_GFX90A:TG_SPLIT: 0
	.text
	.p2alignl 6, 3212836864
	.fill 256, 4, 3212836864
	.section	.AMDGPU.gpr_maximums,"",@progbits
	.set amdgpu.max_num_vgpr, 232
	.set amdgpu.max_num_agpr, 32
	.set amdgpu.max_num_sgpr, 100
	.text
	.type	__hip_cuid_a96f7c46627492c0,@object ; @__hip_cuid_a96f7c46627492c0
	.section	.bss,"aw",@nobits
	.globl	__hip_cuid_a96f7c46627492c0
__hip_cuid_a96f7c46627492c0:
	.byte	0                               ; 0x0
	.size	__hip_cuid_a96f7c46627492c0, 1

	.ident	"AMD clang version 22.0.0git (https://github.com/RadeonOpenCompute/llvm-project roc-7.2.4 26084 f58b06dce1f9c15707c5f808fd002e18c2accf7e)"
	.section	".note.GNU-stack","",@progbits
	.addrsig
	.addrsig_sym __hip_cuid_a96f7c46627492c0
	.amdgpu_metadata
---
amdhsa.kernels:
  - .agpr_count:     0
    .args:
      - .offset:         0
        .size:           4
        .value_kind:     by_value
      - .address_space:  global
        .offset:         8
        .size:           8
        .value_kind:     global_buffer
      - .address_space:  global
        .offset:         16
        .size:           8
        .value_kind:     global_buffer
    .group_segment_fixed_size: 0
    .kernarg_segment_align: 8
    .kernarg_segment_size: 24
    .language:       OpenCL C
    .language_version:
      - 2
      - 0
    .max_flat_workgroup_size: 256
    .name:           _Z12ReduceKerneliPiS_
    .private_segment_fixed_size: 0
    .sgpr_count:     30
    .sgpr_spill_count: 0
    .symbol:         _Z12ReduceKerneliPiS_.kd
    .uniform_work_group_size: 1
    .uses_dynamic_stack: false
    .vgpr_count:     2
    .vgpr_spill_count: 0
    .wavefront_size: 64
  - .agpr_count:     0
    .args:
      - .offset:         0
        .size:           16
        .value_kind:     by_value
      - .offset:         16
        .size:           8
        .value_kind:     by_value
      - .offset:         24
        .size:           8
        .value_kind:     by_value
    .group_segment_fixed_size: 0
    .kernarg_segment_align: 8
    .kernarg_segment_size: 32
    .language:       OpenCL C
    .language_version:
      - 2
      - 0
    .max_flat_workgroup_size: 256
    .name:           _ZN6thrust23THRUST_200600_302600_NS11hip_rocprim14__parallel_for6kernelILj256ENS1_20__uninitialized_fill7functorINS0_10device_ptrIdEEdEEmLj1EEEvT0_T1_SA_
    .private_segment_fixed_size: 0
    .sgpr_count:     18
    .sgpr_spill_count: 0
    .symbol:         _ZN6thrust23THRUST_200600_302600_NS11hip_rocprim14__parallel_for6kernelILj256ENS1_20__uninitialized_fill7functorINS0_10device_ptrIdEEdEEmLj1EEEvT0_T1_SA_.kd
    .uniform_work_group_size: 1
    .uses_dynamic_stack: false
    .vgpr_count:     6
    .vgpr_spill_count: 0
    .wavefront_size: 64
  - .agpr_count:     0
    .args:
      - .offset:         0
        .size:           64
        .value_kind:     by_value
    .group_segment_fixed_size: 64
    .kernarg_segment_align: 8
    .kernarg_segment_size: 64
    .language:       OpenCL C
    .language_version:
      - 2
      - 0
    .max_flat_workgroup_size: 256
    .name:           _ZN7rocprim17ROCPRIM_400000_NS6detail17trampoline_kernelINS0_14default_configENS1_22reduce_config_selectorIdEEZNS1_11reduce_implILb1ES3_PdS7_dN6thrust23THRUST_200600_302600_NS4plusIdEEEE10hipError_tPvRmT1_T2_T3_mT4_P12ihipStream_tbEUlT_E0_NS1_11comp_targetILNS1_3genE0ELNS1_11target_archE4294967295ELNS1_3gpuE0ELNS1_3repE0EEENS1_30default_config_static_selectorELNS0_4arch9wavefront6targetE1EEEvSF_
    .private_segment_fixed_size: 0
    .sgpr_count:     54
    .sgpr_spill_count: 0
    .symbol:         _ZN7rocprim17ROCPRIM_400000_NS6detail17trampoline_kernelINS0_14default_configENS1_22reduce_config_selectorIdEEZNS1_11reduce_implILb1ES3_PdS7_dN6thrust23THRUST_200600_302600_NS4plusIdEEEE10hipError_tPvRmT1_T2_T3_mT4_P12ihipStream_tbEUlT_E0_NS1_11comp_targetILNS1_3genE0ELNS1_11target_archE4294967295ELNS1_3gpuE0ELNS1_3repE0EEENS1_30default_config_static_selectorELNS0_4arch9wavefront6targetE1EEEvSF_.kd
    .uniform_work_group_size: 1
    .uses_dynamic_stack: false
    .vgpr_count:     68
    .vgpr_spill_count: 0
    .wavefront_size: 64
  - .agpr_count:     0
    .args:
      - .offset:         0
        .size:           64
        .value_kind:     by_value
    .group_segment_fixed_size: 0
    .kernarg_segment_align: 8
    .kernarg_segment_size: 64
    .language:       OpenCL C
    .language_version:
      - 2
      - 0
    .max_flat_workgroup_size: 256
    .name:           _ZN7rocprim17ROCPRIM_400000_NS6detail17trampoline_kernelINS0_14default_configENS1_22reduce_config_selectorIdEEZNS1_11reduce_implILb1ES3_PdS7_dN6thrust23THRUST_200600_302600_NS4plusIdEEEE10hipError_tPvRmT1_T2_T3_mT4_P12ihipStream_tbEUlT_E0_NS1_11comp_targetILNS1_3genE5ELNS1_11target_archE942ELNS1_3gpuE9ELNS1_3repE0EEENS1_30default_config_static_selectorELNS0_4arch9wavefront6targetE1EEEvSF_
    .private_segment_fixed_size: 0
    .sgpr_count:     6
    .sgpr_spill_count: 0
    .symbol:         _ZN7rocprim17ROCPRIM_400000_NS6detail17trampoline_kernelINS0_14default_configENS1_22reduce_config_selectorIdEEZNS1_11reduce_implILb1ES3_PdS7_dN6thrust23THRUST_200600_302600_NS4plusIdEEEE10hipError_tPvRmT1_T2_T3_mT4_P12ihipStream_tbEUlT_E0_NS1_11comp_targetILNS1_3genE5ELNS1_11target_archE942ELNS1_3gpuE9ELNS1_3repE0EEENS1_30default_config_static_selectorELNS0_4arch9wavefront6targetE1EEEvSF_.kd
    .uniform_work_group_size: 1
    .uses_dynamic_stack: false
    .vgpr_count:     0
    .vgpr_spill_count: 0
    .wavefront_size: 64
  - .agpr_count:     0
    .args:
      - .offset:         0
        .size:           64
        .value_kind:     by_value
    .group_segment_fixed_size: 0
    .kernarg_segment_align: 8
    .kernarg_segment_size: 64
    .language:       OpenCL C
    .language_version:
      - 2
      - 0
    .max_flat_workgroup_size: 256
    .name:           _ZN7rocprim17ROCPRIM_400000_NS6detail17trampoline_kernelINS0_14default_configENS1_22reduce_config_selectorIdEEZNS1_11reduce_implILb1ES3_PdS7_dN6thrust23THRUST_200600_302600_NS4plusIdEEEE10hipError_tPvRmT1_T2_T3_mT4_P12ihipStream_tbEUlT_E0_NS1_11comp_targetILNS1_3genE4ELNS1_11target_archE910ELNS1_3gpuE8ELNS1_3repE0EEENS1_30default_config_static_selectorELNS0_4arch9wavefront6targetE1EEEvSF_
    .private_segment_fixed_size: 0
    .sgpr_count:     6
    .sgpr_spill_count: 0
    .symbol:         _ZN7rocprim17ROCPRIM_400000_NS6detail17trampoline_kernelINS0_14default_configENS1_22reduce_config_selectorIdEEZNS1_11reduce_implILb1ES3_PdS7_dN6thrust23THRUST_200600_302600_NS4plusIdEEEE10hipError_tPvRmT1_T2_T3_mT4_P12ihipStream_tbEUlT_E0_NS1_11comp_targetILNS1_3genE4ELNS1_11target_archE910ELNS1_3gpuE8ELNS1_3repE0EEENS1_30default_config_static_selectorELNS0_4arch9wavefront6targetE1EEEvSF_.kd
    .uniform_work_group_size: 1
    .uses_dynamic_stack: false
    .vgpr_count:     0
    .vgpr_spill_count: 0
    .wavefront_size: 64
  - .agpr_count:     0
    .args:
      - .offset:         0
        .size:           64
        .value_kind:     by_value
    .group_segment_fixed_size: 0
    .kernarg_segment_align: 8
    .kernarg_segment_size: 64
    .language:       OpenCL C
    .language_version:
      - 2
      - 0
    .max_flat_workgroup_size: 256
    .name:           _ZN7rocprim17ROCPRIM_400000_NS6detail17trampoline_kernelINS0_14default_configENS1_22reduce_config_selectorIdEEZNS1_11reduce_implILb1ES3_PdS7_dN6thrust23THRUST_200600_302600_NS4plusIdEEEE10hipError_tPvRmT1_T2_T3_mT4_P12ihipStream_tbEUlT_E0_NS1_11comp_targetILNS1_3genE3ELNS1_11target_archE908ELNS1_3gpuE7ELNS1_3repE0EEENS1_30default_config_static_selectorELNS0_4arch9wavefront6targetE1EEEvSF_
    .private_segment_fixed_size: 0
    .sgpr_count:     6
    .sgpr_spill_count: 0
    .symbol:         _ZN7rocprim17ROCPRIM_400000_NS6detail17trampoline_kernelINS0_14default_configENS1_22reduce_config_selectorIdEEZNS1_11reduce_implILb1ES3_PdS7_dN6thrust23THRUST_200600_302600_NS4plusIdEEEE10hipError_tPvRmT1_T2_T3_mT4_P12ihipStream_tbEUlT_E0_NS1_11comp_targetILNS1_3genE3ELNS1_11target_archE908ELNS1_3gpuE7ELNS1_3repE0EEENS1_30default_config_static_selectorELNS0_4arch9wavefront6targetE1EEEvSF_.kd
    .uniform_work_group_size: 1
    .uses_dynamic_stack: false
    .vgpr_count:     0
    .vgpr_spill_count: 0
    .wavefront_size: 64
  - .agpr_count:     0
    .args:
      - .offset:         0
        .size:           64
        .value_kind:     by_value
    .group_segment_fixed_size: 0
    .kernarg_segment_align: 8
    .kernarg_segment_size: 64
    .language:       OpenCL C
    .language_version:
      - 2
      - 0
    .max_flat_workgroup_size: 128
    .name:           _ZN7rocprim17ROCPRIM_400000_NS6detail17trampoline_kernelINS0_14default_configENS1_22reduce_config_selectorIdEEZNS1_11reduce_implILb1ES3_PdS7_dN6thrust23THRUST_200600_302600_NS4plusIdEEEE10hipError_tPvRmT1_T2_T3_mT4_P12ihipStream_tbEUlT_E0_NS1_11comp_targetILNS1_3genE2ELNS1_11target_archE906ELNS1_3gpuE6ELNS1_3repE0EEENS1_30default_config_static_selectorELNS0_4arch9wavefront6targetE1EEEvSF_
    .private_segment_fixed_size: 0
    .sgpr_count:     6
    .sgpr_spill_count: 0
    .symbol:         _ZN7rocprim17ROCPRIM_400000_NS6detail17trampoline_kernelINS0_14default_configENS1_22reduce_config_selectorIdEEZNS1_11reduce_implILb1ES3_PdS7_dN6thrust23THRUST_200600_302600_NS4plusIdEEEE10hipError_tPvRmT1_T2_T3_mT4_P12ihipStream_tbEUlT_E0_NS1_11comp_targetILNS1_3genE2ELNS1_11target_archE906ELNS1_3gpuE6ELNS1_3repE0EEENS1_30default_config_static_selectorELNS0_4arch9wavefront6targetE1EEEvSF_.kd
    .uniform_work_group_size: 1
    .uses_dynamic_stack: false
    .vgpr_count:     0
    .vgpr_spill_count: 0
    .wavefront_size: 64
  - .agpr_count:     0
    .args:
      - .offset:         0
        .size:           64
        .value_kind:     by_value
    .group_segment_fixed_size: 0
    .kernarg_segment_align: 8
    .kernarg_segment_size: 64
    .language:       OpenCL C
    .language_version:
      - 2
      - 0
    .max_flat_workgroup_size: 256
    .name:           _ZN7rocprim17ROCPRIM_400000_NS6detail17trampoline_kernelINS0_14default_configENS1_22reduce_config_selectorIdEEZNS1_11reduce_implILb1ES3_PdS7_dN6thrust23THRUST_200600_302600_NS4plusIdEEEE10hipError_tPvRmT1_T2_T3_mT4_P12ihipStream_tbEUlT_E0_NS1_11comp_targetILNS1_3genE10ELNS1_11target_archE1201ELNS1_3gpuE5ELNS1_3repE0EEENS1_30default_config_static_selectorELNS0_4arch9wavefront6targetE1EEEvSF_
    .private_segment_fixed_size: 0
    .sgpr_count:     6
    .sgpr_spill_count: 0
    .symbol:         _ZN7rocprim17ROCPRIM_400000_NS6detail17trampoline_kernelINS0_14default_configENS1_22reduce_config_selectorIdEEZNS1_11reduce_implILb1ES3_PdS7_dN6thrust23THRUST_200600_302600_NS4plusIdEEEE10hipError_tPvRmT1_T2_T3_mT4_P12ihipStream_tbEUlT_E0_NS1_11comp_targetILNS1_3genE10ELNS1_11target_archE1201ELNS1_3gpuE5ELNS1_3repE0EEENS1_30default_config_static_selectorELNS0_4arch9wavefront6targetE1EEEvSF_.kd
    .uniform_work_group_size: 1
    .uses_dynamic_stack: false
    .vgpr_count:     0
    .vgpr_spill_count: 0
    .wavefront_size: 64
  - .agpr_count:     0
    .args:
      - .offset:         0
        .size:           64
        .value_kind:     by_value
    .group_segment_fixed_size: 0
    .kernarg_segment_align: 8
    .kernarg_segment_size: 64
    .language:       OpenCL C
    .language_version:
      - 2
      - 0
    .max_flat_workgroup_size: 256
    .name:           _ZN7rocprim17ROCPRIM_400000_NS6detail17trampoline_kernelINS0_14default_configENS1_22reduce_config_selectorIdEEZNS1_11reduce_implILb1ES3_PdS7_dN6thrust23THRUST_200600_302600_NS4plusIdEEEE10hipError_tPvRmT1_T2_T3_mT4_P12ihipStream_tbEUlT_E0_NS1_11comp_targetILNS1_3genE10ELNS1_11target_archE1200ELNS1_3gpuE4ELNS1_3repE0EEENS1_30default_config_static_selectorELNS0_4arch9wavefront6targetE1EEEvSF_
    .private_segment_fixed_size: 0
    .sgpr_count:     6
    .sgpr_spill_count: 0
    .symbol:         _ZN7rocprim17ROCPRIM_400000_NS6detail17trampoline_kernelINS0_14default_configENS1_22reduce_config_selectorIdEEZNS1_11reduce_implILb1ES3_PdS7_dN6thrust23THRUST_200600_302600_NS4plusIdEEEE10hipError_tPvRmT1_T2_T3_mT4_P12ihipStream_tbEUlT_E0_NS1_11comp_targetILNS1_3genE10ELNS1_11target_archE1200ELNS1_3gpuE4ELNS1_3repE0EEENS1_30default_config_static_selectorELNS0_4arch9wavefront6targetE1EEEvSF_.kd
    .uniform_work_group_size: 1
    .uses_dynamic_stack: false
    .vgpr_count:     0
    .vgpr_spill_count: 0
    .wavefront_size: 64
  - .agpr_count:     0
    .args:
      - .offset:         0
        .size:           64
        .value_kind:     by_value
    .group_segment_fixed_size: 0
    .kernarg_segment_align: 8
    .kernarg_segment_size: 64
    .language:       OpenCL C
    .language_version:
      - 2
      - 0
    .max_flat_workgroup_size: 256
    .name:           _ZN7rocprim17ROCPRIM_400000_NS6detail17trampoline_kernelINS0_14default_configENS1_22reduce_config_selectorIdEEZNS1_11reduce_implILb1ES3_PdS7_dN6thrust23THRUST_200600_302600_NS4plusIdEEEE10hipError_tPvRmT1_T2_T3_mT4_P12ihipStream_tbEUlT_E0_NS1_11comp_targetILNS1_3genE9ELNS1_11target_archE1100ELNS1_3gpuE3ELNS1_3repE0EEENS1_30default_config_static_selectorELNS0_4arch9wavefront6targetE1EEEvSF_
    .private_segment_fixed_size: 0
    .sgpr_count:     6
    .sgpr_spill_count: 0
    .symbol:         _ZN7rocprim17ROCPRIM_400000_NS6detail17trampoline_kernelINS0_14default_configENS1_22reduce_config_selectorIdEEZNS1_11reduce_implILb1ES3_PdS7_dN6thrust23THRUST_200600_302600_NS4plusIdEEEE10hipError_tPvRmT1_T2_T3_mT4_P12ihipStream_tbEUlT_E0_NS1_11comp_targetILNS1_3genE9ELNS1_11target_archE1100ELNS1_3gpuE3ELNS1_3repE0EEENS1_30default_config_static_selectorELNS0_4arch9wavefront6targetE1EEEvSF_.kd
    .uniform_work_group_size: 1
    .uses_dynamic_stack: false
    .vgpr_count:     0
    .vgpr_spill_count: 0
    .wavefront_size: 64
  - .agpr_count:     0
    .args:
      - .offset:         0
        .size:           64
        .value_kind:     by_value
    .group_segment_fixed_size: 0
    .kernarg_segment_align: 8
    .kernarg_segment_size: 64
    .language:       OpenCL C
    .language_version:
      - 2
      - 0
    .max_flat_workgroup_size: 256
    .name:           _ZN7rocprim17ROCPRIM_400000_NS6detail17trampoline_kernelINS0_14default_configENS1_22reduce_config_selectorIdEEZNS1_11reduce_implILb1ES3_PdS7_dN6thrust23THRUST_200600_302600_NS4plusIdEEEE10hipError_tPvRmT1_T2_T3_mT4_P12ihipStream_tbEUlT_E0_NS1_11comp_targetILNS1_3genE8ELNS1_11target_archE1030ELNS1_3gpuE2ELNS1_3repE0EEENS1_30default_config_static_selectorELNS0_4arch9wavefront6targetE1EEEvSF_
    .private_segment_fixed_size: 0
    .sgpr_count:     6
    .sgpr_spill_count: 0
    .symbol:         _ZN7rocprim17ROCPRIM_400000_NS6detail17trampoline_kernelINS0_14default_configENS1_22reduce_config_selectorIdEEZNS1_11reduce_implILb1ES3_PdS7_dN6thrust23THRUST_200600_302600_NS4plusIdEEEE10hipError_tPvRmT1_T2_T3_mT4_P12ihipStream_tbEUlT_E0_NS1_11comp_targetILNS1_3genE8ELNS1_11target_archE1030ELNS1_3gpuE2ELNS1_3repE0EEENS1_30default_config_static_selectorELNS0_4arch9wavefront6targetE1EEEvSF_.kd
    .uniform_work_group_size: 1
    .uses_dynamic_stack: false
    .vgpr_count:     0
    .vgpr_spill_count: 0
    .wavefront_size: 64
  - .agpr_count:     0
    .args:
      - .offset:         0
        .size:           48
        .value_kind:     by_value
    .group_segment_fixed_size: 192
    .kernarg_segment_align: 8
    .kernarg_segment_size: 48
    .language:       OpenCL C
    .language_version:
      - 2
      - 0
    .max_flat_workgroup_size: 256
    .name:           _ZN7rocprim17ROCPRIM_400000_NS6detail17trampoline_kernelINS0_14default_configENS1_22reduce_config_selectorIdEEZNS1_11reduce_implILb1ES3_PdS7_dN6thrust23THRUST_200600_302600_NS4plusIdEEEE10hipError_tPvRmT1_T2_T3_mT4_P12ihipStream_tbEUlT_E1_NS1_11comp_targetILNS1_3genE0ELNS1_11target_archE4294967295ELNS1_3gpuE0ELNS1_3repE0EEENS1_30default_config_static_selectorELNS0_4arch9wavefront6targetE1EEEvSF_
    .private_segment_fixed_size: 0
    .sgpr_count:     53
    .sgpr_spill_count: 0
    .symbol:         _ZN7rocprim17ROCPRIM_400000_NS6detail17trampoline_kernelINS0_14default_configENS1_22reduce_config_selectorIdEEZNS1_11reduce_implILb1ES3_PdS7_dN6thrust23THRUST_200600_302600_NS4plusIdEEEE10hipError_tPvRmT1_T2_T3_mT4_P12ihipStream_tbEUlT_E1_NS1_11comp_targetILNS1_3genE0ELNS1_11target_archE4294967295ELNS1_3gpuE0ELNS1_3repE0EEENS1_30default_config_static_selectorELNS0_4arch9wavefront6targetE1EEEvSF_.kd
    .uniform_work_group_size: 1
    .uses_dynamic_stack: false
    .vgpr_count:     38
    .vgpr_spill_count: 0
    .wavefront_size: 64
  - .agpr_count:     0
    .args:
      - .offset:         0
        .size:           48
        .value_kind:     by_value
    .group_segment_fixed_size: 0
    .kernarg_segment_align: 8
    .kernarg_segment_size: 48
    .language:       OpenCL C
    .language_version:
      - 2
      - 0
    .max_flat_workgroup_size: 256
    .name:           _ZN7rocprim17ROCPRIM_400000_NS6detail17trampoline_kernelINS0_14default_configENS1_22reduce_config_selectorIdEEZNS1_11reduce_implILb1ES3_PdS7_dN6thrust23THRUST_200600_302600_NS4plusIdEEEE10hipError_tPvRmT1_T2_T3_mT4_P12ihipStream_tbEUlT_E1_NS1_11comp_targetILNS1_3genE5ELNS1_11target_archE942ELNS1_3gpuE9ELNS1_3repE0EEENS1_30default_config_static_selectorELNS0_4arch9wavefront6targetE1EEEvSF_
    .private_segment_fixed_size: 0
    .sgpr_count:     6
    .sgpr_spill_count: 0
    .symbol:         _ZN7rocprim17ROCPRIM_400000_NS6detail17trampoline_kernelINS0_14default_configENS1_22reduce_config_selectorIdEEZNS1_11reduce_implILb1ES3_PdS7_dN6thrust23THRUST_200600_302600_NS4plusIdEEEE10hipError_tPvRmT1_T2_T3_mT4_P12ihipStream_tbEUlT_E1_NS1_11comp_targetILNS1_3genE5ELNS1_11target_archE942ELNS1_3gpuE9ELNS1_3repE0EEENS1_30default_config_static_selectorELNS0_4arch9wavefront6targetE1EEEvSF_.kd
    .uniform_work_group_size: 1
    .uses_dynamic_stack: false
    .vgpr_count:     0
    .vgpr_spill_count: 0
    .wavefront_size: 64
  - .agpr_count:     0
    .args:
      - .offset:         0
        .size:           48
        .value_kind:     by_value
    .group_segment_fixed_size: 0
    .kernarg_segment_align: 8
    .kernarg_segment_size: 48
    .language:       OpenCL C
    .language_version:
      - 2
      - 0
    .max_flat_workgroup_size: 256
    .name:           _ZN7rocprim17ROCPRIM_400000_NS6detail17trampoline_kernelINS0_14default_configENS1_22reduce_config_selectorIdEEZNS1_11reduce_implILb1ES3_PdS7_dN6thrust23THRUST_200600_302600_NS4plusIdEEEE10hipError_tPvRmT1_T2_T3_mT4_P12ihipStream_tbEUlT_E1_NS1_11comp_targetILNS1_3genE4ELNS1_11target_archE910ELNS1_3gpuE8ELNS1_3repE0EEENS1_30default_config_static_selectorELNS0_4arch9wavefront6targetE1EEEvSF_
    .private_segment_fixed_size: 0
    .sgpr_count:     6
    .sgpr_spill_count: 0
    .symbol:         _ZN7rocprim17ROCPRIM_400000_NS6detail17trampoline_kernelINS0_14default_configENS1_22reduce_config_selectorIdEEZNS1_11reduce_implILb1ES3_PdS7_dN6thrust23THRUST_200600_302600_NS4plusIdEEEE10hipError_tPvRmT1_T2_T3_mT4_P12ihipStream_tbEUlT_E1_NS1_11comp_targetILNS1_3genE4ELNS1_11target_archE910ELNS1_3gpuE8ELNS1_3repE0EEENS1_30default_config_static_selectorELNS0_4arch9wavefront6targetE1EEEvSF_.kd
    .uniform_work_group_size: 1
    .uses_dynamic_stack: false
    .vgpr_count:     0
    .vgpr_spill_count: 0
    .wavefront_size: 64
  - .agpr_count:     0
    .args:
      - .offset:         0
        .size:           48
        .value_kind:     by_value
    .group_segment_fixed_size: 0
    .kernarg_segment_align: 8
    .kernarg_segment_size: 48
    .language:       OpenCL C
    .language_version:
      - 2
      - 0
    .max_flat_workgroup_size: 256
    .name:           _ZN7rocprim17ROCPRIM_400000_NS6detail17trampoline_kernelINS0_14default_configENS1_22reduce_config_selectorIdEEZNS1_11reduce_implILb1ES3_PdS7_dN6thrust23THRUST_200600_302600_NS4plusIdEEEE10hipError_tPvRmT1_T2_T3_mT4_P12ihipStream_tbEUlT_E1_NS1_11comp_targetILNS1_3genE3ELNS1_11target_archE908ELNS1_3gpuE7ELNS1_3repE0EEENS1_30default_config_static_selectorELNS0_4arch9wavefront6targetE1EEEvSF_
    .private_segment_fixed_size: 0
    .sgpr_count:     6
    .sgpr_spill_count: 0
    .symbol:         _ZN7rocprim17ROCPRIM_400000_NS6detail17trampoline_kernelINS0_14default_configENS1_22reduce_config_selectorIdEEZNS1_11reduce_implILb1ES3_PdS7_dN6thrust23THRUST_200600_302600_NS4plusIdEEEE10hipError_tPvRmT1_T2_T3_mT4_P12ihipStream_tbEUlT_E1_NS1_11comp_targetILNS1_3genE3ELNS1_11target_archE908ELNS1_3gpuE7ELNS1_3repE0EEENS1_30default_config_static_selectorELNS0_4arch9wavefront6targetE1EEEvSF_.kd
    .uniform_work_group_size: 1
    .uses_dynamic_stack: false
    .vgpr_count:     0
    .vgpr_spill_count: 0
    .wavefront_size: 64
  - .agpr_count:     0
    .args:
      - .offset:         0
        .size:           48
        .value_kind:     by_value
    .group_segment_fixed_size: 0
    .kernarg_segment_align: 8
    .kernarg_segment_size: 48
    .language:       OpenCL C
    .language_version:
      - 2
      - 0
    .max_flat_workgroup_size: 128
    .name:           _ZN7rocprim17ROCPRIM_400000_NS6detail17trampoline_kernelINS0_14default_configENS1_22reduce_config_selectorIdEEZNS1_11reduce_implILb1ES3_PdS7_dN6thrust23THRUST_200600_302600_NS4plusIdEEEE10hipError_tPvRmT1_T2_T3_mT4_P12ihipStream_tbEUlT_E1_NS1_11comp_targetILNS1_3genE2ELNS1_11target_archE906ELNS1_3gpuE6ELNS1_3repE0EEENS1_30default_config_static_selectorELNS0_4arch9wavefront6targetE1EEEvSF_
    .private_segment_fixed_size: 0
    .sgpr_count:     6
    .sgpr_spill_count: 0
    .symbol:         _ZN7rocprim17ROCPRIM_400000_NS6detail17trampoline_kernelINS0_14default_configENS1_22reduce_config_selectorIdEEZNS1_11reduce_implILb1ES3_PdS7_dN6thrust23THRUST_200600_302600_NS4plusIdEEEE10hipError_tPvRmT1_T2_T3_mT4_P12ihipStream_tbEUlT_E1_NS1_11comp_targetILNS1_3genE2ELNS1_11target_archE906ELNS1_3gpuE6ELNS1_3repE0EEENS1_30default_config_static_selectorELNS0_4arch9wavefront6targetE1EEEvSF_.kd
    .uniform_work_group_size: 1
    .uses_dynamic_stack: false
    .vgpr_count:     0
    .vgpr_spill_count: 0
    .wavefront_size: 64
  - .agpr_count:     0
    .args:
      - .offset:         0
        .size:           48
        .value_kind:     by_value
    .group_segment_fixed_size: 0
    .kernarg_segment_align: 8
    .kernarg_segment_size: 48
    .language:       OpenCL C
    .language_version:
      - 2
      - 0
    .max_flat_workgroup_size: 256
    .name:           _ZN7rocprim17ROCPRIM_400000_NS6detail17trampoline_kernelINS0_14default_configENS1_22reduce_config_selectorIdEEZNS1_11reduce_implILb1ES3_PdS7_dN6thrust23THRUST_200600_302600_NS4plusIdEEEE10hipError_tPvRmT1_T2_T3_mT4_P12ihipStream_tbEUlT_E1_NS1_11comp_targetILNS1_3genE10ELNS1_11target_archE1201ELNS1_3gpuE5ELNS1_3repE0EEENS1_30default_config_static_selectorELNS0_4arch9wavefront6targetE1EEEvSF_
    .private_segment_fixed_size: 0
    .sgpr_count:     6
    .sgpr_spill_count: 0
    .symbol:         _ZN7rocprim17ROCPRIM_400000_NS6detail17trampoline_kernelINS0_14default_configENS1_22reduce_config_selectorIdEEZNS1_11reduce_implILb1ES3_PdS7_dN6thrust23THRUST_200600_302600_NS4plusIdEEEE10hipError_tPvRmT1_T2_T3_mT4_P12ihipStream_tbEUlT_E1_NS1_11comp_targetILNS1_3genE10ELNS1_11target_archE1201ELNS1_3gpuE5ELNS1_3repE0EEENS1_30default_config_static_selectorELNS0_4arch9wavefront6targetE1EEEvSF_.kd
    .uniform_work_group_size: 1
    .uses_dynamic_stack: false
    .vgpr_count:     0
    .vgpr_spill_count: 0
    .wavefront_size: 64
  - .agpr_count:     0
    .args:
      - .offset:         0
        .size:           48
        .value_kind:     by_value
    .group_segment_fixed_size: 0
    .kernarg_segment_align: 8
    .kernarg_segment_size: 48
    .language:       OpenCL C
    .language_version:
      - 2
      - 0
    .max_flat_workgroup_size: 256
    .name:           _ZN7rocprim17ROCPRIM_400000_NS6detail17trampoline_kernelINS0_14default_configENS1_22reduce_config_selectorIdEEZNS1_11reduce_implILb1ES3_PdS7_dN6thrust23THRUST_200600_302600_NS4plusIdEEEE10hipError_tPvRmT1_T2_T3_mT4_P12ihipStream_tbEUlT_E1_NS1_11comp_targetILNS1_3genE10ELNS1_11target_archE1200ELNS1_3gpuE4ELNS1_3repE0EEENS1_30default_config_static_selectorELNS0_4arch9wavefront6targetE1EEEvSF_
    .private_segment_fixed_size: 0
    .sgpr_count:     6
    .sgpr_spill_count: 0
    .symbol:         _ZN7rocprim17ROCPRIM_400000_NS6detail17trampoline_kernelINS0_14default_configENS1_22reduce_config_selectorIdEEZNS1_11reduce_implILb1ES3_PdS7_dN6thrust23THRUST_200600_302600_NS4plusIdEEEE10hipError_tPvRmT1_T2_T3_mT4_P12ihipStream_tbEUlT_E1_NS1_11comp_targetILNS1_3genE10ELNS1_11target_archE1200ELNS1_3gpuE4ELNS1_3repE0EEENS1_30default_config_static_selectorELNS0_4arch9wavefront6targetE1EEEvSF_.kd
    .uniform_work_group_size: 1
    .uses_dynamic_stack: false
    .vgpr_count:     0
    .vgpr_spill_count: 0
    .wavefront_size: 64
  - .agpr_count:     0
    .args:
      - .offset:         0
        .size:           48
        .value_kind:     by_value
    .group_segment_fixed_size: 0
    .kernarg_segment_align: 8
    .kernarg_segment_size: 48
    .language:       OpenCL C
    .language_version:
      - 2
      - 0
    .max_flat_workgroup_size: 256
    .name:           _ZN7rocprim17ROCPRIM_400000_NS6detail17trampoline_kernelINS0_14default_configENS1_22reduce_config_selectorIdEEZNS1_11reduce_implILb1ES3_PdS7_dN6thrust23THRUST_200600_302600_NS4plusIdEEEE10hipError_tPvRmT1_T2_T3_mT4_P12ihipStream_tbEUlT_E1_NS1_11comp_targetILNS1_3genE9ELNS1_11target_archE1100ELNS1_3gpuE3ELNS1_3repE0EEENS1_30default_config_static_selectorELNS0_4arch9wavefront6targetE1EEEvSF_
    .private_segment_fixed_size: 0
    .sgpr_count:     6
    .sgpr_spill_count: 0
    .symbol:         _ZN7rocprim17ROCPRIM_400000_NS6detail17trampoline_kernelINS0_14default_configENS1_22reduce_config_selectorIdEEZNS1_11reduce_implILb1ES3_PdS7_dN6thrust23THRUST_200600_302600_NS4plusIdEEEE10hipError_tPvRmT1_T2_T3_mT4_P12ihipStream_tbEUlT_E1_NS1_11comp_targetILNS1_3genE9ELNS1_11target_archE1100ELNS1_3gpuE3ELNS1_3repE0EEENS1_30default_config_static_selectorELNS0_4arch9wavefront6targetE1EEEvSF_.kd
    .uniform_work_group_size: 1
    .uses_dynamic_stack: false
    .vgpr_count:     0
    .vgpr_spill_count: 0
    .wavefront_size: 64
  - .agpr_count:     0
    .args:
      - .offset:         0
        .size:           48
        .value_kind:     by_value
    .group_segment_fixed_size: 0
    .kernarg_segment_align: 8
    .kernarg_segment_size: 48
    .language:       OpenCL C
    .language_version:
      - 2
      - 0
    .max_flat_workgroup_size: 256
    .name:           _ZN7rocprim17ROCPRIM_400000_NS6detail17trampoline_kernelINS0_14default_configENS1_22reduce_config_selectorIdEEZNS1_11reduce_implILb1ES3_PdS7_dN6thrust23THRUST_200600_302600_NS4plusIdEEEE10hipError_tPvRmT1_T2_T3_mT4_P12ihipStream_tbEUlT_E1_NS1_11comp_targetILNS1_3genE8ELNS1_11target_archE1030ELNS1_3gpuE2ELNS1_3repE0EEENS1_30default_config_static_selectorELNS0_4arch9wavefront6targetE1EEEvSF_
    .private_segment_fixed_size: 0
    .sgpr_count:     6
    .sgpr_spill_count: 0
    .symbol:         _ZN7rocprim17ROCPRIM_400000_NS6detail17trampoline_kernelINS0_14default_configENS1_22reduce_config_selectorIdEEZNS1_11reduce_implILb1ES3_PdS7_dN6thrust23THRUST_200600_302600_NS4plusIdEEEE10hipError_tPvRmT1_T2_T3_mT4_P12ihipStream_tbEUlT_E1_NS1_11comp_targetILNS1_3genE8ELNS1_11target_archE1030ELNS1_3gpuE2ELNS1_3repE0EEENS1_30default_config_static_selectorELNS0_4arch9wavefront6targetE1EEEvSF_.kd
    .uniform_work_group_size: 1
    .uses_dynamic_stack: false
    .vgpr_count:     0
    .vgpr_spill_count: 0
    .wavefront_size: 64
  - .agpr_count:     0
    .args:
      - .offset:         0
        .size:           64
        .value_kind:     by_value
    .group_segment_fixed_size: 64
    .kernarg_segment_align: 8
    .kernarg_segment_size: 64
    .language:       OpenCL C
    .language_version:
      - 2
      - 0
    .max_flat_workgroup_size: 256
    .name:           _ZN7rocprim17ROCPRIM_400000_NS6detail17trampoline_kernelINS0_14default_configENS1_22reduce_config_selectorIdEEZNS1_11reduce_implILb1ES3_N6thrust23THRUST_200600_302600_NS6detail15normal_iteratorINS8_10device_ptrIdEEEEPddNS8_4plusIdEEEE10hipError_tPvRmT1_T2_T3_mT4_P12ihipStream_tbEUlT_E0_NS1_11comp_targetILNS1_3genE0ELNS1_11target_archE4294967295ELNS1_3gpuE0ELNS1_3repE0EEENS1_30default_config_static_selectorELNS0_4arch9wavefront6targetE1EEEvSK_
    .private_segment_fixed_size: 0
    .sgpr_count:     54
    .sgpr_spill_count: 0
    .symbol:         _ZN7rocprim17ROCPRIM_400000_NS6detail17trampoline_kernelINS0_14default_configENS1_22reduce_config_selectorIdEEZNS1_11reduce_implILb1ES3_N6thrust23THRUST_200600_302600_NS6detail15normal_iteratorINS8_10device_ptrIdEEEEPddNS8_4plusIdEEEE10hipError_tPvRmT1_T2_T3_mT4_P12ihipStream_tbEUlT_E0_NS1_11comp_targetILNS1_3genE0ELNS1_11target_archE4294967295ELNS1_3gpuE0ELNS1_3repE0EEENS1_30default_config_static_selectorELNS0_4arch9wavefront6targetE1EEEvSK_.kd
    .uniform_work_group_size: 1
    .uses_dynamic_stack: false
    .vgpr_count:     68
    .vgpr_spill_count: 0
    .wavefront_size: 64
  - .agpr_count:     0
    .args:
      - .offset:         0
        .size:           64
        .value_kind:     by_value
    .group_segment_fixed_size: 0
    .kernarg_segment_align: 8
    .kernarg_segment_size: 64
    .language:       OpenCL C
    .language_version:
      - 2
      - 0
    .max_flat_workgroup_size: 256
    .name:           _ZN7rocprim17ROCPRIM_400000_NS6detail17trampoline_kernelINS0_14default_configENS1_22reduce_config_selectorIdEEZNS1_11reduce_implILb1ES3_N6thrust23THRUST_200600_302600_NS6detail15normal_iteratorINS8_10device_ptrIdEEEEPddNS8_4plusIdEEEE10hipError_tPvRmT1_T2_T3_mT4_P12ihipStream_tbEUlT_E0_NS1_11comp_targetILNS1_3genE5ELNS1_11target_archE942ELNS1_3gpuE9ELNS1_3repE0EEENS1_30default_config_static_selectorELNS0_4arch9wavefront6targetE1EEEvSK_
    .private_segment_fixed_size: 0
    .sgpr_count:     6
    .sgpr_spill_count: 0
    .symbol:         _ZN7rocprim17ROCPRIM_400000_NS6detail17trampoline_kernelINS0_14default_configENS1_22reduce_config_selectorIdEEZNS1_11reduce_implILb1ES3_N6thrust23THRUST_200600_302600_NS6detail15normal_iteratorINS8_10device_ptrIdEEEEPddNS8_4plusIdEEEE10hipError_tPvRmT1_T2_T3_mT4_P12ihipStream_tbEUlT_E0_NS1_11comp_targetILNS1_3genE5ELNS1_11target_archE942ELNS1_3gpuE9ELNS1_3repE0EEENS1_30default_config_static_selectorELNS0_4arch9wavefront6targetE1EEEvSK_.kd
    .uniform_work_group_size: 1
    .uses_dynamic_stack: false
    .vgpr_count:     0
    .vgpr_spill_count: 0
    .wavefront_size: 64
  - .agpr_count:     0
    .args:
      - .offset:         0
        .size:           64
        .value_kind:     by_value
    .group_segment_fixed_size: 0
    .kernarg_segment_align: 8
    .kernarg_segment_size: 64
    .language:       OpenCL C
    .language_version:
      - 2
      - 0
    .max_flat_workgroup_size: 256
    .name:           _ZN7rocprim17ROCPRIM_400000_NS6detail17trampoline_kernelINS0_14default_configENS1_22reduce_config_selectorIdEEZNS1_11reduce_implILb1ES3_N6thrust23THRUST_200600_302600_NS6detail15normal_iteratorINS8_10device_ptrIdEEEEPddNS8_4plusIdEEEE10hipError_tPvRmT1_T2_T3_mT4_P12ihipStream_tbEUlT_E0_NS1_11comp_targetILNS1_3genE4ELNS1_11target_archE910ELNS1_3gpuE8ELNS1_3repE0EEENS1_30default_config_static_selectorELNS0_4arch9wavefront6targetE1EEEvSK_
    .private_segment_fixed_size: 0
    .sgpr_count:     6
    .sgpr_spill_count: 0
    .symbol:         _ZN7rocprim17ROCPRIM_400000_NS6detail17trampoline_kernelINS0_14default_configENS1_22reduce_config_selectorIdEEZNS1_11reduce_implILb1ES3_N6thrust23THRUST_200600_302600_NS6detail15normal_iteratorINS8_10device_ptrIdEEEEPddNS8_4plusIdEEEE10hipError_tPvRmT1_T2_T3_mT4_P12ihipStream_tbEUlT_E0_NS1_11comp_targetILNS1_3genE4ELNS1_11target_archE910ELNS1_3gpuE8ELNS1_3repE0EEENS1_30default_config_static_selectorELNS0_4arch9wavefront6targetE1EEEvSK_.kd
    .uniform_work_group_size: 1
    .uses_dynamic_stack: false
    .vgpr_count:     0
    .vgpr_spill_count: 0
    .wavefront_size: 64
  - .agpr_count:     0
    .args:
      - .offset:         0
        .size:           64
        .value_kind:     by_value
    .group_segment_fixed_size: 0
    .kernarg_segment_align: 8
    .kernarg_segment_size: 64
    .language:       OpenCL C
    .language_version:
      - 2
      - 0
    .max_flat_workgroup_size: 256
    .name:           _ZN7rocprim17ROCPRIM_400000_NS6detail17trampoline_kernelINS0_14default_configENS1_22reduce_config_selectorIdEEZNS1_11reduce_implILb1ES3_N6thrust23THRUST_200600_302600_NS6detail15normal_iteratorINS8_10device_ptrIdEEEEPddNS8_4plusIdEEEE10hipError_tPvRmT1_T2_T3_mT4_P12ihipStream_tbEUlT_E0_NS1_11comp_targetILNS1_3genE3ELNS1_11target_archE908ELNS1_3gpuE7ELNS1_3repE0EEENS1_30default_config_static_selectorELNS0_4arch9wavefront6targetE1EEEvSK_
    .private_segment_fixed_size: 0
    .sgpr_count:     6
    .sgpr_spill_count: 0
    .symbol:         _ZN7rocprim17ROCPRIM_400000_NS6detail17trampoline_kernelINS0_14default_configENS1_22reduce_config_selectorIdEEZNS1_11reduce_implILb1ES3_N6thrust23THRUST_200600_302600_NS6detail15normal_iteratorINS8_10device_ptrIdEEEEPddNS8_4plusIdEEEE10hipError_tPvRmT1_T2_T3_mT4_P12ihipStream_tbEUlT_E0_NS1_11comp_targetILNS1_3genE3ELNS1_11target_archE908ELNS1_3gpuE7ELNS1_3repE0EEENS1_30default_config_static_selectorELNS0_4arch9wavefront6targetE1EEEvSK_.kd
    .uniform_work_group_size: 1
    .uses_dynamic_stack: false
    .vgpr_count:     0
    .vgpr_spill_count: 0
    .wavefront_size: 64
  - .agpr_count:     0
    .args:
      - .offset:         0
        .size:           64
        .value_kind:     by_value
    .group_segment_fixed_size: 0
    .kernarg_segment_align: 8
    .kernarg_segment_size: 64
    .language:       OpenCL C
    .language_version:
      - 2
      - 0
    .max_flat_workgroup_size: 128
    .name:           _ZN7rocprim17ROCPRIM_400000_NS6detail17trampoline_kernelINS0_14default_configENS1_22reduce_config_selectorIdEEZNS1_11reduce_implILb1ES3_N6thrust23THRUST_200600_302600_NS6detail15normal_iteratorINS8_10device_ptrIdEEEEPddNS8_4plusIdEEEE10hipError_tPvRmT1_T2_T3_mT4_P12ihipStream_tbEUlT_E0_NS1_11comp_targetILNS1_3genE2ELNS1_11target_archE906ELNS1_3gpuE6ELNS1_3repE0EEENS1_30default_config_static_selectorELNS0_4arch9wavefront6targetE1EEEvSK_
    .private_segment_fixed_size: 0
    .sgpr_count:     6
    .sgpr_spill_count: 0
    .symbol:         _ZN7rocprim17ROCPRIM_400000_NS6detail17trampoline_kernelINS0_14default_configENS1_22reduce_config_selectorIdEEZNS1_11reduce_implILb1ES3_N6thrust23THRUST_200600_302600_NS6detail15normal_iteratorINS8_10device_ptrIdEEEEPddNS8_4plusIdEEEE10hipError_tPvRmT1_T2_T3_mT4_P12ihipStream_tbEUlT_E0_NS1_11comp_targetILNS1_3genE2ELNS1_11target_archE906ELNS1_3gpuE6ELNS1_3repE0EEENS1_30default_config_static_selectorELNS0_4arch9wavefront6targetE1EEEvSK_.kd
    .uniform_work_group_size: 1
    .uses_dynamic_stack: false
    .vgpr_count:     0
    .vgpr_spill_count: 0
    .wavefront_size: 64
  - .agpr_count:     0
    .args:
      - .offset:         0
        .size:           64
        .value_kind:     by_value
    .group_segment_fixed_size: 0
    .kernarg_segment_align: 8
    .kernarg_segment_size: 64
    .language:       OpenCL C
    .language_version:
      - 2
      - 0
    .max_flat_workgroup_size: 256
    .name:           _ZN7rocprim17ROCPRIM_400000_NS6detail17trampoline_kernelINS0_14default_configENS1_22reduce_config_selectorIdEEZNS1_11reduce_implILb1ES3_N6thrust23THRUST_200600_302600_NS6detail15normal_iteratorINS8_10device_ptrIdEEEEPddNS8_4plusIdEEEE10hipError_tPvRmT1_T2_T3_mT4_P12ihipStream_tbEUlT_E0_NS1_11comp_targetILNS1_3genE10ELNS1_11target_archE1201ELNS1_3gpuE5ELNS1_3repE0EEENS1_30default_config_static_selectorELNS0_4arch9wavefront6targetE1EEEvSK_
    .private_segment_fixed_size: 0
    .sgpr_count:     6
    .sgpr_spill_count: 0
    .symbol:         _ZN7rocprim17ROCPRIM_400000_NS6detail17trampoline_kernelINS0_14default_configENS1_22reduce_config_selectorIdEEZNS1_11reduce_implILb1ES3_N6thrust23THRUST_200600_302600_NS6detail15normal_iteratorINS8_10device_ptrIdEEEEPddNS8_4plusIdEEEE10hipError_tPvRmT1_T2_T3_mT4_P12ihipStream_tbEUlT_E0_NS1_11comp_targetILNS1_3genE10ELNS1_11target_archE1201ELNS1_3gpuE5ELNS1_3repE0EEENS1_30default_config_static_selectorELNS0_4arch9wavefront6targetE1EEEvSK_.kd
    .uniform_work_group_size: 1
    .uses_dynamic_stack: false
    .vgpr_count:     0
    .vgpr_spill_count: 0
    .wavefront_size: 64
  - .agpr_count:     0
    .args:
      - .offset:         0
        .size:           64
        .value_kind:     by_value
    .group_segment_fixed_size: 0
    .kernarg_segment_align: 8
    .kernarg_segment_size: 64
    .language:       OpenCL C
    .language_version:
      - 2
      - 0
    .max_flat_workgroup_size: 256
    .name:           _ZN7rocprim17ROCPRIM_400000_NS6detail17trampoline_kernelINS0_14default_configENS1_22reduce_config_selectorIdEEZNS1_11reduce_implILb1ES3_N6thrust23THRUST_200600_302600_NS6detail15normal_iteratorINS8_10device_ptrIdEEEEPddNS8_4plusIdEEEE10hipError_tPvRmT1_T2_T3_mT4_P12ihipStream_tbEUlT_E0_NS1_11comp_targetILNS1_3genE10ELNS1_11target_archE1200ELNS1_3gpuE4ELNS1_3repE0EEENS1_30default_config_static_selectorELNS0_4arch9wavefront6targetE1EEEvSK_
    .private_segment_fixed_size: 0
    .sgpr_count:     6
    .sgpr_spill_count: 0
    .symbol:         _ZN7rocprim17ROCPRIM_400000_NS6detail17trampoline_kernelINS0_14default_configENS1_22reduce_config_selectorIdEEZNS1_11reduce_implILb1ES3_N6thrust23THRUST_200600_302600_NS6detail15normal_iteratorINS8_10device_ptrIdEEEEPddNS8_4plusIdEEEE10hipError_tPvRmT1_T2_T3_mT4_P12ihipStream_tbEUlT_E0_NS1_11comp_targetILNS1_3genE10ELNS1_11target_archE1200ELNS1_3gpuE4ELNS1_3repE0EEENS1_30default_config_static_selectorELNS0_4arch9wavefront6targetE1EEEvSK_.kd
    .uniform_work_group_size: 1
    .uses_dynamic_stack: false
    .vgpr_count:     0
    .vgpr_spill_count: 0
    .wavefront_size: 64
  - .agpr_count:     0
    .args:
      - .offset:         0
        .size:           64
        .value_kind:     by_value
    .group_segment_fixed_size: 0
    .kernarg_segment_align: 8
    .kernarg_segment_size: 64
    .language:       OpenCL C
    .language_version:
      - 2
      - 0
    .max_flat_workgroup_size: 256
    .name:           _ZN7rocprim17ROCPRIM_400000_NS6detail17trampoline_kernelINS0_14default_configENS1_22reduce_config_selectorIdEEZNS1_11reduce_implILb1ES3_N6thrust23THRUST_200600_302600_NS6detail15normal_iteratorINS8_10device_ptrIdEEEEPddNS8_4plusIdEEEE10hipError_tPvRmT1_T2_T3_mT4_P12ihipStream_tbEUlT_E0_NS1_11comp_targetILNS1_3genE9ELNS1_11target_archE1100ELNS1_3gpuE3ELNS1_3repE0EEENS1_30default_config_static_selectorELNS0_4arch9wavefront6targetE1EEEvSK_
    .private_segment_fixed_size: 0
    .sgpr_count:     6
    .sgpr_spill_count: 0
    .symbol:         _ZN7rocprim17ROCPRIM_400000_NS6detail17trampoline_kernelINS0_14default_configENS1_22reduce_config_selectorIdEEZNS1_11reduce_implILb1ES3_N6thrust23THRUST_200600_302600_NS6detail15normal_iteratorINS8_10device_ptrIdEEEEPddNS8_4plusIdEEEE10hipError_tPvRmT1_T2_T3_mT4_P12ihipStream_tbEUlT_E0_NS1_11comp_targetILNS1_3genE9ELNS1_11target_archE1100ELNS1_3gpuE3ELNS1_3repE0EEENS1_30default_config_static_selectorELNS0_4arch9wavefront6targetE1EEEvSK_.kd
    .uniform_work_group_size: 1
    .uses_dynamic_stack: false
    .vgpr_count:     0
    .vgpr_spill_count: 0
    .wavefront_size: 64
  - .agpr_count:     0
    .args:
      - .offset:         0
        .size:           64
        .value_kind:     by_value
    .group_segment_fixed_size: 0
    .kernarg_segment_align: 8
    .kernarg_segment_size: 64
    .language:       OpenCL C
    .language_version:
      - 2
      - 0
    .max_flat_workgroup_size: 256
    .name:           _ZN7rocprim17ROCPRIM_400000_NS6detail17trampoline_kernelINS0_14default_configENS1_22reduce_config_selectorIdEEZNS1_11reduce_implILb1ES3_N6thrust23THRUST_200600_302600_NS6detail15normal_iteratorINS8_10device_ptrIdEEEEPddNS8_4plusIdEEEE10hipError_tPvRmT1_T2_T3_mT4_P12ihipStream_tbEUlT_E0_NS1_11comp_targetILNS1_3genE8ELNS1_11target_archE1030ELNS1_3gpuE2ELNS1_3repE0EEENS1_30default_config_static_selectorELNS0_4arch9wavefront6targetE1EEEvSK_
    .private_segment_fixed_size: 0
    .sgpr_count:     6
    .sgpr_spill_count: 0
    .symbol:         _ZN7rocprim17ROCPRIM_400000_NS6detail17trampoline_kernelINS0_14default_configENS1_22reduce_config_selectorIdEEZNS1_11reduce_implILb1ES3_N6thrust23THRUST_200600_302600_NS6detail15normal_iteratorINS8_10device_ptrIdEEEEPddNS8_4plusIdEEEE10hipError_tPvRmT1_T2_T3_mT4_P12ihipStream_tbEUlT_E0_NS1_11comp_targetILNS1_3genE8ELNS1_11target_archE1030ELNS1_3gpuE2ELNS1_3repE0EEENS1_30default_config_static_selectorELNS0_4arch9wavefront6targetE1EEEvSK_.kd
    .uniform_work_group_size: 1
    .uses_dynamic_stack: false
    .vgpr_count:     0
    .vgpr_spill_count: 0
    .wavefront_size: 64
  - .agpr_count:     0
    .args:
      - .offset:         0
        .size:           48
        .value_kind:     by_value
    .group_segment_fixed_size: 192
    .kernarg_segment_align: 8
    .kernarg_segment_size: 48
    .language:       OpenCL C
    .language_version:
      - 2
      - 0
    .max_flat_workgroup_size: 256
    .name:           _ZN7rocprim17ROCPRIM_400000_NS6detail17trampoline_kernelINS0_14default_configENS1_22reduce_config_selectorIdEEZNS1_11reduce_implILb1ES3_N6thrust23THRUST_200600_302600_NS6detail15normal_iteratorINS8_10device_ptrIdEEEEPddNS8_4plusIdEEEE10hipError_tPvRmT1_T2_T3_mT4_P12ihipStream_tbEUlT_E1_NS1_11comp_targetILNS1_3genE0ELNS1_11target_archE4294967295ELNS1_3gpuE0ELNS1_3repE0EEENS1_30default_config_static_selectorELNS0_4arch9wavefront6targetE1EEEvSK_
    .private_segment_fixed_size: 0
    .sgpr_count:     53
    .sgpr_spill_count: 0
    .symbol:         _ZN7rocprim17ROCPRIM_400000_NS6detail17trampoline_kernelINS0_14default_configENS1_22reduce_config_selectorIdEEZNS1_11reduce_implILb1ES3_N6thrust23THRUST_200600_302600_NS6detail15normal_iteratorINS8_10device_ptrIdEEEEPddNS8_4plusIdEEEE10hipError_tPvRmT1_T2_T3_mT4_P12ihipStream_tbEUlT_E1_NS1_11comp_targetILNS1_3genE0ELNS1_11target_archE4294967295ELNS1_3gpuE0ELNS1_3repE0EEENS1_30default_config_static_selectorELNS0_4arch9wavefront6targetE1EEEvSK_.kd
    .uniform_work_group_size: 1
    .uses_dynamic_stack: false
    .vgpr_count:     38
    .vgpr_spill_count: 0
    .wavefront_size: 64
  - .agpr_count:     0
    .args:
      - .offset:         0
        .size:           48
        .value_kind:     by_value
    .group_segment_fixed_size: 0
    .kernarg_segment_align: 8
    .kernarg_segment_size: 48
    .language:       OpenCL C
    .language_version:
      - 2
      - 0
    .max_flat_workgroup_size: 256
    .name:           _ZN7rocprim17ROCPRIM_400000_NS6detail17trampoline_kernelINS0_14default_configENS1_22reduce_config_selectorIdEEZNS1_11reduce_implILb1ES3_N6thrust23THRUST_200600_302600_NS6detail15normal_iteratorINS8_10device_ptrIdEEEEPddNS8_4plusIdEEEE10hipError_tPvRmT1_T2_T3_mT4_P12ihipStream_tbEUlT_E1_NS1_11comp_targetILNS1_3genE5ELNS1_11target_archE942ELNS1_3gpuE9ELNS1_3repE0EEENS1_30default_config_static_selectorELNS0_4arch9wavefront6targetE1EEEvSK_
    .private_segment_fixed_size: 0
    .sgpr_count:     6
    .sgpr_spill_count: 0
    .symbol:         _ZN7rocprim17ROCPRIM_400000_NS6detail17trampoline_kernelINS0_14default_configENS1_22reduce_config_selectorIdEEZNS1_11reduce_implILb1ES3_N6thrust23THRUST_200600_302600_NS6detail15normal_iteratorINS8_10device_ptrIdEEEEPddNS8_4plusIdEEEE10hipError_tPvRmT1_T2_T3_mT4_P12ihipStream_tbEUlT_E1_NS1_11comp_targetILNS1_3genE5ELNS1_11target_archE942ELNS1_3gpuE9ELNS1_3repE0EEENS1_30default_config_static_selectorELNS0_4arch9wavefront6targetE1EEEvSK_.kd
    .uniform_work_group_size: 1
    .uses_dynamic_stack: false
    .vgpr_count:     0
    .vgpr_spill_count: 0
    .wavefront_size: 64
  - .agpr_count:     0
    .args:
      - .offset:         0
        .size:           48
        .value_kind:     by_value
    .group_segment_fixed_size: 0
    .kernarg_segment_align: 8
    .kernarg_segment_size: 48
    .language:       OpenCL C
    .language_version:
      - 2
      - 0
    .max_flat_workgroup_size: 256
    .name:           _ZN7rocprim17ROCPRIM_400000_NS6detail17trampoline_kernelINS0_14default_configENS1_22reduce_config_selectorIdEEZNS1_11reduce_implILb1ES3_N6thrust23THRUST_200600_302600_NS6detail15normal_iteratorINS8_10device_ptrIdEEEEPddNS8_4plusIdEEEE10hipError_tPvRmT1_T2_T3_mT4_P12ihipStream_tbEUlT_E1_NS1_11comp_targetILNS1_3genE4ELNS1_11target_archE910ELNS1_3gpuE8ELNS1_3repE0EEENS1_30default_config_static_selectorELNS0_4arch9wavefront6targetE1EEEvSK_
    .private_segment_fixed_size: 0
    .sgpr_count:     6
    .sgpr_spill_count: 0
    .symbol:         _ZN7rocprim17ROCPRIM_400000_NS6detail17trampoline_kernelINS0_14default_configENS1_22reduce_config_selectorIdEEZNS1_11reduce_implILb1ES3_N6thrust23THRUST_200600_302600_NS6detail15normal_iteratorINS8_10device_ptrIdEEEEPddNS8_4plusIdEEEE10hipError_tPvRmT1_T2_T3_mT4_P12ihipStream_tbEUlT_E1_NS1_11comp_targetILNS1_3genE4ELNS1_11target_archE910ELNS1_3gpuE8ELNS1_3repE0EEENS1_30default_config_static_selectorELNS0_4arch9wavefront6targetE1EEEvSK_.kd
    .uniform_work_group_size: 1
    .uses_dynamic_stack: false
    .vgpr_count:     0
    .vgpr_spill_count: 0
    .wavefront_size: 64
  - .agpr_count:     0
    .args:
      - .offset:         0
        .size:           48
        .value_kind:     by_value
    .group_segment_fixed_size: 0
    .kernarg_segment_align: 8
    .kernarg_segment_size: 48
    .language:       OpenCL C
    .language_version:
      - 2
      - 0
    .max_flat_workgroup_size: 256
    .name:           _ZN7rocprim17ROCPRIM_400000_NS6detail17trampoline_kernelINS0_14default_configENS1_22reduce_config_selectorIdEEZNS1_11reduce_implILb1ES3_N6thrust23THRUST_200600_302600_NS6detail15normal_iteratorINS8_10device_ptrIdEEEEPddNS8_4plusIdEEEE10hipError_tPvRmT1_T2_T3_mT4_P12ihipStream_tbEUlT_E1_NS1_11comp_targetILNS1_3genE3ELNS1_11target_archE908ELNS1_3gpuE7ELNS1_3repE0EEENS1_30default_config_static_selectorELNS0_4arch9wavefront6targetE1EEEvSK_
    .private_segment_fixed_size: 0
    .sgpr_count:     6
    .sgpr_spill_count: 0
    .symbol:         _ZN7rocprim17ROCPRIM_400000_NS6detail17trampoline_kernelINS0_14default_configENS1_22reduce_config_selectorIdEEZNS1_11reduce_implILb1ES3_N6thrust23THRUST_200600_302600_NS6detail15normal_iteratorINS8_10device_ptrIdEEEEPddNS8_4plusIdEEEE10hipError_tPvRmT1_T2_T3_mT4_P12ihipStream_tbEUlT_E1_NS1_11comp_targetILNS1_3genE3ELNS1_11target_archE908ELNS1_3gpuE7ELNS1_3repE0EEENS1_30default_config_static_selectorELNS0_4arch9wavefront6targetE1EEEvSK_.kd
    .uniform_work_group_size: 1
    .uses_dynamic_stack: false
    .vgpr_count:     0
    .vgpr_spill_count: 0
    .wavefront_size: 64
  - .agpr_count:     0
    .args:
      - .offset:         0
        .size:           48
        .value_kind:     by_value
    .group_segment_fixed_size: 0
    .kernarg_segment_align: 8
    .kernarg_segment_size: 48
    .language:       OpenCL C
    .language_version:
      - 2
      - 0
    .max_flat_workgroup_size: 128
    .name:           _ZN7rocprim17ROCPRIM_400000_NS6detail17trampoline_kernelINS0_14default_configENS1_22reduce_config_selectorIdEEZNS1_11reduce_implILb1ES3_N6thrust23THRUST_200600_302600_NS6detail15normal_iteratorINS8_10device_ptrIdEEEEPddNS8_4plusIdEEEE10hipError_tPvRmT1_T2_T3_mT4_P12ihipStream_tbEUlT_E1_NS1_11comp_targetILNS1_3genE2ELNS1_11target_archE906ELNS1_3gpuE6ELNS1_3repE0EEENS1_30default_config_static_selectorELNS0_4arch9wavefront6targetE1EEEvSK_
    .private_segment_fixed_size: 0
    .sgpr_count:     6
    .sgpr_spill_count: 0
    .symbol:         _ZN7rocprim17ROCPRIM_400000_NS6detail17trampoline_kernelINS0_14default_configENS1_22reduce_config_selectorIdEEZNS1_11reduce_implILb1ES3_N6thrust23THRUST_200600_302600_NS6detail15normal_iteratorINS8_10device_ptrIdEEEEPddNS8_4plusIdEEEE10hipError_tPvRmT1_T2_T3_mT4_P12ihipStream_tbEUlT_E1_NS1_11comp_targetILNS1_3genE2ELNS1_11target_archE906ELNS1_3gpuE6ELNS1_3repE0EEENS1_30default_config_static_selectorELNS0_4arch9wavefront6targetE1EEEvSK_.kd
    .uniform_work_group_size: 1
    .uses_dynamic_stack: false
    .vgpr_count:     0
    .vgpr_spill_count: 0
    .wavefront_size: 64
  - .agpr_count:     0
    .args:
      - .offset:         0
        .size:           48
        .value_kind:     by_value
    .group_segment_fixed_size: 0
    .kernarg_segment_align: 8
    .kernarg_segment_size: 48
    .language:       OpenCL C
    .language_version:
      - 2
      - 0
    .max_flat_workgroup_size: 256
    .name:           _ZN7rocprim17ROCPRIM_400000_NS6detail17trampoline_kernelINS0_14default_configENS1_22reduce_config_selectorIdEEZNS1_11reduce_implILb1ES3_N6thrust23THRUST_200600_302600_NS6detail15normal_iteratorINS8_10device_ptrIdEEEEPddNS8_4plusIdEEEE10hipError_tPvRmT1_T2_T3_mT4_P12ihipStream_tbEUlT_E1_NS1_11comp_targetILNS1_3genE10ELNS1_11target_archE1201ELNS1_3gpuE5ELNS1_3repE0EEENS1_30default_config_static_selectorELNS0_4arch9wavefront6targetE1EEEvSK_
    .private_segment_fixed_size: 0
    .sgpr_count:     6
    .sgpr_spill_count: 0
    .symbol:         _ZN7rocprim17ROCPRIM_400000_NS6detail17trampoline_kernelINS0_14default_configENS1_22reduce_config_selectorIdEEZNS1_11reduce_implILb1ES3_N6thrust23THRUST_200600_302600_NS6detail15normal_iteratorINS8_10device_ptrIdEEEEPddNS8_4plusIdEEEE10hipError_tPvRmT1_T2_T3_mT4_P12ihipStream_tbEUlT_E1_NS1_11comp_targetILNS1_3genE10ELNS1_11target_archE1201ELNS1_3gpuE5ELNS1_3repE0EEENS1_30default_config_static_selectorELNS0_4arch9wavefront6targetE1EEEvSK_.kd
    .uniform_work_group_size: 1
    .uses_dynamic_stack: false
    .vgpr_count:     0
    .vgpr_spill_count: 0
    .wavefront_size: 64
  - .agpr_count:     0
    .args:
      - .offset:         0
        .size:           48
        .value_kind:     by_value
    .group_segment_fixed_size: 0
    .kernarg_segment_align: 8
    .kernarg_segment_size: 48
    .language:       OpenCL C
    .language_version:
      - 2
      - 0
    .max_flat_workgroup_size: 256
    .name:           _ZN7rocprim17ROCPRIM_400000_NS6detail17trampoline_kernelINS0_14default_configENS1_22reduce_config_selectorIdEEZNS1_11reduce_implILb1ES3_N6thrust23THRUST_200600_302600_NS6detail15normal_iteratorINS8_10device_ptrIdEEEEPddNS8_4plusIdEEEE10hipError_tPvRmT1_T2_T3_mT4_P12ihipStream_tbEUlT_E1_NS1_11comp_targetILNS1_3genE10ELNS1_11target_archE1200ELNS1_3gpuE4ELNS1_3repE0EEENS1_30default_config_static_selectorELNS0_4arch9wavefront6targetE1EEEvSK_
    .private_segment_fixed_size: 0
    .sgpr_count:     6
    .sgpr_spill_count: 0
    .symbol:         _ZN7rocprim17ROCPRIM_400000_NS6detail17trampoline_kernelINS0_14default_configENS1_22reduce_config_selectorIdEEZNS1_11reduce_implILb1ES3_N6thrust23THRUST_200600_302600_NS6detail15normal_iteratorINS8_10device_ptrIdEEEEPddNS8_4plusIdEEEE10hipError_tPvRmT1_T2_T3_mT4_P12ihipStream_tbEUlT_E1_NS1_11comp_targetILNS1_3genE10ELNS1_11target_archE1200ELNS1_3gpuE4ELNS1_3repE0EEENS1_30default_config_static_selectorELNS0_4arch9wavefront6targetE1EEEvSK_.kd
    .uniform_work_group_size: 1
    .uses_dynamic_stack: false
    .vgpr_count:     0
    .vgpr_spill_count: 0
    .wavefront_size: 64
  - .agpr_count:     0
    .args:
      - .offset:         0
        .size:           48
        .value_kind:     by_value
    .group_segment_fixed_size: 0
    .kernarg_segment_align: 8
    .kernarg_segment_size: 48
    .language:       OpenCL C
    .language_version:
      - 2
      - 0
    .max_flat_workgroup_size: 256
    .name:           _ZN7rocprim17ROCPRIM_400000_NS6detail17trampoline_kernelINS0_14default_configENS1_22reduce_config_selectorIdEEZNS1_11reduce_implILb1ES3_N6thrust23THRUST_200600_302600_NS6detail15normal_iteratorINS8_10device_ptrIdEEEEPddNS8_4plusIdEEEE10hipError_tPvRmT1_T2_T3_mT4_P12ihipStream_tbEUlT_E1_NS1_11comp_targetILNS1_3genE9ELNS1_11target_archE1100ELNS1_3gpuE3ELNS1_3repE0EEENS1_30default_config_static_selectorELNS0_4arch9wavefront6targetE1EEEvSK_
    .private_segment_fixed_size: 0
    .sgpr_count:     6
    .sgpr_spill_count: 0
    .symbol:         _ZN7rocprim17ROCPRIM_400000_NS6detail17trampoline_kernelINS0_14default_configENS1_22reduce_config_selectorIdEEZNS1_11reduce_implILb1ES3_N6thrust23THRUST_200600_302600_NS6detail15normal_iteratorINS8_10device_ptrIdEEEEPddNS8_4plusIdEEEE10hipError_tPvRmT1_T2_T3_mT4_P12ihipStream_tbEUlT_E1_NS1_11comp_targetILNS1_3genE9ELNS1_11target_archE1100ELNS1_3gpuE3ELNS1_3repE0EEENS1_30default_config_static_selectorELNS0_4arch9wavefront6targetE1EEEvSK_.kd
    .uniform_work_group_size: 1
    .uses_dynamic_stack: false
    .vgpr_count:     0
    .vgpr_spill_count: 0
    .wavefront_size: 64
  - .agpr_count:     0
    .args:
      - .offset:         0
        .size:           48
        .value_kind:     by_value
    .group_segment_fixed_size: 0
    .kernarg_segment_align: 8
    .kernarg_segment_size: 48
    .language:       OpenCL C
    .language_version:
      - 2
      - 0
    .max_flat_workgroup_size: 256
    .name:           _ZN7rocprim17ROCPRIM_400000_NS6detail17trampoline_kernelINS0_14default_configENS1_22reduce_config_selectorIdEEZNS1_11reduce_implILb1ES3_N6thrust23THRUST_200600_302600_NS6detail15normal_iteratorINS8_10device_ptrIdEEEEPddNS8_4plusIdEEEE10hipError_tPvRmT1_T2_T3_mT4_P12ihipStream_tbEUlT_E1_NS1_11comp_targetILNS1_3genE8ELNS1_11target_archE1030ELNS1_3gpuE2ELNS1_3repE0EEENS1_30default_config_static_selectorELNS0_4arch9wavefront6targetE1EEEvSK_
    .private_segment_fixed_size: 0
    .sgpr_count:     6
    .sgpr_spill_count: 0
    .symbol:         _ZN7rocprim17ROCPRIM_400000_NS6detail17trampoline_kernelINS0_14default_configENS1_22reduce_config_selectorIdEEZNS1_11reduce_implILb1ES3_N6thrust23THRUST_200600_302600_NS6detail15normal_iteratorINS8_10device_ptrIdEEEEPddNS8_4plusIdEEEE10hipError_tPvRmT1_T2_T3_mT4_P12ihipStream_tbEUlT_E1_NS1_11comp_targetILNS1_3genE8ELNS1_11target_archE1030ELNS1_3gpuE2ELNS1_3repE0EEENS1_30default_config_static_selectorELNS0_4arch9wavefront6targetE1EEEvSK_.kd
    .uniform_work_group_size: 1
    .uses_dynamic_stack: false
    .vgpr_count:     0
    .vgpr_spill_count: 0
    .wavefront_size: 64
  - .agpr_count:     0
    .args:
      - .offset:         0
        .size:           16
        .value_kind:     by_value
      - .offset:         16
        .size:           8
        .value_kind:     by_value
      - .offset:         24
        .size:           8
        .value_kind:     by_value
    .group_segment_fixed_size: 0
    .kernarg_segment_align: 8
    .kernarg_segment_size: 32
    .language:       OpenCL C
    .language_version:
      - 2
      - 0
    .max_flat_workgroup_size: 256
    .name:           _ZN6thrust23THRUST_200600_302600_NS11hip_rocprim14__parallel_for6kernelILj256ENS1_20__uninitialized_fill7functorINS0_10device_ptrIfEEfEEmLj1EEEvT0_T1_SA_
    .private_segment_fixed_size: 0
    .sgpr_count:     22
    .sgpr_spill_count: 0
    .symbol:         _ZN6thrust23THRUST_200600_302600_NS11hip_rocprim14__parallel_for6kernelILj256ENS1_20__uninitialized_fill7functorINS0_10device_ptrIfEEfEEmLj1EEEvT0_T1_SA_.kd
    .uniform_work_group_size: 1
    .uses_dynamic_stack: false
    .vgpr_count:     4
    .vgpr_spill_count: 0
    .wavefront_size: 64
  - .agpr_count:     0
    .args:
      - .offset:         0
        .size:           56
        .value_kind:     by_value
    .group_segment_fixed_size: 32
    .kernarg_segment_align: 8
    .kernarg_segment_size: 56
    .language:       OpenCL C
    .language_version:
      - 2
      - 0
    .max_flat_workgroup_size: 256
    .name:           _ZN7rocprim17ROCPRIM_400000_NS6detail17trampoline_kernelINS0_14default_configENS1_22reduce_config_selectorIfEEZNS1_11reduce_implILb1ES3_PfS7_fN6thrust23THRUST_200600_302600_NS4plusIfEEEE10hipError_tPvRmT1_T2_T3_mT4_P12ihipStream_tbEUlT_E0_NS1_11comp_targetILNS1_3genE0ELNS1_11target_archE4294967295ELNS1_3gpuE0ELNS1_3repE0EEENS1_30default_config_static_selectorELNS0_4arch9wavefront6targetE1EEEvSF_
    .private_segment_fixed_size: 0
    .sgpr_count:     26
    .sgpr_spill_count: 0
    .symbol:         _ZN7rocprim17ROCPRIM_400000_NS6detail17trampoline_kernelINS0_14default_configENS1_22reduce_config_selectorIfEEZNS1_11reduce_implILb1ES3_PfS7_fN6thrust23THRUST_200600_302600_NS4plusIfEEEE10hipError_tPvRmT1_T2_T3_mT4_P12ihipStream_tbEUlT_E0_NS1_11comp_targetILNS1_3genE0ELNS1_11target_archE4294967295ELNS1_3gpuE0ELNS1_3repE0EEENS1_30default_config_static_selectorELNS0_4arch9wavefront6targetE1EEEvSF_.kd
    .uniform_work_group_size: 1
    .uses_dynamic_stack: false
    .vgpr_count:     12
    .vgpr_spill_count: 0
    .wavefront_size: 64
  - .agpr_count:     0
    .args:
      - .offset:         0
        .size:           56
        .value_kind:     by_value
    .group_segment_fixed_size: 0
    .kernarg_segment_align: 8
    .kernarg_segment_size: 56
    .language:       OpenCL C
    .language_version:
      - 2
      - 0
    .max_flat_workgroup_size: 128
    .name:           _ZN7rocprim17ROCPRIM_400000_NS6detail17trampoline_kernelINS0_14default_configENS1_22reduce_config_selectorIfEEZNS1_11reduce_implILb1ES3_PfS7_fN6thrust23THRUST_200600_302600_NS4plusIfEEEE10hipError_tPvRmT1_T2_T3_mT4_P12ihipStream_tbEUlT_E0_NS1_11comp_targetILNS1_3genE5ELNS1_11target_archE942ELNS1_3gpuE9ELNS1_3repE0EEENS1_30default_config_static_selectorELNS0_4arch9wavefront6targetE1EEEvSF_
    .private_segment_fixed_size: 0
    .sgpr_count:     6
    .sgpr_spill_count: 0
    .symbol:         _ZN7rocprim17ROCPRIM_400000_NS6detail17trampoline_kernelINS0_14default_configENS1_22reduce_config_selectorIfEEZNS1_11reduce_implILb1ES3_PfS7_fN6thrust23THRUST_200600_302600_NS4plusIfEEEE10hipError_tPvRmT1_T2_T3_mT4_P12ihipStream_tbEUlT_E0_NS1_11comp_targetILNS1_3genE5ELNS1_11target_archE942ELNS1_3gpuE9ELNS1_3repE0EEENS1_30default_config_static_selectorELNS0_4arch9wavefront6targetE1EEEvSF_.kd
    .uniform_work_group_size: 1
    .uses_dynamic_stack: false
    .vgpr_count:     0
    .vgpr_spill_count: 0
    .wavefront_size: 64
  - .agpr_count:     0
    .args:
      - .offset:         0
        .size:           56
        .value_kind:     by_value
    .group_segment_fixed_size: 0
    .kernarg_segment_align: 8
    .kernarg_segment_size: 56
    .language:       OpenCL C
    .language_version:
      - 2
      - 0
    .max_flat_workgroup_size: 128
    .name:           _ZN7rocprim17ROCPRIM_400000_NS6detail17trampoline_kernelINS0_14default_configENS1_22reduce_config_selectorIfEEZNS1_11reduce_implILb1ES3_PfS7_fN6thrust23THRUST_200600_302600_NS4plusIfEEEE10hipError_tPvRmT1_T2_T3_mT4_P12ihipStream_tbEUlT_E0_NS1_11comp_targetILNS1_3genE4ELNS1_11target_archE910ELNS1_3gpuE8ELNS1_3repE0EEENS1_30default_config_static_selectorELNS0_4arch9wavefront6targetE1EEEvSF_
    .private_segment_fixed_size: 0
    .sgpr_count:     6
    .sgpr_spill_count: 0
    .symbol:         _ZN7rocprim17ROCPRIM_400000_NS6detail17trampoline_kernelINS0_14default_configENS1_22reduce_config_selectorIfEEZNS1_11reduce_implILb1ES3_PfS7_fN6thrust23THRUST_200600_302600_NS4plusIfEEEE10hipError_tPvRmT1_T2_T3_mT4_P12ihipStream_tbEUlT_E0_NS1_11comp_targetILNS1_3genE4ELNS1_11target_archE910ELNS1_3gpuE8ELNS1_3repE0EEENS1_30default_config_static_selectorELNS0_4arch9wavefront6targetE1EEEvSF_.kd
    .uniform_work_group_size: 1
    .uses_dynamic_stack: false
    .vgpr_count:     0
    .vgpr_spill_count: 0
    .wavefront_size: 64
  - .agpr_count:     0
    .args:
      - .offset:         0
        .size:           56
        .value_kind:     by_value
    .group_segment_fixed_size: 0
    .kernarg_segment_align: 8
    .kernarg_segment_size: 56
    .language:       OpenCL C
    .language_version:
      - 2
      - 0
    .max_flat_workgroup_size: 256
    .name:           _ZN7rocprim17ROCPRIM_400000_NS6detail17trampoline_kernelINS0_14default_configENS1_22reduce_config_selectorIfEEZNS1_11reduce_implILb1ES3_PfS7_fN6thrust23THRUST_200600_302600_NS4plusIfEEEE10hipError_tPvRmT1_T2_T3_mT4_P12ihipStream_tbEUlT_E0_NS1_11comp_targetILNS1_3genE3ELNS1_11target_archE908ELNS1_3gpuE7ELNS1_3repE0EEENS1_30default_config_static_selectorELNS0_4arch9wavefront6targetE1EEEvSF_
    .private_segment_fixed_size: 0
    .sgpr_count:     6
    .sgpr_spill_count: 0
    .symbol:         _ZN7rocprim17ROCPRIM_400000_NS6detail17trampoline_kernelINS0_14default_configENS1_22reduce_config_selectorIfEEZNS1_11reduce_implILb1ES3_PfS7_fN6thrust23THRUST_200600_302600_NS4plusIfEEEE10hipError_tPvRmT1_T2_T3_mT4_P12ihipStream_tbEUlT_E0_NS1_11comp_targetILNS1_3genE3ELNS1_11target_archE908ELNS1_3gpuE7ELNS1_3repE0EEENS1_30default_config_static_selectorELNS0_4arch9wavefront6targetE1EEEvSF_.kd
    .uniform_work_group_size: 1
    .uses_dynamic_stack: false
    .vgpr_count:     0
    .vgpr_spill_count: 0
    .wavefront_size: 64
  - .agpr_count:     0
    .args:
      - .offset:         0
        .size:           56
        .value_kind:     by_value
    .group_segment_fixed_size: 0
    .kernarg_segment_align: 8
    .kernarg_segment_size: 56
    .language:       OpenCL C
    .language_version:
      - 2
      - 0
    .max_flat_workgroup_size: 256
    .name:           _ZN7rocprim17ROCPRIM_400000_NS6detail17trampoline_kernelINS0_14default_configENS1_22reduce_config_selectorIfEEZNS1_11reduce_implILb1ES3_PfS7_fN6thrust23THRUST_200600_302600_NS4plusIfEEEE10hipError_tPvRmT1_T2_T3_mT4_P12ihipStream_tbEUlT_E0_NS1_11comp_targetILNS1_3genE2ELNS1_11target_archE906ELNS1_3gpuE6ELNS1_3repE0EEENS1_30default_config_static_selectorELNS0_4arch9wavefront6targetE1EEEvSF_
    .private_segment_fixed_size: 0
    .sgpr_count:     6
    .sgpr_spill_count: 0
    .symbol:         _ZN7rocprim17ROCPRIM_400000_NS6detail17trampoline_kernelINS0_14default_configENS1_22reduce_config_selectorIfEEZNS1_11reduce_implILb1ES3_PfS7_fN6thrust23THRUST_200600_302600_NS4plusIfEEEE10hipError_tPvRmT1_T2_T3_mT4_P12ihipStream_tbEUlT_E0_NS1_11comp_targetILNS1_3genE2ELNS1_11target_archE906ELNS1_3gpuE6ELNS1_3repE0EEENS1_30default_config_static_selectorELNS0_4arch9wavefront6targetE1EEEvSF_.kd
    .uniform_work_group_size: 1
    .uses_dynamic_stack: false
    .vgpr_count:     0
    .vgpr_spill_count: 0
    .wavefront_size: 64
  - .agpr_count:     0
    .args:
      - .offset:         0
        .size:           56
        .value_kind:     by_value
    .group_segment_fixed_size: 0
    .kernarg_segment_align: 8
    .kernarg_segment_size: 56
    .language:       OpenCL C
    .language_version:
      - 2
      - 0
    .max_flat_workgroup_size: 256
    .name:           _ZN7rocprim17ROCPRIM_400000_NS6detail17trampoline_kernelINS0_14default_configENS1_22reduce_config_selectorIfEEZNS1_11reduce_implILb1ES3_PfS7_fN6thrust23THRUST_200600_302600_NS4plusIfEEEE10hipError_tPvRmT1_T2_T3_mT4_P12ihipStream_tbEUlT_E0_NS1_11comp_targetILNS1_3genE10ELNS1_11target_archE1201ELNS1_3gpuE5ELNS1_3repE0EEENS1_30default_config_static_selectorELNS0_4arch9wavefront6targetE1EEEvSF_
    .private_segment_fixed_size: 0
    .sgpr_count:     6
    .sgpr_spill_count: 0
    .symbol:         _ZN7rocprim17ROCPRIM_400000_NS6detail17trampoline_kernelINS0_14default_configENS1_22reduce_config_selectorIfEEZNS1_11reduce_implILb1ES3_PfS7_fN6thrust23THRUST_200600_302600_NS4plusIfEEEE10hipError_tPvRmT1_T2_T3_mT4_P12ihipStream_tbEUlT_E0_NS1_11comp_targetILNS1_3genE10ELNS1_11target_archE1201ELNS1_3gpuE5ELNS1_3repE0EEENS1_30default_config_static_selectorELNS0_4arch9wavefront6targetE1EEEvSF_.kd
    .uniform_work_group_size: 1
    .uses_dynamic_stack: false
    .vgpr_count:     0
    .vgpr_spill_count: 0
    .wavefront_size: 64
  - .agpr_count:     0
    .args:
      - .offset:         0
        .size:           56
        .value_kind:     by_value
    .group_segment_fixed_size: 0
    .kernarg_segment_align: 8
    .kernarg_segment_size: 56
    .language:       OpenCL C
    .language_version:
      - 2
      - 0
    .max_flat_workgroup_size: 256
    .name:           _ZN7rocprim17ROCPRIM_400000_NS6detail17trampoline_kernelINS0_14default_configENS1_22reduce_config_selectorIfEEZNS1_11reduce_implILb1ES3_PfS7_fN6thrust23THRUST_200600_302600_NS4plusIfEEEE10hipError_tPvRmT1_T2_T3_mT4_P12ihipStream_tbEUlT_E0_NS1_11comp_targetILNS1_3genE10ELNS1_11target_archE1200ELNS1_3gpuE4ELNS1_3repE0EEENS1_30default_config_static_selectorELNS0_4arch9wavefront6targetE1EEEvSF_
    .private_segment_fixed_size: 0
    .sgpr_count:     6
    .sgpr_spill_count: 0
    .symbol:         _ZN7rocprim17ROCPRIM_400000_NS6detail17trampoline_kernelINS0_14default_configENS1_22reduce_config_selectorIfEEZNS1_11reduce_implILb1ES3_PfS7_fN6thrust23THRUST_200600_302600_NS4plusIfEEEE10hipError_tPvRmT1_T2_T3_mT4_P12ihipStream_tbEUlT_E0_NS1_11comp_targetILNS1_3genE10ELNS1_11target_archE1200ELNS1_3gpuE4ELNS1_3repE0EEENS1_30default_config_static_selectorELNS0_4arch9wavefront6targetE1EEEvSF_.kd
    .uniform_work_group_size: 1
    .uses_dynamic_stack: false
    .vgpr_count:     0
    .vgpr_spill_count: 0
    .wavefront_size: 64
  - .agpr_count:     0
    .args:
      - .offset:         0
        .size:           56
        .value_kind:     by_value
    .group_segment_fixed_size: 0
    .kernarg_segment_align: 8
    .kernarg_segment_size: 56
    .language:       OpenCL C
    .language_version:
      - 2
      - 0
    .max_flat_workgroup_size: 256
    .name:           _ZN7rocprim17ROCPRIM_400000_NS6detail17trampoline_kernelINS0_14default_configENS1_22reduce_config_selectorIfEEZNS1_11reduce_implILb1ES3_PfS7_fN6thrust23THRUST_200600_302600_NS4plusIfEEEE10hipError_tPvRmT1_T2_T3_mT4_P12ihipStream_tbEUlT_E0_NS1_11comp_targetILNS1_3genE9ELNS1_11target_archE1100ELNS1_3gpuE3ELNS1_3repE0EEENS1_30default_config_static_selectorELNS0_4arch9wavefront6targetE1EEEvSF_
    .private_segment_fixed_size: 0
    .sgpr_count:     6
    .sgpr_spill_count: 0
    .symbol:         _ZN7rocprim17ROCPRIM_400000_NS6detail17trampoline_kernelINS0_14default_configENS1_22reduce_config_selectorIfEEZNS1_11reduce_implILb1ES3_PfS7_fN6thrust23THRUST_200600_302600_NS4plusIfEEEE10hipError_tPvRmT1_T2_T3_mT4_P12ihipStream_tbEUlT_E0_NS1_11comp_targetILNS1_3genE9ELNS1_11target_archE1100ELNS1_3gpuE3ELNS1_3repE0EEENS1_30default_config_static_selectorELNS0_4arch9wavefront6targetE1EEEvSF_.kd
    .uniform_work_group_size: 1
    .uses_dynamic_stack: false
    .vgpr_count:     0
    .vgpr_spill_count: 0
    .wavefront_size: 64
  - .agpr_count:     0
    .args:
      - .offset:         0
        .size:           56
        .value_kind:     by_value
    .group_segment_fixed_size: 0
    .kernarg_segment_align: 8
    .kernarg_segment_size: 56
    .language:       OpenCL C
    .language_version:
      - 2
      - 0
    .max_flat_workgroup_size: 256
    .name:           _ZN7rocprim17ROCPRIM_400000_NS6detail17trampoline_kernelINS0_14default_configENS1_22reduce_config_selectorIfEEZNS1_11reduce_implILb1ES3_PfS7_fN6thrust23THRUST_200600_302600_NS4plusIfEEEE10hipError_tPvRmT1_T2_T3_mT4_P12ihipStream_tbEUlT_E0_NS1_11comp_targetILNS1_3genE8ELNS1_11target_archE1030ELNS1_3gpuE2ELNS1_3repE0EEENS1_30default_config_static_selectorELNS0_4arch9wavefront6targetE1EEEvSF_
    .private_segment_fixed_size: 0
    .sgpr_count:     6
    .sgpr_spill_count: 0
    .symbol:         _ZN7rocprim17ROCPRIM_400000_NS6detail17trampoline_kernelINS0_14default_configENS1_22reduce_config_selectorIfEEZNS1_11reduce_implILb1ES3_PfS7_fN6thrust23THRUST_200600_302600_NS4plusIfEEEE10hipError_tPvRmT1_T2_T3_mT4_P12ihipStream_tbEUlT_E0_NS1_11comp_targetILNS1_3genE8ELNS1_11target_archE1030ELNS1_3gpuE2ELNS1_3repE0EEENS1_30default_config_static_selectorELNS0_4arch9wavefront6targetE1EEEvSF_.kd
    .uniform_work_group_size: 1
    .uses_dynamic_stack: false
    .vgpr_count:     0
    .vgpr_spill_count: 0
    .wavefront_size: 64
  - .agpr_count:     0
    .args:
      - .offset:         0
        .size:           40
        .value_kind:     by_value
    .group_segment_fixed_size: 112
    .kernarg_segment_align: 8
    .kernarg_segment_size: 40
    .language:       OpenCL C
    .language_version:
      - 2
      - 0
    .max_flat_workgroup_size: 256
    .name:           _ZN7rocprim17ROCPRIM_400000_NS6detail17trampoline_kernelINS0_14default_configENS1_22reduce_config_selectorIfEEZNS1_11reduce_implILb1ES3_PfS7_fN6thrust23THRUST_200600_302600_NS4plusIfEEEE10hipError_tPvRmT1_T2_T3_mT4_P12ihipStream_tbEUlT_E1_NS1_11comp_targetILNS1_3genE0ELNS1_11target_archE4294967295ELNS1_3gpuE0ELNS1_3repE0EEENS1_30default_config_static_selectorELNS0_4arch9wavefront6targetE1EEEvSF_
    .private_segment_fixed_size: 0
    .sgpr_count:     83
    .sgpr_spill_count: 0
    .symbol:         _ZN7rocprim17ROCPRIM_400000_NS6detail17trampoline_kernelINS0_14default_configENS1_22reduce_config_selectorIfEEZNS1_11reduce_implILb1ES3_PfS7_fN6thrust23THRUST_200600_302600_NS4plusIfEEEE10hipError_tPvRmT1_T2_T3_mT4_P12ihipStream_tbEUlT_E1_NS1_11comp_targetILNS1_3genE0ELNS1_11target_archE4294967295ELNS1_3gpuE0ELNS1_3repE0EEENS1_30default_config_static_selectorELNS0_4arch9wavefront6targetE1EEEvSF_.kd
    .uniform_work_group_size: 1
    .uses_dynamic_stack: false
    .vgpr_count:     36
    .vgpr_spill_count: 0
    .wavefront_size: 64
  - .agpr_count:     0
    .args:
      - .offset:         0
        .size:           40
        .value_kind:     by_value
    .group_segment_fixed_size: 0
    .kernarg_segment_align: 8
    .kernarg_segment_size: 40
    .language:       OpenCL C
    .language_version:
      - 2
      - 0
    .max_flat_workgroup_size: 128
    .name:           _ZN7rocprim17ROCPRIM_400000_NS6detail17trampoline_kernelINS0_14default_configENS1_22reduce_config_selectorIfEEZNS1_11reduce_implILb1ES3_PfS7_fN6thrust23THRUST_200600_302600_NS4plusIfEEEE10hipError_tPvRmT1_T2_T3_mT4_P12ihipStream_tbEUlT_E1_NS1_11comp_targetILNS1_3genE5ELNS1_11target_archE942ELNS1_3gpuE9ELNS1_3repE0EEENS1_30default_config_static_selectorELNS0_4arch9wavefront6targetE1EEEvSF_
    .private_segment_fixed_size: 0
    .sgpr_count:     6
    .sgpr_spill_count: 0
    .symbol:         _ZN7rocprim17ROCPRIM_400000_NS6detail17trampoline_kernelINS0_14default_configENS1_22reduce_config_selectorIfEEZNS1_11reduce_implILb1ES3_PfS7_fN6thrust23THRUST_200600_302600_NS4plusIfEEEE10hipError_tPvRmT1_T2_T3_mT4_P12ihipStream_tbEUlT_E1_NS1_11comp_targetILNS1_3genE5ELNS1_11target_archE942ELNS1_3gpuE9ELNS1_3repE0EEENS1_30default_config_static_selectorELNS0_4arch9wavefront6targetE1EEEvSF_.kd
    .uniform_work_group_size: 1
    .uses_dynamic_stack: false
    .vgpr_count:     0
    .vgpr_spill_count: 0
    .wavefront_size: 64
  - .agpr_count:     0
    .args:
      - .offset:         0
        .size:           40
        .value_kind:     by_value
    .group_segment_fixed_size: 0
    .kernarg_segment_align: 8
    .kernarg_segment_size: 40
    .language:       OpenCL C
    .language_version:
      - 2
      - 0
    .max_flat_workgroup_size: 128
    .name:           _ZN7rocprim17ROCPRIM_400000_NS6detail17trampoline_kernelINS0_14default_configENS1_22reduce_config_selectorIfEEZNS1_11reduce_implILb1ES3_PfS7_fN6thrust23THRUST_200600_302600_NS4plusIfEEEE10hipError_tPvRmT1_T2_T3_mT4_P12ihipStream_tbEUlT_E1_NS1_11comp_targetILNS1_3genE4ELNS1_11target_archE910ELNS1_3gpuE8ELNS1_3repE0EEENS1_30default_config_static_selectorELNS0_4arch9wavefront6targetE1EEEvSF_
    .private_segment_fixed_size: 0
    .sgpr_count:     6
    .sgpr_spill_count: 0
    .symbol:         _ZN7rocprim17ROCPRIM_400000_NS6detail17trampoline_kernelINS0_14default_configENS1_22reduce_config_selectorIfEEZNS1_11reduce_implILb1ES3_PfS7_fN6thrust23THRUST_200600_302600_NS4plusIfEEEE10hipError_tPvRmT1_T2_T3_mT4_P12ihipStream_tbEUlT_E1_NS1_11comp_targetILNS1_3genE4ELNS1_11target_archE910ELNS1_3gpuE8ELNS1_3repE0EEENS1_30default_config_static_selectorELNS0_4arch9wavefront6targetE1EEEvSF_.kd
    .uniform_work_group_size: 1
    .uses_dynamic_stack: false
    .vgpr_count:     0
    .vgpr_spill_count: 0
    .wavefront_size: 64
  - .agpr_count:     0
    .args:
      - .offset:         0
        .size:           40
        .value_kind:     by_value
    .group_segment_fixed_size: 0
    .kernarg_segment_align: 8
    .kernarg_segment_size: 40
    .language:       OpenCL C
    .language_version:
      - 2
      - 0
    .max_flat_workgroup_size: 256
    .name:           _ZN7rocprim17ROCPRIM_400000_NS6detail17trampoline_kernelINS0_14default_configENS1_22reduce_config_selectorIfEEZNS1_11reduce_implILb1ES3_PfS7_fN6thrust23THRUST_200600_302600_NS4plusIfEEEE10hipError_tPvRmT1_T2_T3_mT4_P12ihipStream_tbEUlT_E1_NS1_11comp_targetILNS1_3genE3ELNS1_11target_archE908ELNS1_3gpuE7ELNS1_3repE0EEENS1_30default_config_static_selectorELNS0_4arch9wavefront6targetE1EEEvSF_
    .private_segment_fixed_size: 0
    .sgpr_count:     6
    .sgpr_spill_count: 0
    .symbol:         _ZN7rocprim17ROCPRIM_400000_NS6detail17trampoline_kernelINS0_14default_configENS1_22reduce_config_selectorIfEEZNS1_11reduce_implILb1ES3_PfS7_fN6thrust23THRUST_200600_302600_NS4plusIfEEEE10hipError_tPvRmT1_T2_T3_mT4_P12ihipStream_tbEUlT_E1_NS1_11comp_targetILNS1_3genE3ELNS1_11target_archE908ELNS1_3gpuE7ELNS1_3repE0EEENS1_30default_config_static_selectorELNS0_4arch9wavefront6targetE1EEEvSF_.kd
    .uniform_work_group_size: 1
    .uses_dynamic_stack: false
    .vgpr_count:     0
    .vgpr_spill_count: 0
    .wavefront_size: 64
  - .agpr_count:     0
    .args:
      - .offset:         0
        .size:           40
        .value_kind:     by_value
    .group_segment_fixed_size: 0
    .kernarg_segment_align: 8
    .kernarg_segment_size: 40
    .language:       OpenCL C
    .language_version:
      - 2
      - 0
    .max_flat_workgroup_size: 256
    .name:           _ZN7rocprim17ROCPRIM_400000_NS6detail17trampoline_kernelINS0_14default_configENS1_22reduce_config_selectorIfEEZNS1_11reduce_implILb1ES3_PfS7_fN6thrust23THRUST_200600_302600_NS4plusIfEEEE10hipError_tPvRmT1_T2_T3_mT4_P12ihipStream_tbEUlT_E1_NS1_11comp_targetILNS1_3genE2ELNS1_11target_archE906ELNS1_3gpuE6ELNS1_3repE0EEENS1_30default_config_static_selectorELNS0_4arch9wavefront6targetE1EEEvSF_
    .private_segment_fixed_size: 0
    .sgpr_count:     6
    .sgpr_spill_count: 0
    .symbol:         _ZN7rocprim17ROCPRIM_400000_NS6detail17trampoline_kernelINS0_14default_configENS1_22reduce_config_selectorIfEEZNS1_11reduce_implILb1ES3_PfS7_fN6thrust23THRUST_200600_302600_NS4plusIfEEEE10hipError_tPvRmT1_T2_T3_mT4_P12ihipStream_tbEUlT_E1_NS1_11comp_targetILNS1_3genE2ELNS1_11target_archE906ELNS1_3gpuE6ELNS1_3repE0EEENS1_30default_config_static_selectorELNS0_4arch9wavefront6targetE1EEEvSF_.kd
    .uniform_work_group_size: 1
    .uses_dynamic_stack: false
    .vgpr_count:     0
    .vgpr_spill_count: 0
    .wavefront_size: 64
  - .agpr_count:     0
    .args:
      - .offset:         0
        .size:           40
        .value_kind:     by_value
    .group_segment_fixed_size: 0
    .kernarg_segment_align: 8
    .kernarg_segment_size: 40
    .language:       OpenCL C
    .language_version:
      - 2
      - 0
    .max_flat_workgroup_size: 256
    .name:           _ZN7rocprim17ROCPRIM_400000_NS6detail17trampoline_kernelINS0_14default_configENS1_22reduce_config_selectorIfEEZNS1_11reduce_implILb1ES3_PfS7_fN6thrust23THRUST_200600_302600_NS4plusIfEEEE10hipError_tPvRmT1_T2_T3_mT4_P12ihipStream_tbEUlT_E1_NS1_11comp_targetILNS1_3genE10ELNS1_11target_archE1201ELNS1_3gpuE5ELNS1_3repE0EEENS1_30default_config_static_selectorELNS0_4arch9wavefront6targetE1EEEvSF_
    .private_segment_fixed_size: 0
    .sgpr_count:     6
    .sgpr_spill_count: 0
    .symbol:         _ZN7rocprim17ROCPRIM_400000_NS6detail17trampoline_kernelINS0_14default_configENS1_22reduce_config_selectorIfEEZNS1_11reduce_implILb1ES3_PfS7_fN6thrust23THRUST_200600_302600_NS4plusIfEEEE10hipError_tPvRmT1_T2_T3_mT4_P12ihipStream_tbEUlT_E1_NS1_11comp_targetILNS1_3genE10ELNS1_11target_archE1201ELNS1_3gpuE5ELNS1_3repE0EEENS1_30default_config_static_selectorELNS0_4arch9wavefront6targetE1EEEvSF_.kd
    .uniform_work_group_size: 1
    .uses_dynamic_stack: false
    .vgpr_count:     0
    .vgpr_spill_count: 0
    .wavefront_size: 64
  - .agpr_count:     0
    .args:
      - .offset:         0
        .size:           40
        .value_kind:     by_value
    .group_segment_fixed_size: 0
    .kernarg_segment_align: 8
    .kernarg_segment_size: 40
    .language:       OpenCL C
    .language_version:
      - 2
      - 0
    .max_flat_workgroup_size: 256
    .name:           _ZN7rocprim17ROCPRIM_400000_NS6detail17trampoline_kernelINS0_14default_configENS1_22reduce_config_selectorIfEEZNS1_11reduce_implILb1ES3_PfS7_fN6thrust23THRUST_200600_302600_NS4plusIfEEEE10hipError_tPvRmT1_T2_T3_mT4_P12ihipStream_tbEUlT_E1_NS1_11comp_targetILNS1_3genE10ELNS1_11target_archE1200ELNS1_3gpuE4ELNS1_3repE0EEENS1_30default_config_static_selectorELNS0_4arch9wavefront6targetE1EEEvSF_
    .private_segment_fixed_size: 0
    .sgpr_count:     6
    .sgpr_spill_count: 0
    .symbol:         _ZN7rocprim17ROCPRIM_400000_NS6detail17trampoline_kernelINS0_14default_configENS1_22reduce_config_selectorIfEEZNS1_11reduce_implILb1ES3_PfS7_fN6thrust23THRUST_200600_302600_NS4plusIfEEEE10hipError_tPvRmT1_T2_T3_mT4_P12ihipStream_tbEUlT_E1_NS1_11comp_targetILNS1_3genE10ELNS1_11target_archE1200ELNS1_3gpuE4ELNS1_3repE0EEENS1_30default_config_static_selectorELNS0_4arch9wavefront6targetE1EEEvSF_.kd
    .uniform_work_group_size: 1
    .uses_dynamic_stack: false
    .vgpr_count:     0
    .vgpr_spill_count: 0
    .wavefront_size: 64
  - .agpr_count:     0
    .args:
      - .offset:         0
        .size:           40
        .value_kind:     by_value
    .group_segment_fixed_size: 0
    .kernarg_segment_align: 8
    .kernarg_segment_size: 40
    .language:       OpenCL C
    .language_version:
      - 2
      - 0
    .max_flat_workgroup_size: 256
    .name:           _ZN7rocprim17ROCPRIM_400000_NS6detail17trampoline_kernelINS0_14default_configENS1_22reduce_config_selectorIfEEZNS1_11reduce_implILb1ES3_PfS7_fN6thrust23THRUST_200600_302600_NS4plusIfEEEE10hipError_tPvRmT1_T2_T3_mT4_P12ihipStream_tbEUlT_E1_NS1_11comp_targetILNS1_3genE9ELNS1_11target_archE1100ELNS1_3gpuE3ELNS1_3repE0EEENS1_30default_config_static_selectorELNS0_4arch9wavefront6targetE1EEEvSF_
    .private_segment_fixed_size: 0
    .sgpr_count:     6
    .sgpr_spill_count: 0
    .symbol:         _ZN7rocprim17ROCPRIM_400000_NS6detail17trampoline_kernelINS0_14default_configENS1_22reduce_config_selectorIfEEZNS1_11reduce_implILb1ES3_PfS7_fN6thrust23THRUST_200600_302600_NS4plusIfEEEE10hipError_tPvRmT1_T2_T3_mT4_P12ihipStream_tbEUlT_E1_NS1_11comp_targetILNS1_3genE9ELNS1_11target_archE1100ELNS1_3gpuE3ELNS1_3repE0EEENS1_30default_config_static_selectorELNS0_4arch9wavefront6targetE1EEEvSF_.kd
    .uniform_work_group_size: 1
    .uses_dynamic_stack: false
    .vgpr_count:     0
    .vgpr_spill_count: 0
    .wavefront_size: 64
  - .agpr_count:     0
    .args:
      - .offset:         0
        .size:           40
        .value_kind:     by_value
    .group_segment_fixed_size: 0
    .kernarg_segment_align: 8
    .kernarg_segment_size: 40
    .language:       OpenCL C
    .language_version:
      - 2
      - 0
    .max_flat_workgroup_size: 256
    .name:           _ZN7rocprim17ROCPRIM_400000_NS6detail17trampoline_kernelINS0_14default_configENS1_22reduce_config_selectorIfEEZNS1_11reduce_implILb1ES3_PfS7_fN6thrust23THRUST_200600_302600_NS4plusIfEEEE10hipError_tPvRmT1_T2_T3_mT4_P12ihipStream_tbEUlT_E1_NS1_11comp_targetILNS1_3genE8ELNS1_11target_archE1030ELNS1_3gpuE2ELNS1_3repE0EEENS1_30default_config_static_selectorELNS0_4arch9wavefront6targetE1EEEvSF_
    .private_segment_fixed_size: 0
    .sgpr_count:     6
    .sgpr_spill_count: 0
    .symbol:         _ZN7rocprim17ROCPRIM_400000_NS6detail17trampoline_kernelINS0_14default_configENS1_22reduce_config_selectorIfEEZNS1_11reduce_implILb1ES3_PfS7_fN6thrust23THRUST_200600_302600_NS4plusIfEEEE10hipError_tPvRmT1_T2_T3_mT4_P12ihipStream_tbEUlT_E1_NS1_11comp_targetILNS1_3genE8ELNS1_11target_archE1030ELNS1_3gpuE2ELNS1_3repE0EEENS1_30default_config_static_selectorELNS0_4arch9wavefront6targetE1EEEvSF_.kd
    .uniform_work_group_size: 1
    .uses_dynamic_stack: false
    .vgpr_count:     0
    .vgpr_spill_count: 0
    .wavefront_size: 64
  - .agpr_count:     0
    .args:
      - .offset:         0
        .size:           56
        .value_kind:     by_value
    .group_segment_fixed_size: 32
    .kernarg_segment_align: 8
    .kernarg_segment_size: 56
    .language:       OpenCL C
    .language_version:
      - 2
      - 0
    .max_flat_workgroup_size: 256
    .name:           _ZN7rocprim17ROCPRIM_400000_NS6detail17trampoline_kernelINS0_14default_configENS1_22reduce_config_selectorIfEEZNS1_11reduce_implILb1ES3_N6thrust23THRUST_200600_302600_NS6detail15normal_iteratorINS8_10device_ptrIfEEEEPffNS8_4plusIfEEEE10hipError_tPvRmT1_T2_T3_mT4_P12ihipStream_tbEUlT_E0_NS1_11comp_targetILNS1_3genE0ELNS1_11target_archE4294967295ELNS1_3gpuE0ELNS1_3repE0EEENS1_30default_config_static_selectorELNS0_4arch9wavefront6targetE1EEEvSK_
    .private_segment_fixed_size: 0
    .sgpr_count:     26
    .sgpr_spill_count: 0
    .symbol:         _ZN7rocprim17ROCPRIM_400000_NS6detail17trampoline_kernelINS0_14default_configENS1_22reduce_config_selectorIfEEZNS1_11reduce_implILb1ES3_N6thrust23THRUST_200600_302600_NS6detail15normal_iteratorINS8_10device_ptrIfEEEEPffNS8_4plusIfEEEE10hipError_tPvRmT1_T2_T3_mT4_P12ihipStream_tbEUlT_E0_NS1_11comp_targetILNS1_3genE0ELNS1_11target_archE4294967295ELNS1_3gpuE0ELNS1_3repE0EEENS1_30default_config_static_selectorELNS0_4arch9wavefront6targetE1EEEvSK_.kd
    .uniform_work_group_size: 1
    .uses_dynamic_stack: false
    .vgpr_count:     12
    .vgpr_spill_count: 0
    .wavefront_size: 64
  - .agpr_count:     0
    .args:
      - .offset:         0
        .size:           56
        .value_kind:     by_value
    .group_segment_fixed_size: 0
    .kernarg_segment_align: 8
    .kernarg_segment_size: 56
    .language:       OpenCL C
    .language_version:
      - 2
      - 0
    .max_flat_workgroup_size: 128
    .name:           _ZN7rocprim17ROCPRIM_400000_NS6detail17trampoline_kernelINS0_14default_configENS1_22reduce_config_selectorIfEEZNS1_11reduce_implILb1ES3_N6thrust23THRUST_200600_302600_NS6detail15normal_iteratorINS8_10device_ptrIfEEEEPffNS8_4plusIfEEEE10hipError_tPvRmT1_T2_T3_mT4_P12ihipStream_tbEUlT_E0_NS1_11comp_targetILNS1_3genE5ELNS1_11target_archE942ELNS1_3gpuE9ELNS1_3repE0EEENS1_30default_config_static_selectorELNS0_4arch9wavefront6targetE1EEEvSK_
    .private_segment_fixed_size: 0
    .sgpr_count:     6
    .sgpr_spill_count: 0
    .symbol:         _ZN7rocprim17ROCPRIM_400000_NS6detail17trampoline_kernelINS0_14default_configENS1_22reduce_config_selectorIfEEZNS1_11reduce_implILb1ES3_N6thrust23THRUST_200600_302600_NS6detail15normal_iteratorINS8_10device_ptrIfEEEEPffNS8_4plusIfEEEE10hipError_tPvRmT1_T2_T3_mT4_P12ihipStream_tbEUlT_E0_NS1_11comp_targetILNS1_3genE5ELNS1_11target_archE942ELNS1_3gpuE9ELNS1_3repE0EEENS1_30default_config_static_selectorELNS0_4arch9wavefront6targetE1EEEvSK_.kd
    .uniform_work_group_size: 1
    .uses_dynamic_stack: false
    .vgpr_count:     0
    .vgpr_spill_count: 0
    .wavefront_size: 64
  - .agpr_count:     0
    .args:
      - .offset:         0
        .size:           56
        .value_kind:     by_value
    .group_segment_fixed_size: 0
    .kernarg_segment_align: 8
    .kernarg_segment_size: 56
    .language:       OpenCL C
    .language_version:
      - 2
      - 0
    .max_flat_workgroup_size: 128
    .name:           _ZN7rocprim17ROCPRIM_400000_NS6detail17trampoline_kernelINS0_14default_configENS1_22reduce_config_selectorIfEEZNS1_11reduce_implILb1ES3_N6thrust23THRUST_200600_302600_NS6detail15normal_iteratorINS8_10device_ptrIfEEEEPffNS8_4plusIfEEEE10hipError_tPvRmT1_T2_T3_mT4_P12ihipStream_tbEUlT_E0_NS1_11comp_targetILNS1_3genE4ELNS1_11target_archE910ELNS1_3gpuE8ELNS1_3repE0EEENS1_30default_config_static_selectorELNS0_4arch9wavefront6targetE1EEEvSK_
    .private_segment_fixed_size: 0
    .sgpr_count:     6
    .sgpr_spill_count: 0
    .symbol:         _ZN7rocprim17ROCPRIM_400000_NS6detail17trampoline_kernelINS0_14default_configENS1_22reduce_config_selectorIfEEZNS1_11reduce_implILb1ES3_N6thrust23THRUST_200600_302600_NS6detail15normal_iteratorINS8_10device_ptrIfEEEEPffNS8_4plusIfEEEE10hipError_tPvRmT1_T2_T3_mT4_P12ihipStream_tbEUlT_E0_NS1_11comp_targetILNS1_3genE4ELNS1_11target_archE910ELNS1_3gpuE8ELNS1_3repE0EEENS1_30default_config_static_selectorELNS0_4arch9wavefront6targetE1EEEvSK_.kd
    .uniform_work_group_size: 1
    .uses_dynamic_stack: false
    .vgpr_count:     0
    .vgpr_spill_count: 0
    .wavefront_size: 64
  - .agpr_count:     0
    .args:
      - .offset:         0
        .size:           56
        .value_kind:     by_value
    .group_segment_fixed_size: 0
    .kernarg_segment_align: 8
    .kernarg_segment_size: 56
    .language:       OpenCL C
    .language_version:
      - 2
      - 0
    .max_flat_workgroup_size: 256
    .name:           _ZN7rocprim17ROCPRIM_400000_NS6detail17trampoline_kernelINS0_14default_configENS1_22reduce_config_selectorIfEEZNS1_11reduce_implILb1ES3_N6thrust23THRUST_200600_302600_NS6detail15normal_iteratorINS8_10device_ptrIfEEEEPffNS8_4plusIfEEEE10hipError_tPvRmT1_T2_T3_mT4_P12ihipStream_tbEUlT_E0_NS1_11comp_targetILNS1_3genE3ELNS1_11target_archE908ELNS1_3gpuE7ELNS1_3repE0EEENS1_30default_config_static_selectorELNS0_4arch9wavefront6targetE1EEEvSK_
    .private_segment_fixed_size: 0
    .sgpr_count:     6
    .sgpr_spill_count: 0
    .symbol:         _ZN7rocprim17ROCPRIM_400000_NS6detail17trampoline_kernelINS0_14default_configENS1_22reduce_config_selectorIfEEZNS1_11reduce_implILb1ES3_N6thrust23THRUST_200600_302600_NS6detail15normal_iteratorINS8_10device_ptrIfEEEEPffNS8_4plusIfEEEE10hipError_tPvRmT1_T2_T3_mT4_P12ihipStream_tbEUlT_E0_NS1_11comp_targetILNS1_3genE3ELNS1_11target_archE908ELNS1_3gpuE7ELNS1_3repE0EEENS1_30default_config_static_selectorELNS0_4arch9wavefront6targetE1EEEvSK_.kd
    .uniform_work_group_size: 1
    .uses_dynamic_stack: false
    .vgpr_count:     0
    .vgpr_spill_count: 0
    .wavefront_size: 64
  - .agpr_count:     0
    .args:
      - .offset:         0
        .size:           56
        .value_kind:     by_value
    .group_segment_fixed_size: 0
    .kernarg_segment_align: 8
    .kernarg_segment_size: 56
    .language:       OpenCL C
    .language_version:
      - 2
      - 0
    .max_flat_workgroup_size: 256
    .name:           _ZN7rocprim17ROCPRIM_400000_NS6detail17trampoline_kernelINS0_14default_configENS1_22reduce_config_selectorIfEEZNS1_11reduce_implILb1ES3_N6thrust23THRUST_200600_302600_NS6detail15normal_iteratorINS8_10device_ptrIfEEEEPffNS8_4plusIfEEEE10hipError_tPvRmT1_T2_T3_mT4_P12ihipStream_tbEUlT_E0_NS1_11comp_targetILNS1_3genE2ELNS1_11target_archE906ELNS1_3gpuE6ELNS1_3repE0EEENS1_30default_config_static_selectorELNS0_4arch9wavefront6targetE1EEEvSK_
    .private_segment_fixed_size: 0
    .sgpr_count:     6
    .sgpr_spill_count: 0
    .symbol:         _ZN7rocprim17ROCPRIM_400000_NS6detail17trampoline_kernelINS0_14default_configENS1_22reduce_config_selectorIfEEZNS1_11reduce_implILb1ES3_N6thrust23THRUST_200600_302600_NS6detail15normal_iteratorINS8_10device_ptrIfEEEEPffNS8_4plusIfEEEE10hipError_tPvRmT1_T2_T3_mT4_P12ihipStream_tbEUlT_E0_NS1_11comp_targetILNS1_3genE2ELNS1_11target_archE906ELNS1_3gpuE6ELNS1_3repE0EEENS1_30default_config_static_selectorELNS0_4arch9wavefront6targetE1EEEvSK_.kd
    .uniform_work_group_size: 1
    .uses_dynamic_stack: false
    .vgpr_count:     0
    .vgpr_spill_count: 0
    .wavefront_size: 64
  - .agpr_count:     0
    .args:
      - .offset:         0
        .size:           56
        .value_kind:     by_value
    .group_segment_fixed_size: 0
    .kernarg_segment_align: 8
    .kernarg_segment_size: 56
    .language:       OpenCL C
    .language_version:
      - 2
      - 0
    .max_flat_workgroup_size: 256
    .name:           _ZN7rocprim17ROCPRIM_400000_NS6detail17trampoline_kernelINS0_14default_configENS1_22reduce_config_selectorIfEEZNS1_11reduce_implILb1ES3_N6thrust23THRUST_200600_302600_NS6detail15normal_iteratorINS8_10device_ptrIfEEEEPffNS8_4plusIfEEEE10hipError_tPvRmT1_T2_T3_mT4_P12ihipStream_tbEUlT_E0_NS1_11comp_targetILNS1_3genE10ELNS1_11target_archE1201ELNS1_3gpuE5ELNS1_3repE0EEENS1_30default_config_static_selectorELNS0_4arch9wavefront6targetE1EEEvSK_
    .private_segment_fixed_size: 0
    .sgpr_count:     6
    .sgpr_spill_count: 0
    .symbol:         _ZN7rocprim17ROCPRIM_400000_NS6detail17trampoline_kernelINS0_14default_configENS1_22reduce_config_selectorIfEEZNS1_11reduce_implILb1ES3_N6thrust23THRUST_200600_302600_NS6detail15normal_iteratorINS8_10device_ptrIfEEEEPffNS8_4plusIfEEEE10hipError_tPvRmT1_T2_T3_mT4_P12ihipStream_tbEUlT_E0_NS1_11comp_targetILNS1_3genE10ELNS1_11target_archE1201ELNS1_3gpuE5ELNS1_3repE0EEENS1_30default_config_static_selectorELNS0_4arch9wavefront6targetE1EEEvSK_.kd
    .uniform_work_group_size: 1
    .uses_dynamic_stack: false
    .vgpr_count:     0
    .vgpr_spill_count: 0
    .wavefront_size: 64
  - .agpr_count:     0
    .args:
      - .offset:         0
        .size:           56
        .value_kind:     by_value
    .group_segment_fixed_size: 0
    .kernarg_segment_align: 8
    .kernarg_segment_size: 56
    .language:       OpenCL C
    .language_version:
      - 2
      - 0
    .max_flat_workgroup_size: 256
    .name:           _ZN7rocprim17ROCPRIM_400000_NS6detail17trampoline_kernelINS0_14default_configENS1_22reduce_config_selectorIfEEZNS1_11reduce_implILb1ES3_N6thrust23THRUST_200600_302600_NS6detail15normal_iteratorINS8_10device_ptrIfEEEEPffNS8_4plusIfEEEE10hipError_tPvRmT1_T2_T3_mT4_P12ihipStream_tbEUlT_E0_NS1_11comp_targetILNS1_3genE10ELNS1_11target_archE1200ELNS1_3gpuE4ELNS1_3repE0EEENS1_30default_config_static_selectorELNS0_4arch9wavefront6targetE1EEEvSK_
    .private_segment_fixed_size: 0
    .sgpr_count:     6
    .sgpr_spill_count: 0
    .symbol:         _ZN7rocprim17ROCPRIM_400000_NS6detail17trampoline_kernelINS0_14default_configENS1_22reduce_config_selectorIfEEZNS1_11reduce_implILb1ES3_N6thrust23THRUST_200600_302600_NS6detail15normal_iteratorINS8_10device_ptrIfEEEEPffNS8_4plusIfEEEE10hipError_tPvRmT1_T2_T3_mT4_P12ihipStream_tbEUlT_E0_NS1_11comp_targetILNS1_3genE10ELNS1_11target_archE1200ELNS1_3gpuE4ELNS1_3repE0EEENS1_30default_config_static_selectorELNS0_4arch9wavefront6targetE1EEEvSK_.kd
    .uniform_work_group_size: 1
    .uses_dynamic_stack: false
    .vgpr_count:     0
    .vgpr_spill_count: 0
    .wavefront_size: 64
  - .agpr_count:     0
    .args:
      - .offset:         0
        .size:           56
        .value_kind:     by_value
    .group_segment_fixed_size: 0
    .kernarg_segment_align: 8
    .kernarg_segment_size: 56
    .language:       OpenCL C
    .language_version:
      - 2
      - 0
    .max_flat_workgroup_size: 256
    .name:           _ZN7rocprim17ROCPRIM_400000_NS6detail17trampoline_kernelINS0_14default_configENS1_22reduce_config_selectorIfEEZNS1_11reduce_implILb1ES3_N6thrust23THRUST_200600_302600_NS6detail15normal_iteratorINS8_10device_ptrIfEEEEPffNS8_4plusIfEEEE10hipError_tPvRmT1_T2_T3_mT4_P12ihipStream_tbEUlT_E0_NS1_11comp_targetILNS1_3genE9ELNS1_11target_archE1100ELNS1_3gpuE3ELNS1_3repE0EEENS1_30default_config_static_selectorELNS0_4arch9wavefront6targetE1EEEvSK_
    .private_segment_fixed_size: 0
    .sgpr_count:     6
    .sgpr_spill_count: 0
    .symbol:         _ZN7rocprim17ROCPRIM_400000_NS6detail17trampoline_kernelINS0_14default_configENS1_22reduce_config_selectorIfEEZNS1_11reduce_implILb1ES3_N6thrust23THRUST_200600_302600_NS6detail15normal_iteratorINS8_10device_ptrIfEEEEPffNS8_4plusIfEEEE10hipError_tPvRmT1_T2_T3_mT4_P12ihipStream_tbEUlT_E0_NS1_11comp_targetILNS1_3genE9ELNS1_11target_archE1100ELNS1_3gpuE3ELNS1_3repE0EEENS1_30default_config_static_selectorELNS0_4arch9wavefront6targetE1EEEvSK_.kd
    .uniform_work_group_size: 1
    .uses_dynamic_stack: false
    .vgpr_count:     0
    .vgpr_spill_count: 0
    .wavefront_size: 64
  - .agpr_count:     0
    .args:
      - .offset:         0
        .size:           56
        .value_kind:     by_value
    .group_segment_fixed_size: 0
    .kernarg_segment_align: 8
    .kernarg_segment_size: 56
    .language:       OpenCL C
    .language_version:
      - 2
      - 0
    .max_flat_workgroup_size: 256
    .name:           _ZN7rocprim17ROCPRIM_400000_NS6detail17trampoline_kernelINS0_14default_configENS1_22reduce_config_selectorIfEEZNS1_11reduce_implILb1ES3_N6thrust23THRUST_200600_302600_NS6detail15normal_iteratorINS8_10device_ptrIfEEEEPffNS8_4plusIfEEEE10hipError_tPvRmT1_T2_T3_mT4_P12ihipStream_tbEUlT_E0_NS1_11comp_targetILNS1_3genE8ELNS1_11target_archE1030ELNS1_3gpuE2ELNS1_3repE0EEENS1_30default_config_static_selectorELNS0_4arch9wavefront6targetE1EEEvSK_
    .private_segment_fixed_size: 0
    .sgpr_count:     6
    .sgpr_spill_count: 0
    .symbol:         _ZN7rocprim17ROCPRIM_400000_NS6detail17trampoline_kernelINS0_14default_configENS1_22reduce_config_selectorIfEEZNS1_11reduce_implILb1ES3_N6thrust23THRUST_200600_302600_NS6detail15normal_iteratorINS8_10device_ptrIfEEEEPffNS8_4plusIfEEEE10hipError_tPvRmT1_T2_T3_mT4_P12ihipStream_tbEUlT_E0_NS1_11comp_targetILNS1_3genE8ELNS1_11target_archE1030ELNS1_3gpuE2ELNS1_3repE0EEENS1_30default_config_static_selectorELNS0_4arch9wavefront6targetE1EEEvSK_.kd
    .uniform_work_group_size: 1
    .uses_dynamic_stack: false
    .vgpr_count:     0
    .vgpr_spill_count: 0
    .wavefront_size: 64
  - .agpr_count:     0
    .args:
      - .offset:         0
        .size:           40
        .value_kind:     by_value
    .group_segment_fixed_size: 112
    .kernarg_segment_align: 8
    .kernarg_segment_size: 40
    .language:       OpenCL C
    .language_version:
      - 2
      - 0
    .max_flat_workgroup_size: 256
    .name:           _ZN7rocprim17ROCPRIM_400000_NS6detail17trampoline_kernelINS0_14default_configENS1_22reduce_config_selectorIfEEZNS1_11reduce_implILb1ES3_N6thrust23THRUST_200600_302600_NS6detail15normal_iteratorINS8_10device_ptrIfEEEEPffNS8_4plusIfEEEE10hipError_tPvRmT1_T2_T3_mT4_P12ihipStream_tbEUlT_E1_NS1_11comp_targetILNS1_3genE0ELNS1_11target_archE4294967295ELNS1_3gpuE0ELNS1_3repE0EEENS1_30default_config_static_selectorELNS0_4arch9wavefront6targetE1EEEvSK_
    .private_segment_fixed_size: 0
    .sgpr_count:     83
    .sgpr_spill_count: 0
    .symbol:         _ZN7rocprim17ROCPRIM_400000_NS6detail17trampoline_kernelINS0_14default_configENS1_22reduce_config_selectorIfEEZNS1_11reduce_implILb1ES3_N6thrust23THRUST_200600_302600_NS6detail15normal_iteratorINS8_10device_ptrIfEEEEPffNS8_4plusIfEEEE10hipError_tPvRmT1_T2_T3_mT4_P12ihipStream_tbEUlT_E1_NS1_11comp_targetILNS1_3genE0ELNS1_11target_archE4294967295ELNS1_3gpuE0ELNS1_3repE0EEENS1_30default_config_static_selectorELNS0_4arch9wavefront6targetE1EEEvSK_.kd
    .uniform_work_group_size: 1
    .uses_dynamic_stack: false
    .vgpr_count:     36
    .vgpr_spill_count: 0
    .wavefront_size: 64
  - .agpr_count:     0
    .args:
      - .offset:         0
        .size:           40
        .value_kind:     by_value
    .group_segment_fixed_size: 0
    .kernarg_segment_align: 8
    .kernarg_segment_size: 40
    .language:       OpenCL C
    .language_version:
      - 2
      - 0
    .max_flat_workgroup_size: 128
    .name:           _ZN7rocprim17ROCPRIM_400000_NS6detail17trampoline_kernelINS0_14default_configENS1_22reduce_config_selectorIfEEZNS1_11reduce_implILb1ES3_N6thrust23THRUST_200600_302600_NS6detail15normal_iteratorINS8_10device_ptrIfEEEEPffNS8_4plusIfEEEE10hipError_tPvRmT1_T2_T3_mT4_P12ihipStream_tbEUlT_E1_NS1_11comp_targetILNS1_3genE5ELNS1_11target_archE942ELNS1_3gpuE9ELNS1_3repE0EEENS1_30default_config_static_selectorELNS0_4arch9wavefront6targetE1EEEvSK_
    .private_segment_fixed_size: 0
    .sgpr_count:     6
    .sgpr_spill_count: 0
    .symbol:         _ZN7rocprim17ROCPRIM_400000_NS6detail17trampoline_kernelINS0_14default_configENS1_22reduce_config_selectorIfEEZNS1_11reduce_implILb1ES3_N6thrust23THRUST_200600_302600_NS6detail15normal_iteratorINS8_10device_ptrIfEEEEPffNS8_4plusIfEEEE10hipError_tPvRmT1_T2_T3_mT4_P12ihipStream_tbEUlT_E1_NS1_11comp_targetILNS1_3genE5ELNS1_11target_archE942ELNS1_3gpuE9ELNS1_3repE0EEENS1_30default_config_static_selectorELNS0_4arch9wavefront6targetE1EEEvSK_.kd
    .uniform_work_group_size: 1
    .uses_dynamic_stack: false
    .vgpr_count:     0
    .vgpr_spill_count: 0
    .wavefront_size: 64
  - .agpr_count:     0
    .args:
      - .offset:         0
        .size:           40
        .value_kind:     by_value
    .group_segment_fixed_size: 0
    .kernarg_segment_align: 8
    .kernarg_segment_size: 40
    .language:       OpenCL C
    .language_version:
      - 2
      - 0
    .max_flat_workgroup_size: 128
    .name:           _ZN7rocprim17ROCPRIM_400000_NS6detail17trampoline_kernelINS0_14default_configENS1_22reduce_config_selectorIfEEZNS1_11reduce_implILb1ES3_N6thrust23THRUST_200600_302600_NS6detail15normal_iteratorINS8_10device_ptrIfEEEEPffNS8_4plusIfEEEE10hipError_tPvRmT1_T2_T3_mT4_P12ihipStream_tbEUlT_E1_NS1_11comp_targetILNS1_3genE4ELNS1_11target_archE910ELNS1_3gpuE8ELNS1_3repE0EEENS1_30default_config_static_selectorELNS0_4arch9wavefront6targetE1EEEvSK_
    .private_segment_fixed_size: 0
    .sgpr_count:     6
    .sgpr_spill_count: 0
    .symbol:         _ZN7rocprim17ROCPRIM_400000_NS6detail17trampoline_kernelINS0_14default_configENS1_22reduce_config_selectorIfEEZNS1_11reduce_implILb1ES3_N6thrust23THRUST_200600_302600_NS6detail15normal_iteratorINS8_10device_ptrIfEEEEPffNS8_4plusIfEEEE10hipError_tPvRmT1_T2_T3_mT4_P12ihipStream_tbEUlT_E1_NS1_11comp_targetILNS1_3genE4ELNS1_11target_archE910ELNS1_3gpuE8ELNS1_3repE0EEENS1_30default_config_static_selectorELNS0_4arch9wavefront6targetE1EEEvSK_.kd
    .uniform_work_group_size: 1
    .uses_dynamic_stack: false
    .vgpr_count:     0
    .vgpr_spill_count: 0
    .wavefront_size: 64
  - .agpr_count:     0
    .args:
      - .offset:         0
        .size:           40
        .value_kind:     by_value
    .group_segment_fixed_size: 0
    .kernarg_segment_align: 8
    .kernarg_segment_size: 40
    .language:       OpenCL C
    .language_version:
      - 2
      - 0
    .max_flat_workgroup_size: 256
    .name:           _ZN7rocprim17ROCPRIM_400000_NS6detail17trampoline_kernelINS0_14default_configENS1_22reduce_config_selectorIfEEZNS1_11reduce_implILb1ES3_N6thrust23THRUST_200600_302600_NS6detail15normal_iteratorINS8_10device_ptrIfEEEEPffNS8_4plusIfEEEE10hipError_tPvRmT1_T2_T3_mT4_P12ihipStream_tbEUlT_E1_NS1_11comp_targetILNS1_3genE3ELNS1_11target_archE908ELNS1_3gpuE7ELNS1_3repE0EEENS1_30default_config_static_selectorELNS0_4arch9wavefront6targetE1EEEvSK_
    .private_segment_fixed_size: 0
    .sgpr_count:     6
    .sgpr_spill_count: 0
    .symbol:         _ZN7rocprim17ROCPRIM_400000_NS6detail17trampoline_kernelINS0_14default_configENS1_22reduce_config_selectorIfEEZNS1_11reduce_implILb1ES3_N6thrust23THRUST_200600_302600_NS6detail15normal_iteratorINS8_10device_ptrIfEEEEPffNS8_4plusIfEEEE10hipError_tPvRmT1_T2_T3_mT4_P12ihipStream_tbEUlT_E1_NS1_11comp_targetILNS1_3genE3ELNS1_11target_archE908ELNS1_3gpuE7ELNS1_3repE0EEENS1_30default_config_static_selectorELNS0_4arch9wavefront6targetE1EEEvSK_.kd
    .uniform_work_group_size: 1
    .uses_dynamic_stack: false
    .vgpr_count:     0
    .vgpr_spill_count: 0
    .wavefront_size: 64
  - .agpr_count:     0
    .args:
      - .offset:         0
        .size:           40
        .value_kind:     by_value
    .group_segment_fixed_size: 0
    .kernarg_segment_align: 8
    .kernarg_segment_size: 40
    .language:       OpenCL C
    .language_version:
      - 2
      - 0
    .max_flat_workgroup_size: 256
    .name:           _ZN7rocprim17ROCPRIM_400000_NS6detail17trampoline_kernelINS0_14default_configENS1_22reduce_config_selectorIfEEZNS1_11reduce_implILb1ES3_N6thrust23THRUST_200600_302600_NS6detail15normal_iteratorINS8_10device_ptrIfEEEEPffNS8_4plusIfEEEE10hipError_tPvRmT1_T2_T3_mT4_P12ihipStream_tbEUlT_E1_NS1_11comp_targetILNS1_3genE2ELNS1_11target_archE906ELNS1_3gpuE6ELNS1_3repE0EEENS1_30default_config_static_selectorELNS0_4arch9wavefront6targetE1EEEvSK_
    .private_segment_fixed_size: 0
    .sgpr_count:     6
    .sgpr_spill_count: 0
    .symbol:         _ZN7rocprim17ROCPRIM_400000_NS6detail17trampoline_kernelINS0_14default_configENS1_22reduce_config_selectorIfEEZNS1_11reduce_implILb1ES3_N6thrust23THRUST_200600_302600_NS6detail15normal_iteratorINS8_10device_ptrIfEEEEPffNS8_4plusIfEEEE10hipError_tPvRmT1_T2_T3_mT4_P12ihipStream_tbEUlT_E1_NS1_11comp_targetILNS1_3genE2ELNS1_11target_archE906ELNS1_3gpuE6ELNS1_3repE0EEENS1_30default_config_static_selectorELNS0_4arch9wavefront6targetE1EEEvSK_.kd
    .uniform_work_group_size: 1
    .uses_dynamic_stack: false
    .vgpr_count:     0
    .vgpr_spill_count: 0
    .wavefront_size: 64
  - .agpr_count:     0
    .args:
      - .offset:         0
        .size:           40
        .value_kind:     by_value
    .group_segment_fixed_size: 0
    .kernarg_segment_align: 8
    .kernarg_segment_size: 40
    .language:       OpenCL C
    .language_version:
      - 2
      - 0
    .max_flat_workgroup_size: 256
    .name:           _ZN7rocprim17ROCPRIM_400000_NS6detail17trampoline_kernelINS0_14default_configENS1_22reduce_config_selectorIfEEZNS1_11reduce_implILb1ES3_N6thrust23THRUST_200600_302600_NS6detail15normal_iteratorINS8_10device_ptrIfEEEEPffNS8_4plusIfEEEE10hipError_tPvRmT1_T2_T3_mT4_P12ihipStream_tbEUlT_E1_NS1_11comp_targetILNS1_3genE10ELNS1_11target_archE1201ELNS1_3gpuE5ELNS1_3repE0EEENS1_30default_config_static_selectorELNS0_4arch9wavefront6targetE1EEEvSK_
    .private_segment_fixed_size: 0
    .sgpr_count:     6
    .sgpr_spill_count: 0
    .symbol:         _ZN7rocprim17ROCPRIM_400000_NS6detail17trampoline_kernelINS0_14default_configENS1_22reduce_config_selectorIfEEZNS1_11reduce_implILb1ES3_N6thrust23THRUST_200600_302600_NS6detail15normal_iteratorINS8_10device_ptrIfEEEEPffNS8_4plusIfEEEE10hipError_tPvRmT1_T2_T3_mT4_P12ihipStream_tbEUlT_E1_NS1_11comp_targetILNS1_3genE10ELNS1_11target_archE1201ELNS1_3gpuE5ELNS1_3repE0EEENS1_30default_config_static_selectorELNS0_4arch9wavefront6targetE1EEEvSK_.kd
    .uniform_work_group_size: 1
    .uses_dynamic_stack: false
    .vgpr_count:     0
    .vgpr_spill_count: 0
    .wavefront_size: 64
  - .agpr_count:     0
    .args:
      - .offset:         0
        .size:           40
        .value_kind:     by_value
    .group_segment_fixed_size: 0
    .kernarg_segment_align: 8
    .kernarg_segment_size: 40
    .language:       OpenCL C
    .language_version:
      - 2
      - 0
    .max_flat_workgroup_size: 256
    .name:           _ZN7rocprim17ROCPRIM_400000_NS6detail17trampoline_kernelINS0_14default_configENS1_22reduce_config_selectorIfEEZNS1_11reduce_implILb1ES3_N6thrust23THRUST_200600_302600_NS6detail15normal_iteratorINS8_10device_ptrIfEEEEPffNS8_4plusIfEEEE10hipError_tPvRmT1_T2_T3_mT4_P12ihipStream_tbEUlT_E1_NS1_11comp_targetILNS1_3genE10ELNS1_11target_archE1200ELNS1_3gpuE4ELNS1_3repE0EEENS1_30default_config_static_selectorELNS0_4arch9wavefront6targetE1EEEvSK_
    .private_segment_fixed_size: 0
    .sgpr_count:     6
    .sgpr_spill_count: 0
    .symbol:         _ZN7rocprim17ROCPRIM_400000_NS6detail17trampoline_kernelINS0_14default_configENS1_22reduce_config_selectorIfEEZNS1_11reduce_implILb1ES3_N6thrust23THRUST_200600_302600_NS6detail15normal_iteratorINS8_10device_ptrIfEEEEPffNS8_4plusIfEEEE10hipError_tPvRmT1_T2_T3_mT4_P12ihipStream_tbEUlT_E1_NS1_11comp_targetILNS1_3genE10ELNS1_11target_archE1200ELNS1_3gpuE4ELNS1_3repE0EEENS1_30default_config_static_selectorELNS0_4arch9wavefront6targetE1EEEvSK_.kd
    .uniform_work_group_size: 1
    .uses_dynamic_stack: false
    .vgpr_count:     0
    .vgpr_spill_count: 0
    .wavefront_size: 64
  - .agpr_count:     0
    .args:
      - .offset:         0
        .size:           40
        .value_kind:     by_value
    .group_segment_fixed_size: 0
    .kernarg_segment_align: 8
    .kernarg_segment_size: 40
    .language:       OpenCL C
    .language_version:
      - 2
      - 0
    .max_flat_workgroup_size: 256
    .name:           _ZN7rocprim17ROCPRIM_400000_NS6detail17trampoline_kernelINS0_14default_configENS1_22reduce_config_selectorIfEEZNS1_11reduce_implILb1ES3_N6thrust23THRUST_200600_302600_NS6detail15normal_iteratorINS8_10device_ptrIfEEEEPffNS8_4plusIfEEEE10hipError_tPvRmT1_T2_T3_mT4_P12ihipStream_tbEUlT_E1_NS1_11comp_targetILNS1_3genE9ELNS1_11target_archE1100ELNS1_3gpuE3ELNS1_3repE0EEENS1_30default_config_static_selectorELNS0_4arch9wavefront6targetE1EEEvSK_
    .private_segment_fixed_size: 0
    .sgpr_count:     6
    .sgpr_spill_count: 0
    .symbol:         _ZN7rocprim17ROCPRIM_400000_NS6detail17trampoline_kernelINS0_14default_configENS1_22reduce_config_selectorIfEEZNS1_11reduce_implILb1ES3_N6thrust23THRUST_200600_302600_NS6detail15normal_iteratorINS8_10device_ptrIfEEEEPffNS8_4plusIfEEEE10hipError_tPvRmT1_T2_T3_mT4_P12ihipStream_tbEUlT_E1_NS1_11comp_targetILNS1_3genE9ELNS1_11target_archE1100ELNS1_3gpuE3ELNS1_3repE0EEENS1_30default_config_static_selectorELNS0_4arch9wavefront6targetE1EEEvSK_.kd
    .uniform_work_group_size: 1
    .uses_dynamic_stack: false
    .vgpr_count:     0
    .vgpr_spill_count: 0
    .wavefront_size: 64
  - .agpr_count:     0
    .args:
      - .offset:         0
        .size:           40
        .value_kind:     by_value
    .group_segment_fixed_size: 0
    .kernarg_segment_align: 8
    .kernarg_segment_size: 40
    .language:       OpenCL C
    .language_version:
      - 2
      - 0
    .max_flat_workgroup_size: 256
    .name:           _ZN7rocprim17ROCPRIM_400000_NS6detail17trampoline_kernelINS0_14default_configENS1_22reduce_config_selectorIfEEZNS1_11reduce_implILb1ES3_N6thrust23THRUST_200600_302600_NS6detail15normal_iteratorINS8_10device_ptrIfEEEEPffNS8_4plusIfEEEE10hipError_tPvRmT1_T2_T3_mT4_P12ihipStream_tbEUlT_E1_NS1_11comp_targetILNS1_3genE8ELNS1_11target_archE1030ELNS1_3gpuE2ELNS1_3repE0EEENS1_30default_config_static_selectorELNS0_4arch9wavefront6targetE1EEEvSK_
    .private_segment_fixed_size: 0
    .sgpr_count:     6
    .sgpr_spill_count: 0
    .symbol:         _ZN7rocprim17ROCPRIM_400000_NS6detail17trampoline_kernelINS0_14default_configENS1_22reduce_config_selectorIfEEZNS1_11reduce_implILb1ES3_N6thrust23THRUST_200600_302600_NS6detail15normal_iteratorINS8_10device_ptrIfEEEEPffNS8_4plusIfEEEE10hipError_tPvRmT1_T2_T3_mT4_P12ihipStream_tbEUlT_E1_NS1_11comp_targetILNS1_3genE8ELNS1_11target_archE1030ELNS1_3gpuE2ELNS1_3repE0EEENS1_30default_config_static_selectorELNS0_4arch9wavefront6targetE1EEEvSK_.kd
    .uniform_work_group_size: 1
    .uses_dynamic_stack: false
    .vgpr_count:     0
    .vgpr_spill_count: 0
    .wavefront_size: 64
  - .agpr_count:     0
    .args:
      - .offset:         0
        .size:           16
        .value_kind:     by_value
      - .offset:         16
        .size:           8
        .value_kind:     by_value
      - .offset:         24
        .size:           8
        .value_kind:     by_value
    .group_segment_fixed_size: 0
    .kernarg_segment_align: 8
    .kernarg_segment_size: 32
    .language:       OpenCL C
    .language_version:
      - 2
      - 0
    .max_flat_workgroup_size: 256
    .name:           _ZN6thrust23THRUST_200600_302600_NS11hip_rocprim14__parallel_for6kernelILj256ENS1_20__uninitialized_fill7functorINS0_10device_ptrIyEEyEEmLj1EEEvT0_T1_SA_
    .private_segment_fixed_size: 0
    .sgpr_count:     18
    .sgpr_spill_count: 0
    .symbol:         _ZN6thrust23THRUST_200600_302600_NS11hip_rocprim14__parallel_for6kernelILj256ENS1_20__uninitialized_fill7functorINS0_10device_ptrIyEEyEEmLj1EEEvT0_T1_SA_.kd
    .uniform_work_group_size: 1
    .uses_dynamic_stack: false
    .vgpr_count:     6
    .vgpr_spill_count: 0
    .wavefront_size: 64
  - .agpr_count:     0
    .args:
      - .offset:         0
        .size:           64
        .value_kind:     by_value
    .group_segment_fixed_size: 64
    .kernarg_segment_align: 8
    .kernarg_segment_size: 64
    .language:       OpenCL C
    .language_version:
      - 2
      - 0
    .max_flat_workgroup_size: 256
    .name:           _ZN7rocprim17ROCPRIM_400000_NS6detail17trampoline_kernelINS0_14default_configENS1_22reduce_config_selectorIyEEZNS1_11reduce_implILb1ES3_PyS7_yN6thrust23THRUST_200600_302600_NS4plusIyEEEE10hipError_tPvRmT1_T2_T3_mT4_P12ihipStream_tbEUlT_E0_NS1_11comp_targetILNS1_3genE0ELNS1_11target_archE4294967295ELNS1_3gpuE0ELNS1_3repE0EEENS1_30default_config_static_selectorELNS0_4arch9wavefront6targetE1EEEvSF_
    .private_segment_fixed_size: 0
    .sgpr_count:     54
    .sgpr_spill_count: 0
    .symbol:         _ZN7rocprim17ROCPRIM_400000_NS6detail17trampoline_kernelINS0_14default_configENS1_22reduce_config_selectorIyEEZNS1_11reduce_implILb1ES3_PyS7_yN6thrust23THRUST_200600_302600_NS4plusIyEEEE10hipError_tPvRmT1_T2_T3_mT4_P12ihipStream_tbEUlT_E0_NS1_11comp_targetILNS1_3genE0ELNS1_11target_archE4294967295ELNS1_3gpuE0ELNS1_3repE0EEENS1_30default_config_static_selectorELNS0_4arch9wavefront6targetE1EEEvSF_.kd
    .uniform_work_group_size: 1
    .uses_dynamic_stack: false
    .vgpr_count:     68
    .vgpr_spill_count: 0
    .wavefront_size: 64
  - .agpr_count:     0
    .args:
      - .offset:         0
        .size:           64
        .value_kind:     by_value
    .group_segment_fixed_size: 0
    .kernarg_segment_align: 8
    .kernarg_segment_size: 64
    .language:       OpenCL C
    .language_version:
      - 2
      - 0
    .max_flat_workgroup_size: 256
    .name:           _ZN7rocprim17ROCPRIM_400000_NS6detail17trampoline_kernelINS0_14default_configENS1_22reduce_config_selectorIyEEZNS1_11reduce_implILb1ES3_PyS7_yN6thrust23THRUST_200600_302600_NS4plusIyEEEE10hipError_tPvRmT1_T2_T3_mT4_P12ihipStream_tbEUlT_E0_NS1_11comp_targetILNS1_3genE5ELNS1_11target_archE942ELNS1_3gpuE9ELNS1_3repE0EEENS1_30default_config_static_selectorELNS0_4arch9wavefront6targetE1EEEvSF_
    .private_segment_fixed_size: 0
    .sgpr_count:     6
    .sgpr_spill_count: 0
    .symbol:         _ZN7rocprim17ROCPRIM_400000_NS6detail17trampoline_kernelINS0_14default_configENS1_22reduce_config_selectorIyEEZNS1_11reduce_implILb1ES3_PyS7_yN6thrust23THRUST_200600_302600_NS4plusIyEEEE10hipError_tPvRmT1_T2_T3_mT4_P12ihipStream_tbEUlT_E0_NS1_11comp_targetILNS1_3genE5ELNS1_11target_archE942ELNS1_3gpuE9ELNS1_3repE0EEENS1_30default_config_static_selectorELNS0_4arch9wavefront6targetE1EEEvSF_.kd
    .uniform_work_group_size: 1
    .uses_dynamic_stack: false
    .vgpr_count:     0
    .vgpr_spill_count: 0
    .wavefront_size: 64
  - .agpr_count:     0
    .args:
      - .offset:         0
        .size:           64
        .value_kind:     by_value
    .group_segment_fixed_size: 0
    .kernarg_segment_align: 8
    .kernarg_segment_size: 64
    .language:       OpenCL C
    .language_version:
      - 2
      - 0
    .max_flat_workgroup_size: 256
    .name:           _ZN7rocprim17ROCPRIM_400000_NS6detail17trampoline_kernelINS0_14default_configENS1_22reduce_config_selectorIyEEZNS1_11reduce_implILb1ES3_PyS7_yN6thrust23THRUST_200600_302600_NS4plusIyEEEE10hipError_tPvRmT1_T2_T3_mT4_P12ihipStream_tbEUlT_E0_NS1_11comp_targetILNS1_3genE4ELNS1_11target_archE910ELNS1_3gpuE8ELNS1_3repE0EEENS1_30default_config_static_selectorELNS0_4arch9wavefront6targetE1EEEvSF_
    .private_segment_fixed_size: 0
    .sgpr_count:     6
    .sgpr_spill_count: 0
    .symbol:         _ZN7rocprim17ROCPRIM_400000_NS6detail17trampoline_kernelINS0_14default_configENS1_22reduce_config_selectorIyEEZNS1_11reduce_implILb1ES3_PyS7_yN6thrust23THRUST_200600_302600_NS4plusIyEEEE10hipError_tPvRmT1_T2_T3_mT4_P12ihipStream_tbEUlT_E0_NS1_11comp_targetILNS1_3genE4ELNS1_11target_archE910ELNS1_3gpuE8ELNS1_3repE0EEENS1_30default_config_static_selectorELNS0_4arch9wavefront6targetE1EEEvSF_.kd
    .uniform_work_group_size: 1
    .uses_dynamic_stack: false
    .vgpr_count:     0
    .vgpr_spill_count: 0
    .wavefront_size: 64
  - .agpr_count:     0
    .args:
      - .offset:         0
        .size:           64
        .value_kind:     by_value
    .group_segment_fixed_size: 0
    .kernarg_segment_align: 8
    .kernarg_segment_size: 64
    .language:       OpenCL C
    .language_version:
      - 2
      - 0
    .max_flat_workgroup_size: 256
    .name:           _ZN7rocprim17ROCPRIM_400000_NS6detail17trampoline_kernelINS0_14default_configENS1_22reduce_config_selectorIyEEZNS1_11reduce_implILb1ES3_PyS7_yN6thrust23THRUST_200600_302600_NS4plusIyEEEE10hipError_tPvRmT1_T2_T3_mT4_P12ihipStream_tbEUlT_E0_NS1_11comp_targetILNS1_3genE3ELNS1_11target_archE908ELNS1_3gpuE7ELNS1_3repE0EEENS1_30default_config_static_selectorELNS0_4arch9wavefront6targetE1EEEvSF_
    .private_segment_fixed_size: 0
    .sgpr_count:     6
    .sgpr_spill_count: 0
    .symbol:         _ZN7rocprim17ROCPRIM_400000_NS6detail17trampoline_kernelINS0_14default_configENS1_22reduce_config_selectorIyEEZNS1_11reduce_implILb1ES3_PyS7_yN6thrust23THRUST_200600_302600_NS4plusIyEEEE10hipError_tPvRmT1_T2_T3_mT4_P12ihipStream_tbEUlT_E0_NS1_11comp_targetILNS1_3genE3ELNS1_11target_archE908ELNS1_3gpuE7ELNS1_3repE0EEENS1_30default_config_static_selectorELNS0_4arch9wavefront6targetE1EEEvSF_.kd
    .uniform_work_group_size: 1
    .uses_dynamic_stack: false
    .vgpr_count:     0
    .vgpr_spill_count: 0
    .wavefront_size: 64
  - .agpr_count:     0
    .args:
      - .offset:         0
        .size:           64
        .value_kind:     by_value
    .group_segment_fixed_size: 0
    .kernarg_segment_align: 8
    .kernarg_segment_size: 64
    .language:       OpenCL C
    .language_version:
      - 2
      - 0
    .max_flat_workgroup_size: 256
    .name:           _ZN7rocprim17ROCPRIM_400000_NS6detail17trampoline_kernelINS0_14default_configENS1_22reduce_config_selectorIyEEZNS1_11reduce_implILb1ES3_PyS7_yN6thrust23THRUST_200600_302600_NS4plusIyEEEE10hipError_tPvRmT1_T2_T3_mT4_P12ihipStream_tbEUlT_E0_NS1_11comp_targetILNS1_3genE2ELNS1_11target_archE906ELNS1_3gpuE6ELNS1_3repE0EEENS1_30default_config_static_selectorELNS0_4arch9wavefront6targetE1EEEvSF_
    .private_segment_fixed_size: 0
    .sgpr_count:     6
    .sgpr_spill_count: 0
    .symbol:         _ZN7rocprim17ROCPRIM_400000_NS6detail17trampoline_kernelINS0_14default_configENS1_22reduce_config_selectorIyEEZNS1_11reduce_implILb1ES3_PyS7_yN6thrust23THRUST_200600_302600_NS4plusIyEEEE10hipError_tPvRmT1_T2_T3_mT4_P12ihipStream_tbEUlT_E0_NS1_11comp_targetILNS1_3genE2ELNS1_11target_archE906ELNS1_3gpuE6ELNS1_3repE0EEENS1_30default_config_static_selectorELNS0_4arch9wavefront6targetE1EEEvSF_.kd
    .uniform_work_group_size: 1
    .uses_dynamic_stack: false
    .vgpr_count:     0
    .vgpr_spill_count: 0
    .wavefront_size: 64
  - .agpr_count:     0
    .args:
      - .offset:         0
        .size:           64
        .value_kind:     by_value
    .group_segment_fixed_size: 0
    .kernarg_segment_align: 8
    .kernarg_segment_size: 64
    .language:       OpenCL C
    .language_version:
      - 2
      - 0
    .max_flat_workgroup_size: 256
    .name:           _ZN7rocprim17ROCPRIM_400000_NS6detail17trampoline_kernelINS0_14default_configENS1_22reduce_config_selectorIyEEZNS1_11reduce_implILb1ES3_PyS7_yN6thrust23THRUST_200600_302600_NS4plusIyEEEE10hipError_tPvRmT1_T2_T3_mT4_P12ihipStream_tbEUlT_E0_NS1_11comp_targetILNS1_3genE10ELNS1_11target_archE1201ELNS1_3gpuE5ELNS1_3repE0EEENS1_30default_config_static_selectorELNS0_4arch9wavefront6targetE1EEEvSF_
    .private_segment_fixed_size: 0
    .sgpr_count:     6
    .sgpr_spill_count: 0
    .symbol:         _ZN7rocprim17ROCPRIM_400000_NS6detail17trampoline_kernelINS0_14default_configENS1_22reduce_config_selectorIyEEZNS1_11reduce_implILb1ES3_PyS7_yN6thrust23THRUST_200600_302600_NS4plusIyEEEE10hipError_tPvRmT1_T2_T3_mT4_P12ihipStream_tbEUlT_E0_NS1_11comp_targetILNS1_3genE10ELNS1_11target_archE1201ELNS1_3gpuE5ELNS1_3repE0EEENS1_30default_config_static_selectorELNS0_4arch9wavefront6targetE1EEEvSF_.kd
    .uniform_work_group_size: 1
    .uses_dynamic_stack: false
    .vgpr_count:     0
    .vgpr_spill_count: 0
    .wavefront_size: 64
  - .agpr_count:     0
    .args:
      - .offset:         0
        .size:           64
        .value_kind:     by_value
    .group_segment_fixed_size: 0
    .kernarg_segment_align: 8
    .kernarg_segment_size: 64
    .language:       OpenCL C
    .language_version:
      - 2
      - 0
    .max_flat_workgroup_size: 256
    .name:           _ZN7rocprim17ROCPRIM_400000_NS6detail17trampoline_kernelINS0_14default_configENS1_22reduce_config_selectorIyEEZNS1_11reduce_implILb1ES3_PyS7_yN6thrust23THRUST_200600_302600_NS4plusIyEEEE10hipError_tPvRmT1_T2_T3_mT4_P12ihipStream_tbEUlT_E0_NS1_11comp_targetILNS1_3genE10ELNS1_11target_archE1200ELNS1_3gpuE4ELNS1_3repE0EEENS1_30default_config_static_selectorELNS0_4arch9wavefront6targetE1EEEvSF_
    .private_segment_fixed_size: 0
    .sgpr_count:     6
    .sgpr_spill_count: 0
    .symbol:         _ZN7rocprim17ROCPRIM_400000_NS6detail17trampoline_kernelINS0_14default_configENS1_22reduce_config_selectorIyEEZNS1_11reduce_implILb1ES3_PyS7_yN6thrust23THRUST_200600_302600_NS4plusIyEEEE10hipError_tPvRmT1_T2_T3_mT4_P12ihipStream_tbEUlT_E0_NS1_11comp_targetILNS1_3genE10ELNS1_11target_archE1200ELNS1_3gpuE4ELNS1_3repE0EEENS1_30default_config_static_selectorELNS0_4arch9wavefront6targetE1EEEvSF_.kd
    .uniform_work_group_size: 1
    .uses_dynamic_stack: false
    .vgpr_count:     0
    .vgpr_spill_count: 0
    .wavefront_size: 64
  - .agpr_count:     0
    .args:
      - .offset:         0
        .size:           64
        .value_kind:     by_value
    .group_segment_fixed_size: 0
    .kernarg_segment_align: 8
    .kernarg_segment_size: 64
    .language:       OpenCL C
    .language_version:
      - 2
      - 0
    .max_flat_workgroup_size: 256
    .name:           _ZN7rocprim17ROCPRIM_400000_NS6detail17trampoline_kernelINS0_14default_configENS1_22reduce_config_selectorIyEEZNS1_11reduce_implILb1ES3_PyS7_yN6thrust23THRUST_200600_302600_NS4plusIyEEEE10hipError_tPvRmT1_T2_T3_mT4_P12ihipStream_tbEUlT_E0_NS1_11comp_targetILNS1_3genE9ELNS1_11target_archE1100ELNS1_3gpuE3ELNS1_3repE0EEENS1_30default_config_static_selectorELNS0_4arch9wavefront6targetE1EEEvSF_
    .private_segment_fixed_size: 0
    .sgpr_count:     6
    .sgpr_spill_count: 0
    .symbol:         _ZN7rocprim17ROCPRIM_400000_NS6detail17trampoline_kernelINS0_14default_configENS1_22reduce_config_selectorIyEEZNS1_11reduce_implILb1ES3_PyS7_yN6thrust23THRUST_200600_302600_NS4plusIyEEEE10hipError_tPvRmT1_T2_T3_mT4_P12ihipStream_tbEUlT_E0_NS1_11comp_targetILNS1_3genE9ELNS1_11target_archE1100ELNS1_3gpuE3ELNS1_3repE0EEENS1_30default_config_static_selectorELNS0_4arch9wavefront6targetE1EEEvSF_.kd
    .uniform_work_group_size: 1
    .uses_dynamic_stack: false
    .vgpr_count:     0
    .vgpr_spill_count: 0
    .wavefront_size: 64
  - .agpr_count:     0
    .args:
      - .offset:         0
        .size:           64
        .value_kind:     by_value
    .group_segment_fixed_size: 0
    .kernarg_segment_align: 8
    .kernarg_segment_size: 64
    .language:       OpenCL C
    .language_version:
      - 2
      - 0
    .max_flat_workgroup_size: 256
    .name:           _ZN7rocprim17ROCPRIM_400000_NS6detail17trampoline_kernelINS0_14default_configENS1_22reduce_config_selectorIyEEZNS1_11reduce_implILb1ES3_PyS7_yN6thrust23THRUST_200600_302600_NS4plusIyEEEE10hipError_tPvRmT1_T2_T3_mT4_P12ihipStream_tbEUlT_E0_NS1_11comp_targetILNS1_3genE8ELNS1_11target_archE1030ELNS1_3gpuE2ELNS1_3repE0EEENS1_30default_config_static_selectorELNS0_4arch9wavefront6targetE1EEEvSF_
    .private_segment_fixed_size: 0
    .sgpr_count:     6
    .sgpr_spill_count: 0
    .symbol:         _ZN7rocprim17ROCPRIM_400000_NS6detail17trampoline_kernelINS0_14default_configENS1_22reduce_config_selectorIyEEZNS1_11reduce_implILb1ES3_PyS7_yN6thrust23THRUST_200600_302600_NS4plusIyEEEE10hipError_tPvRmT1_T2_T3_mT4_P12ihipStream_tbEUlT_E0_NS1_11comp_targetILNS1_3genE8ELNS1_11target_archE1030ELNS1_3gpuE2ELNS1_3repE0EEENS1_30default_config_static_selectorELNS0_4arch9wavefront6targetE1EEEvSF_.kd
    .uniform_work_group_size: 1
    .uses_dynamic_stack: false
    .vgpr_count:     0
    .vgpr_spill_count: 0
    .wavefront_size: 64
  - .agpr_count:     0
    .args:
      - .offset:         0
        .size:           48
        .value_kind:     by_value
    .group_segment_fixed_size: 192
    .kernarg_segment_align: 8
    .kernarg_segment_size: 48
    .language:       OpenCL C
    .language_version:
      - 2
      - 0
    .max_flat_workgroup_size: 256
    .name:           _ZN7rocprim17ROCPRIM_400000_NS6detail17trampoline_kernelINS0_14default_configENS1_22reduce_config_selectorIyEEZNS1_11reduce_implILb1ES3_PyS7_yN6thrust23THRUST_200600_302600_NS4plusIyEEEE10hipError_tPvRmT1_T2_T3_mT4_P12ihipStream_tbEUlT_E1_NS1_11comp_targetILNS1_3genE0ELNS1_11target_archE4294967295ELNS1_3gpuE0ELNS1_3repE0EEENS1_30default_config_static_selectorELNS0_4arch9wavefront6targetE1EEEvSF_
    .private_segment_fixed_size: 0
    .sgpr_count:     53
    .sgpr_spill_count: 0
    .symbol:         _ZN7rocprim17ROCPRIM_400000_NS6detail17trampoline_kernelINS0_14default_configENS1_22reduce_config_selectorIyEEZNS1_11reduce_implILb1ES3_PyS7_yN6thrust23THRUST_200600_302600_NS4plusIyEEEE10hipError_tPvRmT1_T2_T3_mT4_P12ihipStream_tbEUlT_E1_NS1_11comp_targetILNS1_3genE0ELNS1_11target_archE4294967295ELNS1_3gpuE0ELNS1_3repE0EEENS1_30default_config_static_selectorELNS0_4arch9wavefront6targetE1EEEvSF_.kd
    .uniform_work_group_size: 1
    .uses_dynamic_stack: false
    .vgpr_count:     48
    .vgpr_spill_count: 0
    .wavefront_size: 64
  - .agpr_count:     0
    .args:
      - .offset:         0
        .size:           48
        .value_kind:     by_value
    .group_segment_fixed_size: 0
    .kernarg_segment_align: 8
    .kernarg_segment_size: 48
    .language:       OpenCL C
    .language_version:
      - 2
      - 0
    .max_flat_workgroup_size: 256
    .name:           _ZN7rocprim17ROCPRIM_400000_NS6detail17trampoline_kernelINS0_14default_configENS1_22reduce_config_selectorIyEEZNS1_11reduce_implILb1ES3_PyS7_yN6thrust23THRUST_200600_302600_NS4plusIyEEEE10hipError_tPvRmT1_T2_T3_mT4_P12ihipStream_tbEUlT_E1_NS1_11comp_targetILNS1_3genE5ELNS1_11target_archE942ELNS1_3gpuE9ELNS1_3repE0EEENS1_30default_config_static_selectorELNS0_4arch9wavefront6targetE1EEEvSF_
    .private_segment_fixed_size: 0
    .sgpr_count:     6
    .sgpr_spill_count: 0
    .symbol:         _ZN7rocprim17ROCPRIM_400000_NS6detail17trampoline_kernelINS0_14default_configENS1_22reduce_config_selectorIyEEZNS1_11reduce_implILb1ES3_PyS7_yN6thrust23THRUST_200600_302600_NS4plusIyEEEE10hipError_tPvRmT1_T2_T3_mT4_P12ihipStream_tbEUlT_E1_NS1_11comp_targetILNS1_3genE5ELNS1_11target_archE942ELNS1_3gpuE9ELNS1_3repE0EEENS1_30default_config_static_selectorELNS0_4arch9wavefront6targetE1EEEvSF_.kd
    .uniform_work_group_size: 1
    .uses_dynamic_stack: false
    .vgpr_count:     0
    .vgpr_spill_count: 0
    .wavefront_size: 64
  - .agpr_count:     0
    .args:
      - .offset:         0
        .size:           48
        .value_kind:     by_value
    .group_segment_fixed_size: 0
    .kernarg_segment_align: 8
    .kernarg_segment_size: 48
    .language:       OpenCL C
    .language_version:
      - 2
      - 0
    .max_flat_workgroup_size: 256
    .name:           _ZN7rocprim17ROCPRIM_400000_NS6detail17trampoline_kernelINS0_14default_configENS1_22reduce_config_selectorIyEEZNS1_11reduce_implILb1ES3_PyS7_yN6thrust23THRUST_200600_302600_NS4plusIyEEEE10hipError_tPvRmT1_T2_T3_mT4_P12ihipStream_tbEUlT_E1_NS1_11comp_targetILNS1_3genE4ELNS1_11target_archE910ELNS1_3gpuE8ELNS1_3repE0EEENS1_30default_config_static_selectorELNS0_4arch9wavefront6targetE1EEEvSF_
    .private_segment_fixed_size: 0
    .sgpr_count:     6
    .sgpr_spill_count: 0
    .symbol:         _ZN7rocprim17ROCPRIM_400000_NS6detail17trampoline_kernelINS0_14default_configENS1_22reduce_config_selectorIyEEZNS1_11reduce_implILb1ES3_PyS7_yN6thrust23THRUST_200600_302600_NS4plusIyEEEE10hipError_tPvRmT1_T2_T3_mT4_P12ihipStream_tbEUlT_E1_NS1_11comp_targetILNS1_3genE4ELNS1_11target_archE910ELNS1_3gpuE8ELNS1_3repE0EEENS1_30default_config_static_selectorELNS0_4arch9wavefront6targetE1EEEvSF_.kd
    .uniform_work_group_size: 1
    .uses_dynamic_stack: false
    .vgpr_count:     0
    .vgpr_spill_count: 0
    .wavefront_size: 64
  - .agpr_count:     0
    .args:
      - .offset:         0
        .size:           48
        .value_kind:     by_value
    .group_segment_fixed_size: 0
    .kernarg_segment_align: 8
    .kernarg_segment_size: 48
    .language:       OpenCL C
    .language_version:
      - 2
      - 0
    .max_flat_workgroup_size: 256
    .name:           _ZN7rocprim17ROCPRIM_400000_NS6detail17trampoline_kernelINS0_14default_configENS1_22reduce_config_selectorIyEEZNS1_11reduce_implILb1ES3_PyS7_yN6thrust23THRUST_200600_302600_NS4plusIyEEEE10hipError_tPvRmT1_T2_T3_mT4_P12ihipStream_tbEUlT_E1_NS1_11comp_targetILNS1_3genE3ELNS1_11target_archE908ELNS1_3gpuE7ELNS1_3repE0EEENS1_30default_config_static_selectorELNS0_4arch9wavefront6targetE1EEEvSF_
    .private_segment_fixed_size: 0
    .sgpr_count:     6
    .sgpr_spill_count: 0
    .symbol:         _ZN7rocprim17ROCPRIM_400000_NS6detail17trampoline_kernelINS0_14default_configENS1_22reduce_config_selectorIyEEZNS1_11reduce_implILb1ES3_PyS7_yN6thrust23THRUST_200600_302600_NS4plusIyEEEE10hipError_tPvRmT1_T2_T3_mT4_P12ihipStream_tbEUlT_E1_NS1_11comp_targetILNS1_3genE3ELNS1_11target_archE908ELNS1_3gpuE7ELNS1_3repE0EEENS1_30default_config_static_selectorELNS0_4arch9wavefront6targetE1EEEvSF_.kd
    .uniform_work_group_size: 1
    .uses_dynamic_stack: false
    .vgpr_count:     0
    .vgpr_spill_count: 0
    .wavefront_size: 64
  - .agpr_count:     0
    .args:
      - .offset:         0
        .size:           48
        .value_kind:     by_value
    .group_segment_fixed_size: 0
    .kernarg_segment_align: 8
    .kernarg_segment_size: 48
    .language:       OpenCL C
    .language_version:
      - 2
      - 0
    .max_flat_workgroup_size: 256
    .name:           _ZN7rocprim17ROCPRIM_400000_NS6detail17trampoline_kernelINS0_14default_configENS1_22reduce_config_selectorIyEEZNS1_11reduce_implILb1ES3_PyS7_yN6thrust23THRUST_200600_302600_NS4plusIyEEEE10hipError_tPvRmT1_T2_T3_mT4_P12ihipStream_tbEUlT_E1_NS1_11comp_targetILNS1_3genE2ELNS1_11target_archE906ELNS1_3gpuE6ELNS1_3repE0EEENS1_30default_config_static_selectorELNS0_4arch9wavefront6targetE1EEEvSF_
    .private_segment_fixed_size: 0
    .sgpr_count:     6
    .sgpr_spill_count: 0
    .symbol:         _ZN7rocprim17ROCPRIM_400000_NS6detail17trampoline_kernelINS0_14default_configENS1_22reduce_config_selectorIyEEZNS1_11reduce_implILb1ES3_PyS7_yN6thrust23THRUST_200600_302600_NS4plusIyEEEE10hipError_tPvRmT1_T2_T3_mT4_P12ihipStream_tbEUlT_E1_NS1_11comp_targetILNS1_3genE2ELNS1_11target_archE906ELNS1_3gpuE6ELNS1_3repE0EEENS1_30default_config_static_selectorELNS0_4arch9wavefront6targetE1EEEvSF_.kd
    .uniform_work_group_size: 1
    .uses_dynamic_stack: false
    .vgpr_count:     0
    .vgpr_spill_count: 0
    .wavefront_size: 64
  - .agpr_count:     0
    .args:
      - .offset:         0
        .size:           48
        .value_kind:     by_value
    .group_segment_fixed_size: 0
    .kernarg_segment_align: 8
    .kernarg_segment_size: 48
    .language:       OpenCL C
    .language_version:
      - 2
      - 0
    .max_flat_workgroup_size: 256
    .name:           _ZN7rocprim17ROCPRIM_400000_NS6detail17trampoline_kernelINS0_14default_configENS1_22reduce_config_selectorIyEEZNS1_11reduce_implILb1ES3_PyS7_yN6thrust23THRUST_200600_302600_NS4plusIyEEEE10hipError_tPvRmT1_T2_T3_mT4_P12ihipStream_tbEUlT_E1_NS1_11comp_targetILNS1_3genE10ELNS1_11target_archE1201ELNS1_3gpuE5ELNS1_3repE0EEENS1_30default_config_static_selectorELNS0_4arch9wavefront6targetE1EEEvSF_
    .private_segment_fixed_size: 0
    .sgpr_count:     6
    .sgpr_spill_count: 0
    .symbol:         _ZN7rocprim17ROCPRIM_400000_NS6detail17trampoline_kernelINS0_14default_configENS1_22reduce_config_selectorIyEEZNS1_11reduce_implILb1ES3_PyS7_yN6thrust23THRUST_200600_302600_NS4plusIyEEEE10hipError_tPvRmT1_T2_T3_mT4_P12ihipStream_tbEUlT_E1_NS1_11comp_targetILNS1_3genE10ELNS1_11target_archE1201ELNS1_3gpuE5ELNS1_3repE0EEENS1_30default_config_static_selectorELNS0_4arch9wavefront6targetE1EEEvSF_.kd
    .uniform_work_group_size: 1
    .uses_dynamic_stack: false
    .vgpr_count:     0
    .vgpr_spill_count: 0
    .wavefront_size: 64
  - .agpr_count:     0
    .args:
      - .offset:         0
        .size:           48
        .value_kind:     by_value
    .group_segment_fixed_size: 0
    .kernarg_segment_align: 8
    .kernarg_segment_size: 48
    .language:       OpenCL C
    .language_version:
      - 2
      - 0
    .max_flat_workgroup_size: 256
    .name:           _ZN7rocprim17ROCPRIM_400000_NS6detail17trampoline_kernelINS0_14default_configENS1_22reduce_config_selectorIyEEZNS1_11reduce_implILb1ES3_PyS7_yN6thrust23THRUST_200600_302600_NS4plusIyEEEE10hipError_tPvRmT1_T2_T3_mT4_P12ihipStream_tbEUlT_E1_NS1_11comp_targetILNS1_3genE10ELNS1_11target_archE1200ELNS1_3gpuE4ELNS1_3repE0EEENS1_30default_config_static_selectorELNS0_4arch9wavefront6targetE1EEEvSF_
    .private_segment_fixed_size: 0
    .sgpr_count:     6
    .sgpr_spill_count: 0
    .symbol:         _ZN7rocprim17ROCPRIM_400000_NS6detail17trampoline_kernelINS0_14default_configENS1_22reduce_config_selectorIyEEZNS1_11reduce_implILb1ES3_PyS7_yN6thrust23THRUST_200600_302600_NS4plusIyEEEE10hipError_tPvRmT1_T2_T3_mT4_P12ihipStream_tbEUlT_E1_NS1_11comp_targetILNS1_3genE10ELNS1_11target_archE1200ELNS1_3gpuE4ELNS1_3repE0EEENS1_30default_config_static_selectorELNS0_4arch9wavefront6targetE1EEEvSF_.kd
    .uniform_work_group_size: 1
    .uses_dynamic_stack: false
    .vgpr_count:     0
    .vgpr_spill_count: 0
    .wavefront_size: 64
  - .agpr_count:     0
    .args:
      - .offset:         0
        .size:           48
        .value_kind:     by_value
    .group_segment_fixed_size: 0
    .kernarg_segment_align: 8
    .kernarg_segment_size: 48
    .language:       OpenCL C
    .language_version:
      - 2
      - 0
    .max_flat_workgroup_size: 256
    .name:           _ZN7rocprim17ROCPRIM_400000_NS6detail17trampoline_kernelINS0_14default_configENS1_22reduce_config_selectorIyEEZNS1_11reduce_implILb1ES3_PyS7_yN6thrust23THRUST_200600_302600_NS4plusIyEEEE10hipError_tPvRmT1_T2_T3_mT4_P12ihipStream_tbEUlT_E1_NS1_11comp_targetILNS1_3genE9ELNS1_11target_archE1100ELNS1_3gpuE3ELNS1_3repE0EEENS1_30default_config_static_selectorELNS0_4arch9wavefront6targetE1EEEvSF_
    .private_segment_fixed_size: 0
    .sgpr_count:     6
    .sgpr_spill_count: 0
    .symbol:         _ZN7rocprim17ROCPRIM_400000_NS6detail17trampoline_kernelINS0_14default_configENS1_22reduce_config_selectorIyEEZNS1_11reduce_implILb1ES3_PyS7_yN6thrust23THRUST_200600_302600_NS4plusIyEEEE10hipError_tPvRmT1_T2_T3_mT4_P12ihipStream_tbEUlT_E1_NS1_11comp_targetILNS1_3genE9ELNS1_11target_archE1100ELNS1_3gpuE3ELNS1_3repE0EEENS1_30default_config_static_selectorELNS0_4arch9wavefront6targetE1EEEvSF_.kd
    .uniform_work_group_size: 1
    .uses_dynamic_stack: false
    .vgpr_count:     0
    .vgpr_spill_count: 0
    .wavefront_size: 64
  - .agpr_count:     0
    .args:
      - .offset:         0
        .size:           48
        .value_kind:     by_value
    .group_segment_fixed_size: 0
    .kernarg_segment_align: 8
    .kernarg_segment_size: 48
    .language:       OpenCL C
    .language_version:
      - 2
      - 0
    .max_flat_workgroup_size: 256
    .name:           _ZN7rocprim17ROCPRIM_400000_NS6detail17trampoline_kernelINS0_14default_configENS1_22reduce_config_selectorIyEEZNS1_11reduce_implILb1ES3_PyS7_yN6thrust23THRUST_200600_302600_NS4plusIyEEEE10hipError_tPvRmT1_T2_T3_mT4_P12ihipStream_tbEUlT_E1_NS1_11comp_targetILNS1_3genE8ELNS1_11target_archE1030ELNS1_3gpuE2ELNS1_3repE0EEENS1_30default_config_static_selectorELNS0_4arch9wavefront6targetE1EEEvSF_
    .private_segment_fixed_size: 0
    .sgpr_count:     6
    .sgpr_spill_count: 0
    .symbol:         _ZN7rocprim17ROCPRIM_400000_NS6detail17trampoline_kernelINS0_14default_configENS1_22reduce_config_selectorIyEEZNS1_11reduce_implILb1ES3_PyS7_yN6thrust23THRUST_200600_302600_NS4plusIyEEEE10hipError_tPvRmT1_T2_T3_mT4_P12ihipStream_tbEUlT_E1_NS1_11comp_targetILNS1_3genE8ELNS1_11target_archE1030ELNS1_3gpuE2ELNS1_3repE0EEENS1_30default_config_static_selectorELNS0_4arch9wavefront6targetE1EEEvSF_.kd
    .uniform_work_group_size: 1
    .uses_dynamic_stack: false
    .vgpr_count:     0
    .vgpr_spill_count: 0
    .wavefront_size: 64
  - .agpr_count:     0
    .args:
      - .offset:         0
        .size:           64
        .value_kind:     by_value
    .group_segment_fixed_size: 64
    .kernarg_segment_align: 8
    .kernarg_segment_size: 64
    .language:       OpenCL C
    .language_version:
      - 2
      - 0
    .max_flat_workgroup_size: 256
    .name:           _ZN7rocprim17ROCPRIM_400000_NS6detail17trampoline_kernelINS0_14default_configENS1_22reduce_config_selectorIyEEZNS1_11reduce_implILb1ES3_N6thrust23THRUST_200600_302600_NS6detail15normal_iteratorINS8_10device_ptrIyEEEEPyyNS8_4plusIyEEEE10hipError_tPvRmT1_T2_T3_mT4_P12ihipStream_tbEUlT_E0_NS1_11comp_targetILNS1_3genE0ELNS1_11target_archE4294967295ELNS1_3gpuE0ELNS1_3repE0EEENS1_30default_config_static_selectorELNS0_4arch9wavefront6targetE1EEEvSK_
    .private_segment_fixed_size: 0
    .sgpr_count:     54
    .sgpr_spill_count: 0
    .symbol:         _ZN7rocprim17ROCPRIM_400000_NS6detail17trampoline_kernelINS0_14default_configENS1_22reduce_config_selectorIyEEZNS1_11reduce_implILb1ES3_N6thrust23THRUST_200600_302600_NS6detail15normal_iteratorINS8_10device_ptrIyEEEEPyyNS8_4plusIyEEEE10hipError_tPvRmT1_T2_T3_mT4_P12ihipStream_tbEUlT_E0_NS1_11comp_targetILNS1_3genE0ELNS1_11target_archE4294967295ELNS1_3gpuE0ELNS1_3repE0EEENS1_30default_config_static_selectorELNS0_4arch9wavefront6targetE1EEEvSK_.kd
    .uniform_work_group_size: 1
    .uses_dynamic_stack: false
    .vgpr_count:     68
    .vgpr_spill_count: 0
    .wavefront_size: 64
  - .agpr_count:     0
    .args:
      - .offset:         0
        .size:           64
        .value_kind:     by_value
    .group_segment_fixed_size: 0
    .kernarg_segment_align: 8
    .kernarg_segment_size: 64
    .language:       OpenCL C
    .language_version:
      - 2
      - 0
    .max_flat_workgroup_size: 256
    .name:           _ZN7rocprim17ROCPRIM_400000_NS6detail17trampoline_kernelINS0_14default_configENS1_22reduce_config_selectorIyEEZNS1_11reduce_implILb1ES3_N6thrust23THRUST_200600_302600_NS6detail15normal_iteratorINS8_10device_ptrIyEEEEPyyNS8_4plusIyEEEE10hipError_tPvRmT1_T2_T3_mT4_P12ihipStream_tbEUlT_E0_NS1_11comp_targetILNS1_3genE5ELNS1_11target_archE942ELNS1_3gpuE9ELNS1_3repE0EEENS1_30default_config_static_selectorELNS0_4arch9wavefront6targetE1EEEvSK_
    .private_segment_fixed_size: 0
    .sgpr_count:     6
    .sgpr_spill_count: 0
    .symbol:         _ZN7rocprim17ROCPRIM_400000_NS6detail17trampoline_kernelINS0_14default_configENS1_22reduce_config_selectorIyEEZNS1_11reduce_implILb1ES3_N6thrust23THRUST_200600_302600_NS6detail15normal_iteratorINS8_10device_ptrIyEEEEPyyNS8_4plusIyEEEE10hipError_tPvRmT1_T2_T3_mT4_P12ihipStream_tbEUlT_E0_NS1_11comp_targetILNS1_3genE5ELNS1_11target_archE942ELNS1_3gpuE9ELNS1_3repE0EEENS1_30default_config_static_selectorELNS0_4arch9wavefront6targetE1EEEvSK_.kd
    .uniform_work_group_size: 1
    .uses_dynamic_stack: false
    .vgpr_count:     0
    .vgpr_spill_count: 0
    .wavefront_size: 64
  - .agpr_count:     0
    .args:
      - .offset:         0
        .size:           64
        .value_kind:     by_value
    .group_segment_fixed_size: 0
    .kernarg_segment_align: 8
    .kernarg_segment_size: 64
    .language:       OpenCL C
    .language_version:
      - 2
      - 0
    .max_flat_workgroup_size: 256
    .name:           _ZN7rocprim17ROCPRIM_400000_NS6detail17trampoline_kernelINS0_14default_configENS1_22reduce_config_selectorIyEEZNS1_11reduce_implILb1ES3_N6thrust23THRUST_200600_302600_NS6detail15normal_iteratorINS8_10device_ptrIyEEEEPyyNS8_4plusIyEEEE10hipError_tPvRmT1_T2_T3_mT4_P12ihipStream_tbEUlT_E0_NS1_11comp_targetILNS1_3genE4ELNS1_11target_archE910ELNS1_3gpuE8ELNS1_3repE0EEENS1_30default_config_static_selectorELNS0_4arch9wavefront6targetE1EEEvSK_
    .private_segment_fixed_size: 0
    .sgpr_count:     6
    .sgpr_spill_count: 0
    .symbol:         _ZN7rocprim17ROCPRIM_400000_NS6detail17trampoline_kernelINS0_14default_configENS1_22reduce_config_selectorIyEEZNS1_11reduce_implILb1ES3_N6thrust23THRUST_200600_302600_NS6detail15normal_iteratorINS8_10device_ptrIyEEEEPyyNS8_4plusIyEEEE10hipError_tPvRmT1_T2_T3_mT4_P12ihipStream_tbEUlT_E0_NS1_11comp_targetILNS1_3genE4ELNS1_11target_archE910ELNS1_3gpuE8ELNS1_3repE0EEENS1_30default_config_static_selectorELNS0_4arch9wavefront6targetE1EEEvSK_.kd
    .uniform_work_group_size: 1
    .uses_dynamic_stack: false
    .vgpr_count:     0
    .vgpr_spill_count: 0
    .wavefront_size: 64
  - .agpr_count:     0
    .args:
      - .offset:         0
        .size:           64
        .value_kind:     by_value
    .group_segment_fixed_size: 0
    .kernarg_segment_align: 8
    .kernarg_segment_size: 64
    .language:       OpenCL C
    .language_version:
      - 2
      - 0
    .max_flat_workgroup_size: 256
    .name:           _ZN7rocprim17ROCPRIM_400000_NS6detail17trampoline_kernelINS0_14default_configENS1_22reduce_config_selectorIyEEZNS1_11reduce_implILb1ES3_N6thrust23THRUST_200600_302600_NS6detail15normal_iteratorINS8_10device_ptrIyEEEEPyyNS8_4plusIyEEEE10hipError_tPvRmT1_T2_T3_mT4_P12ihipStream_tbEUlT_E0_NS1_11comp_targetILNS1_3genE3ELNS1_11target_archE908ELNS1_3gpuE7ELNS1_3repE0EEENS1_30default_config_static_selectorELNS0_4arch9wavefront6targetE1EEEvSK_
    .private_segment_fixed_size: 0
    .sgpr_count:     6
    .sgpr_spill_count: 0
    .symbol:         _ZN7rocprim17ROCPRIM_400000_NS6detail17trampoline_kernelINS0_14default_configENS1_22reduce_config_selectorIyEEZNS1_11reduce_implILb1ES3_N6thrust23THRUST_200600_302600_NS6detail15normal_iteratorINS8_10device_ptrIyEEEEPyyNS8_4plusIyEEEE10hipError_tPvRmT1_T2_T3_mT4_P12ihipStream_tbEUlT_E0_NS1_11comp_targetILNS1_3genE3ELNS1_11target_archE908ELNS1_3gpuE7ELNS1_3repE0EEENS1_30default_config_static_selectorELNS0_4arch9wavefront6targetE1EEEvSK_.kd
    .uniform_work_group_size: 1
    .uses_dynamic_stack: false
    .vgpr_count:     0
    .vgpr_spill_count: 0
    .wavefront_size: 64
  - .agpr_count:     0
    .args:
      - .offset:         0
        .size:           64
        .value_kind:     by_value
    .group_segment_fixed_size: 0
    .kernarg_segment_align: 8
    .kernarg_segment_size: 64
    .language:       OpenCL C
    .language_version:
      - 2
      - 0
    .max_flat_workgroup_size: 256
    .name:           _ZN7rocprim17ROCPRIM_400000_NS6detail17trampoline_kernelINS0_14default_configENS1_22reduce_config_selectorIyEEZNS1_11reduce_implILb1ES3_N6thrust23THRUST_200600_302600_NS6detail15normal_iteratorINS8_10device_ptrIyEEEEPyyNS8_4plusIyEEEE10hipError_tPvRmT1_T2_T3_mT4_P12ihipStream_tbEUlT_E0_NS1_11comp_targetILNS1_3genE2ELNS1_11target_archE906ELNS1_3gpuE6ELNS1_3repE0EEENS1_30default_config_static_selectorELNS0_4arch9wavefront6targetE1EEEvSK_
    .private_segment_fixed_size: 0
    .sgpr_count:     6
    .sgpr_spill_count: 0
    .symbol:         _ZN7rocprim17ROCPRIM_400000_NS6detail17trampoline_kernelINS0_14default_configENS1_22reduce_config_selectorIyEEZNS1_11reduce_implILb1ES3_N6thrust23THRUST_200600_302600_NS6detail15normal_iteratorINS8_10device_ptrIyEEEEPyyNS8_4plusIyEEEE10hipError_tPvRmT1_T2_T3_mT4_P12ihipStream_tbEUlT_E0_NS1_11comp_targetILNS1_3genE2ELNS1_11target_archE906ELNS1_3gpuE6ELNS1_3repE0EEENS1_30default_config_static_selectorELNS0_4arch9wavefront6targetE1EEEvSK_.kd
    .uniform_work_group_size: 1
    .uses_dynamic_stack: false
    .vgpr_count:     0
    .vgpr_spill_count: 0
    .wavefront_size: 64
  - .agpr_count:     0
    .args:
      - .offset:         0
        .size:           64
        .value_kind:     by_value
    .group_segment_fixed_size: 0
    .kernarg_segment_align: 8
    .kernarg_segment_size: 64
    .language:       OpenCL C
    .language_version:
      - 2
      - 0
    .max_flat_workgroup_size: 256
    .name:           _ZN7rocprim17ROCPRIM_400000_NS6detail17trampoline_kernelINS0_14default_configENS1_22reduce_config_selectorIyEEZNS1_11reduce_implILb1ES3_N6thrust23THRUST_200600_302600_NS6detail15normal_iteratorINS8_10device_ptrIyEEEEPyyNS8_4plusIyEEEE10hipError_tPvRmT1_T2_T3_mT4_P12ihipStream_tbEUlT_E0_NS1_11comp_targetILNS1_3genE10ELNS1_11target_archE1201ELNS1_3gpuE5ELNS1_3repE0EEENS1_30default_config_static_selectorELNS0_4arch9wavefront6targetE1EEEvSK_
    .private_segment_fixed_size: 0
    .sgpr_count:     6
    .sgpr_spill_count: 0
    .symbol:         _ZN7rocprim17ROCPRIM_400000_NS6detail17trampoline_kernelINS0_14default_configENS1_22reduce_config_selectorIyEEZNS1_11reduce_implILb1ES3_N6thrust23THRUST_200600_302600_NS6detail15normal_iteratorINS8_10device_ptrIyEEEEPyyNS8_4plusIyEEEE10hipError_tPvRmT1_T2_T3_mT4_P12ihipStream_tbEUlT_E0_NS1_11comp_targetILNS1_3genE10ELNS1_11target_archE1201ELNS1_3gpuE5ELNS1_3repE0EEENS1_30default_config_static_selectorELNS0_4arch9wavefront6targetE1EEEvSK_.kd
    .uniform_work_group_size: 1
    .uses_dynamic_stack: false
    .vgpr_count:     0
    .vgpr_spill_count: 0
    .wavefront_size: 64
  - .agpr_count:     0
    .args:
      - .offset:         0
        .size:           64
        .value_kind:     by_value
    .group_segment_fixed_size: 0
    .kernarg_segment_align: 8
    .kernarg_segment_size: 64
    .language:       OpenCL C
    .language_version:
      - 2
      - 0
    .max_flat_workgroup_size: 256
    .name:           _ZN7rocprim17ROCPRIM_400000_NS6detail17trampoline_kernelINS0_14default_configENS1_22reduce_config_selectorIyEEZNS1_11reduce_implILb1ES3_N6thrust23THRUST_200600_302600_NS6detail15normal_iteratorINS8_10device_ptrIyEEEEPyyNS8_4plusIyEEEE10hipError_tPvRmT1_T2_T3_mT4_P12ihipStream_tbEUlT_E0_NS1_11comp_targetILNS1_3genE10ELNS1_11target_archE1200ELNS1_3gpuE4ELNS1_3repE0EEENS1_30default_config_static_selectorELNS0_4arch9wavefront6targetE1EEEvSK_
    .private_segment_fixed_size: 0
    .sgpr_count:     6
    .sgpr_spill_count: 0
    .symbol:         _ZN7rocprim17ROCPRIM_400000_NS6detail17trampoline_kernelINS0_14default_configENS1_22reduce_config_selectorIyEEZNS1_11reduce_implILb1ES3_N6thrust23THRUST_200600_302600_NS6detail15normal_iteratorINS8_10device_ptrIyEEEEPyyNS8_4plusIyEEEE10hipError_tPvRmT1_T2_T3_mT4_P12ihipStream_tbEUlT_E0_NS1_11comp_targetILNS1_3genE10ELNS1_11target_archE1200ELNS1_3gpuE4ELNS1_3repE0EEENS1_30default_config_static_selectorELNS0_4arch9wavefront6targetE1EEEvSK_.kd
    .uniform_work_group_size: 1
    .uses_dynamic_stack: false
    .vgpr_count:     0
    .vgpr_spill_count: 0
    .wavefront_size: 64
  - .agpr_count:     0
    .args:
      - .offset:         0
        .size:           64
        .value_kind:     by_value
    .group_segment_fixed_size: 0
    .kernarg_segment_align: 8
    .kernarg_segment_size: 64
    .language:       OpenCL C
    .language_version:
      - 2
      - 0
    .max_flat_workgroup_size: 256
    .name:           _ZN7rocprim17ROCPRIM_400000_NS6detail17trampoline_kernelINS0_14default_configENS1_22reduce_config_selectorIyEEZNS1_11reduce_implILb1ES3_N6thrust23THRUST_200600_302600_NS6detail15normal_iteratorINS8_10device_ptrIyEEEEPyyNS8_4plusIyEEEE10hipError_tPvRmT1_T2_T3_mT4_P12ihipStream_tbEUlT_E0_NS1_11comp_targetILNS1_3genE9ELNS1_11target_archE1100ELNS1_3gpuE3ELNS1_3repE0EEENS1_30default_config_static_selectorELNS0_4arch9wavefront6targetE1EEEvSK_
    .private_segment_fixed_size: 0
    .sgpr_count:     6
    .sgpr_spill_count: 0
    .symbol:         _ZN7rocprim17ROCPRIM_400000_NS6detail17trampoline_kernelINS0_14default_configENS1_22reduce_config_selectorIyEEZNS1_11reduce_implILb1ES3_N6thrust23THRUST_200600_302600_NS6detail15normal_iteratorINS8_10device_ptrIyEEEEPyyNS8_4plusIyEEEE10hipError_tPvRmT1_T2_T3_mT4_P12ihipStream_tbEUlT_E0_NS1_11comp_targetILNS1_3genE9ELNS1_11target_archE1100ELNS1_3gpuE3ELNS1_3repE0EEENS1_30default_config_static_selectorELNS0_4arch9wavefront6targetE1EEEvSK_.kd
    .uniform_work_group_size: 1
    .uses_dynamic_stack: false
    .vgpr_count:     0
    .vgpr_spill_count: 0
    .wavefront_size: 64
  - .agpr_count:     0
    .args:
      - .offset:         0
        .size:           64
        .value_kind:     by_value
    .group_segment_fixed_size: 0
    .kernarg_segment_align: 8
    .kernarg_segment_size: 64
    .language:       OpenCL C
    .language_version:
      - 2
      - 0
    .max_flat_workgroup_size: 256
    .name:           _ZN7rocprim17ROCPRIM_400000_NS6detail17trampoline_kernelINS0_14default_configENS1_22reduce_config_selectorIyEEZNS1_11reduce_implILb1ES3_N6thrust23THRUST_200600_302600_NS6detail15normal_iteratorINS8_10device_ptrIyEEEEPyyNS8_4plusIyEEEE10hipError_tPvRmT1_T2_T3_mT4_P12ihipStream_tbEUlT_E0_NS1_11comp_targetILNS1_3genE8ELNS1_11target_archE1030ELNS1_3gpuE2ELNS1_3repE0EEENS1_30default_config_static_selectorELNS0_4arch9wavefront6targetE1EEEvSK_
    .private_segment_fixed_size: 0
    .sgpr_count:     6
    .sgpr_spill_count: 0
    .symbol:         _ZN7rocprim17ROCPRIM_400000_NS6detail17trampoline_kernelINS0_14default_configENS1_22reduce_config_selectorIyEEZNS1_11reduce_implILb1ES3_N6thrust23THRUST_200600_302600_NS6detail15normal_iteratorINS8_10device_ptrIyEEEEPyyNS8_4plusIyEEEE10hipError_tPvRmT1_T2_T3_mT4_P12ihipStream_tbEUlT_E0_NS1_11comp_targetILNS1_3genE8ELNS1_11target_archE1030ELNS1_3gpuE2ELNS1_3repE0EEENS1_30default_config_static_selectorELNS0_4arch9wavefront6targetE1EEEvSK_.kd
    .uniform_work_group_size: 1
    .uses_dynamic_stack: false
    .vgpr_count:     0
    .vgpr_spill_count: 0
    .wavefront_size: 64
  - .agpr_count:     0
    .args:
      - .offset:         0
        .size:           48
        .value_kind:     by_value
    .group_segment_fixed_size: 192
    .kernarg_segment_align: 8
    .kernarg_segment_size: 48
    .language:       OpenCL C
    .language_version:
      - 2
      - 0
    .max_flat_workgroup_size: 256
    .name:           _ZN7rocprim17ROCPRIM_400000_NS6detail17trampoline_kernelINS0_14default_configENS1_22reduce_config_selectorIyEEZNS1_11reduce_implILb1ES3_N6thrust23THRUST_200600_302600_NS6detail15normal_iteratorINS8_10device_ptrIyEEEEPyyNS8_4plusIyEEEE10hipError_tPvRmT1_T2_T3_mT4_P12ihipStream_tbEUlT_E1_NS1_11comp_targetILNS1_3genE0ELNS1_11target_archE4294967295ELNS1_3gpuE0ELNS1_3repE0EEENS1_30default_config_static_selectorELNS0_4arch9wavefront6targetE1EEEvSK_
    .private_segment_fixed_size: 0
    .sgpr_count:     53
    .sgpr_spill_count: 0
    .symbol:         _ZN7rocprim17ROCPRIM_400000_NS6detail17trampoline_kernelINS0_14default_configENS1_22reduce_config_selectorIyEEZNS1_11reduce_implILb1ES3_N6thrust23THRUST_200600_302600_NS6detail15normal_iteratorINS8_10device_ptrIyEEEEPyyNS8_4plusIyEEEE10hipError_tPvRmT1_T2_T3_mT4_P12ihipStream_tbEUlT_E1_NS1_11comp_targetILNS1_3genE0ELNS1_11target_archE4294967295ELNS1_3gpuE0ELNS1_3repE0EEENS1_30default_config_static_selectorELNS0_4arch9wavefront6targetE1EEEvSK_.kd
    .uniform_work_group_size: 1
    .uses_dynamic_stack: false
    .vgpr_count:     48
    .vgpr_spill_count: 0
    .wavefront_size: 64
  - .agpr_count:     0
    .args:
      - .offset:         0
        .size:           48
        .value_kind:     by_value
    .group_segment_fixed_size: 0
    .kernarg_segment_align: 8
    .kernarg_segment_size: 48
    .language:       OpenCL C
    .language_version:
      - 2
      - 0
    .max_flat_workgroup_size: 256
    .name:           _ZN7rocprim17ROCPRIM_400000_NS6detail17trampoline_kernelINS0_14default_configENS1_22reduce_config_selectorIyEEZNS1_11reduce_implILb1ES3_N6thrust23THRUST_200600_302600_NS6detail15normal_iteratorINS8_10device_ptrIyEEEEPyyNS8_4plusIyEEEE10hipError_tPvRmT1_T2_T3_mT4_P12ihipStream_tbEUlT_E1_NS1_11comp_targetILNS1_3genE5ELNS1_11target_archE942ELNS1_3gpuE9ELNS1_3repE0EEENS1_30default_config_static_selectorELNS0_4arch9wavefront6targetE1EEEvSK_
    .private_segment_fixed_size: 0
    .sgpr_count:     6
    .sgpr_spill_count: 0
    .symbol:         _ZN7rocprim17ROCPRIM_400000_NS6detail17trampoline_kernelINS0_14default_configENS1_22reduce_config_selectorIyEEZNS1_11reduce_implILb1ES3_N6thrust23THRUST_200600_302600_NS6detail15normal_iteratorINS8_10device_ptrIyEEEEPyyNS8_4plusIyEEEE10hipError_tPvRmT1_T2_T3_mT4_P12ihipStream_tbEUlT_E1_NS1_11comp_targetILNS1_3genE5ELNS1_11target_archE942ELNS1_3gpuE9ELNS1_3repE0EEENS1_30default_config_static_selectorELNS0_4arch9wavefront6targetE1EEEvSK_.kd
    .uniform_work_group_size: 1
    .uses_dynamic_stack: false
    .vgpr_count:     0
    .vgpr_spill_count: 0
    .wavefront_size: 64
  - .agpr_count:     0
    .args:
      - .offset:         0
        .size:           48
        .value_kind:     by_value
    .group_segment_fixed_size: 0
    .kernarg_segment_align: 8
    .kernarg_segment_size: 48
    .language:       OpenCL C
    .language_version:
      - 2
      - 0
    .max_flat_workgroup_size: 256
    .name:           _ZN7rocprim17ROCPRIM_400000_NS6detail17trampoline_kernelINS0_14default_configENS1_22reduce_config_selectorIyEEZNS1_11reduce_implILb1ES3_N6thrust23THRUST_200600_302600_NS6detail15normal_iteratorINS8_10device_ptrIyEEEEPyyNS8_4plusIyEEEE10hipError_tPvRmT1_T2_T3_mT4_P12ihipStream_tbEUlT_E1_NS1_11comp_targetILNS1_3genE4ELNS1_11target_archE910ELNS1_3gpuE8ELNS1_3repE0EEENS1_30default_config_static_selectorELNS0_4arch9wavefront6targetE1EEEvSK_
    .private_segment_fixed_size: 0
    .sgpr_count:     6
    .sgpr_spill_count: 0
    .symbol:         _ZN7rocprim17ROCPRIM_400000_NS6detail17trampoline_kernelINS0_14default_configENS1_22reduce_config_selectorIyEEZNS1_11reduce_implILb1ES3_N6thrust23THRUST_200600_302600_NS6detail15normal_iteratorINS8_10device_ptrIyEEEEPyyNS8_4plusIyEEEE10hipError_tPvRmT1_T2_T3_mT4_P12ihipStream_tbEUlT_E1_NS1_11comp_targetILNS1_3genE4ELNS1_11target_archE910ELNS1_3gpuE8ELNS1_3repE0EEENS1_30default_config_static_selectorELNS0_4arch9wavefront6targetE1EEEvSK_.kd
    .uniform_work_group_size: 1
    .uses_dynamic_stack: false
    .vgpr_count:     0
    .vgpr_spill_count: 0
    .wavefront_size: 64
  - .agpr_count:     0
    .args:
      - .offset:         0
        .size:           48
        .value_kind:     by_value
    .group_segment_fixed_size: 0
    .kernarg_segment_align: 8
    .kernarg_segment_size: 48
    .language:       OpenCL C
    .language_version:
      - 2
      - 0
    .max_flat_workgroup_size: 256
    .name:           _ZN7rocprim17ROCPRIM_400000_NS6detail17trampoline_kernelINS0_14default_configENS1_22reduce_config_selectorIyEEZNS1_11reduce_implILb1ES3_N6thrust23THRUST_200600_302600_NS6detail15normal_iteratorINS8_10device_ptrIyEEEEPyyNS8_4plusIyEEEE10hipError_tPvRmT1_T2_T3_mT4_P12ihipStream_tbEUlT_E1_NS1_11comp_targetILNS1_3genE3ELNS1_11target_archE908ELNS1_3gpuE7ELNS1_3repE0EEENS1_30default_config_static_selectorELNS0_4arch9wavefront6targetE1EEEvSK_
    .private_segment_fixed_size: 0
    .sgpr_count:     6
    .sgpr_spill_count: 0
    .symbol:         _ZN7rocprim17ROCPRIM_400000_NS6detail17trampoline_kernelINS0_14default_configENS1_22reduce_config_selectorIyEEZNS1_11reduce_implILb1ES3_N6thrust23THRUST_200600_302600_NS6detail15normal_iteratorINS8_10device_ptrIyEEEEPyyNS8_4plusIyEEEE10hipError_tPvRmT1_T2_T3_mT4_P12ihipStream_tbEUlT_E1_NS1_11comp_targetILNS1_3genE3ELNS1_11target_archE908ELNS1_3gpuE7ELNS1_3repE0EEENS1_30default_config_static_selectorELNS0_4arch9wavefront6targetE1EEEvSK_.kd
    .uniform_work_group_size: 1
    .uses_dynamic_stack: false
    .vgpr_count:     0
    .vgpr_spill_count: 0
    .wavefront_size: 64
  - .agpr_count:     0
    .args:
      - .offset:         0
        .size:           48
        .value_kind:     by_value
    .group_segment_fixed_size: 0
    .kernarg_segment_align: 8
    .kernarg_segment_size: 48
    .language:       OpenCL C
    .language_version:
      - 2
      - 0
    .max_flat_workgroup_size: 256
    .name:           _ZN7rocprim17ROCPRIM_400000_NS6detail17trampoline_kernelINS0_14default_configENS1_22reduce_config_selectorIyEEZNS1_11reduce_implILb1ES3_N6thrust23THRUST_200600_302600_NS6detail15normal_iteratorINS8_10device_ptrIyEEEEPyyNS8_4plusIyEEEE10hipError_tPvRmT1_T2_T3_mT4_P12ihipStream_tbEUlT_E1_NS1_11comp_targetILNS1_3genE2ELNS1_11target_archE906ELNS1_3gpuE6ELNS1_3repE0EEENS1_30default_config_static_selectorELNS0_4arch9wavefront6targetE1EEEvSK_
    .private_segment_fixed_size: 0
    .sgpr_count:     6
    .sgpr_spill_count: 0
    .symbol:         _ZN7rocprim17ROCPRIM_400000_NS6detail17trampoline_kernelINS0_14default_configENS1_22reduce_config_selectorIyEEZNS1_11reduce_implILb1ES3_N6thrust23THRUST_200600_302600_NS6detail15normal_iteratorINS8_10device_ptrIyEEEEPyyNS8_4plusIyEEEE10hipError_tPvRmT1_T2_T3_mT4_P12ihipStream_tbEUlT_E1_NS1_11comp_targetILNS1_3genE2ELNS1_11target_archE906ELNS1_3gpuE6ELNS1_3repE0EEENS1_30default_config_static_selectorELNS0_4arch9wavefront6targetE1EEEvSK_.kd
    .uniform_work_group_size: 1
    .uses_dynamic_stack: false
    .vgpr_count:     0
    .vgpr_spill_count: 0
    .wavefront_size: 64
  - .agpr_count:     0
    .args:
      - .offset:         0
        .size:           48
        .value_kind:     by_value
    .group_segment_fixed_size: 0
    .kernarg_segment_align: 8
    .kernarg_segment_size: 48
    .language:       OpenCL C
    .language_version:
      - 2
      - 0
    .max_flat_workgroup_size: 256
    .name:           _ZN7rocprim17ROCPRIM_400000_NS6detail17trampoline_kernelINS0_14default_configENS1_22reduce_config_selectorIyEEZNS1_11reduce_implILb1ES3_N6thrust23THRUST_200600_302600_NS6detail15normal_iteratorINS8_10device_ptrIyEEEEPyyNS8_4plusIyEEEE10hipError_tPvRmT1_T2_T3_mT4_P12ihipStream_tbEUlT_E1_NS1_11comp_targetILNS1_3genE10ELNS1_11target_archE1201ELNS1_3gpuE5ELNS1_3repE0EEENS1_30default_config_static_selectorELNS0_4arch9wavefront6targetE1EEEvSK_
    .private_segment_fixed_size: 0
    .sgpr_count:     6
    .sgpr_spill_count: 0
    .symbol:         _ZN7rocprim17ROCPRIM_400000_NS6detail17trampoline_kernelINS0_14default_configENS1_22reduce_config_selectorIyEEZNS1_11reduce_implILb1ES3_N6thrust23THRUST_200600_302600_NS6detail15normal_iteratorINS8_10device_ptrIyEEEEPyyNS8_4plusIyEEEE10hipError_tPvRmT1_T2_T3_mT4_P12ihipStream_tbEUlT_E1_NS1_11comp_targetILNS1_3genE10ELNS1_11target_archE1201ELNS1_3gpuE5ELNS1_3repE0EEENS1_30default_config_static_selectorELNS0_4arch9wavefront6targetE1EEEvSK_.kd
    .uniform_work_group_size: 1
    .uses_dynamic_stack: false
    .vgpr_count:     0
    .vgpr_spill_count: 0
    .wavefront_size: 64
  - .agpr_count:     0
    .args:
      - .offset:         0
        .size:           48
        .value_kind:     by_value
    .group_segment_fixed_size: 0
    .kernarg_segment_align: 8
    .kernarg_segment_size: 48
    .language:       OpenCL C
    .language_version:
      - 2
      - 0
    .max_flat_workgroup_size: 256
    .name:           _ZN7rocprim17ROCPRIM_400000_NS6detail17trampoline_kernelINS0_14default_configENS1_22reduce_config_selectorIyEEZNS1_11reduce_implILb1ES3_N6thrust23THRUST_200600_302600_NS6detail15normal_iteratorINS8_10device_ptrIyEEEEPyyNS8_4plusIyEEEE10hipError_tPvRmT1_T2_T3_mT4_P12ihipStream_tbEUlT_E1_NS1_11comp_targetILNS1_3genE10ELNS1_11target_archE1200ELNS1_3gpuE4ELNS1_3repE0EEENS1_30default_config_static_selectorELNS0_4arch9wavefront6targetE1EEEvSK_
    .private_segment_fixed_size: 0
    .sgpr_count:     6
    .sgpr_spill_count: 0
    .symbol:         _ZN7rocprim17ROCPRIM_400000_NS6detail17trampoline_kernelINS0_14default_configENS1_22reduce_config_selectorIyEEZNS1_11reduce_implILb1ES3_N6thrust23THRUST_200600_302600_NS6detail15normal_iteratorINS8_10device_ptrIyEEEEPyyNS8_4plusIyEEEE10hipError_tPvRmT1_T2_T3_mT4_P12ihipStream_tbEUlT_E1_NS1_11comp_targetILNS1_3genE10ELNS1_11target_archE1200ELNS1_3gpuE4ELNS1_3repE0EEENS1_30default_config_static_selectorELNS0_4arch9wavefront6targetE1EEEvSK_.kd
    .uniform_work_group_size: 1
    .uses_dynamic_stack: false
    .vgpr_count:     0
    .vgpr_spill_count: 0
    .wavefront_size: 64
  - .agpr_count:     0
    .args:
      - .offset:         0
        .size:           48
        .value_kind:     by_value
    .group_segment_fixed_size: 0
    .kernarg_segment_align: 8
    .kernarg_segment_size: 48
    .language:       OpenCL C
    .language_version:
      - 2
      - 0
    .max_flat_workgroup_size: 256
    .name:           _ZN7rocprim17ROCPRIM_400000_NS6detail17trampoline_kernelINS0_14default_configENS1_22reduce_config_selectorIyEEZNS1_11reduce_implILb1ES3_N6thrust23THRUST_200600_302600_NS6detail15normal_iteratorINS8_10device_ptrIyEEEEPyyNS8_4plusIyEEEE10hipError_tPvRmT1_T2_T3_mT4_P12ihipStream_tbEUlT_E1_NS1_11comp_targetILNS1_3genE9ELNS1_11target_archE1100ELNS1_3gpuE3ELNS1_3repE0EEENS1_30default_config_static_selectorELNS0_4arch9wavefront6targetE1EEEvSK_
    .private_segment_fixed_size: 0
    .sgpr_count:     6
    .sgpr_spill_count: 0
    .symbol:         _ZN7rocprim17ROCPRIM_400000_NS6detail17trampoline_kernelINS0_14default_configENS1_22reduce_config_selectorIyEEZNS1_11reduce_implILb1ES3_N6thrust23THRUST_200600_302600_NS6detail15normal_iteratorINS8_10device_ptrIyEEEEPyyNS8_4plusIyEEEE10hipError_tPvRmT1_T2_T3_mT4_P12ihipStream_tbEUlT_E1_NS1_11comp_targetILNS1_3genE9ELNS1_11target_archE1100ELNS1_3gpuE3ELNS1_3repE0EEENS1_30default_config_static_selectorELNS0_4arch9wavefront6targetE1EEEvSK_.kd
    .uniform_work_group_size: 1
    .uses_dynamic_stack: false
    .vgpr_count:     0
    .vgpr_spill_count: 0
    .wavefront_size: 64
  - .agpr_count:     0
    .args:
      - .offset:         0
        .size:           48
        .value_kind:     by_value
    .group_segment_fixed_size: 0
    .kernarg_segment_align: 8
    .kernarg_segment_size: 48
    .language:       OpenCL C
    .language_version:
      - 2
      - 0
    .max_flat_workgroup_size: 256
    .name:           _ZN7rocprim17ROCPRIM_400000_NS6detail17trampoline_kernelINS0_14default_configENS1_22reduce_config_selectorIyEEZNS1_11reduce_implILb1ES3_N6thrust23THRUST_200600_302600_NS6detail15normal_iteratorINS8_10device_ptrIyEEEEPyyNS8_4plusIyEEEE10hipError_tPvRmT1_T2_T3_mT4_P12ihipStream_tbEUlT_E1_NS1_11comp_targetILNS1_3genE8ELNS1_11target_archE1030ELNS1_3gpuE2ELNS1_3repE0EEENS1_30default_config_static_selectorELNS0_4arch9wavefront6targetE1EEEvSK_
    .private_segment_fixed_size: 0
    .sgpr_count:     6
    .sgpr_spill_count: 0
    .symbol:         _ZN7rocprim17ROCPRIM_400000_NS6detail17trampoline_kernelINS0_14default_configENS1_22reduce_config_selectorIyEEZNS1_11reduce_implILb1ES3_N6thrust23THRUST_200600_302600_NS6detail15normal_iteratorINS8_10device_ptrIyEEEEPyyNS8_4plusIyEEEE10hipError_tPvRmT1_T2_T3_mT4_P12ihipStream_tbEUlT_E1_NS1_11comp_targetILNS1_3genE8ELNS1_11target_archE1030ELNS1_3gpuE2ELNS1_3repE0EEENS1_30default_config_static_selectorELNS0_4arch9wavefront6targetE1EEEvSK_.kd
    .uniform_work_group_size: 1
    .uses_dynamic_stack: false
    .vgpr_count:     0
    .vgpr_spill_count: 0
    .wavefront_size: 64
  - .agpr_count:     0
    .args:
      - .offset:         0
        .size:           16
        .value_kind:     by_value
      - .offset:         16
        .size:           8
        .value_kind:     by_value
      - .offset:         24
        .size:           8
        .value_kind:     by_value
    .group_segment_fixed_size: 0
    .kernarg_segment_align: 8
    .kernarg_segment_size: 32
    .language:       OpenCL C
    .language_version:
      - 2
      - 0
    .max_flat_workgroup_size: 256
    .name:           _ZN6thrust23THRUST_200600_302600_NS11hip_rocprim14__parallel_for6kernelILj256ENS1_20__uninitialized_fill7functorINS0_10device_ptrIjEEjEEmLj1EEEvT0_T1_SA_
    .private_segment_fixed_size: 0
    .sgpr_count:     22
    .sgpr_spill_count: 0
    .symbol:         _ZN6thrust23THRUST_200600_302600_NS11hip_rocprim14__parallel_for6kernelILj256ENS1_20__uninitialized_fill7functorINS0_10device_ptrIjEEjEEmLj1EEEvT0_T1_SA_.kd
    .uniform_work_group_size: 1
    .uses_dynamic_stack: false
    .vgpr_count:     4
    .vgpr_spill_count: 0
    .wavefront_size: 64
  - .agpr_count:     0
    .args:
      - .offset:         0
        .size:           56
        .value_kind:     by_value
    .group_segment_fixed_size: 32
    .kernarg_segment_align: 8
    .kernarg_segment_size: 56
    .language:       OpenCL C
    .language_version:
      - 2
      - 0
    .max_flat_workgroup_size: 256
    .name:           _ZN7rocprim17ROCPRIM_400000_NS6detail17trampoline_kernelINS0_14default_configENS1_22reduce_config_selectorIjEEZNS1_11reduce_implILb1ES3_PjS7_jN6thrust23THRUST_200600_302600_NS4plusIjEEEE10hipError_tPvRmT1_T2_T3_mT4_P12ihipStream_tbEUlT_E0_NS1_11comp_targetILNS1_3genE0ELNS1_11target_archE4294967295ELNS1_3gpuE0ELNS1_3repE0EEENS1_30default_config_static_selectorELNS0_4arch9wavefront6targetE1EEEvSF_
    .private_segment_fixed_size: 0
    .sgpr_count:     26
    .sgpr_spill_count: 0
    .symbol:         _ZN7rocprim17ROCPRIM_400000_NS6detail17trampoline_kernelINS0_14default_configENS1_22reduce_config_selectorIjEEZNS1_11reduce_implILb1ES3_PjS7_jN6thrust23THRUST_200600_302600_NS4plusIjEEEE10hipError_tPvRmT1_T2_T3_mT4_P12ihipStream_tbEUlT_E0_NS1_11comp_targetILNS1_3genE0ELNS1_11target_archE4294967295ELNS1_3gpuE0ELNS1_3repE0EEENS1_30default_config_static_selectorELNS0_4arch9wavefront6targetE1EEEvSF_.kd
    .uniform_work_group_size: 1
    .uses_dynamic_stack: false
    .vgpr_count:     12
    .vgpr_spill_count: 0
    .wavefront_size: 64
  - .agpr_count:     0
    .args:
      - .offset:         0
        .size:           56
        .value_kind:     by_value
    .group_segment_fixed_size: 0
    .kernarg_segment_align: 8
    .kernarg_segment_size: 56
    .language:       OpenCL C
    .language_version:
      - 2
      - 0
    .max_flat_workgroup_size: 256
    .name:           _ZN7rocprim17ROCPRIM_400000_NS6detail17trampoline_kernelINS0_14default_configENS1_22reduce_config_selectorIjEEZNS1_11reduce_implILb1ES3_PjS7_jN6thrust23THRUST_200600_302600_NS4plusIjEEEE10hipError_tPvRmT1_T2_T3_mT4_P12ihipStream_tbEUlT_E0_NS1_11comp_targetILNS1_3genE5ELNS1_11target_archE942ELNS1_3gpuE9ELNS1_3repE0EEENS1_30default_config_static_selectorELNS0_4arch9wavefront6targetE1EEEvSF_
    .private_segment_fixed_size: 0
    .sgpr_count:     6
    .sgpr_spill_count: 0
    .symbol:         _ZN7rocprim17ROCPRIM_400000_NS6detail17trampoline_kernelINS0_14default_configENS1_22reduce_config_selectorIjEEZNS1_11reduce_implILb1ES3_PjS7_jN6thrust23THRUST_200600_302600_NS4plusIjEEEE10hipError_tPvRmT1_T2_T3_mT4_P12ihipStream_tbEUlT_E0_NS1_11comp_targetILNS1_3genE5ELNS1_11target_archE942ELNS1_3gpuE9ELNS1_3repE0EEENS1_30default_config_static_selectorELNS0_4arch9wavefront6targetE1EEEvSF_.kd
    .uniform_work_group_size: 1
    .uses_dynamic_stack: false
    .vgpr_count:     0
    .vgpr_spill_count: 0
    .wavefront_size: 64
  - .agpr_count:     0
    .args:
      - .offset:         0
        .size:           56
        .value_kind:     by_value
    .group_segment_fixed_size: 0
    .kernarg_segment_align: 8
    .kernarg_segment_size: 56
    .language:       OpenCL C
    .language_version:
      - 2
      - 0
    .max_flat_workgroup_size: 128
    .name:           _ZN7rocprim17ROCPRIM_400000_NS6detail17trampoline_kernelINS0_14default_configENS1_22reduce_config_selectorIjEEZNS1_11reduce_implILb1ES3_PjS7_jN6thrust23THRUST_200600_302600_NS4plusIjEEEE10hipError_tPvRmT1_T2_T3_mT4_P12ihipStream_tbEUlT_E0_NS1_11comp_targetILNS1_3genE4ELNS1_11target_archE910ELNS1_3gpuE8ELNS1_3repE0EEENS1_30default_config_static_selectorELNS0_4arch9wavefront6targetE1EEEvSF_
    .private_segment_fixed_size: 0
    .sgpr_count:     6
    .sgpr_spill_count: 0
    .symbol:         _ZN7rocprim17ROCPRIM_400000_NS6detail17trampoline_kernelINS0_14default_configENS1_22reduce_config_selectorIjEEZNS1_11reduce_implILb1ES3_PjS7_jN6thrust23THRUST_200600_302600_NS4plusIjEEEE10hipError_tPvRmT1_T2_T3_mT4_P12ihipStream_tbEUlT_E0_NS1_11comp_targetILNS1_3genE4ELNS1_11target_archE910ELNS1_3gpuE8ELNS1_3repE0EEENS1_30default_config_static_selectorELNS0_4arch9wavefront6targetE1EEEvSF_.kd
    .uniform_work_group_size: 1
    .uses_dynamic_stack: false
    .vgpr_count:     0
    .vgpr_spill_count: 0
    .wavefront_size: 64
  - .agpr_count:     0
    .args:
      - .offset:         0
        .size:           56
        .value_kind:     by_value
    .group_segment_fixed_size: 0
    .kernarg_segment_align: 8
    .kernarg_segment_size: 56
    .language:       OpenCL C
    .language_version:
      - 2
      - 0
    .max_flat_workgroup_size: 256
    .name:           _ZN7rocprim17ROCPRIM_400000_NS6detail17trampoline_kernelINS0_14default_configENS1_22reduce_config_selectorIjEEZNS1_11reduce_implILb1ES3_PjS7_jN6thrust23THRUST_200600_302600_NS4plusIjEEEE10hipError_tPvRmT1_T2_T3_mT4_P12ihipStream_tbEUlT_E0_NS1_11comp_targetILNS1_3genE3ELNS1_11target_archE908ELNS1_3gpuE7ELNS1_3repE0EEENS1_30default_config_static_selectorELNS0_4arch9wavefront6targetE1EEEvSF_
    .private_segment_fixed_size: 0
    .sgpr_count:     6
    .sgpr_spill_count: 0
    .symbol:         _ZN7rocprim17ROCPRIM_400000_NS6detail17trampoline_kernelINS0_14default_configENS1_22reduce_config_selectorIjEEZNS1_11reduce_implILb1ES3_PjS7_jN6thrust23THRUST_200600_302600_NS4plusIjEEEE10hipError_tPvRmT1_T2_T3_mT4_P12ihipStream_tbEUlT_E0_NS1_11comp_targetILNS1_3genE3ELNS1_11target_archE908ELNS1_3gpuE7ELNS1_3repE0EEENS1_30default_config_static_selectorELNS0_4arch9wavefront6targetE1EEEvSF_.kd
    .uniform_work_group_size: 1
    .uses_dynamic_stack: false
    .vgpr_count:     0
    .vgpr_spill_count: 0
    .wavefront_size: 64
  - .agpr_count:     0
    .args:
      - .offset:         0
        .size:           56
        .value_kind:     by_value
    .group_segment_fixed_size: 0
    .kernarg_segment_align: 8
    .kernarg_segment_size: 56
    .language:       OpenCL C
    .language_version:
      - 2
      - 0
    .max_flat_workgroup_size: 256
    .name:           _ZN7rocprim17ROCPRIM_400000_NS6detail17trampoline_kernelINS0_14default_configENS1_22reduce_config_selectorIjEEZNS1_11reduce_implILb1ES3_PjS7_jN6thrust23THRUST_200600_302600_NS4plusIjEEEE10hipError_tPvRmT1_T2_T3_mT4_P12ihipStream_tbEUlT_E0_NS1_11comp_targetILNS1_3genE2ELNS1_11target_archE906ELNS1_3gpuE6ELNS1_3repE0EEENS1_30default_config_static_selectorELNS0_4arch9wavefront6targetE1EEEvSF_
    .private_segment_fixed_size: 0
    .sgpr_count:     6
    .sgpr_spill_count: 0
    .symbol:         _ZN7rocprim17ROCPRIM_400000_NS6detail17trampoline_kernelINS0_14default_configENS1_22reduce_config_selectorIjEEZNS1_11reduce_implILb1ES3_PjS7_jN6thrust23THRUST_200600_302600_NS4plusIjEEEE10hipError_tPvRmT1_T2_T3_mT4_P12ihipStream_tbEUlT_E0_NS1_11comp_targetILNS1_3genE2ELNS1_11target_archE906ELNS1_3gpuE6ELNS1_3repE0EEENS1_30default_config_static_selectorELNS0_4arch9wavefront6targetE1EEEvSF_.kd
    .uniform_work_group_size: 1
    .uses_dynamic_stack: false
    .vgpr_count:     0
    .vgpr_spill_count: 0
    .wavefront_size: 64
  - .agpr_count:     0
    .args:
      - .offset:         0
        .size:           56
        .value_kind:     by_value
    .group_segment_fixed_size: 0
    .kernarg_segment_align: 8
    .kernarg_segment_size: 56
    .language:       OpenCL C
    .language_version:
      - 2
      - 0
    .max_flat_workgroup_size: 256
    .name:           _ZN7rocprim17ROCPRIM_400000_NS6detail17trampoline_kernelINS0_14default_configENS1_22reduce_config_selectorIjEEZNS1_11reduce_implILb1ES3_PjS7_jN6thrust23THRUST_200600_302600_NS4plusIjEEEE10hipError_tPvRmT1_T2_T3_mT4_P12ihipStream_tbEUlT_E0_NS1_11comp_targetILNS1_3genE10ELNS1_11target_archE1201ELNS1_3gpuE5ELNS1_3repE0EEENS1_30default_config_static_selectorELNS0_4arch9wavefront6targetE1EEEvSF_
    .private_segment_fixed_size: 0
    .sgpr_count:     6
    .sgpr_spill_count: 0
    .symbol:         _ZN7rocprim17ROCPRIM_400000_NS6detail17trampoline_kernelINS0_14default_configENS1_22reduce_config_selectorIjEEZNS1_11reduce_implILb1ES3_PjS7_jN6thrust23THRUST_200600_302600_NS4plusIjEEEE10hipError_tPvRmT1_T2_T3_mT4_P12ihipStream_tbEUlT_E0_NS1_11comp_targetILNS1_3genE10ELNS1_11target_archE1201ELNS1_3gpuE5ELNS1_3repE0EEENS1_30default_config_static_selectorELNS0_4arch9wavefront6targetE1EEEvSF_.kd
    .uniform_work_group_size: 1
    .uses_dynamic_stack: false
    .vgpr_count:     0
    .vgpr_spill_count: 0
    .wavefront_size: 64
  - .agpr_count:     0
    .args:
      - .offset:         0
        .size:           56
        .value_kind:     by_value
    .group_segment_fixed_size: 0
    .kernarg_segment_align: 8
    .kernarg_segment_size: 56
    .language:       OpenCL C
    .language_version:
      - 2
      - 0
    .max_flat_workgroup_size: 256
    .name:           _ZN7rocprim17ROCPRIM_400000_NS6detail17trampoline_kernelINS0_14default_configENS1_22reduce_config_selectorIjEEZNS1_11reduce_implILb1ES3_PjS7_jN6thrust23THRUST_200600_302600_NS4plusIjEEEE10hipError_tPvRmT1_T2_T3_mT4_P12ihipStream_tbEUlT_E0_NS1_11comp_targetILNS1_3genE10ELNS1_11target_archE1200ELNS1_3gpuE4ELNS1_3repE0EEENS1_30default_config_static_selectorELNS0_4arch9wavefront6targetE1EEEvSF_
    .private_segment_fixed_size: 0
    .sgpr_count:     6
    .sgpr_spill_count: 0
    .symbol:         _ZN7rocprim17ROCPRIM_400000_NS6detail17trampoline_kernelINS0_14default_configENS1_22reduce_config_selectorIjEEZNS1_11reduce_implILb1ES3_PjS7_jN6thrust23THRUST_200600_302600_NS4plusIjEEEE10hipError_tPvRmT1_T2_T3_mT4_P12ihipStream_tbEUlT_E0_NS1_11comp_targetILNS1_3genE10ELNS1_11target_archE1200ELNS1_3gpuE4ELNS1_3repE0EEENS1_30default_config_static_selectorELNS0_4arch9wavefront6targetE1EEEvSF_.kd
    .uniform_work_group_size: 1
    .uses_dynamic_stack: false
    .vgpr_count:     0
    .vgpr_spill_count: 0
    .wavefront_size: 64
  - .agpr_count:     0
    .args:
      - .offset:         0
        .size:           56
        .value_kind:     by_value
    .group_segment_fixed_size: 0
    .kernarg_segment_align: 8
    .kernarg_segment_size: 56
    .language:       OpenCL C
    .language_version:
      - 2
      - 0
    .max_flat_workgroup_size: 256
    .name:           _ZN7rocprim17ROCPRIM_400000_NS6detail17trampoline_kernelINS0_14default_configENS1_22reduce_config_selectorIjEEZNS1_11reduce_implILb1ES3_PjS7_jN6thrust23THRUST_200600_302600_NS4plusIjEEEE10hipError_tPvRmT1_T2_T3_mT4_P12ihipStream_tbEUlT_E0_NS1_11comp_targetILNS1_3genE9ELNS1_11target_archE1100ELNS1_3gpuE3ELNS1_3repE0EEENS1_30default_config_static_selectorELNS0_4arch9wavefront6targetE1EEEvSF_
    .private_segment_fixed_size: 0
    .sgpr_count:     6
    .sgpr_spill_count: 0
    .symbol:         _ZN7rocprim17ROCPRIM_400000_NS6detail17trampoline_kernelINS0_14default_configENS1_22reduce_config_selectorIjEEZNS1_11reduce_implILb1ES3_PjS7_jN6thrust23THRUST_200600_302600_NS4plusIjEEEE10hipError_tPvRmT1_T2_T3_mT4_P12ihipStream_tbEUlT_E0_NS1_11comp_targetILNS1_3genE9ELNS1_11target_archE1100ELNS1_3gpuE3ELNS1_3repE0EEENS1_30default_config_static_selectorELNS0_4arch9wavefront6targetE1EEEvSF_.kd
    .uniform_work_group_size: 1
    .uses_dynamic_stack: false
    .vgpr_count:     0
    .vgpr_spill_count: 0
    .wavefront_size: 64
  - .agpr_count:     0
    .args:
      - .offset:         0
        .size:           56
        .value_kind:     by_value
    .group_segment_fixed_size: 0
    .kernarg_segment_align: 8
    .kernarg_segment_size: 56
    .language:       OpenCL C
    .language_version:
      - 2
      - 0
    .max_flat_workgroup_size: 256
    .name:           _ZN7rocprim17ROCPRIM_400000_NS6detail17trampoline_kernelINS0_14default_configENS1_22reduce_config_selectorIjEEZNS1_11reduce_implILb1ES3_PjS7_jN6thrust23THRUST_200600_302600_NS4plusIjEEEE10hipError_tPvRmT1_T2_T3_mT4_P12ihipStream_tbEUlT_E0_NS1_11comp_targetILNS1_3genE8ELNS1_11target_archE1030ELNS1_3gpuE2ELNS1_3repE0EEENS1_30default_config_static_selectorELNS0_4arch9wavefront6targetE1EEEvSF_
    .private_segment_fixed_size: 0
    .sgpr_count:     6
    .sgpr_spill_count: 0
    .symbol:         _ZN7rocprim17ROCPRIM_400000_NS6detail17trampoline_kernelINS0_14default_configENS1_22reduce_config_selectorIjEEZNS1_11reduce_implILb1ES3_PjS7_jN6thrust23THRUST_200600_302600_NS4plusIjEEEE10hipError_tPvRmT1_T2_T3_mT4_P12ihipStream_tbEUlT_E0_NS1_11comp_targetILNS1_3genE8ELNS1_11target_archE1030ELNS1_3gpuE2ELNS1_3repE0EEENS1_30default_config_static_selectorELNS0_4arch9wavefront6targetE1EEEvSF_.kd
    .uniform_work_group_size: 1
    .uses_dynamic_stack: false
    .vgpr_count:     0
    .vgpr_spill_count: 0
    .wavefront_size: 64
  - .agpr_count:     0
    .args:
      - .offset:         0
        .size:           40
        .value_kind:     by_value
    .group_segment_fixed_size: 112
    .kernarg_segment_align: 8
    .kernarg_segment_size: 40
    .language:       OpenCL C
    .language_version:
      - 2
      - 0
    .max_flat_workgroup_size: 256
    .name:           _ZN7rocprim17ROCPRIM_400000_NS6detail17trampoline_kernelINS0_14default_configENS1_22reduce_config_selectorIjEEZNS1_11reduce_implILb1ES3_PjS7_jN6thrust23THRUST_200600_302600_NS4plusIjEEEE10hipError_tPvRmT1_T2_T3_mT4_P12ihipStream_tbEUlT_E1_NS1_11comp_targetILNS1_3genE0ELNS1_11target_archE4294967295ELNS1_3gpuE0ELNS1_3repE0EEENS1_30default_config_static_selectorELNS0_4arch9wavefront6targetE1EEEvSF_
    .private_segment_fixed_size: 0
    .sgpr_count:     83
    .sgpr_spill_count: 0
    .symbol:         _ZN7rocprim17ROCPRIM_400000_NS6detail17trampoline_kernelINS0_14default_configENS1_22reduce_config_selectorIjEEZNS1_11reduce_implILb1ES3_PjS7_jN6thrust23THRUST_200600_302600_NS4plusIjEEEE10hipError_tPvRmT1_T2_T3_mT4_P12ihipStream_tbEUlT_E1_NS1_11comp_targetILNS1_3genE0ELNS1_11target_archE4294967295ELNS1_3gpuE0ELNS1_3repE0EEENS1_30default_config_static_selectorELNS0_4arch9wavefront6targetE1EEEvSF_.kd
    .uniform_work_group_size: 1
    .uses_dynamic_stack: false
    .vgpr_count:     36
    .vgpr_spill_count: 0
    .wavefront_size: 64
  - .agpr_count:     0
    .args:
      - .offset:         0
        .size:           40
        .value_kind:     by_value
    .group_segment_fixed_size: 0
    .kernarg_segment_align: 8
    .kernarg_segment_size: 40
    .language:       OpenCL C
    .language_version:
      - 2
      - 0
    .max_flat_workgroup_size: 256
    .name:           _ZN7rocprim17ROCPRIM_400000_NS6detail17trampoline_kernelINS0_14default_configENS1_22reduce_config_selectorIjEEZNS1_11reduce_implILb1ES3_PjS7_jN6thrust23THRUST_200600_302600_NS4plusIjEEEE10hipError_tPvRmT1_T2_T3_mT4_P12ihipStream_tbEUlT_E1_NS1_11comp_targetILNS1_3genE5ELNS1_11target_archE942ELNS1_3gpuE9ELNS1_3repE0EEENS1_30default_config_static_selectorELNS0_4arch9wavefront6targetE1EEEvSF_
    .private_segment_fixed_size: 0
    .sgpr_count:     6
    .sgpr_spill_count: 0
    .symbol:         _ZN7rocprim17ROCPRIM_400000_NS6detail17trampoline_kernelINS0_14default_configENS1_22reduce_config_selectorIjEEZNS1_11reduce_implILb1ES3_PjS7_jN6thrust23THRUST_200600_302600_NS4plusIjEEEE10hipError_tPvRmT1_T2_T3_mT4_P12ihipStream_tbEUlT_E1_NS1_11comp_targetILNS1_3genE5ELNS1_11target_archE942ELNS1_3gpuE9ELNS1_3repE0EEENS1_30default_config_static_selectorELNS0_4arch9wavefront6targetE1EEEvSF_.kd
    .uniform_work_group_size: 1
    .uses_dynamic_stack: false
    .vgpr_count:     0
    .vgpr_spill_count: 0
    .wavefront_size: 64
  - .agpr_count:     0
    .args:
      - .offset:         0
        .size:           40
        .value_kind:     by_value
    .group_segment_fixed_size: 0
    .kernarg_segment_align: 8
    .kernarg_segment_size: 40
    .language:       OpenCL C
    .language_version:
      - 2
      - 0
    .max_flat_workgroup_size: 128
    .name:           _ZN7rocprim17ROCPRIM_400000_NS6detail17trampoline_kernelINS0_14default_configENS1_22reduce_config_selectorIjEEZNS1_11reduce_implILb1ES3_PjS7_jN6thrust23THRUST_200600_302600_NS4plusIjEEEE10hipError_tPvRmT1_T2_T3_mT4_P12ihipStream_tbEUlT_E1_NS1_11comp_targetILNS1_3genE4ELNS1_11target_archE910ELNS1_3gpuE8ELNS1_3repE0EEENS1_30default_config_static_selectorELNS0_4arch9wavefront6targetE1EEEvSF_
    .private_segment_fixed_size: 0
    .sgpr_count:     6
    .sgpr_spill_count: 0
    .symbol:         _ZN7rocprim17ROCPRIM_400000_NS6detail17trampoline_kernelINS0_14default_configENS1_22reduce_config_selectorIjEEZNS1_11reduce_implILb1ES3_PjS7_jN6thrust23THRUST_200600_302600_NS4plusIjEEEE10hipError_tPvRmT1_T2_T3_mT4_P12ihipStream_tbEUlT_E1_NS1_11comp_targetILNS1_3genE4ELNS1_11target_archE910ELNS1_3gpuE8ELNS1_3repE0EEENS1_30default_config_static_selectorELNS0_4arch9wavefront6targetE1EEEvSF_.kd
    .uniform_work_group_size: 1
    .uses_dynamic_stack: false
    .vgpr_count:     0
    .vgpr_spill_count: 0
    .wavefront_size: 64
  - .agpr_count:     0
    .args:
      - .offset:         0
        .size:           40
        .value_kind:     by_value
    .group_segment_fixed_size: 0
    .kernarg_segment_align: 8
    .kernarg_segment_size: 40
    .language:       OpenCL C
    .language_version:
      - 2
      - 0
    .max_flat_workgroup_size: 256
    .name:           _ZN7rocprim17ROCPRIM_400000_NS6detail17trampoline_kernelINS0_14default_configENS1_22reduce_config_selectorIjEEZNS1_11reduce_implILb1ES3_PjS7_jN6thrust23THRUST_200600_302600_NS4plusIjEEEE10hipError_tPvRmT1_T2_T3_mT4_P12ihipStream_tbEUlT_E1_NS1_11comp_targetILNS1_3genE3ELNS1_11target_archE908ELNS1_3gpuE7ELNS1_3repE0EEENS1_30default_config_static_selectorELNS0_4arch9wavefront6targetE1EEEvSF_
    .private_segment_fixed_size: 0
    .sgpr_count:     6
    .sgpr_spill_count: 0
    .symbol:         _ZN7rocprim17ROCPRIM_400000_NS6detail17trampoline_kernelINS0_14default_configENS1_22reduce_config_selectorIjEEZNS1_11reduce_implILb1ES3_PjS7_jN6thrust23THRUST_200600_302600_NS4plusIjEEEE10hipError_tPvRmT1_T2_T3_mT4_P12ihipStream_tbEUlT_E1_NS1_11comp_targetILNS1_3genE3ELNS1_11target_archE908ELNS1_3gpuE7ELNS1_3repE0EEENS1_30default_config_static_selectorELNS0_4arch9wavefront6targetE1EEEvSF_.kd
    .uniform_work_group_size: 1
    .uses_dynamic_stack: false
    .vgpr_count:     0
    .vgpr_spill_count: 0
    .wavefront_size: 64
  - .agpr_count:     0
    .args:
      - .offset:         0
        .size:           40
        .value_kind:     by_value
    .group_segment_fixed_size: 0
    .kernarg_segment_align: 8
    .kernarg_segment_size: 40
    .language:       OpenCL C
    .language_version:
      - 2
      - 0
    .max_flat_workgroup_size: 256
    .name:           _ZN7rocprim17ROCPRIM_400000_NS6detail17trampoline_kernelINS0_14default_configENS1_22reduce_config_selectorIjEEZNS1_11reduce_implILb1ES3_PjS7_jN6thrust23THRUST_200600_302600_NS4plusIjEEEE10hipError_tPvRmT1_T2_T3_mT4_P12ihipStream_tbEUlT_E1_NS1_11comp_targetILNS1_3genE2ELNS1_11target_archE906ELNS1_3gpuE6ELNS1_3repE0EEENS1_30default_config_static_selectorELNS0_4arch9wavefront6targetE1EEEvSF_
    .private_segment_fixed_size: 0
    .sgpr_count:     6
    .sgpr_spill_count: 0
    .symbol:         _ZN7rocprim17ROCPRIM_400000_NS6detail17trampoline_kernelINS0_14default_configENS1_22reduce_config_selectorIjEEZNS1_11reduce_implILb1ES3_PjS7_jN6thrust23THRUST_200600_302600_NS4plusIjEEEE10hipError_tPvRmT1_T2_T3_mT4_P12ihipStream_tbEUlT_E1_NS1_11comp_targetILNS1_3genE2ELNS1_11target_archE906ELNS1_3gpuE6ELNS1_3repE0EEENS1_30default_config_static_selectorELNS0_4arch9wavefront6targetE1EEEvSF_.kd
    .uniform_work_group_size: 1
    .uses_dynamic_stack: false
    .vgpr_count:     0
    .vgpr_spill_count: 0
    .wavefront_size: 64
  - .agpr_count:     0
    .args:
      - .offset:         0
        .size:           40
        .value_kind:     by_value
    .group_segment_fixed_size: 0
    .kernarg_segment_align: 8
    .kernarg_segment_size: 40
    .language:       OpenCL C
    .language_version:
      - 2
      - 0
    .max_flat_workgroup_size: 256
    .name:           _ZN7rocprim17ROCPRIM_400000_NS6detail17trampoline_kernelINS0_14default_configENS1_22reduce_config_selectorIjEEZNS1_11reduce_implILb1ES3_PjS7_jN6thrust23THRUST_200600_302600_NS4plusIjEEEE10hipError_tPvRmT1_T2_T3_mT4_P12ihipStream_tbEUlT_E1_NS1_11comp_targetILNS1_3genE10ELNS1_11target_archE1201ELNS1_3gpuE5ELNS1_3repE0EEENS1_30default_config_static_selectorELNS0_4arch9wavefront6targetE1EEEvSF_
    .private_segment_fixed_size: 0
    .sgpr_count:     6
    .sgpr_spill_count: 0
    .symbol:         _ZN7rocprim17ROCPRIM_400000_NS6detail17trampoline_kernelINS0_14default_configENS1_22reduce_config_selectorIjEEZNS1_11reduce_implILb1ES3_PjS7_jN6thrust23THRUST_200600_302600_NS4plusIjEEEE10hipError_tPvRmT1_T2_T3_mT4_P12ihipStream_tbEUlT_E1_NS1_11comp_targetILNS1_3genE10ELNS1_11target_archE1201ELNS1_3gpuE5ELNS1_3repE0EEENS1_30default_config_static_selectorELNS0_4arch9wavefront6targetE1EEEvSF_.kd
    .uniform_work_group_size: 1
    .uses_dynamic_stack: false
    .vgpr_count:     0
    .vgpr_spill_count: 0
    .wavefront_size: 64
  - .agpr_count:     0
    .args:
      - .offset:         0
        .size:           40
        .value_kind:     by_value
    .group_segment_fixed_size: 0
    .kernarg_segment_align: 8
    .kernarg_segment_size: 40
    .language:       OpenCL C
    .language_version:
      - 2
      - 0
    .max_flat_workgroup_size: 256
    .name:           _ZN7rocprim17ROCPRIM_400000_NS6detail17trampoline_kernelINS0_14default_configENS1_22reduce_config_selectorIjEEZNS1_11reduce_implILb1ES3_PjS7_jN6thrust23THRUST_200600_302600_NS4plusIjEEEE10hipError_tPvRmT1_T2_T3_mT4_P12ihipStream_tbEUlT_E1_NS1_11comp_targetILNS1_3genE10ELNS1_11target_archE1200ELNS1_3gpuE4ELNS1_3repE0EEENS1_30default_config_static_selectorELNS0_4arch9wavefront6targetE1EEEvSF_
    .private_segment_fixed_size: 0
    .sgpr_count:     6
    .sgpr_spill_count: 0
    .symbol:         _ZN7rocprim17ROCPRIM_400000_NS6detail17trampoline_kernelINS0_14default_configENS1_22reduce_config_selectorIjEEZNS1_11reduce_implILb1ES3_PjS7_jN6thrust23THRUST_200600_302600_NS4plusIjEEEE10hipError_tPvRmT1_T2_T3_mT4_P12ihipStream_tbEUlT_E1_NS1_11comp_targetILNS1_3genE10ELNS1_11target_archE1200ELNS1_3gpuE4ELNS1_3repE0EEENS1_30default_config_static_selectorELNS0_4arch9wavefront6targetE1EEEvSF_.kd
    .uniform_work_group_size: 1
    .uses_dynamic_stack: false
    .vgpr_count:     0
    .vgpr_spill_count: 0
    .wavefront_size: 64
  - .agpr_count:     0
    .args:
      - .offset:         0
        .size:           40
        .value_kind:     by_value
    .group_segment_fixed_size: 0
    .kernarg_segment_align: 8
    .kernarg_segment_size: 40
    .language:       OpenCL C
    .language_version:
      - 2
      - 0
    .max_flat_workgroup_size: 256
    .name:           _ZN7rocprim17ROCPRIM_400000_NS6detail17trampoline_kernelINS0_14default_configENS1_22reduce_config_selectorIjEEZNS1_11reduce_implILb1ES3_PjS7_jN6thrust23THRUST_200600_302600_NS4plusIjEEEE10hipError_tPvRmT1_T2_T3_mT4_P12ihipStream_tbEUlT_E1_NS1_11comp_targetILNS1_3genE9ELNS1_11target_archE1100ELNS1_3gpuE3ELNS1_3repE0EEENS1_30default_config_static_selectorELNS0_4arch9wavefront6targetE1EEEvSF_
    .private_segment_fixed_size: 0
    .sgpr_count:     6
    .sgpr_spill_count: 0
    .symbol:         _ZN7rocprim17ROCPRIM_400000_NS6detail17trampoline_kernelINS0_14default_configENS1_22reduce_config_selectorIjEEZNS1_11reduce_implILb1ES3_PjS7_jN6thrust23THRUST_200600_302600_NS4plusIjEEEE10hipError_tPvRmT1_T2_T3_mT4_P12ihipStream_tbEUlT_E1_NS1_11comp_targetILNS1_3genE9ELNS1_11target_archE1100ELNS1_3gpuE3ELNS1_3repE0EEENS1_30default_config_static_selectorELNS0_4arch9wavefront6targetE1EEEvSF_.kd
    .uniform_work_group_size: 1
    .uses_dynamic_stack: false
    .vgpr_count:     0
    .vgpr_spill_count: 0
    .wavefront_size: 64
  - .agpr_count:     0
    .args:
      - .offset:         0
        .size:           40
        .value_kind:     by_value
    .group_segment_fixed_size: 0
    .kernarg_segment_align: 8
    .kernarg_segment_size: 40
    .language:       OpenCL C
    .language_version:
      - 2
      - 0
    .max_flat_workgroup_size: 256
    .name:           _ZN7rocprim17ROCPRIM_400000_NS6detail17trampoline_kernelINS0_14default_configENS1_22reduce_config_selectorIjEEZNS1_11reduce_implILb1ES3_PjS7_jN6thrust23THRUST_200600_302600_NS4plusIjEEEE10hipError_tPvRmT1_T2_T3_mT4_P12ihipStream_tbEUlT_E1_NS1_11comp_targetILNS1_3genE8ELNS1_11target_archE1030ELNS1_3gpuE2ELNS1_3repE0EEENS1_30default_config_static_selectorELNS0_4arch9wavefront6targetE1EEEvSF_
    .private_segment_fixed_size: 0
    .sgpr_count:     6
    .sgpr_spill_count: 0
    .symbol:         _ZN7rocprim17ROCPRIM_400000_NS6detail17trampoline_kernelINS0_14default_configENS1_22reduce_config_selectorIjEEZNS1_11reduce_implILb1ES3_PjS7_jN6thrust23THRUST_200600_302600_NS4plusIjEEEE10hipError_tPvRmT1_T2_T3_mT4_P12ihipStream_tbEUlT_E1_NS1_11comp_targetILNS1_3genE8ELNS1_11target_archE1030ELNS1_3gpuE2ELNS1_3repE0EEENS1_30default_config_static_selectorELNS0_4arch9wavefront6targetE1EEEvSF_.kd
    .uniform_work_group_size: 1
    .uses_dynamic_stack: false
    .vgpr_count:     0
    .vgpr_spill_count: 0
    .wavefront_size: 64
  - .agpr_count:     0
    .args:
      - .offset:         0
        .size:           56
        .value_kind:     by_value
    .group_segment_fixed_size: 32
    .kernarg_segment_align: 8
    .kernarg_segment_size: 56
    .language:       OpenCL C
    .language_version:
      - 2
      - 0
    .max_flat_workgroup_size: 256
    .name:           _ZN7rocprim17ROCPRIM_400000_NS6detail17trampoline_kernelINS0_14default_configENS1_22reduce_config_selectorIjEEZNS1_11reduce_implILb1ES3_N6thrust23THRUST_200600_302600_NS6detail15normal_iteratorINS8_10device_ptrIjEEEEPjjNS8_4plusIjEEEE10hipError_tPvRmT1_T2_T3_mT4_P12ihipStream_tbEUlT_E0_NS1_11comp_targetILNS1_3genE0ELNS1_11target_archE4294967295ELNS1_3gpuE0ELNS1_3repE0EEENS1_30default_config_static_selectorELNS0_4arch9wavefront6targetE1EEEvSK_
    .private_segment_fixed_size: 0
    .sgpr_count:     26
    .sgpr_spill_count: 0
    .symbol:         _ZN7rocprim17ROCPRIM_400000_NS6detail17trampoline_kernelINS0_14default_configENS1_22reduce_config_selectorIjEEZNS1_11reduce_implILb1ES3_N6thrust23THRUST_200600_302600_NS6detail15normal_iteratorINS8_10device_ptrIjEEEEPjjNS8_4plusIjEEEE10hipError_tPvRmT1_T2_T3_mT4_P12ihipStream_tbEUlT_E0_NS1_11comp_targetILNS1_3genE0ELNS1_11target_archE4294967295ELNS1_3gpuE0ELNS1_3repE0EEENS1_30default_config_static_selectorELNS0_4arch9wavefront6targetE1EEEvSK_.kd
    .uniform_work_group_size: 1
    .uses_dynamic_stack: false
    .vgpr_count:     12
    .vgpr_spill_count: 0
    .wavefront_size: 64
  - .agpr_count:     0
    .args:
      - .offset:         0
        .size:           56
        .value_kind:     by_value
    .group_segment_fixed_size: 0
    .kernarg_segment_align: 8
    .kernarg_segment_size: 56
    .language:       OpenCL C
    .language_version:
      - 2
      - 0
    .max_flat_workgroup_size: 256
    .name:           _ZN7rocprim17ROCPRIM_400000_NS6detail17trampoline_kernelINS0_14default_configENS1_22reduce_config_selectorIjEEZNS1_11reduce_implILb1ES3_N6thrust23THRUST_200600_302600_NS6detail15normal_iteratorINS8_10device_ptrIjEEEEPjjNS8_4plusIjEEEE10hipError_tPvRmT1_T2_T3_mT4_P12ihipStream_tbEUlT_E0_NS1_11comp_targetILNS1_3genE5ELNS1_11target_archE942ELNS1_3gpuE9ELNS1_3repE0EEENS1_30default_config_static_selectorELNS0_4arch9wavefront6targetE1EEEvSK_
    .private_segment_fixed_size: 0
    .sgpr_count:     6
    .sgpr_spill_count: 0
    .symbol:         _ZN7rocprim17ROCPRIM_400000_NS6detail17trampoline_kernelINS0_14default_configENS1_22reduce_config_selectorIjEEZNS1_11reduce_implILb1ES3_N6thrust23THRUST_200600_302600_NS6detail15normal_iteratorINS8_10device_ptrIjEEEEPjjNS8_4plusIjEEEE10hipError_tPvRmT1_T2_T3_mT4_P12ihipStream_tbEUlT_E0_NS1_11comp_targetILNS1_3genE5ELNS1_11target_archE942ELNS1_3gpuE9ELNS1_3repE0EEENS1_30default_config_static_selectorELNS0_4arch9wavefront6targetE1EEEvSK_.kd
    .uniform_work_group_size: 1
    .uses_dynamic_stack: false
    .vgpr_count:     0
    .vgpr_spill_count: 0
    .wavefront_size: 64
  - .agpr_count:     0
    .args:
      - .offset:         0
        .size:           56
        .value_kind:     by_value
    .group_segment_fixed_size: 0
    .kernarg_segment_align: 8
    .kernarg_segment_size: 56
    .language:       OpenCL C
    .language_version:
      - 2
      - 0
    .max_flat_workgroup_size: 128
    .name:           _ZN7rocprim17ROCPRIM_400000_NS6detail17trampoline_kernelINS0_14default_configENS1_22reduce_config_selectorIjEEZNS1_11reduce_implILb1ES3_N6thrust23THRUST_200600_302600_NS6detail15normal_iteratorINS8_10device_ptrIjEEEEPjjNS8_4plusIjEEEE10hipError_tPvRmT1_T2_T3_mT4_P12ihipStream_tbEUlT_E0_NS1_11comp_targetILNS1_3genE4ELNS1_11target_archE910ELNS1_3gpuE8ELNS1_3repE0EEENS1_30default_config_static_selectorELNS0_4arch9wavefront6targetE1EEEvSK_
    .private_segment_fixed_size: 0
    .sgpr_count:     6
    .sgpr_spill_count: 0
    .symbol:         _ZN7rocprim17ROCPRIM_400000_NS6detail17trampoline_kernelINS0_14default_configENS1_22reduce_config_selectorIjEEZNS1_11reduce_implILb1ES3_N6thrust23THRUST_200600_302600_NS6detail15normal_iteratorINS8_10device_ptrIjEEEEPjjNS8_4plusIjEEEE10hipError_tPvRmT1_T2_T3_mT4_P12ihipStream_tbEUlT_E0_NS1_11comp_targetILNS1_3genE4ELNS1_11target_archE910ELNS1_3gpuE8ELNS1_3repE0EEENS1_30default_config_static_selectorELNS0_4arch9wavefront6targetE1EEEvSK_.kd
    .uniform_work_group_size: 1
    .uses_dynamic_stack: false
    .vgpr_count:     0
    .vgpr_spill_count: 0
    .wavefront_size: 64
  - .agpr_count:     0
    .args:
      - .offset:         0
        .size:           56
        .value_kind:     by_value
    .group_segment_fixed_size: 0
    .kernarg_segment_align: 8
    .kernarg_segment_size: 56
    .language:       OpenCL C
    .language_version:
      - 2
      - 0
    .max_flat_workgroup_size: 256
    .name:           _ZN7rocprim17ROCPRIM_400000_NS6detail17trampoline_kernelINS0_14default_configENS1_22reduce_config_selectorIjEEZNS1_11reduce_implILb1ES3_N6thrust23THRUST_200600_302600_NS6detail15normal_iteratorINS8_10device_ptrIjEEEEPjjNS8_4plusIjEEEE10hipError_tPvRmT1_T2_T3_mT4_P12ihipStream_tbEUlT_E0_NS1_11comp_targetILNS1_3genE3ELNS1_11target_archE908ELNS1_3gpuE7ELNS1_3repE0EEENS1_30default_config_static_selectorELNS0_4arch9wavefront6targetE1EEEvSK_
    .private_segment_fixed_size: 0
    .sgpr_count:     6
    .sgpr_spill_count: 0
    .symbol:         _ZN7rocprim17ROCPRIM_400000_NS6detail17trampoline_kernelINS0_14default_configENS1_22reduce_config_selectorIjEEZNS1_11reduce_implILb1ES3_N6thrust23THRUST_200600_302600_NS6detail15normal_iteratorINS8_10device_ptrIjEEEEPjjNS8_4plusIjEEEE10hipError_tPvRmT1_T2_T3_mT4_P12ihipStream_tbEUlT_E0_NS1_11comp_targetILNS1_3genE3ELNS1_11target_archE908ELNS1_3gpuE7ELNS1_3repE0EEENS1_30default_config_static_selectorELNS0_4arch9wavefront6targetE1EEEvSK_.kd
    .uniform_work_group_size: 1
    .uses_dynamic_stack: false
    .vgpr_count:     0
    .vgpr_spill_count: 0
    .wavefront_size: 64
  - .agpr_count:     0
    .args:
      - .offset:         0
        .size:           56
        .value_kind:     by_value
    .group_segment_fixed_size: 0
    .kernarg_segment_align: 8
    .kernarg_segment_size: 56
    .language:       OpenCL C
    .language_version:
      - 2
      - 0
    .max_flat_workgroup_size: 256
    .name:           _ZN7rocprim17ROCPRIM_400000_NS6detail17trampoline_kernelINS0_14default_configENS1_22reduce_config_selectorIjEEZNS1_11reduce_implILb1ES3_N6thrust23THRUST_200600_302600_NS6detail15normal_iteratorINS8_10device_ptrIjEEEEPjjNS8_4plusIjEEEE10hipError_tPvRmT1_T2_T3_mT4_P12ihipStream_tbEUlT_E0_NS1_11comp_targetILNS1_3genE2ELNS1_11target_archE906ELNS1_3gpuE6ELNS1_3repE0EEENS1_30default_config_static_selectorELNS0_4arch9wavefront6targetE1EEEvSK_
    .private_segment_fixed_size: 0
    .sgpr_count:     6
    .sgpr_spill_count: 0
    .symbol:         _ZN7rocprim17ROCPRIM_400000_NS6detail17trampoline_kernelINS0_14default_configENS1_22reduce_config_selectorIjEEZNS1_11reduce_implILb1ES3_N6thrust23THRUST_200600_302600_NS6detail15normal_iteratorINS8_10device_ptrIjEEEEPjjNS8_4plusIjEEEE10hipError_tPvRmT1_T2_T3_mT4_P12ihipStream_tbEUlT_E0_NS1_11comp_targetILNS1_3genE2ELNS1_11target_archE906ELNS1_3gpuE6ELNS1_3repE0EEENS1_30default_config_static_selectorELNS0_4arch9wavefront6targetE1EEEvSK_.kd
    .uniform_work_group_size: 1
    .uses_dynamic_stack: false
    .vgpr_count:     0
    .vgpr_spill_count: 0
    .wavefront_size: 64
  - .agpr_count:     0
    .args:
      - .offset:         0
        .size:           56
        .value_kind:     by_value
    .group_segment_fixed_size: 0
    .kernarg_segment_align: 8
    .kernarg_segment_size: 56
    .language:       OpenCL C
    .language_version:
      - 2
      - 0
    .max_flat_workgroup_size: 256
    .name:           _ZN7rocprim17ROCPRIM_400000_NS6detail17trampoline_kernelINS0_14default_configENS1_22reduce_config_selectorIjEEZNS1_11reduce_implILb1ES3_N6thrust23THRUST_200600_302600_NS6detail15normal_iteratorINS8_10device_ptrIjEEEEPjjNS8_4plusIjEEEE10hipError_tPvRmT1_T2_T3_mT4_P12ihipStream_tbEUlT_E0_NS1_11comp_targetILNS1_3genE10ELNS1_11target_archE1201ELNS1_3gpuE5ELNS1_3repE0EEENS1_30default_config_static_selectorELNS0_4arch9wavefront6targetE1EEEvSK_
    .private_segment_fixed_size: 0
    .sgpr_count:     6
    .sgpr_spill_count: 0
    .symbol:         _ZN7rocprim17ROCPRIM_400000_NS6detail17trampoline_kernelINS0_14default_configENS1_22reduce_config_selectorIjEEZNS1_11reduce_implILb1ES3_N6thrust23THRUST_200600_302600_NS6detail15normal_iteratorINS8_10device_ptrIjEEEEPjjNS8_4plusIjEEEE10hipError_tPvRmT1_T2_T3_mT4_P12ihipStream_tbEUlT_E0_NS1_11comp_targetILNS1_3genE10ELNS1_11target_archE1201ELNS1_3gpuE5ELNS1_3repE0EEENS1_30default_config_static_selectorELNS0_4arch9wavefront6targetE1EEEvSK_.kd
    .uniform_work_group_size: 1
    .uses_dynamic_stack: false
    .vgpr_count:     0
    .vgpr_spill_count: 0
    .wavefront_size: 64
  - .agpr_count:     0
    .args:
      - .offset:         0
        .size:           56
        .value_kind:     by_value
    .group_segment_fixed_size: 0
    .kernarg_segment_align: 8
    .kernarg_segment_size: 56
    .language:       OpenCL C
    .language_version:
      - 2
      - 0
    .max_flat_workgroup_size: 256
    .name:           _ZN7rocprim17ROCPRIM_400000_NS6detail17trampoline_kernelINS0_14default_configENS1_22reduce_config_selectorIjEEZNS1_11reduce_implILb1ES3_N6thrust23THRUST_200600_302600_NS6detail15normal_iteratorINS8_10device_ptrIjEEEEPjjNS8_4plusIjEEEE10hipError_tPvRmT1_T2_T3_mT4_P12ihipStream_tbEUlT_E0_NS1_11comp_targetILNS1_3genE10ELNS1_11target_archE1200ELNS1_3gpuE4ELNS1_3repE0EEENS1_30default_config_static_selectorELNS0_4arch9wavefront6targetE1EEEvSK_
    .private_segment_fixed_size: 0
    .sgpr_count:     6
    .sgpr_spill_count: 0
    .symbol:         _ZN7rocprim17ROCPRIM_400000_NS6detail17trampoline_kernelINS0_14default_configENS1_22reduce_config_selectorIjEEZNS1_11reduce_implILb1ES3_N6thrust23THRUST_200600_302600_NS6detail15normal_iteratorINS8_10device_ptrIjEEEEPjjNS8_4plusIjEEEE10hipError_tPvRmT1_T2_T3_mT4_P12ihipStream_tbEUlT_E0_NS1_11comp_targetILNS1_3genE10ELNS1_11target_archE1200ELNS1_3gpuE4ELNS1_3repE0EEENS1_30default_config_static_selectorELNS0_4arch9wavefront6targetE1EEEvSK_.kd
    .uniform_work_group_size: 1
    .uses_dynamic_stack: false
    .vgpr_count:     0
    .vgpr_spill_count: 0
    .wavefront_size: 64
  - .agpr_count:     0
    .args:
      - .offset:         0
        .size:           56
        .value_kind:     by_value
    .group_segment_fixed_size: 0
    .kernarg_segment_align: 8
    .kernarg_segment_size: 56
    .language:       OpenCL C
    .language_version:
      - 2
      - 0
    .max_flat_workgroup_size: 256
    .name:           _ZN7rocprim17ROCPRIM_400000_NS6detail17trampoline_kernelINS0_14default_configENS1_22reduce_config_selectorIjEEZNS1_11reduce_implILb1ES3_N6thrust23THRUST_200600_302600_NS6detail15normal_iteratorINS8_10device_ptrIjEEEEPjjNS8_4plusIjEEEE10hipError_tPvRmT1_T2_T3_mT4_P12ihipStream_tbEUlT_E0_NS1_11comp_targetILNS1_3genE9ELNS1_11target_archE1100ELNS1_3gpuE3ELNS1_3repE0EEENS1_30default_config_static_selectorELNS0_4arch9wavefront6targetE1EEEvSK_
    .private_segment_fixed_size: 0
    .sgpr_count:     6
    .sgpr_spill_count: 0
    .symbol:         _ZN7rocprim17ROCPRIM_400000_NS6detail17trampoline_kernelINS0_14default_configENS1_22reduce_config_selectorIjEEZNS1_11reduce_implILb1ES3_N6thrust23THRUST_200600_302600_NS6detail15normal_iteratorINS8_10device_ptrIjEEEEPjjNS8_4plusIjEEEE10hipError_tPvRmT1_T2_T3_mT4_P12ihipStream_tbEUlT_E0_NS1_11comp_targetILNS1_3genE9ELNS1_11target_archE1100ELNS1_3gpuE3ELNS1_3repE0EEENS1_30default_config_static_selectorELNS0_4arch9wavefront6targetE1EEEvSK_.kd
    .uniform_work_group_size: 1
    .uses_dynamic_stack: false
    .vgpr_count:     0
    .vgpr_spill_count: 0
    .wavefront_size: 64
  - .agpr_count:     0
    .args:
      - .offset:         0
        .size:           56
        .value_kind:     by_value
    .group_segment_fixed_size: 0
    .kernarg_segment_align: 8
    .kernarg_segment_size: 56
    .language:       OpenCL C
    .language_version:
      - 2
      - 0
    .max_flat_workgroup_size: 256
    .name:           _ZN7rocprim17ROCPRIM_400000_NS6detail17trampoline_kernelINS0_14default_configENS1_22reduce_config_selectorIjEEZNS1_11reduce_implILb1ES3_N6thrust23THRUST_200600_302600_NS6detail15normal_iteratorINS8_10device_ptrIjEEEEPjjNS8_4plusIjEEEE10hipError_tPvRmT1_T2_T3_mT4_P12ihipStream_tbEUlT_E0_NS1_11comp_targetILNS1_3genE8ELNS1_11target_archE1030ELNS1_3gpuE2ELNS1_3repE0EEENS1_30default_config_static_selectorELNS0_4arch9wavefront6targetE1EEEvSK_
    .private_segment_fixed_size: 0
    .sgpr_count:     6
    .sgpr_spill_count: 0
    .symbol:         _ZN7rocprim17ROCPRIM_400000_NS6detail17trampoline_kernelINS0_14default_configENS1_22reduce_config_selectorIjEEZNS1_11reduce_implILb1ES3_N6thrust23THRUST_200600_302600_NS6detail15normal_iteratorINS8_10device_ptrIjEEEEPjjNS8_4plusIjEEEE10hipError_tPvRmT1_T2_T3_mT4_P12ihipStream_tbEUlT_E0_NS1_11comp_targetILNS1_3genE8ELNS1_11target_archE1030ELNS1_3gpuE2ELNS1_3repE0EEENS1_30default_config_static_selectorELNS0_4arch9wavefront6targetE1EEEvSK_.kd
    .uniform_work_group_size: 1
    .uses_dynamic_stack: false
    .vgpr_count:     0
    .vgpr_spill_count: 0
    .wavefront_size: 64
  - .agpr_count:     0
    .args:
      - .offset:         0
        .size:           40
        .value_kind:     by_value
    .group_segment_fixed_size: 112
    .kernarg_segment_align: 8
    .kernarg_segment_size: 40
    .language:       OpenCL C
    .language_version:
      - 2
      - 0
    .max_flat_workgroup_size: 256
    .name:           _ZN7rocprim17ROCPRIM_400000_NS6detail17trampoline_kernelINS0_14default_configENS1_22reduce_config_selectorIjEEZNS1_11reduce_implILb1ES3_N6thrust23THRUST_200600_302600_NS6detail15normal_iteratorINS8_10device_ptrIjEEEEPjjNS8_4plusIjEEEE10hipError_tPvRmT1_T2_T3_mT4_P12ihipStream_tbEUlT_E1_NS1_11comp_targetILNS1_3genE0ELNS1_11target_archE4294967295ELNS1_3gpuE0ELNS1_3repE0EEENS1_30default_config_static_selectorELNS0_4arch9wavefront6targetE1EEEvSK_
    .private_segment_fixed_size: 0
    .sgpr_count:     83
    .sgpr_spill_count: 0
    .symbol:         _ZN7rocprim17ROCPRIM_400000_NS6detail17trampoline_kernelINS0_14default_configENS1_22reduce_config_selectorIjEEZNS1_11reduce_implILb1ES3_N6thrust23THRUST_200600_302600_NS6detail15normal_iteratorINS8_10device_ptrIjEEEEPjjNS8_4plusIjEEEE10hipError_tPvRmT1_T2_T3_mT4_P12ihipStream_tbEUlT_E1_NS1_11comp_targetILNS1_3genE0ELNS1_11target_archE4294967295ELNS1_3gpuE0ELNS1_3repE0EEENS1_30default_config_static_selectorELNS0_4arch9wavefront6targetE1EEEvSK_.kd
    .uniform_work_group_size: 1
    .uses_dynamic_stack: false
    .vgpr_count:     36
    .vgpr_spill_count: 0
    .wavefront_size: 64
  - .agpr_count:     0
    .args:
      - .offset:         0
        .size:           40
        .value_kind:     by_value
    .group_segment_fixed_size: 0
    .kernarg_segment_align: 8
    .kernarg_segment_size: 40
    .language:       OpenCL C
    .language_version:
      - 2
      - 0
    .max_flat_workgroup_size: 256
    .name:           _ZN7rocprim17ROCPRIM_400000_NS6detail17trampoline_kernelINS0_14default_configENS1_22reduce_config_selectorIjEEZNS1_11reduce_implILb1ES3_N6thrust23THRUST_200600_302600_NS6detail15normal_iteratorINS8_10device_ptrIjEEEEPjjNS8_4plusIjEEEE10hipError_tPvRmT1_T2_T3_mT4_P12ihipStream_tbEUlT_E1_NS1_11comp_targetILNS1_3genE5ELNS1_11target_archE942ELNS1_3gpuE9ELNS1_3repE0EEENS1_30default_config_static_selectorELNS0_4arch9wavefront6targetE1EEEvSK_
    .private_segment_fixed_size: 0
    .sgpr_count:     6
    .sgpr_spill_count: 0
    .symbol:         _ZN7rocprim17ROCPRIM_400000_NS6detail17trampoline_kernelINS0_14default_configENS1_22reduce_config_selectorIjEEZNS1_11reduce_implILb1ES3_N6thrust23THRUST_200600_302600_NS6detail15normal_iteratorINS8_10device_ptrIjEEEEPjjNS8_4plusIjEEEE10hipError_tPvRmT1_T2_T3_mT4_P12ihipStream_tbEUlT_E1_NS1_11comp_targetILNS1_3genE5ELNS1_11target_archE942ELNS1_3gpuE9ELNS1_3repE0EEENS1_30default_config_static_selectorELNS0_4arch9wavefront6targetE1EEEvSK_.kd
    .uniform_work_group_size: 1
    .uses_dynamic_stack: false
    .vgpr_count:     0
    .vgpr_spill_count: 0
    .wavefront_size: 64
  - .agpr_count:     0
    .args:
      - .offset:         0
        .size:           40
        .value_kind:     by_value
    .group_segment_fixed_size: 0
    .kernarg_segment_align: 8
    .kernarg_segment_size: 40
    .language:       OpenCL C
    .language_version:
      - 2
      - 0
    .max_flat_workgroup_size: 128
    .name:           _ZN7rocprim17ROCPRIM_400000_NS6detail17trampoline_kernelINS0_14default_configENS1_22reduce_config_selectorIjEEZNS1_11reduce_implILb1ES3_N6thrust23THRUST_200600_302600_NS6detail15normal_iteratorINS8_10device_ptrIjEEEEPjjNS8_4plusIjEEEE10hipError_tPvRmT1_T2_T3_mT4_P12ihipStream_tbEUlT_E1_NS1_11comp_targetILNS1_3genE4ELNS1_11target_archE910ELNS1_3gpuE8ELNS1_3repE0EEENS1_30default_config_static_selectorELNS0_4arch9wavefront6targetE1EEEvSK_
    .private_segment_fixed_size: 0
    .sgpr_count:     6
    .sgpr_spill_count: 0
    .symbol:         _ZN7rocprim17ROCPRIM_400000_NS6detail17trampoline_kernelINS0_14default_configENS1_22reduce_config_selectorIjEEZNS1_11reduce_implILb1ES3_N6thrust23THRUST_200600_302600_NS6detail15normal_iteratorINS8_10device_ptrIjEEEEPjjNS8_4plusIjEEEE10hipError_tPvRmT1_T2_T3_mT4_P12ihipStream_tbEUlT_E1_NS1_11comp_targetILNS1_3genE4ELNS1_11target_archE910ELNS1_3gpuE8ELNS1_3repE0EEENS1_30default_config_static_selectorELNS0_4arch9wavefront6targetE1EEEvSK_.kd
    .uniform_work_group_size: 1
    .uses_dynamic_stack: false
    .vgpr_count:     0
    .vgpr_spill_count: 0
    .wavefront_size: 64
  - .agpr_count:     0
    .args:
      - .offset:         0
        .size:           40
        .value_kind:     by_value
    .group_segment_fixed_size: 0
    .kernarg_segment_align: 8
    .kernarg_segment_size: 40
    .language:       OpenCL C
    .language_version:
      - 2
      - 0
    .max_flat_workgroup_size: 256
    .name:           _ZN7rocprim17ROCPRIM_400000_NS6detail17trampoline_kernelINS0_14default_configENS1_22reduce_config_selectorIjEEZNS1_11reduce_implILb1ES3_N6thrust23THRUST_200600_302600_NS6detail15normal_iteratorINS8_10device_ptrIjEEEEPjjNS8_4plusIjEEEE10hipError_tPvRmT1_T2_T3_mT4_P12ihipStream_tbEUlT_E1_NS1_11comp_targetILNS1_3genE3ELNS1_11target_archE908ELNS1_3gpuE7ELNS1_3repE0EEENS1_30default_config_static_selectorELNS0_4arch9wavefront6targetE1EEEvSK_
    .private_segment_fixed_size: 0
    .sgpr_count:     6
    .sgpr_spill_count: 0
    .symbol:         _ZN7rocprim17ROCPRIM_400000_NS6detail17trampoline_kernelINS0_14default_configENS1_22reduce_config_selectorIjEEZNS1_11reduce_implILb1ES3_N6thrust23THRUST_200600_302600_NS6detail15normal_iteratorINS8_10device_ptrIjEEEEPjjNS8_4plusIjEEEE10hipError_tPvRmT1_T2_T3_mT4_P12ihipStream_tbEUlT_E1_NS1_11comp_targetILNS1_3genE3ELNS1_11target_archE908ELNS1_3gpuE7ELNS1_3repE0EEENS1_30default_config_static_selectorELNS0_4arch9wavefront6targetE1EEEvSK_.kd
    .uniform_work_group_size: 1
    .uses_dynamic_stack: false
    .vgpr_count:     0
    .vgpr_spill_count: 0
    .wavefront_size: 64
  - .agpr_count:     0
    .args:
      - .offset:         0
        .size:           40
        .value_kind:     by_value
    .group_segment_fixed_size: 0
    .kernarg_segment_align: 8
    .kernarg_segment_size: 40
    .language:       OpenCL C
    .language_version:
      - 2
      - 0
    .max_flat_workgroup_size: 256
    .name:           _ZN7rocprim17ROCPRIM_400000_NS6detail17trampoline_kernelINS0_14default_configENS1_22reduce_config_selectorIjEEZNS1_11reduce_implILb1ES3_N6thrust23THRUST_200600_302600_NS6detail15normal_iteratorINS8_10device_ptrIjEEEEPjjNS8_4plusIjEEEE10hipError_tPvRmT1_T2_T3_mT4_P12ihipStream_tbEUlT_E1_NS1_11comp_targetILNS1_3genE2ELNS1_11target_archE906ELNS1_3gpuE6ELNS1_3repE0EEENS1_30default_config_static_selectorELNS0_4arch9wavefront6targetE1EEEvSK_
    .private_segment_fixed_size: 0
    .sgpr_count:     6
    .sgpr_spill_count: 0
    .symbol:         _ZN7rocprim17ROCPRIM_400000_NS6detail17trampoline_kernelINS0_14default_configENS1_22reduce_config_selectorIjEEZNS1_11reduce_implILb1ES3_N6thrust23THRUST_200600_302600_NS6detail15normal_iteratorINS8_10device_ptrIjEEEEPjjNS8_4plusIjEEEE10hipError_tPvRmT1_T2_T3_mT4_P12ihipStream_tbEUlT_E1_NS1_11comp_targetILNS1_3genE2ELNS1_11target_archE906ELNS1_3gpuE6ELNS1_3repE0EEENS1_30default_config_static_selectorELNS0_4arch9wavefront6targetE1EEEvSK_.kd
    .uniform_work_group_size: 1
    .uses_dynamic_stack: false
    .vgpr_count:     0
    .vgpr_spill_count: 0
    .wavefront_size: 64
  - .agpr_count:     0
    .args:
      - .offset:         0
        .size:           40
        .value_kind:     by_value
    .group_segment_fixed_size: 0
    .kernarg_segment_align: 8
    .kernarg_segment_size: 40
    .language:       OpenCL C
    .language_version:
      - 2
      - 0
    .max_flat_workgroup_size: 256
    .name:           _ZN7rocprim17ROCPRIM_400000_NS6detail17trampoline_kernelINS0_14default_configENS1_22reduce_config_selectorIjEEZNS1_11reduce_implILb1ES3_N6thrust23THRUST_200600_302600_NS6detail15normal_iteratorINS8_10device_ptrIjEEEEPjjNS8_4plusIjEEEE10hipError_tPvRmT1_T2_T3_mT4_P12ihipStream_tbEUlT_E1_NS1_11comp_targetILNS1_3genE10ELNS1_11target_archE1201ELNS1_3gpuE5ELNS1_3repE0EEENS1_30default_config_static_selectorELNS0_4arch9wavefront6targetE1EEEvSK_
    .private_segment_fixed_size: 0
    .sgpr_count:     6
    .sgpr_spill_count: 0
    .symbol:         _ZN7rocprim17ROCPRIM_400000_NS6detail17trampoline_kernelINS0_14default_configENS1_22reduce_config_selectorIjEEZNS1_11reduce_implILb1ES3_N6thrust23THRUST_200600_302600_NS6detail15normal_iteratorINS8_10device_ptrIjEEEEPjjNS8_4plusIjEEEE10hipError_tPvRmT1_T2_T3_mT4_P12ihipStream_tbEUlT_E1_NS1_11comp_targetILNS1_3genE10ELNS1_11target_archE1201ELNS1_3gpuE5ELNS1_3repE0EEENS1_30default_config_static_selectorELNS0_4arch9wavefront6targetE1EEEvSK_.kd
    .uniform_work_group_size: 1
    .uses_dynamic_stack: false
    .vgpr_count:     0
    .vgpr_spill_count: 0
    .wavefront_size: 64
  - .agpr_count:     0
    .args:
      - .offset:         0
        .size:           40
        .value_kind:     by_value
    .group_segment_fixed_size: 0
    .kernarg_segment_align: 8
    .kernarg_segment_size: 40
    .language:       OpenCL C
    .language_version:
      - 2
      - 0
    .max_flat_workgroup_size: 256
    .name:           _ZN7rocprim17ROCPRIM_400000_NS6detail17trampoline_kernelINS0_14default_configENS1_22reduce_config_selectorIjEEZNS1_11reduce_implILb1ES3_N6thrust23THRUST_200600_302600_NS6detail15normal_iteratorINS8_10device_ptrIjEEEEPjjNS8_4plusIjEEEE10hipError_tPvRmT1_T2_T3_mT4_P12ihipStream_tbEUlT_E1_NS1_11comp_targetILNS1_3genE10ELNS1_11target_archE1200ELNS1_3gpuE4ELNS1_3repE0EEENS1_30default_config_static_selectorELNS0_4arch9wavefront6targetE1EEEvSK_
    .private_segment_fixed_size: 0
    .sgpr_count:     6
    .sgpr_spill_count: 0
    .symbol:         _ZN7rocprim17ROCPRIM_400000_NS6detail17trampoline_kernelINS0_14default_configENS1_22reduce_config_selectorIjEEZNS1_11reduce_implILb1ES3_N6thrust23THRUST_200600_302600_NS6detail15normal_iteratorINS8_10device_ptrIjEEEEPjjNS8_4plusIjEEEE10hipError_tPvRmT1_T2_T3_mT4_P12ihipStream_tbEUlT_E1_NS1_11comp_targetILNS1_3genE10ELNS1_11target_archE1200ELNS1_3gpuE4ELNS1_3repE0EEENS1_30default_config_static_selectorELNS0_4arch9wavefront6targetE1EEEvSK_.kd
    .uniform_work_group_size: 1
    .uses_dynamic_stack: false
    .vgpr_count:     0
    .vgpr_spill_count: 0
    .wavefront_size: 64
  - .agpr_count:     0
    .args:
      - .offset:         0
        .size:           40
        .value_kind:     by_value
    .group_segment_fixed_size: 0
    .kernarg_segment_align: 8
    .kernarg_segment_size: 40
    .language:       OpenCL C
    .language_version:
      - 2
      - 0
    .max_flat_workgroup_size: 256
    .name:           _ZN7rocprim17ROCPRIM_400000_NS6detail17trampoline_kernelINS0_14default_configENS1_22reduce_config_selectorIjEEZNS1_11reduce_implILb1ES3_N6thrust23THRUST_200600_302600_NS6detail15normal_iteratorINS8_10device_ptrIjEEEEPjjNS8_4plusIjEEEE10hipError_tPvRmT1_T2_T3_mT4_P12ihipStream_tbEUlT_E1_NS1_11comp_targetILNS1_3genE9ELNS1_11target_archE1100ELNS1_3gpuE3ELNS1_3repE0EEENS1_30default_config_static_selectorELNS0_4arch9wavefront6targetE1EEEvSK_
    .private_segment_fixed_size: 0
    .sgpr_count:     6
    .sgpr_spill_count: 0
    .symbol:         _ZN7rocprim17ROCPRIM_400000_NS6detail17trampoline_kernelINS0_14default_configENS1_22reduce_config_selectorIjEEZNS1_11reduce_implILb1ES3_N6thrust23THRUST_200600_302600_NS6detail15normal_iteratorINS8_10device_ptrIjEEEEPjjNS8_4plusIjEEEE10hipError_tPvRmT1_T2_T3_mT4_P12ihipStream_tbEUlT_E1_NS1_11comp_targetILNS1_3genE9ELNS1_11target_archE1100ELNS1_3gpuE3ELNS1_3repE0EEENS1_30default_config_static_selectorELNS0_4arch9wavefront6targetE1EEEvSK_.kd
    .uniform_work_group_size: 1
    .uses_dynamic_stack: false
    .vgpr_count:     0
    .vgpr_spill_count: 0
    .wavefront_size: 64
  - .agpr_count:     0
    .args:
      - .offset:         0
        .size:           40
        .value_kind:     by_value
    .group_segment_fixed_size: 0
    .kernarg_segment_align: 8
    .kernarg_segment_size: 40
    .language:       OpenCL C
    .language_version:
      - 2
      - 0
    .max_flat_workgroup_size: 256
    .name:           _ZN7rocprim17ROCPRIM_400000_NS6detail17trampoline_kernelINS0_14default_configENS1_22reduce_config_selectorIjEEZNS1_11reduce_implILb1ES3_N6thrust23THRUST_200600_302600_NS6detail15normal_iteratorINS8_10device_ptrIjEEEEPjjNS8_4plusIjEEEE10hipError_tPvRmT1_T2_T3_mT4_P12ihipStream_tbEUlT_E1_NS1_11comp_targetILNS1_3genE8ELNS1_11target_archE1030ELNS1_3gpuE2ELNS1_3repE0EEENS1_30default_config_static_selectorELNS0_4arch9wavefront6targetE1EEEvSK_
    .private_segment_fixed_size: 0
    .sgpr_count:     6
    .sgpr_spill_count: 0
    .symbol:         _ZN7rocprim17ROCPRIM_400000_NS6detail17trampoline_kernelINS0_14default_configENS1_22reduce_config_selectorIjEEZNS1_11reduce_implILb1ES3_N6thrust23THRUST_200600_302600_NS6detail15normal_iteratorINS8_10device_ptrIjEEEEPjjNS8_4plusIjEEEE10hipError_tPvRmT1_T2_T3_mT4_P12ihipStream_tbEUlT_E1_NS1_11comp_targetILNS1_3genE8ELNS1_11target_archE1030ELNS1_3gpuE2ELNS1_3repE0EEENS1_30default_config_static_selectorELNS0_4arch9wavefront6targetE1EEEvSK_.kd
    .uniform_work_group_size: 1
    .uses_dynamic_stack: false
    .vgpr_count:     0
    .vgpr_spill_count: 0
    .wavefront_size: 64
  - .agpr_count:     0
    .args:
      - .offset:         0
        .size:           16
        .value_kind:     by_value
      - .offset:         16
        .size:           8
        .value_kind:     by_value
      - .offset:         24
        .size:           8
        .value_kind:     by_value
    .group_segment_fixed_size: 0
    .kernarg_segment_align: 8
    .kernarg_segment_size: 32
    .language:       OpenCL C
    .language_version:
      - 2
      - 0
    .max_flat_workgroup_size: 256
    .name:           _ZN6thrust23THRUST_200600_302600_NS11hip_rocprim14__parallel_for6kernelILj256ENS1_20__uninitialized_fill7functorINS0_10device_ptrItEEtEEmLj1EEEvT0_T1_SA_
    .private_segment_fixed_size: 0
    .sgpr_count:     22
    .sgpr_spill_count: 0
    .symbol:         _ZN6thrust23THRUST_200600_302600_NS11hip_rocprim14__parallel_for6kernelILj256ENS1_20__uninitialized_fill7functorINS0_10device_ptrItEEtEEmLj1EEEvT0_T1_SA_.kd
    .uniform_work_group_size: 1
    .uses_dynamic_stack: false
    .vgpr_count:     4
    .vgpr_spill_count: 0
    .wavefront_size: 64
  - .agpr_count:     0
    .args:
      - .offset:         0
        .size:           56
        .value_kind:     by_value
    .group_segment_fixed_size: 8
    .kernarg_segment_align: 8
    .kernarg_segment_size: 56
    .language:       OpenCL C
    .language_version:
      - 2
      - 0
    .max_flat_workgroup_size: 128
    .name:           _ZN7rocprim17ROCPRIM_400000_NS6detail17trampoline_kernelINS0_14default_configENS1_22reduce_config_selectorItEEZNS1_11reduce_implILb1ES3_PtS7_tN6thrust23THRUST_200600_302600_NS4plusItEEEE10hipError_tPvRmT1_T2_T3_mT4_P12ihipStream_tbEUlT_E0_NS1_11comp_targetILNS1_3genE0ELNS1_11target_archE4294967295ELNS1_3gpuE0ELNS1_3repE0EEENS1_30default_config_static_selectorELNS0_4arch9wavefront6targetE1EEEvSF_
    .private_segment_fixed_size: 0
    .sgpr_count:     34
    .sgpr_spill_count: 0
    .symbol:         _ZN7rocprim17ROCPRIM_400000_NS6detail17trampoline_kernelINS0_14default_configENS1_22reduce_config_selectorItEEZNS1_11reduce_implILb1ES3_PtS7_tN6thrust23THRUST_200600_302600_NS4plusItEEEE10hipError_tPvRmT1_T2_T3_mT4_P12ihipStream_tbEUlT_E0_NS1_11comp_targetILNS1_3genE0ELNS1_11target_archE4294967295ELNS1_3gpuE0ELNS1_3repE0EEENS1_30default_config_static_selectorELNS0_4arch9wavefront6targetE1EEEvSF_.kd
    .uniform_work_group_size: 1
    .uses_dynamic_stack: false
    .vgpr_count:     13
    .vgpr_spill_count: 0
    .wavefront_size: 64
  - .agpr_count:     0
    .args:
      - .offset:         0
        .size:           56
        .value_kind:     by_value
    .group_segment_fixed_size: 0
    .kernarg_segment_align: 8
    .kernarg_segment_size: 56
    .language:       OpenCL C
    .language_version:
      - 2
      - 0
    .max_flat_workgroup_size: 256
    .name:           _ZN7rocprim17ROCPRIM_400000_NS6detail17trampoline_kernelINS0_14default_configENS1_22reduce_config_selectorItEEZNS1_11reduce_implILb1ES3_PtS7_tN6thrust23THRUST_200600_302600_NS4plusItEEEE10hipError_tPvRmT1_T2_T3_mT4_P12ihipStream_tbEUlT_E0_NS1_11comp_targetILNS1_3genE5ELNS1_11target_archE942ELNS1_3gpuE9ELNS1_3repE0EEENS1_30default_config_static_selectorELNS0_4arch9wavefront6targetE1EEEvSF_
    .private_segment_fixed_size: 0
    .sgpr_count:     6
    .sgpr_spill_count: 0
    .symbol:         _ZN7rocprim17ROCPRIM_400000_NS6detail17trampoline_kernelINS0_14default_configENS1_22reduce_config_selectorItEEZNS1_11reduce_implILb1ES3_PtS7_tN6thrust23THRUST_200600_302600_NS4plusItEEEE10hipError_tPvRmT1_T2_T3_mT4_P12ihipStream_tbEUlT_E0_NS1_11comp_targetILNS1_3genE5ELNS1_11target_archE942ELNS1_3gpuE9ELNS1_3repE0EEENS1_30default_config_static_selectorELNS0_4arch9wavefront6targetE1EEEvSF_.kd
    .uniform_work_group_size: 1
    .uses_dynamic_stack: false
    .vgpr_count:     0
    .vgpr_spill_count: 0
    .wavefront_size: 64
  - .agpr_count:     0
    .args:
      - .offset:         0
        .size:           56
        .value_kind:     by_value
    .group_segment_fixed_size: 0
    .kernarg_segment_align: 8
    .kernarg_segment_size: 56
    .language:       OpenCL C
    .language_version:
      - 2
      - 0
    .max_flat_workgroup_size: 64
    .name:           _ZN7rocprim17ROCPRIM_400000_NS6detail17trampoline_kernelINS0_14default_configENS1_22reduce_config_selectorItEEZNS1_11reduce_implILb1ES3_PtS7_tN6thrust23THRUST_200600_302600_NS4plusItEEEE10hipError_tPvRmT1_T2_T3_mT4_P12ihipStream_tbEUlT_E0_NS1_11comp_targetILNS1_3genE4ELNS1_11target_archE910ELNS1_3gpuE8ELNS1_3repE0EEENS1_30default_config_static_selectorELNS0_4arch9wavefront6targetE1EEEvSF_
    .private_segment_fixed_size: 0
    .sgpr_count:     6
    .sgpr_spill_count: 0
    .symbol:         _ZN7rocprim17ROCPRIM_400000_NS6detail17trampoline_kernelINS0_14default_configENS1_22reduce_config_selectorItEEZNS1_11reduce_implILb1ES3_PtS7_tN6thrust23THRUST_200600_302600_NS4plusItEEEE10hipError_tPvRmT1_T2_T3_mT4_P12ihipStream_tbEUlT_E0_NS1_11comp_targetILNS1_3genE4ELNS1_11target_archE910ELNS1_3gpuE8ELNS1_3repE0EEENS1_30default_config_static_selectorELNS0_4arch9wavefront6targetE1EEEvSF_.kd
    .uniform_work_group_size: 1
    .uses_dynamic_stack: false
    .vgpr_count:     0
    .vgpr_spill_count: 0
    .wavefront_size: 64
  - .agpr_count:     0
    .args:
      - .offset:         0
        .size:           56
        .value_kind:     by_value
    .group_segment_fixed_size: 0
    .kernarg_segment_align: 8
    .kernarg_segment_size: 56
    .language:       OpenCL C
    .language_version:
      - 2
      - 0
    .max_flat_workgroup_size: 128
    .name:           _ZN7rocprim17ROCPRIM_400000_NS6detail17trampoline_kernelINS0_14default_configENS1_22reduce_config_selectorItEEZNS1_11reduce_implILb1ES3_PtS7_tN6thrust23THRUST_200600_302600_NS4plusItEEEE10hipError_tPvRmT1_T2_T3_mT4_P12ihipStream_tbEUlT_E0_NS1_11comp_targetILNS1_3genE3ELNS1_11target_archE908ELNS1_3gpuE7ELNS1_3repE0EEENS1_30default_config_static_selectorELNS0_4arch9wavefront6targetE1EEEvSF_
    .private_segment_fixed_size: 0
    .sgpr_count:     6
    .sgpr_spill_count: 0
    .symbol:         _ZN7rocprim17ROCPRIM_400000_NS6detail17trampoline_kernelINS0_14default_configENS1_22reduce_config_selectorItEEZNS1_11reduce_implILb1ES3_PtS7_tN6thrust23THRUST_200600_302600_NS4plusItEEEE10hipError_tPvRmT1_T2_T3_mT4_P12ihipStream_tbEUlT_E0_NS1_11comp_targetILNS1_3genE3ELNS1_11target_archE908ELNS1_3gpuE7ELNS1_3repE0EEENS1_30default_config_static_selectorELNS0_4arch9wavefront6targetE1EEEvSF_.kd
    .uniform_work_group_size: 1
    .uses_dynamic_stack: false
    .vgpr_count:     0
    .vgpr_spill_count: 0
    .wavefront_size: 64
  - .agpr_count:     0
    .args:
      - .offset:         0
        .size:           56
        .value_kind:     by_value
    .group_segment_fixed_size: 0
    .kernarg_segment_align: 8
    .kernarg_segment_size: 56
    .language:       OpenCL C
    .language_version:
      - 2
      - 0
    .max_flat_workgroup_size: 256
    .name:           _ZN7rocprim17ROCPRIM_400000_NS6detail17trampoline_kernelINS0_14default_configENS1_22reduce_config_selectorItEEZNS1_11reduce_implILb1ES3_PtS7_tN6thrust23THRUST_200600_302600_NS4plusItEEEE10hipError_tPvRmT1_T2_T3_mT4_P12ihipStream_tbEUlT_E0_NS1_11comp_targetILNS1_3genE2ELNS1_11target_archE906ELNS1_3gpuE6ELNS1_3repE0EEENS1_30default_config_static_selectorELNS0_4arch9wavefront6targetE1EEEvSF_
    .private_segment_fixed_size: 0
    .sgpr_count:     6
    .sgpr_spill_count: 0
    .symbol:         _ZN7rocprim17ROCPRIM_400000_NS6detail17trampoline_kernelINS0_14default_configENS1_22reduce_config_selectorItEEZNS1_11reduce_implILb1ES3_PtS7_tN6thrust23THRUST_200600_302600_NS4plusItEEEE10hipError_tPvRmT1_T2_T3_mT4_P12ihipStream_tbEUlT_E0_NS1_11comp_targetILNS1_3genE2ELNS1_11target_archE906ELNS1_3gpuE6ELNS1_3repE0EEENS1_30default_config_static_selectorELNS0_4arch9wavefront6targetE1EEEvSF_.kd
    .uniform_work_group_size: 1
    .uses_dynamic_stack: false
    .vgpr_count:     0
    .vgpr_spill_count: 0
    .wavefront_size: 64
  - .agpr_count:     0
    .args:
      - .offset:         0
        .size:           56
        .value_kind:     by_value
    .group_segment_fixed_size: 0
    .kernarg_segment_align: 8
    .kernarg_segment_size: 56
    .language:       OpenCL C
    .language_version:
      - 2
      - 0
    .max_flat_workgroup_size: 256
    .name:           _ZN7rocprim17ROCPRIM_400000_NS6detail17trampoline_kernelINS0_14default_configENS1_22reduce_config_selectorItEEZNS1_11reduce_implILb1ES3_PtS7_tN6thrust23THRUST_200600_302600_NS4plusItEEEE10hipError_tPvRmT1_T2_T3_mT4_P12ihipStream_tbEUlT_E0_NS1_11comp_targetILNS1_3genE10ELNS1_11target_archE1201ELNS1_3gpuE5ELNS1_3repE0EEENS1_30default_config_static_selectorELNS0_4arch9wavefront6targetE1EEEvSF_
    .private_segment_fixed_size: 0
    .sgpr_count:     6
    .sgpr_spill_count: 0
    .symbol:         _ZN7rocprim17ROCPRIM_400000_NS6detail17trampoline_kernelINS0_14default_configENS1_22reduce_config_selectorItEEZNS1_11reduce_implILb1ES3_PtS7_tN6thrust23THRUST_200600_302600_NS4plusItEEEE10hipError_tPvRmT1_T2_T3_mT4_P12ihipStream_tbEUlT_E0_NS1_11comp_targetILNS1_3genE10ELNS1_11target_archE1201ELNS1_3gpuE5ELNS1_3repE0EEENS1_30default_config_static_selectorELNS0_4arch9wavefront6targetE1EEEvSF_.kd
    .uniform_work_group_size: 1
    .uses_dynamic_stack: false
    .vgpr_count:     0
    .vgpr_spill_count: 0
    .wavefront_size: 64
  - .agpr_count:     0
    .args:
      - .offset:         0
        .size:           56
        .value_kind:     by_value
    .group_segment_fixed_size: 0
    .kernarg_segment_align: 8
    .kernarg_segment_size: 56
    .language:       OpenCL C
    .language_version:
      - 2
      - 0
    .max_flat_workgroup_size: 256
    .name:           _ZN7rocprim17ROCPRIM_400000_NS6detail17trampoline_kernelINS0_14default_configENS1_22reduce_config_selectorItEEZNS1_11reduce_implILb1ES3_PtS7_tN6thrust23THRUST_200600_302600_NS4plusItEEEE10hipError_tPvRmT1_T2_T3_mT4_P12ihipStream_tbEUlT_E0_NS1_11comp_targetILNS1_3genE10ELNS1_11target_archE1200ELNS1_3gpuE4ELNS1_3repE0EEENS1_30default_config_static_selectorELNS0_4arch9wavefront6targetE1EEEvSF_
    .private_segment_fixed_size: 0
    .sgpr_count:     6
    .sgpr_spill_count: 0
    .symbol:         _ZN7rocprim17ROCPRIM_400000_NS6detail17trampoline_kernelINS0_14default_configENS1_22reduce_config_selectorItEEZNS1_11reduce_implILb1ES3_PtS7_tN6thrust23THRUST_200600_302600_NS4plusItEEEE10hipError_tPvRmT1_T2_T3_mT4_P12ihipStream_tbEUlT_E0_NS1_11comp_targetILNS1_3genE10ELNS1_11target_archE1200ELNS1_3gpuE4ELNS1_3repE0EEENS1_30default_config_static_selectorELNS0_4arch9wavefront6targetE1EEEvSF_.kd
    .uniform_work_group_size: 1
    .uses_dynamic_stack: false
    .vgpr_count:     0
    .vgpr_spill_count: 0
    .wavefront_size: 64
  - .agpr_count:     0
    .args:
      - .offset:         0
        .size:           56
        .value_kind:     by_value
    .group_segment_fixed_size: 0
    .kernarg_segment_align: 8
    .kernarg_segment_size: 56
    .language:       OpenCL C
    .language_version:
      - 2
      - 0
    .max_flat_workgroup_size: 256
    .name:           _ZN7rocprim17ROCPRIM_400000_NS6detail17trampoline_kernelINS0_14default_configENS1_22reduce_config_selectorItEEZNS1_11reduce_implILb1ES3_PtS7_tN6thrust23THRUST_200600_302600_NS4plusItEEEE10hipError_tPvRmT1_T2_T3_mT4_P12ihipStream_tbEUlT_E0_NS1_11comp_targetILNS1_3genE9ELNS1_11target_archE1100ELNS1_3gpuE3ELNS1_3repE0EEENS1_30default_config_static_selectorELNS0_4arch9wavefront6targetE1EEEvSF_
    .private_segment_fixed_size: 0
    .sgpr_count:     6
    .sgpr_spill_count: 0
    .symbol:         _ZN7rocprim17ROCPRIM_400000_NS6detail17trampoline_kernelINS0_14default_configENS1_22reduce_config_selectorItEEZNS1_11reduce_implILb1ES3_PtS7_tN6thrust23THRUST_200600_302600_NS4plusItEEEE10hipError_tPvRmT1_T2_T3_mT4_P12ihipStream_tbEUlT_E0_NS1_11comp_targetILNS1_3genE9ELNS1_11target_archE1100ELNS1_3gpuE3ELNS1_3repE0EEENS1_30default_config_static_selectorELNS0_4arch9wavefront6targetE1EEEvSF_.kd
    .uniform_work_group_size: 1
    .uses_dynamic_stack: false
    .vgpr_count:     0
    .vgpr_spill_count: 0
    .wavefront_size: 64
  - .agpr_count:     0
    .args:
      - .offset:         0
        .size:           56
        .value_kind:     by_value
    .group_segment_fixed_size: 0
    .kernarg_segment_align: 8
    .kernarg_segment_size: 56
    .language:       OpenCL C
    .language_version:
      - 2
      - 0
    .max_flat_workgroup_size: 256
    .name:           _ZN7rocprim17ROCPRIM_400000_NS6detail17trampoline_kernelINS0_14default_configENS1_22reduce_config_selectorItEEZNS1_11reduce_implILb1ES3_PtS7_tN6thrust23THRUST_200600_302600_NS4plusItEEEE10hipError_tPvRmT1_T2_T3_mT4_P12ihipStream_tbEUlT_E0_NS1_11comp_targetILNS1_3genE8ELNS1_11target_archE1030ELNS1_3gpuE2ELNS1_3repE0EEENS1_30default_config_static_selectorELNS0_4arch9wavefront6targetE1EEEvSF_
    .private_segment_fixed_size: 0
    .sgpr_count:     6
    .sgpr_spill_count: 0
    .symbol:         _ZN7rocprim17ROCPRIM_400000_NS6detail17trampoline_kernelINS0_14default_configENS1_22reduce_config_selectorItEEZNS1_11reduce_implILb1ES3_PtS7_tN6thrust23THRUST_200600_302600_NS4plusItEEEE10hipError_tPvRmT1_T2_T3_mT4_P12ihipStream_tbEUlT_E0_NS1_11comp_targetILNS1_3genE8ELNS1_11target_archE1030ELNS1_3gpuE2ELNS1_3repE0EEENS1_30default_config_static_selectorELNS0_4arch9wavefront6targetE1EEEvSF_.kd
    .uniform_work_group_size: 1
    .uses_dynamic_stack: false
    .vgpr_count:     0
    .vgpr_spill_count: 0
    .wavefront_size: 64
  - .agpr_count:     0
    .args:
      - .offset:         0
        .size:           40
        .value_kind:     by_value
    .group_segment_fixed_size: 32
    .kernarg_segment_align: 8
    .kernarg_segment_size: 40
    .language:       OpenCL C
    .language_version:
      - 2
      - 0
    .max_flat_workgroup_size: 128
    .name:           _ZN7rocprim17ROCPRIM_400000_NS6detail17trampoline_kernelINS0_14default_configENS1_22reduce_config_selectorItEEZNS1_11reduce_implILb1ES3_PtS7_tN6thrust23THRUST_200600_302600_NS4plusItEEEE10hipError_tPvRmT1_T2_T3_mT4_P12ihipStream_tbEUlT_E1_NS1_11comp_targetILNS1_3genE0ELNS1_11target_archE4294967295ELNS1_3gpuE0ELNS1_3repE0EEENS1_30default_config_static_selectorELNS0_4arch9wavefront6targetE1EEEvSF_
    .private_segment_fixed_size: 0
    .sgpr_count:     106
    .sgpr_spill_count: 44
    .symbol:         _ZN7rocprim17ROCPRIM_400000_NS6detail17trampoline_kernelINS0_14default_configENS1_22reduce_config_selectorItEEZNS1_11reduce_implILb1ES3_PtS7_tN6thrust23THRUST_200600_302600_NS4plusItEEEE10hipError_tPvRmT1_T2_T3_mT4_P12ihipStream_tbEUlT_E1_NS1_11comp_targetILNS1_3genE0ELNS1_11target_archE4294967295ELNS1_3gpuE0ELNS1_3repE0EEENS1_30default_config_static_selectorELNS0_4arch9wavefront6targetE1EEEvSF_.kd
    .uniform_work_group_size: 1
    .uses_dynamic_stack: false
    .vgpr_count:     67
    .vgpr_spill_count: 0
    .wavefront_size: 64
  - .agpr_count:     0
    .args:
      - .offset:         0
        .size:           40
        .value_kind:     by_value
    .group_segment_fixed_size: 0
    .kernarg_segment_align: 8
    .kernarg_segment_size: 40
    .language:       OpenCL C
    .language_version:
      - 2
      - 0
    .max_flat_workgroup_size: 256
    .name:           _ZN7rocprim17ROCPRIM_400000_NS6detail17trampoline_kernelINS0_14default_configENS1_22reduce_config_selectorItEEZNS1_11reduce_implILb1ES3_PtS7_tN6thrust23THRUST_200600_302600_NS4plusItEEEE10hipError_tPvRmT1_T2_T3_mT4_P12ihipStream_tbEUlT_E1_NS1_11comp_targetILNS1_3genE5ELNS1_11target_archE942ELNS1_3gpuE9ELNS1_3repE0EEENS1_30default_config_static_selectorELNS0_4arch9wavefront6targetE1EEEvSF_
    .private_segment_fixed_size: 0
    .sgpr_count:     6
    .sgpr_spill_count: 0
    .symbol:         _ZN7rocprim17ROCPRIM_400000_NS6detail17trampoline_kernelINS0_14default_configENS1_22reduce_config_selectorItEEZNS1_11reduce_implILb1ES3_PtS7_tN6thrust23THRUST_200600_302600_NS4plusItEEEE10hipError_tPvRmT1_T2_T3_mT4_P12ihipStream_tbEUlT_E1_NS1_11comp_targetILNS1_3genE5ELNS1_11target_archE942ELNS1_3gpuE9ELNS1_3repE0EEENS1_30default_config_static_selectorELNS0_4arch9wavefront6targetE1EEEvSF_.kd
    .uniform_work_group_size: 1
    .uses_dynamic_stack: false
    .vgpr_count:     0
    .vgpr_spill_count: 0
    .wavefront_size: 64
  - .agpr_count:     0
    .args:
      - .offset:         0
        .size:           40
        .value_kind:     by_value
    .group_segment_fixed_size: 0
    .kernarg_segment_align: 8
    .kernarg_segment_size: 40
    .language:       OpenCL C
    .language_version:
      - 2
      - 0
    .max_flat_workgroup_size: 64
    .name:           _ZN7rocprim17ROCPRIM_400000_NS6detail17trampoline_kernelINS0_14default_configENS1_22reduce_config_selectorItEEZNS1_11reduce_implILb1ES3_PtS7_tN6thrust23THRUST_200600_302600_NS4plusItEEEE10hipError_tPvRmT1_T2_T3_mT4_P12ihipStream_tbEUlT_E1_NS1_11comp_targetILNS1_3genE4ELNS1_11target_archE910ELNS1_3gpuE8ELNS1_3repE0EEENS1_30default_config_static_selectorELNS0_4arch9wavefront6targetE1EEEvSF_
    .private_segment_fixed_size: 0
    .sgpr_count:     6
    .sgpr_spill_count: 0
    .symbol:         _ZN7rocprim17ROCPRIM_400000_NS6detail17trampoline_kernelINS0_14default_configENS1_22reduce_config_selectorItEEZNS1_11reduce_implILb1ES3_PtS7_tN6thrust23THRUST_200600_302600_NS4plusItEEEE10hipError_tPvRmT1_T2_T3_mT4_P12ihipStream_tbEUlT_E1_NS1_11comp_targetILNS1_3genE4ELNS1_11target_archE910ELNS1_3gpuE8ELNS1_3repE0EEENS1_30default_config_static_selectorELNS0_4arch9wavefront6targetE1EEEvSF_.kd
    .uniform_work_group_size: 1
    .uses_dynamic_stack: false
    .vgpr_count:     0
    .vgpr_spill_count: 0
    .wavefront_size: 64
  - .agpr_count:     0
    .args:
      - .offset:         0
        .size:           40
        .value_kind:     by_value
    .group_segment_fixed_size: 0
    .kernarg_segment_align: 8
    .kernarg_segment_size: 40
    .language:       OpenCL C
    .language_version:
      - 2
      - 0
    .max_flat_workgroup_size: 128
    .name:           _ZN7rocprim17ROCPRIM_400000_NS6detail17trampoline_kernelINS0_14default_configENS1_22reduce_config_selectorItEEZNS1_11reduce_implILb1ES3_PtS7_tN6thrust23THRUST_200600_302600_NS4plusItEEEE10hipError_tPvRmT1_T2_T3_mT4_P12ihipStream_tbEUlT_E1_NS1_11comp_targetILNS1_3genE3ELNS1_11target_archE908ELNS1_3gpuE7ELNS1_3repE0EEENS1_30default_config_static_selectorELNS0_4arch9wavefront6targetE1EEEvSF_
    .private_segment_fixed_size: 0
    .sgpr_count:     6
    .sgpr_spill_count: 0
    .symbol:         _ZN7rocprim17ROCPRIM_400000_NS6detail17trampoline_kernelINS0_14default_configENS1_22reduce_config_selectorItEEZNS1_11reduce_implILb1ES3_PtS7_tN6thrust23THRUST_200600_302600_NS4plusItEEEE10hipError_tPvRmT1_T2_T3_mT4_P12ihipStream_tbEUlT_E1_NS1_11comp_targetILNS1_3genE3ELNS1_11target_archE908ELNS1_3gpuE7ELNS1_3repE0EEENS1_30default_config_static_selectorELNS0_4arch9wavefront6targetE1EEEvSF_.kd
    .uniform_work_group_size: 1
    .uses_dynamic_stack: false
    .vgpr_count:     0
    .vgpr_spill_count: 0
    .wavefront_size: 64
  - .agpr_count:     0
    .args:
      - .offset:         0
        .size:           40
        .value_kind:     by_value
    .group_segment_fixed_size: 0
    .kernarg_segment_align: 8
    .kernarg_segment_size: 40
    .language:       OpenCL C
    .language_version:
      - 2
      - 0
    .max_flat_workgroup_size: 256
    .name:           _ZN7rocprim17ROCPRIM_400000_NS6detail17trampoline_kernelINS0_14default_configENS1_22reduce_config_selectorItEEZNS1_11reduce_implILb1ES3_PtS7_tN6thrust23THRUST_200600_302600_NS4plusItEEEE10hipError_tPvRmT1_T2_T3_mT4_P12ihipStream_tbEUlT_E1_NS1_11comp_targetILNS1_3genE2ELNS1_11target_archE906ELNS1_3gpuE6ELNS1_3repE0EEENS1_30default_config_static_selectorELNS0_4arch9wavefront6targetE1EEEvSF_
    .private_segment_fixed_size: 0
    .sgpr_count:     6
    .sgpr_spill_count: 0
    .symbol:         _ZN7rocprim17ROCPRIM_400000_NS6detail17trampoline_kernelINS0_14default_configENS1_22reduce_config_selectorItEEZNS1_11reduce_implILb1ES3_PtS7_tN6thrust23THRUST_200600_302600_NS4plusItEEEE10hipError_tPvRmT1_T2_T3_mT4_P12ihipStream_tbEUlT_E1_NS1_11comp_targetILNS1_3genE2ELNS1_11target_archE906ELNS1_3gpuE6ELNS1_3repE0EEENS1_30default_config_static_selectorELNS0_4arch9wavefront6targetE1EEEvSF_.kd
    .uniform_work_group_size: 1
    .uses_dynamic_stack: false
    .vgpr_count:     0
    .vgpr_spill_count: 0
    .wavefront_size: 64
  - .agpr_count:     0
    .args:
      - .offset:         0
        .size:           40
        .value_kind:     by_value
    .group_segment_fixed_size: 0
    .kernarg_segment_align: 8
    .kernarg_segment_size: 40
    .language:       OpenCL C
    .language_version:
      - 2
      - 0
    .max_flat_workgroup_size: 256
    .name:           _ZN7rocprim17ROCPRIM_400000_NS6detail17trampoline_kernelINS0_14default_configENS1_22reduce_config_selectorItEEZNS1_11reduce_implILb1ES3_PtS7_tN6thrust23THRUST_200600_302600_NS4plusItEEEE10hipError_tPvRmT1_T2_T3_mT4_P12ihipStream_tbEUlT_E1_NS1_11comp_targetILNS1_3genE10ELNS1_11target_archE1201ELNS1_3gpuE5ELNS1_3repE0EEENS1_30default_config_static_selectorELNS0_4arch9wavefront6targetE1EEEvSF_
    .private_segment_fixed_size: 0
    .sgpr_count:     6
    .sgpr_spill_count: 0
    .symbol:         _ZN7rocprim17ROCPRIM_400000_NS6detail17trampoline_kernelINS0_14default_configENS1_22reduce_config_selectorItEEZNS1_11reduce_implILb1ES3_PtS7_tN6thrust23THRUST_200600_302600_NS4plusItEEEE10hipError_tPvRmT1_T2_T3_mT4_P12ihipStream_tbEUlT_E1_NS1_11comp_targetILNS1_3genE10ELNS1_11target_archE1201ELNS1_3gpuE5ELNS1_3repE0EEENS1_30default_config_static_selectorELNS0_4arch9wavefront6targetE1EEEvSF_.kd
    .uniform_work_group_size: 1
    .uses_dynamic_stack: false
    .vgpr_count:     0
    .vgpr_spill_count: 0
    .wavefront_size: 64
  - .agpr_count:     0
    .args:
      - .offset:         0
        .size:           40
        .value_kind:     by_value
    .group_segment_fixed_size: 0
    .kernarg_segment_align: 8
    .kernarg_segment_size: 40
    .language:       OpenCL C
    .language_version:
      - 2
      - 0
    .max_flat_workgroup_size: 256
    .name:           _ZN7rocprim17ROCPRIM_400000_NS6detail17trampoline_kernelINS0_14default_configENS1_22reduce_config_selectorItEEZNS1_11reduce_implILb1ES3_PtS7_tN6thrust23THRUST_200600_302600_NS4plusItEEEE10hipError_tPvRmT1_T2_T3_mT4_P12ihipStream_tbEUlT_E1_NS1_11comp_targetILNS1_3genE10ELNS1_11target_archE1200ELNS1_3gpuE4ELNS1_3repE0EEENS1_30default_config_static_selectorELNS0_4arch9wavefront6targetE1EEEvSF_
    .private_segment_fixed_size: 0
    .sgpr_count:     6
    .sgpr_spill_count: 0
    .symbol:         _ZN7rocprim17ROCPRIM_400000_NS6detail17trampoline_kernelINS0_14default_configENS1_22reduce_config_selectorItEEZNS1_11reduce_implILb1ES3_PtS7_tN6thrust23THRUST_200600_302600_NS4plusItEEEE10hipError_tPvRmT1_T2_T3_mT4_P12ihipStream_tbEUlT_E1_NS1_11comp_targetILNS1_3genE10ELNS1_11target_archE1200ELNS1_3gpuE4ELNS1_3repE0EEENS1_30default_config_static_selectorELNS0_4arch9wavefront6targetE1EEEvSF_.kd
    .uniform_work_group_size: 1
    .uses_dynamic_stack: false
    .vgpr_count:     0
    .vgpr_spill_count: 0
    .wavefront_size: 64
  - .agpr_count:     0
    .args:
      - .offset:         0
        .size:           40
        .value_kind:     by_value
    .group_segment_fixed_size: 0
    .kernarg_segment_align: 8
    .kernarg_segment_size: 40
    .language:       OpenCL C
    .language_version:
      - 2
      - 0
    .max_flat_workgroup_size: 256
    .name:           _ZN7rocprim17ROCPRIM_400000_NS6detail17trampoline_kernelINS0_14default_configENS1_22reduce_config_selectorItEEZNS1_11reduce_implILb1ES3_PtS7_tN6thrust23THRUST_200600_302600_NS4plusItEEEE10hipError_tPvRmT1_T2_T3_mT4_P12ihipStream_tbEUlT_E1_NS1_11comp_targetILNS1_3genE9ELNS1_11target_archE1100ELNS1_3gpuE3ELNS1_3repE0EEENS1_30default_config_static_selectorELNS0_4arch9wavefront6targetE1EEEvSF_
    .private_segment_fixed_size: 0
    .sgpr_count:     6
    .sgpr_spill_count: 0
    .symbol:         _ZN7rocprim17ROCPRIM_400000_NS6detail17trampoline_kernelINS0_14default_configENS1_22reduce_config_selectorItEEZNS1_11reduce_implILb1ES3_PtS7_tN6thrust23THRUST_200600_302600_NS4plusItEEEE10hipError_tPvRmT1_T2_T3_mT4_P12ihipStream_tbEUlT_E1_NS1_11comp_targetILNS1_3genE9ELNS1_11target_archE1100ELNS1_3gpuE3ELNS1_3repE0EEENS1_30default_config_static_selectorELNS0_4arch9wavefront6targetE1EEEvSF_.kd
    .uniform_work_group_size: 1
    .uses_dynamic_stack: false
    .vgpr_count:     0
    .vgpr_spill_count: 0
    .wavefront_size: 64
  - .agpr_count:     0
    .args:
      - .offset:         0
        .size:           40
        .value_kind:     by_value
    .group_segment_fixed_size: 0
    .kernarg_segment_align: 8
    .kernarg_segment_size: 40
    .language:       OpenCL C
    .language_version:
      - 2
      - 0
    .max_flat_workgroup_size: 256
    .name:           _ZN7rocprim17ROCPRIM_400000_NS6detail17trampoline_kernelINS0_14default_configENS1_22reduce_config_selectorItEEZNS1_11reduce_implILb1ES3_PtS7_tN6thrust23THRUST_200600_302600_NS4plusItEEEE10hipError_tPvRmT1_T2_T3_mT4_P12ihipStream_tbEUlT_E1_NS1_11comp_targetILNS1_3genE8ELNS1_11target_archE1030ELNS1_3gpuE2ELNS1_3repE0EEENS1_30default_config_static_selectorELNS0_4arch9wavefront6targetE1EEEvSF_
    .private_segment_fixed_size: 0
    .sgpr_count:     6
    .sgpr_spill_count: 0
    .symbol:         _ZN7rocprim17ROCPRIM_400000_NS6detail17trampoline_kernelINS0_14default_configENS1_22reduce_config_selectorItEEZNS1_11reduce_implILb1ES3_PtS7_tN6thrust23THRUST_200600_302600_NS4plusItEEEE10hipError_tPvRmT1_T2_T3_mT4_P12ihipStream_tbEUlT_E1_NS1_11comp_targetILNS1_3genE8ELNS1_11target_archE1030ELNS1_3gpuE2ELNS1_3repE0EEENS1_30default_config_static_selectorELNS0_4arch9wavefront6targetE1EEEvSF_.kd
    .uniform_work_group_size: 1
    .uses_dynamic_stack: false
    .vgpr_count:     0
    .vgpr_spill_count: 0
    .wavefront_size: 64
  - .agpr_count:     0
    .args:
      - .offset:         0
        .size:           56
        .value_kind:     by_value
    .group_segment_fixed_size: 8
    .kernarg_segment_align: 8
    .kernarg_segment_size: 56
    .language:       OpenCL C
    .language_version:
      - 2
      - 0
    .max_flat_workgroup_size: 128
    .name:           _ZN7rocprim17ROCPRIM_400000_NS6detail17trampoline_kernelINS0_14default_configENS1_22reduce_config_selectorItEEZNS1_11reduce_implILb1ES3_N6thrust23THRUST_200600_302600_NS6detail15normal_iteratorINS8_10device_ptrItEEEEPttNS8_4plusItEEEE10hipError_tPvRmT1_T2_T3_mT4_P12ihipStream_tbEUlT_E0_NS1_11comp_targetILNS1_3genE0ELNS1_11target_archE4294967295ELNS1_3gpuE0ELNS1_3repE0EEENS1_30default_config_static_selectorELNS0_4arch9wavefront6targetE1EEEvSK_
    .private_segment_fixed_size: 0
    .sgpr_count:     34
    .sgpr_spill_count: 0
    .symbol:         _ZN7rocprim17ROCPRIM_400000_NS6detail17trampoline_kernelINS0_14default_configENS1_22reduce_config_selectorItEEZNS1_11reduce_implILb1ES3_N6thrust23THRUST_200600_302600_NS6detail15normal_iteratorINS8_10device_ptrItEEEEPttNS8_4plusItEEEE10hipError_tPvRmT1_T2_T3_mT4_P12ihipStream_tbEUlT_E0_NS1_11comp_targetILNS1_3genE0ELNS1_11target_archE4294967295ELNS1_3gpuE0ELNS1_3repE0EEENS1_30default_config_static_selectorELNS0_4arch9wavefront6targetE1EEEvSK_.kd
    .uniform_work_group_size: 1
    .uses_dynamic_stack: false
    .vgpr_count:     14
    .vgpr_spill_count: 0
    .wavefront_size: 64
  - .agpr_count:     0
    .args:
      - .offset:         0
        .size:           56
        .value_kind:     by_value
    .group_segment_fixed_size: 0
    .kernarg_segment_align: 8
    .kernarg_segment_size: 56
    .language:       OpenCL C
    .language_version:
      - 2
      - 0
    .max_flat_workgroup_size: 256
    .name:           _ZN7rocprim17ROCPRIM_400000_NS6detail17trampoline_kernelINS0_14default_configENS1_22reduce_config_selectorItEEZNS1_11reduce_implILb1ES3_N6thrust23THRUST_200600_302600_NS6detail15normal_iteratorINS8_10device_ptrItEEEEPttNS8_4plusItEEEE10hipError_tPvRmT1_T2_T3_mT4_P12ihipStream_tbEUlT_E0_NS1_11comp_targetILNS1_3genE5ELNS1_11target_archE942ELNS1_3gpuE9ELNS1_3repE0EEENS1_30default_config_static_selectorELNS0_4arch9wavefront6targetE1EEEvSK_
    .private_segment_fixed_size: 0
    .sgpr_count:     6
    .sgpr_spill_count: 0
    .symbol:         _ZN7rocprim17ROCPRIM_400000_NS6detail17trampoline_kernelINS0_14default_configENS1_22reduce_config_selectorItEEZNS1_11reduce_implILb1ES3_N6thrust23THRUST_200600_302600_NS6detail15normal_iteratorINS8_10device_ptrItEEEEPttNS8_4plusItEEEE10hipError_tPvRmT1_T2_T3_mT4_P12ihipStream_tbEUlT_E0_NS1_11comp_targetILNS1_3genE5ELNS1_11target_archE942ELNS1_3gpuE9ELNS1_3repE0EEENS1_30default_config_static_selectorELNS0_4arch9wavefront6targetE1EEEvSK_.kd
    .uniform_work_group_size: 1
    .uses_dynamic_stack: false
    .vgpr_count:     0
    .vgpr_spill_count: 0
    .wavefront_size: 64
  - .agpr_count:     0
    .args:
      - .offset:         0
        .size:           56
        .value_kind:     by_value
    .group_segment_fixed_size: 0
    .kernarg_segment_align: 8
    .kernarg_segment_size: 56
    .language:       OpenCL C
    .language_version:
      - 2
      - 0
    .max_flat_workgroup_size: 64
    .name:           _ZN7rocprim17ROCPRIM_400000_NS6detail17trampoline_kernelINS0_14default_configENS1_22reduce_config_selectorItEEZNS1_11reduce_implILb1ES3_N6thrust23THRUST_200600_302600_NS6detail15normal_iteratorINS8_10device_ptrItEEEEPttNS8_4plusItEEEE10hipError_tPvRmT1_T2_T3_mT4_P12ihipStream_tbEUlT_E0_NS1_11comp_targetILNS1_3genE4ELNS1_11target_archE910ELNS1_3gpuE8ELNS1_3repE0EEENS1_30default_config_static_selectorELNS0_4arch9wavefront6targetE1EEEvSK_
    .private_segment_fixed_size: 0
    .sgpr_count:     6
    .sgpr_spill_count: 0
    .symbol:         _ZN7rocprim17ROCPRIM_400000_NS6detail17trampoline_kernelINS0_14default_configENS1_22reduce_config_selectorItEEZNS1_11reduce_implILb1ES3_N6thrust23THRUST_200600_302600_NS6detail15normal_iteratorINS8_10device_ptrItEEEEPttNS8_4plusItEEEE10hipError_tPvRmT1_T2_T3_mT4_P12ihipStream_tbEUlT_E0_NS1_11comp_targetILNS1_3genE4ELNS1_11target_archE910ELNS1_3gpuE8ELNS1_3repE0EEENS1_30default_config_static_selectorELNS0_4arch9wavefront6targetE1EEEvSK_.kd
    .uniform_work_group_size: 1
    .uses_dynamic_stack: false
    .vgpr_count:     0
    .vgpr_spill_count: 0
    .wavefront_size: 64
  - .agpr_count:     0
    .args:
      - .offset:         0
        .size:           56
        .value_kind:     by_value
    .group_segment_fixed_size: 0
    .kernarg_segment_align: 8
    .kernarg_segment_size: 56
    .language:       OpenCL C
    .language_version:
      - 2
      - 0
    .max_flat_workgroup_size: 128
    .name:           _ZN7rocprim17ROCPRIM_400000_NS6detail17trampoline_kernelINS0_14default_configENS1_22reduce_config_selectorItEEZNS1_11reduce_implILb1ES3_N6thrust23THRUST_200600_302600_NS6detail15normal_iteratorINS8_10device_ptrItEEEEPttNS8_4plusItEEEE10hipError_tPvRmT1_T2_T3_mT4_P12ihipStream_tbEUlT_E0_NS1_11comp_targetILNS1_3genE3ELNS1_11target_archE908ELNS1_3gpuE7ELNS1_3repE0EEENS1_30default_config_static_selectorELNS0_4arch9wavefront6targetE1EEEvSK_
    .private_segment_fixed_size: 0
    .sgpr_count:     6
    .sgpr_spill_count: 0
    .symbol:         _ZN7rocprim17ROCPRIM_400000_NS6detail17trampoline_kernelINS0_14default_configENS1_22reduce_config_selectorItEEZNS1_11reduce_implILb1ES3_N6thrust23THRUST_200600_302600_NS6detail15normal_iteratorINS8_10device_ptrItEEEEPttNS8_4plusItEEEE10hipError_tPvRmT1_T2_T3_mT4_P12ihipStream_tbEUlT_E0_NS1_11comp_targetILNS1_3genE3ELNS1_11target_archE908ELNS1_3gpuE7ELNS1_3repE0EEENS1_30default_config_static_selectorELNS0_4arch9wavefront6targetE1EEEvSK_.kd
    .uniform_work_group_size: 1
    .uses_dynamic_stack: false
    .vgpr_count:     0
    .vgpr_spill_count: 0
    .wavefront_size: 64
  - .agpr_count:     0
    .args:
      - .offset:         0
        .size:           56
        .value_kind:     by_value
    .group_segment_fixed_size: 0
    .kernarg_segment_align: 8
    .kernarg_segment_size: 56
    .language:       OpenCL C
    .language_version:
      - 2
      - 0
    .max_flat_workgroup_size: 256
    .name:           _ZN7rocprim17ROCPRIM_400000_NS6detail17trampoline_kernelINS0_14default_configENS1_22reduce_config_selectorItEEZNS1_11reduce_implILb1ES3_N6thrust23THRUST_200600_302600_NS6detail15normal_iteratorINS8_10device_ptrItEEEEPttNS8_4plusItEEEE10hipError_tPvRmT1_T2_T3_mT4_P12ihipStream_tbEUlT_E0_NS1_11comp_targetILNS1_3genE2ELNS1_11target_archE906ELNS1_3gpuE6ELNS1_3repE0EEENS1_30default_config_static_selectorELNS0_4arch9wavefront6targetE1EEEvSK_
    .private_segment_fixed_size: 0
    .sgpr_count:     6
    .sgpr_spill_count: 0
    .symbol:         _ZN7rocprim17ROCPRIM_400000_NS6detail17trampoline_kernelINS0_14default_configENS1_22reduce_config_selectorItEEZNS1_11reduce_implILb1ES3_N6thrust23THRUST_200600_302600_NS6detail15normal_iteratorINS8_10device_ptrItEEEEPttNS8_4plusItEEEE10hipError_tPvRmT1_T2_T3_mT4_P12ihipStream_tbEUlT_E0_NS1_11comp_targetILNS1_3genE2ELNS1_11target_archE906ELNS1_3gpuE6ELNS1_3repE0EEENS1_30default_config_static_selectorELNS0_4arch9wavefront6targetE1EEEvSK_.kd
    .uniform_work_group_size: 1
    .uses_dynamic_stack: false
    .vgpr_count:     0
    .vgpr_spill_count: 0
    .wavefront_size: 64
  - .agpr_count:     0
    .args:
      - .offset:         0
        .size:           56
        .value_kind:     by_value
    .group_segment_fixed_size: 0
    .kernarg_segment_align: 8
    .kernarg_segment_size: 56
    .language:       OpenCL C
    .language_version:
      - 2
      - 0
    .max_flat_workgroup_size: 256
    .name:           _ZN7rocprim17ROCPRIM_400000_NS6detail17trampoline_kernelINS0_14default_configENS1_22reduce_config_selectorItEEZNS1_11reduce_implILb1ES3_N6thrust23THRUST_200600_302600_NS6detail15normal_iteratorINS8_10device_ptrItEEEEPttNS8_4plusItEEEE10hipError_tPvRmT1_T2_T3_mT4_P12ihipStream_tbEUlT_E0_NS1_11comp_targetILNS1_3genE10ELNS1_11target_archE1201ELNS1_3gpuE5ELNS1_3repE0EEENS1_30default_config_static_selectorELNS0_4arch9wavefront6targetE1EEEvSK_
    .private_segment_fixed_size: 0
    .sgpr_count:     6
    .sgpr_spill_count: 0
    .symbol:         _ZN7rocprim17ROCPRIM_400000_NS6detail17trampoline_kernelINS0_14default_configENS1_22reduce_config_selectorItEEZNS1_11reduce_implILb1ES3_N6thrust23THRUST_200600_302600_NS6detail15normal_iteratorINS8_10device_ptrItEEEEPttNS8_4plusItEEEE10hipError_tPvRmT1_T2_T3_mT4_P12ihipStream_tbEUlT_E0_NS1_11comp_targetILNS1_3genE10ELNS1_11target_archE1201ELNS1_3gpuE5ELNS1_3repE0EEENS1_30default_config_static_selectorELNS0_4arch9wavefront6targetE1EEEvSK_.kd
    .uniform_work_group_size: 1
    .uses_dynamic_stack: false
    .vgpr_count:     0
    .vgpr_spill_count: 0
    .wavefront_size: 64
  - .agpr_count:     0
    .args:
      - .offset:         0
        .size:           56
        .value_kind:     by_value
    .group_segment_fixed_size: 0
    .kernarg_segment_align: 8
    .kernarg_segment_size: 56
    .language:       OpenCL C
    .language_version:
      - 2
      - 0
    .max_flat_workgroup_size: 256
    .name:           _ZN7rocprim17ROCPRIM_400000_NS6detail17trampoline_kernelINS0_14default_configENS1_22reduce_config_selectorItEEZNS1_11reduce_implILb1ES3_N6thrust23THRUST_200600_302600_NS6detail15normal_iteratorINS8_10device_ptrItEEEEPttNS8_4plusItEEEE10hipError_tPvRmT1_T2_T3_mT4_P12ihipStream_tbEUlT_E0_NS1_11comp_targetILNS1_3genE10ELNS1_11target_archE1200ELNS1_3gpuE4ELNS1_3repE0EEENS1_30default_config_static_selectorELNS0_4arch9wavefront6targetE1EEEvSK_
    .private_segment_fixed_size: 0
    .sgpr_count:     6
    .sgpr_spill_count: 0
    .symbol:         _ZN7rocprim17ROCPRIM_400000_NS6detail17trampoline_kernelINS0_14default_configENS1_22reduce_config_selectorItEEZNS1_11reduce_implILb1ES3_N6thrust23THRUST_200600_302600_NS6detail15normal_iteratorINS8_10device_ptrItEEEEPttNS8_4plusItEEEE10hipError_tPvRmT1_T2_T3_mT4_P12ihipStream_tbEUlT_E0_NS1_11comp_targetILNS1_3genE10ELNS1_11target_archE1200ELNS1_3gpuE4ELNS1_3repE0EEENS1_30default_config_static_selectorELNS0_4arch9wavefront6targetE1EEEvSK_.kd
    .uniform_work_group_size: 1
    .uses_dynamic_stack: false
    .vgpr_count:     0
    .vgpr_spill_count: 0
    .wavefront_size: 64
  - .agpr_count:     0
    .args:
      - .offset:         0
        .size:           56
        .value_kind:     by_value
    .group_segment_fixed_size: 0
    .kernarg_segment_align: 8
    .kernarg_segment_size: 56
    .language:       OpenCL C
    .language_version:
      - 2
      - 0
    .max_flat_workgroup_size: 256
    .name:           _ZN7rocprim17ROCPRIM_400000_NS6detail17trampoline_kernelINS0_14default_configENS1_22reduce_config_selectorItEEZNS1_11reduce_implILb1ES3_N6thrust23THRUST_200600_302600_NS6detail15normal_iteratorINS8_10device_ptrItEEEEPttNS8_4plusItEEEE10hipError_tPvRmT1_T2_T3_mT4_P12ihipStream_tbEUlT_E0_NS1_11comp_targetILNS1_3genE9ELNS1_11target_archE1100ELNS1_3gpuE3ELNS1_3repE0EEENS1_30default_config_static_selectorELNS0_4arch9wavefront6targetE1EEEvSK_
    .private_segment_fixed_size: 0
    .sgpr_count:     6
    .sgpr_spill_count: 0
    .symbol:         _ZN7rocprim17ROCPRIM_400000_NS6detail17trampoline_kernelINS0_14default_configENS1_22reduce_config_selectorItEEZNS1_11reduce_implILb1ES3_N6thrust23THRUST_200600_302600_NS6detail15normal_iteratorINS8_10device_ptrItEEEEPttNS8_4plusItEEEE10hipError_tPvRmT1_T2_T3_mT4_P12ihipStream_tbEUlT_E0_NS1_11comp_targetILNS1_3genE9ELNS1_11target_archE1100ELNS1_3gpuE3ELNS1_3repE0EEENS1_30default_config_static_selectorELNS0_4arch9wavefront6targetE1EEEvSK_.kd
    .uniform_work_group_size: 1
    .uses_dynamic_stack: false
    .vgpr_count:     0
    .vgpr_spill_count: 0
    .wavefront_size: 64
  - .agpr_count:     0
    .args:
      - .offset:         0
        .size:           56
        .value_kind:     by_value
    .group_segment_fixed_size: 0
    .kernarg_segment_align: 8
    .kernarg_segment_size: 56
    .language:       OpenCL C
    .language_version:
      - 2
      - 0
    .max_flat_workgroup_size: 256
    .name:           _ZN7rocprim17ROCPRIM_400000_NS6detail17trampoline_kernelINS0_14default_configENS1_22reduce_config_selectorItEEZNS1_11reduce_implILb1ES3_N6thrust23THRUST_200600_302600_NS6detail15normal_iteratorINS8_10device_ptrItEEEEPttNS8_4plusItEEEE10hipError_tPvRmT1_T2_T3_mT4_P12ihipStream_tbEUlT_E0_NS1_11comp_targetILNS1_3genE8ELNS1_11target_archE1030ELNS1_3gpuE2ELNS1_3repE0EEENS1_30default_config_static_selectorELNS0_4arch9wavefront6targetE1EEEvSK_
    .private_segment_fixed_size: 0
    .sgpr_count:     6
    .sgpr_spill_count: 0
    .symbol:         _ZN7rocprim17ROCPRIM_400000_NS6detail17trampoline_kernelINS0_14default_configENS1_22reduce_config_selectorItEEZNS1_11reduce_implILb1ES3_N6thrust23THRUST_200600_302600_NS6detail15normal_iteratorINS8_10device_ptrItEEEEPttNS8_4plusItEEEE10hipError_tPvRmT1_T2_T3_mT4_P12ihipStream_tbEUlT_E0_NS1_11comp_targetILNS1_3genE8ELNS1_11target_archE1030ELNS1_3gpuE2ELNS1_3repE0EEENS1_30default_config_static_selectorELNS0_4arch9wavefront6targetE1EEEvSK_.kd
    .uniform_work_group_size: 1
    .uses_dynamic_stack: false
    .vgpr_count:     0
    .vgpr_spill_count: 0
    .wavefront_size: 64
  - .agpr_count:     0
    .args:
      - .offset:         0
        .size:           40
        .value_kind:     by_value
    .group_segment_fixed_size: 32
    .kernarg_segment_align: 8
    .kernarg_segment_size: 40
    .language:       OpenCL C
    .language_version:
      - 2
      - 0
    .max_flat_workgroup_size: 128
    .name:           _ZN7rocprim17ROCPRIM_400000_NS6detail17trampoline_kernelINS0_14default_configENS1_22reduce_config_selectorItEEZNS1_11reduce_implILb1ES3_N6thrust23THRUST_200600_302600_NS6detail15normal_iteratorINS8_10device_ptrItEEEEPttNS8_4plusItEEEE10hipError_tPvRmT1_T2_T3_mT4_P12ihipStream_tbEUlT_E1_NS1_11comp_targetILNS1_3genE0ELNS1_11target_archE4294967295ELNS1_3gpuE0ELNS1_3repE0EEENS1_30default_config_static_selectorELNS0_4arch9wavefront6targetE1EEEvSK_
    .private_segment_fixed_size: 0
    .sgpr_count:     106
    .sgpr_spill_count: 44
    .symbol:         _ZN7rocprim17ROCPRIM_400000_NS6detail17trampoline_kernelINS0_14default_configENS1_22reduce_config_selectorItEEZNS1_11reduce_implILb1ES3_N6thrust23THRUST_200600_302600_NS6detail15normal_iteratorINS8_10device_ptrItEEEEPttNS8_4plusItEEEE10hipError_tPvRmT1_T2_T3_mT4_P12ihipStream_tbEUlT_E1_NS1_11comp_targetILNS1_3genE0ELNS1_11target_archE4294967295ELNS1_3gpuE0ELNS1_3repE0EEENS1_30default_config_static_selectorELNS0_4arch9wavefront6targetE1EEEvSK_.kd
    .uniform_work_group_size: 1
    .uses_dynamic_stack: false
    .vgpr_count:     67
    .vgpr_spill_count: 0
    .wavefront_size: 64
  - .agpr_count:     0
    .args:
      - .offset:         0
        .size:           40
        .value_kind:     by_value
    .group_segment_fixed_size: 0
    .kernarg_segment_align: 8
    .kernarg_segment_size: 40
    .language:       OpenCL C
    .language_version:
      - 2
      - 0
    .max_flat_workgroup_size: 256
    .name:           _ZN7rocprim17ROCPRIM_400000_NS6detail17trampoline_kernelINS0_14default_configENS1_22reduce_config_selectorItEEZNS1_11reduce_implILb1ES3_N6thrust23THRUST_200600_302600_NS6detail15normal_iteratorINS8_10device_ptrItEEEEPttNS8_4plusItEEEE10hipError_tPvRmT1_T2_T3_mT4_P12ihipStream_tbEUlT_E1_NS1_11comp_targetILNS1_3genE5ELNS1_11target_archE942ELNS1_3gpuE9ELNS1_3repE0EEENS1_30default_config_static_selectorELNS0_4arch9wavefront6targetE1EEEvSK_
    .private_segment_fixed_size: 0
    .sgpr_count:     6
    .sgpr_spill_count: 0
    .symbol:         _ZN7rocprim17ROCPRIM_400000_NS6detail17trampoline_kernelINS0_14default_configENS1_22reduce_config_selectorItEEZNS1_11reduce_implILb1ES3_N6thrust23THRUST_200600_302600_NS6detail15normal_iteratorINS8_10device_ptrItEEEEPttNS8_4plusItEEEE10hipError_tPvRmT1_T2_T3_mT4_P12ihipStream_tbEUlT_E1_NS1_11comp_targetILNS1_3genE5ELNS1_11target_archE942ELNS1_3gpuE9ELNS1_3repE0EEENS1_30default_config_static_selectorELNS0_4arch9wavefront6targetE1EEEvSK_.kd
    .uniform_work_group_size: 1
    .uses_dynamic_stack: false
    .vgpr_count:     0
    .vgpr_spill_count: 0
    .wavefront_size: 64
  - .agpr_count:     0
    .args:
      - .offset:         0
        .size:           40
        .value_kind:     by_value
    .group_segment_fixed_size: 0
    .kernarg_segment_align: 8
    .kernarg_segment_size: 40
    .language:       OpenCL C
    .language_version:
      - 2
      - 0
    .max_flat_workgroup_size: 64
    .name:           _ZN7rocprim17ROCPRIM_400000_NS6detail17trampoline_kernelINS0_14default_configENS1_22reduce_config_selectorItEEZNS1_11reduce_implILb1ES3_N6thrust23THRUST_200600_302600_NS6detail15normal_iteratorINS8_10device_ptrItEEEEPttNS8_4plusItEEEE10hipError_tPvRmT1_T2_T3_mT4_P12ihipStream_tbEUlT_E1_NS1_11comp_targetILNS1_3genE4ELNS1_11target_archE910ELNS1_3gpuE8ELNS1_3repE0EEENS1_30default_config_static_selectorELNS0_4arch9wavefront6targetE1EEEvSK_
    .private_segment_fixed_size: 0
    .sgpr_count:     6
    .sgpr_spill_count: 0
    .symbol:         _ZN7rocprim17ROCPRIM_400000_NS6detail17trampoline_kernelINS0_14default_configENS1_22reduce_config_selectorItEEZNS1_11reduce_implILb1ES3_N6thrust23THRUST_200600_302600_NS6detail15normal_iteratorINS8_10device_ptrItEEEEPttNS8_4plusItEEEE10hipError_tPvRmT1_T2_T3_mT4_P12ihipStream_tbEUlT_E1_NS1_11comp_targetILNS1_3genE4ELNS1_11target_archE910ELNS1_3gpuE8ELNS1_3repE0EEENS1_30default_config_static_selectorELNS0_4arch9wavefront6targetE1EEEvSK_.kd
    .uniform_work_group_size: 1
    .uses_dynamic_stack: false
    .vgpr_count:     0
    .vgpr_spill_count: 0
    .wavefront_size: 64
  - .agpr_count:     0
    .args:
      - .offset:         0
        .size:           40
        .value_kind:     by_value
    .group_segment_fixed_size: 0
    .kernarg_segment_align: 8
    .kernarg_segment_size: 40
    .language:       OpenCL C
    .language_version:
      - 2
      - 0
    .max_flat_workgroup_size: 128
    .name:           _ZN7rocprim17ROCPRIM_400000_NS6detail17trampoline_kernelINS0_14default_configENS1_22reduce_config_selectorItEEZNS1_11reduce_implILb1ES3_N6thrust23THRUST_200600_302600_NS6detail15normal_iteratorINS8_10device_ptrItEEEEPttNS8_4plusItEEEE10hipError_tPvRmT1_T2_T3_mT4_P12ihipStream_tbEUlT_E1_NS1_11comp_targetILNS1_3genE3ELNS1_11target_archE908ELNS1_3gpuE7ELNS1_3repE0EEENS1_30default_config_static_selectorELNS0_4arch9wavefront6targetE1EEEvSK_
    .private_segment_fixed_size: 0
    .sgpr_count:     6
    .sgpr_spill_count: 0
    .symbol:         _ZN7rocprim17ROCPRIM_400000_NS6detail17trampoline_kernelINS0_14default_configENS1_22reduce_config_selectorItEEZNS1_11reduce_implILb1ES3_N6thrust23THRUST_200600_302600_NS6detail15normal_iteratorINS8_10device_ptrItEEEEPttNS8_4plusItEEEE10hipError_tPvRmT1_T2_T3_mT4_P12ihipStream_tbEUlT_E1_NS1_11comp_targetILNS1_3genE3ELNS1_11target_archE908ELNS1_3gpuE7ELNS1_3repE0EEENS1_30default_config_static_selectorELNS0_4arch9wavefront6targetE1EEEvSK_.kd
    .uniform_work_group_size: 1
    .uses_dynamic_stack: false
    .vgpr_count:     0
    .vgpr_spill_count: 0
    .wavefront_size: 64
  - .agpr_count:     0
    .args:
      - .offset:         0
        .size:           40
        .value_kind:     by_value
    .group_segment_fixed_size: 0
    .kernarg_segment_align: 8
    .kernarg_segment_size: 40
    .language:       OpenCL C
    .language_version:
      - 2
      - 0
    .max_flat_workgroup_size: 256
    .name:           _ZN7rocprim17ROCPRIM_400000_NS6detail17trampoline_kernelINS0_14default_configENS1_22reduce_config_selectorItEEZNS1_11reduce_implILb1ES3_N6thrust23THRUST_200600_302600_NS6detail15normal_iteratorINS8_10device_ptrItEEEEPttNS8_4plusItEEEE10hipError_tPvRmT1_T2_T3_mT4_P12ihipStream_tbEUlT_E1_NS1_11comp_targetILNS1_3genE2ELNS1_11target_archE906ELNS1_3gpuE6ELNS1_3repE0EEENS1_30default_config_static_selectorELNS0_4arch9wavefront6targetE1EEEvSK_
    .private_segment_fixed_size: 0
    .sgpr_count:     6
    .sgpr_spill_count: 0
    .symbol:         _ZN7rocprim17ROCPRIM_400000_NS6detail17trampoline_kernelINS0_14default_configENS1_22reduce_config_selectorItEEZNS1_11reduce_implILb1ES3_N6thrust23THRUST_200600_302600_NS6detail15normal_iteratorINS8_10device_ptrItEEEEPttNS8_4plusItEEEE10hipError_tPvRmT1_T2_T3_mT4_P12ihipStream_tbEUlT_E1_NS1_11comp_targetILNS1_3genE2ELNS1_11target_archE906ELNS1_3gpuE6ELNS1_3repE0EEENS1_30default_config_static_selectorELNS0_4arch9wavefront6targetE1EEEvSK_.kd
    .uniform_work_group_size: 1
    .uses_dynamic_stack: false
    .vgpr_count:     0
    .vgpr_spill_count: 0
    .wavefront_size: 64
  - .agpr_count:     0
    .args:
      - .offset:         0
        .size:           40
        .value_kind:     by_value
    .group_segment_fixed_size: 0
    .kernarg_segment_align: 8
    .kernarg_segment_size: 40
    .language:       OpenCL C
    .language_version:
      - 2
      - 0
    .max_flat_workgroup_size: 256
    .name:           _ZN7rocprim17ROCPRIM_400000_NS6detail17trampoline_kernelINS0_14default_configENS1_22reduce_config_selectorItEEZNS1_11reduce_implILb1ES3_N6thrust23THRUST_200600_302600_NS6detail15normal_iteratorINS8_10device_ptrItEEEEPttNS8_4plusItEEEE10hipError_tPvRmT1_T2_T3_mT4_P12ihipStream_tbEUlT_E1_NS1_11comp_targetILNS1_3genE10ELNS1_11target_archE1201ELNS1_3gpuE5ELNS1_3repE0EEENS1_30default_config_static_selectorELNS0_4arch9wavefront6targetE1EEEvSK_
    .private_segment_fixed_size: 0
    .sgpr_count:     6
    .sgpr_spill_count: 0
    .symbol:         _ZN7rocprim17ROCPRIM_400000_NS6detail17trampoline_kernelINS0_14default_configENS1_22reduce_config_selectorItEEZNS1_11reduce_implILb1ES3_N6thrust23THRUST_200600_302600_NS6detail15normal_iteratorINS8_10device_ptrItEEEEPttNS8_4plusItEEEE10hipError_tPvRmT1_T2_T3_mT4_P12ihipStream_tbEUlT_E1_NS1_11comp_targetILNS1_3genE10ELNS1_11target_archE1201ELNS1_3gpuE5ELNS1_3repE0EEENS1_30default_config_static_selectorELNS0_4arch9wavefront6targetE1EEEvSK_.kd
    .uniform_work_group_size: 1
    .uses_dynamic_stack: false
    .vgpr_count:     0
    .vgpr_spill_count: 0
    .wavefront_size: 64
  - .agpr_count:     0
    .args:
      - .offset:         0
        .size:           40
        .value_kind:     by_value
    .group_segment_fixed_size: 0
    .kernarg_segment_align: 8
    .kernarg_segment_size: 40
    .language:       OpenCL C
    .language_version:
      - 2
      - 0
    .max_flat_workgroup_size: 256
    .name:           _ZN7rocprim17ROCPRIM_400000_NS6detail17trampoline_kernelINS0_14default_configENS1_22reduce_config_selectorItEEZNS1_11reduce_implILb1ES3_N6thrust23THRUST_200600_302600_NS6detail15normal_iteratorINS8_10device_ptrItEEEEPttNS8_4plusItEEEE10hipError_tPvRmT1_T2_T3_mT4_P12ihipStream_tbEUlT_E1_NS1_11comp_targetILNS1_3genE10ELNS1_11target_archE1200ELNS1_3gpuE4ELNS1_3repE0EEENS1_30default_config_static_selectorELNS0_4arch9wavefront6targetE1EEEvSK_
    .private_segment_fixed_size: 0
    .sgpr_count:     6
    .sgpr_spill_count: 0
    .symbol:         _ZN7rocprim17ROCPRIM_400000_NS6detail17trampoline_kernelINS0_14default_configENS1_22reduce_config_selectorItEEZNS1_11reduce_implILb1ES3_N6thrust23THRUST_200600_302600_NS6detail15normal_iteratorINS8_10device_ptrItEEEEPttNS8_4plusItEEEE10hipError_tPvRmT1_T2_T3_mT4_P12ihipStream_tbEUlT_E1_NS1_11comp_targetILNS1_3genE10ELNS1_11target_archE1200ELNS1_3gpuE4ELNS1_3repE0EEENS1_30default_config_static_selectorELNS0_4arch9wavefront6targetE1EEEvSK_.kd
    .uniform_work_group_size: 1
    .uses_dynamic_stack: false
    .vgpr_count:     0
    .vgpr_spill_count: 0
    .wavefront_size: 64
  - .agpr_count:     0
    .args:
      - .offset:         0
        .size:           40
        .value_kind:     by_value
    .group_segment_fixed_size: 0
    .kernarg_segment_align: 8
    .kernarg_segment_size: 40
    .language:       OpenCL C
    .language_version:
      - 2
      - 0
    .max_flat_workgroup_size: 256
    .name:           _ZN7rocprim17ROCPRIM_400000_NS6detail17trampoline_kernelINS0_14default_configENS1_22reduce_config_selectorItEEZNS1_11reduce_implILb1ES3_N6thrust23THRUST_200600_302600_NS6detail15normal_iteratorINS8_10device_ptrItEEEEPttNS8_4plusItEEEE10hipError_tPvRmT1_T2_T3_mT4_P12ihipStream_tbEUlT_E1_NS1_11comp_targetILNS1_3genE9ELNS1_11target_archE1100ELNS1_3gpuE3ELNS1_3repE0EEENS1_30default_config_static_selectorELNS0_4arch9wavefront6targetE1EEEvSK_
    .private_segment_fixed_size: 0
    .sgpr_count:     6
    .sgpr_spill_count: 0
    .symbol:         _ZN7rocprim17ROCPRIM_400000_NS6detail17trampoline_kernelINS0_14default_configENS1_22reduce_config_selectorItEEZNS1_11reduce_implILb1ES3_N6thrust23THRUST_200600_302600_NS6detail15normal_iteratorINS8_10device_ptrItEEEEPttNS8_4plusItEEEE10hipError_tPvRmT1_T2_T3_mT4_P12ihipStream_tbEUlT_E1_NS1_11comp_targetILNS1_3genE9ELNS1_11target_archE1100ELNS1_3gpuE3ELNS1_3repE0EEENS1_30default_config_static_selectorELNS0_4arch9wavefront6targetE1EEEvSK_.kd
    .uniform_work_group_size: 1
    .uses_dynamic_stack: false
    .vgpr_count:     0
    .vgpr_spill_count: 0
    .wavefront_size: 64
  - .agpr_count:     0
    .args:
      - .offset:         0
        .size:           40
        .value_kind:     by_value
    .group_segment_fixed_size: 0
    .kernarg_segment_align: 8
    .kernarg_segment_size: 40
    .language:       OpenCL C
    .language_version:
      - 2
      - 0
    .max_flat_workgroup_size: 256
    .name:           _ZN7rocprim17ROCPRIM_400000_NS6detail17trampoline_kernelINS0_14default_configENS1_22reduce_config_selectorItEEZNS1_11reduce_implILb1ES3_N6thrust23THRUST_200600_302600_NS6detail15normal_iteratorINS8_10device_ptrItEEEEPttNS8_4plusItEEEE10hipError_tPvRmT1_T2_T3_mT4_P12ihipStream_tbEUlT_E1_NS1_11comp_targetILNS1_3genE8ELNS1_11target_archE1030ELNS1_3gpuE2ELNS1_3repE0EEENS1_30default_config_static_selectorELNS0_4arch9wavefront6targetE1EEEvSK_
    .private_segment_fixed_size: 0
    .sgpr_count:     6
    .sgpr_spill_count: 0
    .symbol:         _ZN7rocprim17ROCPRIM_400000_NS6detail17trampoline_kernelINS0_14default_configENS1_22reduce_config_selectorItEEZNS1_11reduce_implILb1ES3_N6thrust23THRUST_200600_302600_NS6detail15normal_iteratorINS8_10device_ptrItEEEEPttNS8_4plusItEEEE10hipError_tPvRmT1_T2_T3_mT4_P12ihipStream_tbEUlT_E1_NS1_11comp_targetILNS1_3genE8ELNS1_11target_archE1030ELNS1_3gpuE2ELNS1_3repE0EEENS1_30default_config_static_selectorELNS0_4arch9wavefront6targetE1EEEvSK_.kd
    .uniform_work_group_size: 1
    .uses_dynamic_stack: false
    .vgpr_count:     0
    .vgpr_spill_count: 0
    .wavefront_size: 64
  - .agpr_count:     0
    .args:
      - .offset:         0
        .size:           16
        .value_kind:     by_value
      - .offset:         16
        .size:           8
        .value_kind:     by_value
      - .offset:         24
        .size:           8
        .value_kind:     by_value
    .group_segment_fixed_size: 0
    .kernarg_segment_align: 8
    .kernarg_segment_size: 32
    .language:       OpenCL C
    .language_version:
      - 2
      - 0
    .max_flat_workgroup_size: 256
    .name:           _ZN6thrust23THRUST_200600_302600_NS11hip_rocprim14__parallel_for6kernelILj256ENS1_20__uninitialized_fill7functorINS0_10device_ptrIxEExEEmLj1EEEvT0_T1_SA_
    .private_segment_fixed_size: 0
    .sgpr_count:     18
    .sgpr_spill_count: 0
    .symbol:         _ZN6thrust23THRUST_200600_302600_NS11hip_rocprim14__parallel_for6kernelILj256ENS1_20__uninitialized_fill7functorINS0_10device_ptrIxEExEEmLj1EEEvT0_T1_SA_.kd
    .uniform_work_group_size: 1
    .uses_dynamic_stack: false
    .vgpr_count:     6
    .vgpr_spill_count: 0
    .wavefront_size: 64
  - .agpr_count:     0
    .args:
      - .offset:         0
        .size:           64
        .value_kind:     by_value
    .group_segment_fixed_size: 64
    .kernarg_segment_align: 8
    .kernarg_segment_size: 64
    .language:       OpenCL C
    .language_version:
      - 2
      - 0
    .max_flat_workgroup_size: 256
    .name:           _ZN7rocprim17ROCPRIM_400000_NS6detail17trampoline_kernelINS0_14default_configENS1_22reduce_config_selectorIxEEZNS1_11reduce_implILb1ES3_PxS7_xN6thrust23THRUST_200600_302600_NS4plusIxEEEE10hipError_tPvRmT1_T2_T3_mT4_P12ihipStream_tbEUlT_E0_NS1_11comp_targetILNS1_3genE0ELNS1_11target_archE4294967295ELNS1_3gpuE0ELNS1_3repE0EEENS1_30default_config_static_selectorELNS0_4arch9wavefront6targetE1EEEvSF_
    .private_segment_fixed_size: 0
    .sgpr_count:     54
    .sgpr_spill_count: 0
    .symbol:         _ZN7rocprim17ROCPRIM_400000_NS6detail17trampoline_kernelINS0_14default_configENS1_22reduce_config_selectorIxEEZNS1_11reduce_implILb1ES3_PxS7_xN6thrust23THRUST_200600_302600_NS4plusIxEEEE10hipError_tPvRmT1_T2_T3_mT4_P12ihipStream_tbEUlT_E0_NS1_11comp_targetILNS1_3genE0ELNS1_11target_archE4294967295ELNS1_3gpuE0ELNS1_3repE0EEENS1_30default_config_static_selectorELNS0_4arch9wavefront6targetE1EEEvSF_.kd
    .uniform_work_group_size: 1
    .uses_dynamic_stack: false
    .vgpr_count:     68
    .vgpr_spill_count: 0
    .wavefront_size: 64
  - .agpr_count:     0
    .args:
      - .offset:         0
        .size:           64
        .value_kind:     by_value
    .group_segment_fixed_size: 0
    .kernarg_segment_align: 8
    .kernarg_segment_size: 64
    .language:       OpenCL C
    .language_version:
      - 2
      - 0
    .max_flat_workgroup_size: 256
    .name:           _ZN7rocprim17ROCPRIM_400000_NS6detail17trampoline_kernelINS0_14default_configENS1_22reduce_config_selectorIxEEZNS1_11reduce_implILb1ES3_PxS7_xN6thrust23THRUST_200600_302600_NS4plusIxEEEE10hipError_tPvRmT1_T2_T3_mT4_P12ihipStream_tbEUlT_E0_NS1_11comp_targetILNS1_3genE5ELNS1_11target_archE942ELNS1_3gpuE9ELNS1_3repE0EEENS1_30default_config_static_selectorELNS0_4arch9wavefront6targetE1EEEvSF_
    .private_segment_fixed_size: 0
    .sgpr_count:     6
    .sgpr_spill_count: 0
    .symbol:         _ZN7rocprim17ROCPRIM_400000_NS6detail17trampoline_kernelINS0_14default_configENS1_22reduce_config_selectorIxEEZNS1_11reduce_implILb1ES3_PxS7_xN6thrust23THRUST_200600_302600_NS4plusIxEEEE10hipError_tPvRmT1_T2_T3_mT4_P12ihipStream_tbEUlT_E0_NS1_11comp_targetILNS1_3genE5ELNS1_11target_archE942ELNS1_3gpuE9ELNS1_3repE0EEENS1_30default_config_static_selectorELNS0_4arch9wavefront6targetE1EEEvSF_.kd
    .uniform_work_group_size: 1
    .uses_dynamic_stack: false
    .vgpr_count:     0
    .vgpr_spill_count: 0
    .wavefront_size: 64
  - .agpr_count:     0
    .args:
      - .offset:         0
        .size:           64
        .value_kind:     by_value
    .group_segment_fixed_size: 0
    .kernarg_segment_align: 8
    .kernarg_segment_size: 64
    .language:       OpenCL C
    .language_version:
      - 2
      - 0
    .max_flat_workgroup_size: 256
    .name:           _ZN7rocprim17ROCPRIM_400000_NS6detail17trampoline_kernelINS0_14default_configENS1_22reduce_config_selectorIxEEZNS1_11reduce_implILb1ES3_PxS7_xN6thrust23THRUST_200600_302600_NS4plusIxEEEE10hipError_tPvRmT1_T2_T3_mT4_P12ihipStream_tbEUlT_E0_NS1_11comp_targetILNS1_3genE4ELNS1_11target_archE910ELNS1_3gpuE8ELNS1_3repE0EEENS1_30default_config_static_selectorELNS0_4arch9wavefront6targetE1EEEvSF_
    .private_segment_fixed_size: 0
    .sgpr_count:     6
    .sgpr_spill_count: 0
    .symbol:         _ZN7rocprim17ROCPRIM_400000_NS6detail17trampoline_kernelINS0_14default_configENS1_22reduce_config_selectorIxEEZNS1_11reduce_implILb1ES3_PxS7_xN6thrust23THRUST_200600_302600_NS4plusIxEEEE10hipError_tPvRmT1_T2_T3_mT4_P12ihipStream_tbEUlT_E0_NS1_11comp_targetILNS1_3genE4ELNS1_11target_archE910ELNS1_3gpuE8ELNS1_3repE0EEENS1_30default_config_static_selectorELNS0_4arch9wavefront6targetE1EEEvSF_.kd
    .uniform_work_group_size: 1
    .uses_dynamic_stack: false
    .vgpr_count:     0
    .vgpr_spill_count: 0
    .wavefront_size: 64
  - .agpr_count:     0
    .args:
      - .offset:         0
        .size:           64
        .value_kind:     by_value
    .group_segment_fixed_size: 0
    .kernarg_segment_align: 8
    .kernarg_segment_size: 64
    .language:       OpenCL C
    .language_version:
      - 2
      - 0
    .max_flat_workgroup_size: 256
    .name:           _ZN7rocprim17ROCPRIM_400000_NS6detail17trampoline_kernelINS0_14default_configENS1_22reduce_config_selectorIxEEZNS1_11reduce_implILb1ES3_PxS7_xN6thrust23THRUST_200600_302600_NS4plusIxEEEE10hipError_tPvRmT1_T2_T3_mT4_P12ihipStream_tbEUlT_E0_NS1_11comp_targetILNS1_3genE3ELNS1_11target_archE908ELNS1_3gpuE7ELNS1_3repE0EEENS1_30default_config_static_selectorELNS0_4arch9wavefront6targetE1EEEvSF_
    .private_segment_fixed_size: 0
    .sgpr_count:     6
    .sgpr_spill_count: 0
    .symbol:         _ZN7rocprim17ROCPRIM_400000_NS6detail17trampoline_kernelINS0_14default_configENS1_22reduce_config_selectorIxEEZNS1_11reduce_implILb1ES3_PxS7_xN6thrust23THRUST_200600_302600_NS4plusIxEEEE10hipError_tPvRmT1_T2_T3_mT4_P12ihipStream_tbEUlT_E0_NS1_11comp_targetILNS1_3genE3ELNS1_11target_archE908ELNS1_3gpuE7ELNS1_3repE0EEENS1_30default_config_static_selectorELNS0_4arch9wavefront6targetE1EEEvSF_.kd
    .uniform_work_group_size: 1
    .uses_dynamic_stack: false
    .vgpr_count:     0
    .vgpr_spill_count: 0
    .wavefront_size: 64
  - .agpr_count:     0
    .args:
      - .offset:         0
        .size:           64
        .value_kind:     by_value
    .group_segment_fixed_size: 0
    .kernarg_segment_align: 8
    .kernarg_segment_size: 64
    .language:       OpenCL C
    .language_version:
      - 2
      - 0
    .max_flat_workgroup_size: 256
    .name:           _ZN7rocprim17ROCPRIM_400000_NS6detail17trampoline_kernelINS0_14default_configENS1_22reduce_config_selectorIxEEZNS1_11reduce_implILb1ES3_PxS7_xN6thrust23THRUST_200600_302600_NS4plusIxEEEE10hipError_tPvRmT1_T2_T3_mT4_P12ihipStream_tbEUlT_E0_NS1_11comp_targetILNS1_3genE2ELNS1_11target_archE906ELNS1_3gpuE6ELNS1_3repE0EEENS1_30default_config_static_selectorELNS0_4arch9wavefront6targetE1EEEvSF_
    .private_segment_fixed_size: 0
    .sgpr_count:     6
    .sgpr_spill_count: 0
    .symbol:         _ZN7rocprim17ROCPRIM_400000_NS6detail17trampoline_kernelINS0_14default_configENS1_22reduce_config_selectorIxEEZNS1_11reduce_implILb1ES3_PxS7_xN6thrust23THRUST_200600_302600_NS4plusIxEEEE10hipError_tPvRmT1_T2_T3_mT4_P12ihipStream_tbEUlT_E0_NS1_11comp_targetILNS1_3genE2ELNS1_11target_archE906ELNS1_3gpuE6ELNS1_3repE0EEENS1_30default_config_static_selectorELNS0_4arch9wavefront6targetE1EEEvSF_.kd
    .uniform_work_group_size: 1
    .uses_dynamic_stack: false
    .vgpr_count:     0
    .vgpr_spill_count: 0
    .wavefront_size: 64
  - .agpr_count:     0
    .args:
      - .offset:         0
        .size:           64
        .value_kind:     by_value
    .group_segment_fixed_size: 0
    .kernarg_segment_align: 8
    .kernarg_segment_size: 64
    .language:       OpenCL C
    .language_version:
      - 2
      - 0
    .max_flat_workgroup_size: 256
    .name:           _ZN7rocprim17ROCPRIM_400000_NS6detail17trampoline_kernelINS0_14default_configENS1_22reduce_config_selectorIxEEZNS1_11reduce_implILb1ES3_PxS7_xN6thrust23THRUST_200600_302600_NS4plusIxEEEE10hipError_tPvRmT1_T2_T3_mT4_P12ihipStream_tbEUlT_E0_NS1_11comp_targetILNS1_3genE10ELNS1_11target_archE1201ELNS1_3gpuE5ELNS1_3repE0EEENS1_30default_config_static_selectorELNS0_4arch9wavefront6targetE1EEEvSF_
    .private_segment_fixed_size: 0
    .sgpr_count:     6
    .sgpr_spill_count: 0
    .symbol:         _ZN7rocprim17ROCPRIM_400000_NS6detail17trampoline_kernelINS0_14default_configENS1_22reduce_config_selectorIxEEZNS1_11reduce_implILb1ES3_PxS7_xN6thrust23THRUST_200600_302600_NS4plusIxEEEE10hipError_tPvRmT1_T2_T3_mT4_P12ihipStream_tbEUlT_E0_NS1_11comp_targetILNS1_3genE10ELNS1_11target_archE1201ELNS1_3gpuE5ELNS1_3repE0EEENS1_30default_config_static_selectorELNS0_4arch9wavefront6targetE1EEEvSF_.kd
    .uniform_work_group_size: 1
    .uses_dynamic_stack: false
    .vgpr_count:     0
    .vgpr_spill_count: 0
    .wavefront_size: 64
  - .agpr_count:     0
    .args:
      - .offset:         0
        .size:           64
        .value_kind:     by_value
    .group_segment_fixed_size: 0
    .kernarg_segment_align: 8
    .kernarg_segment_size: 64
    .language:       OpenCL C
    .language_version:
      - 2
      - 0
    .max_flat_workgroup_size: 256
    .name:           _ZN7rocprim17ROCPRIM_400000_NS6detail17trampoline_kernelINS0_14default_configENS1_22reduce_config_selectorIxEEZNS1_11reduce_implILb1ES3_PxS7_xN6thrust23THRUST_200600_302600_NS4plusIxEEEE10hipError_tPvRmT1_T2_T3_mT4_P12ihipStream_tbEUlT_E0_NS1_11comp_targetILNS1_3genE10ELNS1_11target_archE1200ELNS1_3gpuE4ELNS1_3repE0EEENS1_30default_config_static_selectorELNS0_4arch9wavefront6targetE1EEEvSF_
    .private_segment_fixed_size: 0
    .sgpr_count:     6
    .sgpr_spill_count: 0
    .symbol:         _ZN7rocprim17ROCPRIM_400000_NS6detail17trampoline_kernelINS0_14default_configENS1_22reduce_config_selectorIxEEZNS1_11reduce_implILb1ES3_PxS7_xN6thrust23THRUST_200600_302600_NS4plusIxEEEE10hipError_tPvRmT1_T2_T3_mT4_P12ihipStream_tbEUlT_E0_NS1_11comp_targetILNS1_3genE10ELNS1_11target_archE1200ELNS1_3gpuE4ELNS1_3repE0EEENS1_30default_config_static_selectorELNS0_4arch9wavefront6targetE1EEEvSF_.kd
    .uniform_work_group_size: 1
    .uses_dynamic_stack: false
    .vgpr_count:     0
    .vgpr_spill_count: 0
    .wavefront_size: 64
  - .agpr_count:     0
    .args:
      - .offset:         0
        .size:           64
        .value_kind:     by_value
    .group_segment_fixed_size: 0
    .kernarg_segment_align: 8
    .kernarg_segment_size: 64
    .language:       OpenCL C
    .language_version:
      - 2
      - 0
    .max_flat_workgroup_size: 256
    .name:           _ZN7rocprim17ROCPRIM_400000_NS6detail17trampoline_kernelINS0_14default_configENS1_22reduce_config_selectorIxEEZNS1_11reduce_implILb1ES3_PxS7_xN6thrust23THRUST_200600_302600_NS4plusIxEEEE10hipError_tPvRmT1_T2_T3_mT4_P12ihipStream_tbEUlT_E0_NS1_11comp_targetILNS1_3genE9ELNS1_11target_archE1100ELNS1_3gpuE3ELNS1_3repE0EEENS1_30default_config_static_selectorELNS0_4arch9wavefront6targetE1EEEvSF_
    .private_segment_fixed_size: 0
    .sgpr_count:     6
    .sgpr_spill_count: 0
    .symbol:         _ZN7rocprim17ROCPRIM_400000_NS6detail17trampoline_kernelINS0_14default_configENS1_22reduce_config_selectorIxEEZNS1_11reduce_implILb1ES3_PxS7_xN6thrust23THRUST_200600_302600_NS4plusIxEEEE10hipError_tPvRmT1_T2_T3_mT4_P12ihipStream_tbEUlT_E0_NS1_11comp_targetILNS1_3genE9ELNS1_11target_archE1100ELNS1_3gpuE3ELNS1_3repE0EEENS1_30default_config_static_selectorELNS0_4arch9wavefront6targetE1EEEvSF_.kd
    .uniform_work_group_size: 1
    .uses_dynamic_stack: false
    .vgpr_count:     0
    .vgpr_spill_count: 0
    .wavefront_size: 64
  - .agpr_count:     0
    .args:
      - .offset:         0
        .size:           64
        .value_kind:     by_value
    .group_segment_fixed_size: 0
    .kernarg_segment_align: 8
    .kernarg_segment_size: 64
    .language:       OpenCL C
    .language_version:
      - 2
      - 0
    .max_flat_workgroup_size: 256
    .name:           _ZN7rocprim17ROCPRIM_400000_NS6detail17trampoline_kernelINS0_14default_configENS1_22reduce_config_selectorIxEEZNS1_11reduce_implILb1ES3_PxS7_xN6thrust23THRUST_200600_302600_NS4plusIxEEEE10hipError_tPvRmT1_T2_T3_mT4_P12ihipStream_tbEUlT_E0_NS1_11comp_targetILNS1_3genE8ELNS1_11target_archE1030ELNS1_3gpuE2ELNS1_3repE0EEENS1_30default_config_static_selectorELNS0_4arch9wavefront6targetE1EEEvSF_
    .private_segment_fixed_size: 0
    .sgpr_count:     6
    .sgpr_spill_count: 0
    .symbol:         _ZN7rocprim17ROCPRIM_400000_NS6detail17trampoline_kernelINS0_14default_configENS1_22reduce_config_selectorIxEEZNS1_11reduce_implILb1ES3_PxS7_xN6thrust23THRUST_200600_302600_NS4plusIxEEEE10hipError_tPvRmT1_T2_T3_mT4_P12ihipStream_tbEUlT_E0_NS1_11comp_targetILNS1_3genE8ELNS1_11target_archE1030ELNS1_3gpuE2ELNS1_3repE0EEENS1_30default_config_static_selectorELNS0_4arch9wavefront6targetE1EEEvSF_.kd
    .uniform_work_group_size: 1
    .uses_dynamic_stack: false
    .vgpr_count:     0
    .vgpr_spill_count: 0
    .wavefront_size: 64
  - .agpr_count:     0
    .args:
      - .offset:         0
        .size:           48
        .value_kind:     by_value
    .group_segment_fixed_size: 192
    .kernarg_segment_align: 8
    .kernarg_segment_size: 48
    .language:       OpenCL C
    .language_version:
      - 2
      - 0
    .max_flat_workgroup_size: 256
    .name:           _ZN7rocprim17ROCPRIM_400000_NS6detail17trampoline_kernelINS0_14default_configENS1_22reduce_config_selectorIxEEZNS1_11reduce_implILb1ES3_PxS7_xN6thrust23THRUST_200600_302600_NS4plusIxEEEE10hipError_tPvRmT1_T2_T3_mT4_P12ihipStream_tbEUlT_E1_NS1_11comp_targetILNS1_3genE0ELNS1_11target_archE4294967295ELNS1_3gpuE0ELNS1_3repE0EEENS1_30default_config_static_selectorELNS0_4arch9wavefront6targetE1EEEvSF_
    .private_segment_fixed_size: 0
    .sgpr_count:     53
    .sgpr_spill_count: 0
    .symbol:         _ZN7rocprim17ROCPRIM_400000_NS6detail17trampoline_kernelINS0_14default_configENS1_22reduce_config_selectorIxEEZNS1_11reduce_implILb1ES3_PxS7_xN6thrust23THRUST_200600_302600_NS4plusIxEEEE10hipError_tPvRmT1_T2_T3_mT4_P12ihipStream_tbEUlT_E1_NS1_11comp_targetILNS1_3genE0ELNS1_11target_archE4294967295ELNS1_3gpuE0ELNS1_3repE0EEENS1_30default_config_static_selectorELNS0_4arch9wavefront6targetE1EEEvSF_.kd
    .uniform_work_group_size: 1
    .uses_dynamic_stack: false
    .vgpr_count:     48
    .vgpr_spill_count: 0
    .wavefront_size: 64
  - .agpr_count:     0
    .args:
      - .offset:         0
        .size:           48
        .value_kind:     by_value
    .group_segment_fixed_size: 0
    .kernarg_segment_align: 8
    .kernarg_segment_size: 48
    .language:       OpenCL C
    .language_version:
      - 2
      - 0
    .max_flat_workgroup_size: 256
    .name:           _ZN7rocprim17ROCPRIM_400000_NS6detail17trampoline_kernelINS0_14default_configENS1_22reduce_config_selectorIxEEZNS1_11reduce_implILb1ES3_PxS7_xN6thrust23THRUST_200600_302600_NS4plusIxEEEE10hipError_tPvRmT1_T2_T3_mT4_P12ihipStream_tbEUlT_E1_NS1_11comp_targetILNS1_3genE5ELNS1_11target_archE942ELNS1_3gpuE9ELNS1_3repE0EEENS1_30default_config_static_selectorELNS0_4arch9wavefront6targetE1EEEvSF_
    .private_segment_fixed_size: 0
    .sgpr_count:     6
    .sgpr_spill_count: 0
    .symbol:         _ZN7rocprim17ROCPRIM_400000_NS6detail17trampoline_kernelINS0_14default_configENS1_22reduce_config_selectorIxEEZNS1_11reduce_implILb1ES3_PxS7_xN6thrust23THRUST_200600_302600_NS4plusIxEEEE10hipError_tPvRmT1_T2_T3_mT4_P12ihipStream_tbEUlT_E1_NS1_11comp_targetILNS1_3genE5ELNS1_11target_archE942ELNS1_3gpuE9ELNS1_3repE0EEENS1_30default_config_static_selectorELNS0_4arch9wavefront6targetE1EEEvSF_.kd
    .uniform_work_group_size: 1
    .uses_dynamic_stack: false
    .vgpr_count:     0
    .vgpr_spill_count: 0
    .wavefront_size: 64
  - .agpr_count:     0
    .args:
      - .offset:         0
        .size:           48
        .value_kind:     by_value
    .group_segment_fixed_size: 0
    .kernarg_segment_align: 8
    .kernarg_segment_size: 48
    .language:       OpenCL C
    .language_version:
      - 2
      - 0
    .max_flat_workgroup_size: 256
    .name:           _ZN7rocprim17ROCPRIM_400000_NS6detail17trampoline_kernelINS0_14default_configENS1_22reduce_config_selectorIxEEZNS1_11reduce_implILb1ES3_PxS7_xN6thrust23THRUST_200600_302600_NS4plusIxEEEE10hipError_tPvRmT1_T2_T3_mT4_P12ihipStream_tbEUlT_E1_NS1_11comp_targetILNS1_3genE4ELNS1_11target_archE910ELNS1_3gpuE8ELNS1_3repE0EEENS1_30default_config_static_selectorELNS0_4arch9wavefront6targetE1EEEvSF_
    .private_segment_fixed_size: 0
    .sgpr_count:     6
    .sgpr_spill_count: 0
    .symbol:         _ZN7rocprim17ROCPRIM_400000_NS6detail17trampoline_kernelINS0_14default_configENS1_22reduce_config_selectorIxEEZNS1_11reduce_implILb1ES3_PxS7_xN6thrust23THRUST_200600_302600_NS4plusIxEEEE10hipError_tPvRmT1_T2_T3_mT4_P12ihipStream_tbEUlT_E1_NS1_11comp_targetILNS1_3genE4ELNS1_11target_archE910ELNS1_3gpuE8ELNS1_3repE0EEENS1_30default_config_static_selectorELNS0_4arch9wavefront6targetE1EEEvSF_.kd
    .uniform_work_group_size: 1
    .uses_dynamic_stack: false
    .vgpr_count:     0
    .vgpr_spill_count: 0
    .wavefront_size: 64
  - .agpr_count:     0
    .args:
      - .offset:         0
        .size:           48
        .value_kind:     by_value
    .group_segment_fixed_size: 0
    .kernarg_segment_align: 8
    .kernarg_segment_size: 48
    .language:       OpenCL C
    .language_version:
      - 2
      - 0
    .max_flat_workgroup_size: 256
    .name:           _ZN7rocprim17ROCPRIM_400000_NS6detail17trampoline_kernelINS0_14default_configENS1_22reduce_config_selectorIxEEZNS1_11reduce_implILb1ES3_PxS7_xN6thrust23THRUST_200600_302600_NS4plusIxEEEE10hipError_tPvRmT1_T2_T3_mT4_P12ihipStream_tbEUlT_E1_NS1_11comp_targetILNS1_3genE3ELNS1_11target_archE908ELNS1_3gpuE7ELNS1_3repE0EEENS1_30default_config_static_selectorELNS0_4arch9wavefront6targetE1EEEvSF_
    .private_segment_fixed_size: 0
    .sgpr_count:     6
    .sgpr_spill_count: 0
    .symbol:         _ZN7rocprim17ROCPRIM_400000_NS6detail17trampoline_kernelINS0_14default_configENS1_22reduce_config_selectorIxEEZNS1_11reduce_implILb1ES3_PxS7_xN6thrust23THRUST_200600_302600_NS4plusIxEEEE10hipError_tPvRmT1_T2_T3_mT4_P12ihipStream_tbEUlT_E1_NS1_11comp_targetILNS1_3genE3ELNS1_11target_archE908ELNS1_3gpuE7ELNS1_3repE0EEENS1_30default_config_static_selectorELNS0_4arch9wavefront6targetE1EEEvSF_.kd
    .uniform_work_group_size: 1
    .uses_dynamic_stack: false
    .vgpr_count:     0
    .vgpr_spill_count: 0
    .wavefront_size: 64
  - .agpr_count:     0
    .args:
      - .offset:         0
        .size:           48
        .value_kind:     by_value
    .group_segment_fixed_size: 0
    .kernarg_segment_align: 8
    .kernarg_segment_size: 48
    .language:       OpenCL C
    .language_version:
      - 2
      - 0
    .max_flat_workgroup_size: 256
    .name:           _ZN7rocprim17ROCPRIM_400000_NS6detail17trampoline_kernelINS0_14default_configENS1_22reduce_config_selectorIxEEZNS1_11reduce_implILb1ES3_PxS7_xN6thrust23THRUST_200600_302600_NS4plusIxEEEE10hipError_tPvRmT1_T2_T3_mT4_P12ihipStream_tbEUlT_E1_NS1_11comp_targetILNS1_3genE2ELNS1_11target_archE906ELNS1_3gpuE6ELNS1_3repE0EEENS1_30default_config_static_selectorELNS0_4arch9wavefront6targetE1EEEvSF_
    .private_segment_fixed_size: 0
    .sgpr_count:     6
    .sgpr_spill_count: 0
    .symbol:         _ZN7rocprim17ROCPRIM_400000_NS6detail17trampoline_kernelINS0_14default_configENS1_22reduce_config_selectorIxEEZNS1_11reduce_implILb1ES3_PxS7_xN6thrust23THRUST_200600_302600_NS4plusIxEEEE10hipError_tPvRmT1_T2_T3_mT4_P12ihipStream_tbEUlT_E1_NS1_11comp_targetILNS1_3genE2ELNS1_11target_archE906ELNS1_3gpuE6ELNS1_3repE0EEENS1_30default_config_static_selectorELNS0_4arch9wavefront6targetE1EEEvSF_.kd
    .uniform_work_group_size: 1
    .uses_dynamic_stack: false
    .vgpr_count:     0
    .vgpr_spill_count: 0
    .wavefront_size: 64
  - .agpr_count:     0
    .args:
      - .offset:         0
        .size:           48
        .value_kind:     by_value
    .group_segment_fixed_size: 0
    .kernarg_segment_align: 8
    .kernarg_segment_size: 48
    .language:       OpenCL C
    .language_version:
      - 2
      - 0
    .max_flat_workgroup_size: 256
    .name:           _ZN7rocprim17ROCPRIM_400000_NS6detail17trampoline_kernelINS0_14default_configENS1_22reduce_config_selectorIxEEZNS1_11reduce_implILb1ES3_PxS7_xN6thrust23THRUST_200600_302600_NS4plusIxEEEE10hipError_tPvRmT1_T2_T3_mT4_P12ihipStream_tbEUlT_E1_NS1_11comp_targetILNS1_3genE10ELNS1_11target_archE1201ELNS1_3gpuE5ELNS1_3repE0EEENS1_30default_config_static_selectorELNS0_4arch9wavefront6targetE1EEEvSF_
    .private_segment_fixed_size: 0
    .sgpr_count:     6
    .sgpr_spill_count: 0
    .symbol:         _ZN7rocprim17ROCPRIM_400000_NS6detail17trampoline_kernelINS0_14default_configENS1_22reduce_config_selectorIxEEZNS1_11reduce_implILb1ES3_PxS7_xN6thrust23THRUST_200600_302600_NS4plusIxEEEE10hipError_tPvRmT1_T2_T3_mT4_P12ihipStream_tbEUlT_E1_NS1_11comp_targetILNS1_3genE10ELNS1_11target_archE1201ELNS1_3gpuE5ELNS1_3repE0EEENS1_30default_config_static_selectorELNS0_4arch9wavefront6targetE1EEEvSF_.kd
    .uniform_work_group_size: 1
    .uses_dynamic_stack: false
    .vgpr_count:     0
    .vgpr_spill_count: 0
    .wavefront_size: 64
  - .agpr_count:     0
    .args:
      - .offset:         0
        .size:           48
        .value_kind:     by_value
    .group_segment_fixed_size: 0
    .kernarg_segment_align: 8
    .kernarg_segment_size: 48
    .language:       OpenCL C
    .language_version:
      - 2
      - 0
    .max_flat_workgroup_size: 256
    .name:           _ZN7rocprim17ROCPRIM_400000_NS6detail17trampoline_kernelINS0_14default_configENS1_22reduce_config_selectorIxEEZNS1_11reduce_implILb1ES3_PxS7_xN6thrust23THRUST_200600_302600_NS4plusIxEEEE10hipError_tPvRmT1_T2_T3_mT4_P12ihipStream_tbEUlT_E1_NS1_11comp_targetILNS1_3genE10ELNS1_11target_archE1200ELNS1_3gpuE4ELNS1_3repE0EEENS1_30default_config_static_selectorELNS0_4arch9wavefront6targetE1EEEvSF_
    .private_segment_fixed_size: 0
    .sgpr_count:     6
    .sgpr_spill_count: 0
    .symbol:         _ZN7rocprim17ROCPRIM_400000_NS6detail17trampoline_kernelINS0_14default_configENS1_22reduce_config_selectorIxEEZNS1_11reduce_implILb1ES3_PxS7_xN6thrust23THRUST_200600_302600_NS4plusIxEEEE10hipError_tPvRmT1_T2_T3_mT4_P12ihipStream_tbEUlT_E1_NS1_11comp_targetILNS1_3genE10ELNS1_11target_archE1200ELNS1_3gpuE4ELNS1_3repE0EEENS1_30default_config_static_selectorELNS0_4arch9wavefront6targetE1EEEvSF_.kd
    .uniform_work_group_size: 1
    .uses_dynamic_stack: false
    .vgpr_count:     0
    .vgpr_spill_count: 0
    .wavefront_size: 64
  - .agpr_count:     0
    .args:
      - .offset:         0
        .size:           48
        .value_kind:     by_value
    .group_segment_fixed_size: 0
    .kernarg_segment_align: 8
    .kernarg_segment_size: 48
    .language:       OpenCL C
    .language_version:
      - 2
      - 0
    .max_flat_workgroup_size: 256
    .name:           _ZN7rocprim17ROCPRIM_400000_NS6detail17trampoline_kernelINS0_14default_configENS1_22reduce_config_selectorIxEEZNS1_11reduce_implILb1ES3_PxS7_xN6thrust23THRUST_200600_302600_NS4plusIxEEEE10hipError_tPvRmT1_T2_T3_mT4_P12ihipStream_tbEUlT_E1_NS1_11comp_targetILNS1_3genE9ELNS1_11target_archE1100ELNS1_3gpuE3ELNS1_3repE0EEENS1_30default_config_static_selectorELNS0_4arch9wavefront6targetE1EEEvSF_
    .private_segment_fixed_size: 0
    .sgpr_count:     6
    .sgpr_spill_count: 0
    .symbol:         _ZN7rocprim17ROCPRIM_400000_NS6detail17trampoline_kernelINS0_14default_configENS1_22reduce_config_selectorIxEEZNS1_11reduce_implILb1ES3_PxS7_xN6thrust23THRUST_200600_302600_NS4plusIxEEEE10hipError_tPvRmT1_T2_T3_mT4_P12ihipStream_tbEUlT_E1_NS1_11comp_targetILNS1_3genE9ELNS1_11target_archE1100ELNS1_3gpuE3ELNS1_3repE0EEENS1_30default_config_static_selectorELNS0_4arch9wavefront6targetE1EEEvSF_.kd
    .uniform_work_group_size: 1
    .uses_dynamic_stack: false
    .vgpr_count:     0
    .vgpr_spill_count: 0
    .wavefront_size: 64
  - .agpr_count:     0
    .args:
      - .offset:         0
        .size:           48
        .value_kind:     by_value
    .group_segment_fixed_size: 0
    .kernarg_segment_align: 8
    .kernarg_segment_size: 48
    .language:       OpenCL C
    .language_version:
      - 2
      - 0
    .max_flat_workgroup_size: 256
    .name:           _ZN7rocprim17ROCPRIM_400000_NS6detail17trampoline_kernelINS0_14default_configENS1_22reduce_config_selectorIxEEZNS1_11reduce_implILb1ES3_PxS7_xN6thrust23THRUST_200600_302600_NS4plusIxEEEE10hipError_tPvRmT1_T2_T3_mT4_P12ihipStream_tbEUlT_E1_NS1_11comp_targetILNS1_3genE8ELNS1_11target_archE1030ELNS1_3gpuE2ELNS1_3repE0EEENS1_30default_config_static_selectorELNS0_4arch9wavefront6targetE1EEEvSF_
    .private_segment_fixed_size: 0
    .sgpr_count:     6
    .sgpr_spill_count: 0
    .symbol:         _ZN7rocprim17ROCPRIM_400000_NS6detail17trampoline_kernelINS0_14default_configENS1_22reduce_config_selectorIxEEZNS1_11reduce_implILb1ES3_PxS7_xN6thrust23THRUST_200600_302600_NS4plusIxEEEE10hipError_tPvRmT1_T2_T3_mT4_P12ihipStream_tbEUlT_E1_NS1_11comp_targetILNS1_3genE8ELNS1_11target_archE1030ELNS1_3gpuE2ELNS1_3repE0EEENS1_30default_config_static_selectorELNS0_4arch9wavefront6targetE1EEEvSF_.kd
    .uniform_work_group_size: 1
    .uses_dynamic_stack: false
    .vgpr_count:     0
    .vgpr_spill_count: 0
    .wavefront_size: 64
  - .agpr_count:     0
    .args:
      - .offset:         0
        .size:           64
        .value_kind:     by_value
    .group_segment_fixed_size: 64
    .kernarg_segment_align: 8
    .kernarg_segment_size: 64
    .language:       OpenCL C
    .language_version:
      - 2
      - 0
    .max_flat_workgroup_size: 256
    .name:           _ZN7rocprim17ROCPRIM_400000_NS6detail17trampoline_kernelINS0_14default_configENS1_22reduce_config_selectorIxEEZNS1_11reduce_implILb1ES3_N6thrust23THRUST_200600_302600_NS6detail15normal_iteratorINS8_10device_ptrIxEEEEPxxNS8_4plusIxEEEE10hipError_tPvRmT1_T2_T3_mT4_P12ihipStream_tbEUlT_E0_NS1_11comp_targetILNS1_3genE0ELNS1_11target_archE4294967295ELNS1_3gpuE0ELNS1_3repE0EEENS1_30default_config_static_selectorELNS0_4arch9wavefront6targetE1EEEvSK_
    .private_segment_fixed_size: 0
    .sgpr_count:     54
    .sgpr_spill_count: 0
    .symbol:         _ZN7rocprim17ROCPRIM_400000_NS6detail17trampoline_kernelINS0_14default_configENS1_22reduce_config_selectorIxEEZNS1_11reduce_implILb1ES3_N6thrust23THRUST_200600_302600_NS6detail15normal_iteratorINS8_10device_ptrIxEEEEPxxNS8_4plusIxEEEE10hipError_tPvRmT1_T2_T3_mT4_P12ihipStream_tbEUlT_E0_NS1_11comp_targetILNS1_3genE0ELNS1_11target_archE4294967295ELNS1_3gpuE0ELNS1_3repE0EEENS1_30default_config_static_selectorELNS0_4arch9wavefront6targetE1EEEvSK_.kd
    .uniform_work_group_size: 1
    .uses_dynamic_stack: false
    .vgpr_count:     68
    .vgpr_spill_count: 0
    .wavefront_size: 64
  - .agpr_count:     0
    .args:
      - .offset:         0
        .size:           64
        .value_kind:     by_value
    .group_segment_fixed_size: 0
    .kernarg_segment_align: 8
    .kernarg_segment_size: 64
    .language:       OpenCL C
    .language_version:
      - 2
      - 0
    .max_flat_workgroup_size: 256
    .name:           _ZN7rocprim17ROCPRIM_400000_NS6detail17trampoline_kernelINS0_14default_configENS1_22reduce_config_selectorIxEEZNS1_11reduce_implILb1ES3_N6thrust23THRUST_200600_302600_NS6detail15normal_iteratorINS8_10device_ptrIxEEEEPxxNS8_4plusIxEEEE10hipError_tPvRmT1_T2_T3_mT4_P12ihipStream_tbEUlT_E0_NS1_11comp_targetILNS1_3genE5ELNS1_11target_archE942ELNS1_3gpuE9ELNS1_3repE0EEENS1_30default_config_static_selectorELNS0_4arch9wavefront6targetE1EEEvSK_
    .private_segment_fixed_size: 0
    .sgpr_count:     6
    .sgpr_spill_count: 0
    .symbol:         _ZN7rocprim17ROCPRIM_400000_NS6detail17trampoline_kernelINS0_14default_configENS1_22reduce_config_selectorIxEEZNS1_11reduce_implILb1ES3_N6thrust23THRUST_200600_302600_NS6detail15normal_iteratorINS8_10device_ptrIxEEEEPxxNS8_4plusIxEEEE10hipError_tPvRmT1_T2_T3_mT4_P12ihipStream_tbEUlT_E0_NS1_11comp_targetILNS1_3genE5ELNS1_11target_archE942ELNS1_3gpuE9ELNS1_3repE0EEENS1_30default_config_static_selectorELNS0_4arch9wavefront6targetE1EEEvSK_.kd
    .uniform_work_group_size: 1
    .uses_dynamic_stack: false
    .vgpr_count:     0
    .vgpr_spill_count: 0
    .wavefront_size: 64
  - .agpr_count:     0
    .args:
      - .offset:         0
        .size:           64
        .value_kind:     by_value
    .group_segment_fixed_size: 0
    .kernarg_segment_align: 8
    .kernarg_segment_size: 64
    .language:       OpenCL C
    .language_version:
      - 2
      - 0
    .max_flat_workgroup_size: 256
    .name:           _ZN7rocprim17ROCPRIM_400000_NS6detail17trampoline_kernelINS0_14default_configENS1_22reduce_config_selectorIxEEZNS1_11reduce_implILb1ES3_N6thrust23THRUST_200600_302600_NS6detail15normal_iteratorINS8_10device_ptrIxEEEEPxxNS8_4plusIxEEEE10hipError_tPvRmT1_T2_T3_mT4_P12ihipStream_tbEUlT_E0_NS1_11comp_targetILNS1_3genE4ELNS1_11target_archE910ELNS1_3gpuE8ELNS1_3repE0EEENS1_30default_config_static_selectorELNS0_4arch9wavefront6targetE1EEEvSK_
    .private_segment_fixed_size: 0
    .sgpr_count:     6
    .sgpr_spill_count: 0
    .symbol:         _ZN7rocprim17ROCPRIM_400000_NS6detail17trampoline_kernelINS0_14default_configENS1_22reduce_config_selectorIxEEZNS1_11reduce_implILb1ES3_N6thrust23THRUST_200600_302600_NS6detail15normal_iteratorINS8_10device_ptrIxEEEEPxxNS8_4plusIxEEEE10hipError_tPvRmT1_T2_T3_mT4_P12ihipStream_tbEUlT_E0_NS1_11comp_targetILNS1_3genE4ELNS1_11target_archE910ELNS1_3gpuE8ELNS1_3repE0EEENS1_30default_config_static_selectorELNS0_4arch9wavefront6targetE1EEEvSK_.kd
    .uniform_work_group_size: 1
    .uses_dynamic_stack: false
    .vgpr_count:     0
    .vgpr_spill_count: 0
    .wavefront_size: 64
  - .agpr_count:     0
    .args:
      - .offset:         0
        .size:           64
        .value_kind:     by_value
    .group_segment_fixed_size: 0
    .kernarg_segment_align: 8
    .kernarg_segment_size: 64
    .language:       OpenCL C
    .language_version:
      - 2
      - 0
    .max_flat_workgroup_size: 256
    .name:           _ZN7rocprim17ROCPRIM_400000_NS6detail17trampoline_kernelINS0_14default_configENS1_22reduce_config_selectorIxEEZNS1_11reduce_implILb1ES3_N6thrust23THRUST_200600_302600_NS6detail15normal_iteratorINS8_10device_ptrIxEEEEPxxNS8_4plusIxEEEE10hipError_tPvRmT1_T2_T3_mT4_P12ihipStream_tbEUlT_E0_NS1_11comp_targetILNS1_3genE3ELNS1_11target_archE908ELNS1_3gpuE7ELNS1_3repE0EEENS1_30default_config_static_selectorELNS0_4arch9wavefront6targetE1EEEvSK_
    .private_segment_fixed_size: 0
    .sgpr_count:     6
    .sgpr_spill_count: 0
    .symbol:         _ZN7rocprim17ROCPRIM_400000_NS6detail17trampoline_kernelINS0_14default_configENS1_22reduce_config_selectorIxEEZNS1_11reduce_implILb1ES3_N6thrust23THRUST_200600_302600_NS6detail15normal_iteratorINS8_10device_ptrIxEEEEPxxNS8_4plusIxEEEE10hipError_tPvRmT1_T2_T3_mT4_P12ihipStream_tbEUlT_E0_NS1_11comp_targetILNS1_3genE3ELNS1_11target_archE908ELNS1_3gpuE7ELNS1_3repE0EEENS1_30default_config_static_selectorELNS0_4arch9wavefront6targetE1EEEvSK_.kd
    .uniform_work_group_size: 1
    .uses_dynamic_stack: false
    .vgpr_count:     0
    .vgpr_spill_count: 0
    .wavefront_size: 64
  - .agpr_count:     0
    .args:
      - .offset:         0
        .size:           64
        .value_kind:     by_value
    .group_segment_fixed_size: 0
    .kernarg_segment_align: 8
    .kernarg_segment_size: 64
    .language:       OpenCL C
    .language_version:
      - 2
      - 0
    .max_flat_workgroup_size: 256
    .name:           _ZN7rocprim17ROCPRIM_400000_NS6detail17trampoline_kernelINS0_14default_configENS1_22reduce_config_selectorIxEEZNS1_11reduce_implILb1ES3_N6thrust23THRUST_200600_302600_NS6detail15normal_iteratorINS8_10device_ptrIxEEEEPxxNS8_4plusIxEEEE10hipError_tPvRmT1_T2_T3_mT4_P12ihipStream_tbEUlT_E0_NS1_11comp_targetILNS1_3genE2ELNS1_11target_archE906ELNS1_3gpuE6ELNS1_3repE0EEENS1_30default_config_static_selectorELNS0_4arch9wavefront6targetE1EEEvSK_
    .private_segment_fixed_size: 0
    .sgpr_count:     6
    .sgpr_spill_count: 0
    .symbol:         _ZN7rocprim17ROCPRIM_400000_NS6detail17trampoline_kernelINS0_14default_configENS1_22reduce_config_selectorIxEEZNS1_11reduce_implILb1ES3_N6thrust23THRUST_200600_302600_NS6detail15normal_iteratorINS8_10device_ptrIxEEEEPxxNS8_4plusIxEEEE10hipError_tPvRmT1_T2_T3_mT4_P12ihipStream_tbEUlT_E0_NS1_11comp_targetILNS1_3genE2ELNS1_11target_archE906ELNS1_3gpuE6ELNS1_3repE0EEENS1_30default_config_static_selectorELNS0_4arch9wavefront6targetE1EEEvSK_.kd
    .uniform_work_group_size: 1
    .uses_dynamic_stack: false
    .vgpr_count:     0
    .vgpr_spill_count: 0
    .wavefront_size: 64
  - .agpr_count:     0
    .args:
      - .offset:         0
        .size:           64
        .value_kind:     by_value
    .group_segment_fixed_size: 0
    .kernarg_segment_align: 8
    .kernarg_segment_size: 64
    .language:       OpenCL C
    .language_version:
      - 2
      - 0
    .max_flat_workgroup_size: 256
    .name:           _ZN7rocprim17ROCPRIM_400000_NS6detail17trampoline_kernelINS0_14default_configENS1_22reduce_config_selectorIxEEZNS1_11reduce_implILb1ES3_N6thrust23THRUST_200600_302600_NS6detail15normal_iteratorINS8_10device_ptrIxEEEEPxxNS8_4plusIxEEEE10hipError_tPvRmT1_T2_T3_mT4_P12ihipStream_tbEUlT_E0_NS1_11comp_targetILNS1_3genE10ELNS1_11target_archE1201ELNS1_3gpuE5ELNS1_3repE0EEENS1_30default_config_static_selectorELNS0_4arch9wavefront6targetE1EEEvSK_
    .private_segment_fixed_size: 0
    .sgpr_count:     6
    .sgpr_spill_count: 0
    .symbol:         _ZN7rocprim17ROCPRIM_400000_NS6detail17trampoline_kernelINS0_14default_configENS1_22reduce_config_selectorIxEEZNS1_11reduce_implILb1ES3_N6thrust23THRUST_200600_302600_NS6detail15normal_iteratorINS8_10device_ptrIxEEEEPxxNS8_4plusIxEEEE10hipError_tPvRmT1_T2_T3_mT4_P12ihipStream_tbEUlT_E0_NS1_11comp_targetILNS1_3genE10ELNS1_11target_archE1201ELNS1_3gpuE5ELNS1_3repE0EEENS1_30default_config_static_selectorELNS0_4arch9wavefront6targetE1EEEvSK_.kd
    .uniform_work_group_size: 1
    .uses_dynamic_stack: false
    .vgpr_count:     0
    .vgpr_spill_count: 0
    .wavefront_size: 64
  - .agpr_count:     0
    .args:
      - .offset:         0
        .size:           64
        .value_kind:     by_value
    .group_segment_fixed_size: 0
    .kernarg_segment_align: 8
    .kernarg_segment_size: 64
    .language:       OpenCL C
    .language_version:
      - 2
      - 0
    .max_flat_workgroup_size: 256
    .name:           _ZN7rocprim17ROCPRIM_400000_NS6detail17trampoline_kernelINS0_14default_configENS1_22reduce_config_selectorIxEEZNS1_11reduce_implILb1ES3_N6thrust23THRUST_200600_302600_NS6detail15normal_iteratorINS8_10device_ptrIxEEEEPxxNS8_4plusIxEEEE10hipError_tPvRmT1_T2_T3_mT4_P12ihipStream_tbEUlT_E0_NS1_11comp_targetILNS1_3genE10ELNS1_11target_archE1200ELNS1_3gpuE4ELNS1_3repE0EEENS1_30default_config_static_selectorELNS0_4arch9wavefront6targetE1EEEvSK_
    .private_segment_fixed_size: 0
    .sgpr_count:     6
    .sgpr_spill_count: 0
    .symbol:         _ZN7rocprim17ROCPRIM_400000_NS6detail17trampoline_kernelINS0_14default_configENS1_22reduce_config_selectorIxEEZNS1_11reduce_implILb1ES3_N6thrust23THRUST_200600_302600_NS6detail15normal_iteratorINS8_10device_ptrIxEEEEPxxNS8_4plusIxEEEE10hipError_tPvRmT1_T2_T3_mT4_P12ihipStream_tbEUlT_E0_NS1_11comp_targetILNS1_3genE10ELNS1_11target_archE1200ELNS1_3gpuE4ELNS1_3repE0EEENS1_30default_config_static_selectorELNS0_4arch9wavefront6targetE1EEEvSK_.kd
    .uniform_work_group_size: 1
    .uses_dynamic_stack: false
    .vgpr_count:     0
    .vgpr_spill_count: 0
    .wavefront_size: 64
  - .agpr_count:     0
    .args:
      - .offset:         0
        .size:           64
        .value_kind:     by_value
    .group_segment_fixed_size: 0
    .kernarg_segment_align: 8
    .kernarg_segment_size: 64
    .language:       OpenCL C
    .language_version:
      - 2
      - 0
    .max_flat_workgroup_size: 256
    .name:           _ZN7rocprim17ROCPRIM_400000_NS6detail17trampoline_kernelINS0_14default_configENS1_22reduce_config_selectorIxEEZNS1_11reduce_implILb1ES3_N6thrust23THRUST_200600_302600_NS6detail15normal_iteratorINS8_10device_ptrIxEEEEPxxNS8_4plusIxEEEE10hipError_tPvRmT1_T2_T3_mT4_P12ihipStream_tbEUlT_E0_NS1_11comp_targetILNS1_3genE9ELNS1_11target_archE1100ELNS1_3gpuE3ELNS1_3repE0EEENS1_30default_config_static_selectorELNS0_4arch9wavefront6targetE1EEEvSK_
    .private_segment_fixed_size: 0
    .sgpr_count:     6
    .sgpr_spill_count: 0
    .symbol:         _ZN7rocprim17ROCPRIM_400000_NS6detail17trampoline_kernelINS0_14default_configENS1_22reduce_config_selectorIxEEZNS1_11reduce_implILb1ES3_N6thrust23THRUST_200600_302600_NS6detail15normal_iteratorINS8_10device_ptrIxEEEEPxxNS8_4plusIxEEEE10hipError_tPvRmT1_T2_T3_mT4_P12ihipStream_tbEUlT_E0_NS1_11comp_targetILNS1_3genE9ELNS1_11target_archE1100ELNS1_3gpuE3ELNS1_3repE0EEENS1_30default_config_static_selectorELNS0_4arch9wavefront6targetE1EEEvSK_.kd
    .uniform_work_group_size: 1
    .uses_dynamic_stack: false
    .vgpr_count:     0
    .vgpr_spill_count: 0
    .wavefront_size: 64
  - .agpr_count:     0
    .args:
      - .offset:         0
        .size:           64
        .value_kind:     by_value
    .group_segment_fixed_size: 0
    .kernarg_segment_align: 8
    .kernarg_segment_size: 64
    .language:       OpenCL C
    .language_version:
      - 2
      - 0
    .max_flat_workgroup_size: 256
    .name:           _ZN7rocprim17ROCPRIM_400000_NS6detail17trampoline_kernelINS0_14default_configENS1_22reduce_config_selectorIxEEZNS1_11reduce_implILb1ES3_N6thrust23THRUST_200600_302600_NS6detail15normal_iteratorINS8_10device_ptrIxEEEEPxxNS8_4plusIxEEEE10hipError_tPvRmT1_T2_T3_mT4_P12ihipStream_tbEUlT_E0_NS1_11comp_targetILNS1_3genE8ELNS1_11target_archE1030ELNS1_3gpuE2ELNS1_3repE0EEENS1_30default_config_static_selectorELNS0_4arch9wavefront6targetE1EEEvSK_
    .private_segment_fixed_size: 0
    .sgpr_count:     6
    .sgpr_spill_count: 0
    .symbol:         _ZN7rocprim17ROCPRIM_400000_NS6detail17trampoline_kernelINS0_14default_configENS1_22reduce_config_selectorIxEEZNS1_11reduce_implILb1ES3_N6thrust23THRUST_200600_302600_NS6detail15normal_iteratorINS8_10device_ptrIxEEEEPxxNS8_4plusIxEEEE10hipError_tPvRmT1_T2_T3_mT4_P12ihipStream_tbEUlT_E0_NS1_11comp_targetILNS1_3genE8ELNS1_11target_archE1030ELNS1_3gpuE2ELNS1_3repE0EEENS1_30default_config_static_selectorELNS0_4arch9wavefront6targetE1EEEvSK_.kd
    .uniform_work_group_size: 1
    .uses_dynamic_stack: false
    .vgpr_count:     0
    .vgpr_spill_count: 0
    .wavefront_size: 64
  - .agpr_count:     0
    .args:
      - .offset:         0
        .size:           48
        .value_kind:     by_value
    .group_segment_fixed_size: 192
    .kernarg_segment_align: 8
    .kernarg_segment_size: 48
    .language:       OpenCL C
    .language_version:
      - 2
      - 0
    .max_flat_workgroup_size: 256
    .name:           _ZN7rocprim17ROCPRIM_400000_NS6detail17trampoline_kernelINS0_14default_configENS1_22reduce_config_selectorIxEEZNS1_11reduce_implILb1ES3_N6thrust23THRUST_200600_302600_NS6detail15normal_iteratorINS8_10device_ptrIxEEEEPxxNS8_4plusIxEEEE10hipError_tPvRmT1_T2_T3_mT4_P12ihipStream_tbEUlT_E1_NS1_11comp_targetILNS1_3genE0ELNS1_11target_archE4294967295ELNS1_3gpuE0ELNS1_3repE0EEENS1_30default_config_static_selectorELNS0_4arch9wavefront6targetE1EEEvSK_
    .private_segment_fixed_size: 0
    .sgpr_count:     53
    .sgpr_spill_count: 0
    .symbol:         _ZN7rocprim17ROCPRIM_400000_NS6detail17trampoline_kernelINS0_14default_configENS1_22reduce_config_selectorIxEEZNS1_11reduce_implILb1ES3_N6thrust23THRUST_200600_302600_NS6detail15normal_iteratorINS8_10device_ptrIxEEEEPxxNS8_4plusIxEEEE10hipError_tPvRmT1_T2_T3_mT4_P12ihipStream_tbEUlT_E1_NS1_11comp_targetILNS1_3genE0ELNS1_11target_archE4294967295ELNS1_3gpuE0ELNS1_3repE0EEENS1_30default_config_static_selectorELNS0_4arch9wavefront6targetE1EEEvSK_.kd
    .uniform_work_group_size: 1
    .uses_dynamic_stack: false
    .vgpr_count:     48
    .vgpr_spill_count: 0
    .wavefront_size: 64
  - .agpr_count:     0
    .args:
      - .offset:         0
        .size:           48
        .value_kind:     by_value
    .group_segment_fixed_size: 0
    .kernarg_segment_align: 8
    .kernarg_segment_size: 48
    .language:       OpenCL C
    .language_version:
      - 2
      - 0
    .max_flat_workgroup_size: 256
    .name:           _ZN7rocprim17ROCPRIM_400000_NS6detail17trampoline_kernelINS0_14default_configENS1_22reduce_config_selectorIxEEZNS1_11reduce_implILb1ES3_N6thrust23THRUST_200600_302600_NS6detail15normal_iteratorINS8_10device_ptrIxEEEEPxxNS8_4plusIxEEEE10hipError_tPvRmT1_T2_T3_mT4_P12ihipStream_tbEUlT_E1_NS1_11comp_targetILNS1_3genE5ELNS1_11target_archE942ELNS1_3gpuE9ELNS1_3repE0EEENS1_30default_config_static_selectorELNS0_4arch9wavefront6targetE1EEEvSK_
    .private_segment_fixed_size: 0
    .sgpr_count:     6
    .sgpr_spill_count: 0
    .symbol:         _ZN7rocprim17ROCPRIM_400000_NS6detail17trampoline_kernelINS0_14default_configENS1_22reduce_config_selectorIxEEZNS1_11reduce_implILb1ES3_N6thrust23THRUST_200600_302600_NS6detail15normal_iteratorINS8_10device_ptrIxEEEEPxxNS8_4plusIxEEEE10hipError_tPvRmT1_T2_T3_mT4_P12ihipStream_tbEUlT_E1_NS1_11comp_targetILNS1_3genE5ELNS1_11target_archE942ELNS1_3gpuE9ELNS1_3repE0EEENS1_30default_config_static_selectorELNS0_4arch9wavefront6targetE1EEEvSK_.kd
    .uniform_work_group_size: 1
    .uses_dynamic_stack: false
    .vgpr_count:     0
    .vgpr_spill_count: 0
    .wavefront_size: 64
  - .agpr_count:     0
    .args:
      - .offset:         0
        .size:           48
        .value_kind:     by_value
    .group_segment_fixed_size: 0
    .kernarg_segment_align: 8
    .kernarg_segment_size: 48
    .language:       OpenCL C
    .language_version:
      - 2
      - 0
    .max_flat_workgroup_size: 256
    .name:           _ZN7rocprim17ROCPRIM_400000_NS6detail17trampoline_kernelINS0_14default_configENS1_22reduce_config_selectorIxEEZNS1_11reduce_implILb1ES3_N6thrust23THRUST_200600_302600_NS6detail15normal_iteratorINS8_10device_ptrIxEEEEPxxNS8_4plusIxEEEE10hipError_tPvRmT1_T2_T3_mT4_P12ihipStream_tbEUlT_E1_NS1_11comp_targetILNS1_3genE4ELNS1_11target_archE910ELNS1_3gpuE8ELNS1_3repE0EEENS1_30default_config_static_selectorELNS0_4arch9wavefront6targetE1EEEvSK_
    .private_segment_fixed_size: 0
    .sgpr_count:     6
    .sgpr_spill_count: 0
    .symbol:         _ZN7rocprim17ROCPRIM_400000_NS6detail17trampoline_kernelINS0_14default_configENS1_22reduce_config_selectorIxEEZNS1_11reduce_implILb1ES3_N6thrust23THRUST_200600_302600_NS6detail15normal_iteratorINS8_10device_ptrIxEEEEPxxNS8_4plusIxEEEE10hipError_tPvRmT1_T2_T3_mT4_P12ihipStream_tbEUlT_E1_NS1_11comp_targetILNS1_3genE4ELNS1_11target_archE910ELNS1_3gpuE8ELNS1_3repE0EEENS1_30default_config_static_selectorELNS0_4arch9wavefront6targetE1EEEvSK_.kd
    .uniform_work_group_size: 1
    .uses_dynamic_stack: false
    .vgpr_count:     0
    .vgpr_spill_count: 0
    .wavefront_size: 64
  - .agpr_count:     0
    .args:
      - .offset:         0
        .size:           48
        .value_kind:     by_value
    .group_segment_fixed_size: 0
    .kernarg_segment_align: 8
    .kernarg_segment_size: 48
    .language:       OpenCL C
    .language_version:
      - 2
      - 0
    .max_flat_workgroup_size: 256
    .name:           _ZN7rocprim17ROCPRIM_400000_NS6detail17trampoline_kernelINS0_14default_configENS1_22reduce_config_selectorIxEEZNS1_11reduce_implILb1ES3_N6thrust23THRUST_200600_302600_NS6detail15normal_iteratorINS8_10device_ptrIxEEEEPxxNS8_4plusIxEEEE10hipError_tPvRmT1_T2_T3_mT4_P12ihipStream_tbEUlT_E1_NS1_11comp_targetILNS1_3genE3ELNS1_11target_archE908ELNS1_3gpuE7ELNS1_3repE0EEENS1_30default_config_static_selectorELNS0_4arch9wavefront6targetE1EEEvSK_
    .private_segment_fixed_size: 0
    .sgpr_count:     6
    .sgpr_spill_count: 0
    .symbol:         _ZN7rocprim17ROCPRIM_400000_NS6detail17trampoline_kernelINS0_14default_configENS1_22reduce_config_selectorIxEEZNS1_11reduce_implILb1ES3_N6thrust23THRUST_200600_302600_NS6detail15normal_iteratorINS8_10device_ptrIxEEEEPxxNS8_4plusIxEEEE10hipError_tPvRmT1_T2_T3_mT4_P12ihipStream_tbEUlT_E1_NS1_11comp_targetILNS1_3genE3ELNS1_11target_archE908ELNS1_3gpuE7ELNS1_3repE0EEENS1_30default_config_static_selectorELNS0_4arch9wavefront6targetE1EEEvSK_.kd
    .uniform_work_group_size: 1
    .uses_dynamic_stack: false
    .vgpr_count:     0
    .vgpr_spill_count: 0
    .wavefront_size: 64
  - .agpr_count:     0
    .args:
      - .offset:         0
        .size:           48
        .value_kind:     by_value
    .group_segment_fixed_size: 0
    .kernarg_segment_align: 8
    .kernarg_segment_size: 48
    .language:       OpenCL C
    .language_version:
      - 2
      - 0
    .max_flat_workgroup_size: 256
    .name:           _ZN7rocprim17ROCPRIM_400000_NS6detail17trampoline_kernelINS0_14default_configENS1_22reduce_config_selectorIxEEZNS1_11reduce_implILb1ES3_N6thrust23THRUST_200600_302600_NS6detail15normal_iteratorINS8_10device_ptrIxEEEEPxxNS8_4plusIxEEEE10hipError_tPvRmT1_T2_T3_mT4_P12ihipStream_tbEUlT_E1_NS1_11comp_targetILNS1_3genE2ELNS1_11target_archE906ELNS1_3gpuE6ELNS1_3repE0EEENS1_30default_config_static_selectorELNS0_4arch9wavefront6targetE1EEEvSK_
    .private_segment_fixed_size: 0
    .sgpr_count:     6
    .sgpr_spill_count: 0
    .symbol:         _ZN7rocprim17ROCPRIM_400000_NS6detail17trampoline_kernelINS0_14default_configENS1_22reduce_config_selectorIxEEZNS1_11reduce_implILb1ES3_N6thrust23THRUST_200600_302600_NS6detail15normal_iteratorINS8_10device_ptrIxEEEEPxxNS8_4plusIxEEEE10hipError_tPvRmT1_T2_T3_mT4_P12ihipStream_tbEUlT_E1_NS1_11comp_targetILNS1_3genE2ELNS1_11target_archE906ELNS1_3gpuE6ELNS1_3repE0EEENS1_30default_config_static_selectorELNS0_4arch9wavefront6targetE1EEEvSK_.kd
    .uniform_work_group_size: 1
    .uses_dynamic_stack: false
    .vgpr_count:     0
    .vgpr_spill_count: 0
    .wavefront_size: 64
  - .agpr_count:     0
    .args:
      - .offset:         0
        .size:           48
        .value_kind:     by_value
    .group_segment_fixed_size: 0
    .kernarg_segment_align: 8
    .kernarg_segment_size: 48
    .language:       OpenCL C
    .language_version:
      - 2
      - 0
    .max_flat_workgroup_size: 256
    .name:           _ZN7rocprim17ROCPRIM_400000_NS6detail17trampoline_kernelINS0_14default_configENS1_22reduce_config_selectorIxEEZNS1_11reduce_implILb1ES3_N6thrust23THRUST_200600_302600_NS6detail15normal_iteratorINS8_10device_ptrIxEEEEPxxNS8_4plusIxEEEE10hipError_tPvRmT1_T2_T3_mT4_P12ihipStream_tbEUlT_E1_NS1_11comp_targetILNS1_3genE10ELNS1_11target_archE1201ELNS1_3gpuE5ELNS1_3repE0EEENS1_30default_config_static_selectorELNS0_4arch9wavefront6targetE1EEEvSK_
    .private_segment_fixed_size: 0
    .sgpr_count:     6
    .sgpr_spill_count: 0
    .symbol:         _ZN7rocprim17ROCPRIM_400000_NS6detail17trampoline_kernelINS0_14default_configENS1_22reduce_config_selectorIxEEZNS1_11reduce_implILb1ES3_N6thrust23THRUST_200600_302600_NS6detail15normal_iteratorINS8_10device_ptrIxEEEEPxxNS8_4plusIxEEEE10hipError_tPvRmT1_T2_T3_mT4_P12ihipStream_tbEUlT_E1_NS1_11comp_targetILNS1_3genE10ELNS1_11target_archE1201ELNS1_3gpuE5ELNS1_3repE0EEENS1_30default_config_static_selectorELNS0_4arch9wavefront6targetE1EEEvSK_.kd
    .uniform_work_group_size: 1
    .uses_dynamic_stack: false
    .vgpr_count:     0
    .vgpr_spill_count: 0
    .wavefront_size: 64
  - .agpr_count:     0
    .args:
      - .offset:         0
        .size:           48
        .value_kind:     by_value
    .group_segment_fixed_size: 0
    .kernarg_segment_align: 8
    .kernarg_segment_size: 48
    .language:       OpenCL C
    .language_version:
      - 2
      - 0
    .max_flat_workgroup_size: 256
    .name:           _ZN7rocprim17ROCPRIM_400000_NS6detail17trampoline_kernelINS0_14default_configENS1_22reduce_config_selectorIxEEZNS1_11reduce_implILb1ES3_N6thrust23THRUST_200600_302600_NS6detail15normal_iteratorINS8_10device_ptrIxEEEEPxxNS8_4plusIxEEEE10hipError_tPvRmT1_T2_T3_mT4_P12ihipStream_tbEUlT_E1_NS1_11comp_targetILNS1_3genE10ELNS1_11target_archE1200ELNS1_3gpuE4ELNS1_3repE0EEENS1_30default_config_static_selectorELNS0_4arch9wavefront6targetE1EEEvSK_
    .private_segment_fixed_size: 0
    .sgpr_count:     6
    .sgpr_spill_count: 0
    .symbol:         _ZN7rocprim17ROCPRIM_400000_NS6detail17trampoline_kernelINS0_14default_configENS1_22reduce_config_selectorIxEEZNS1_11reduce_implILb1ES3_N6thrust23THRUST_200600_302600_NS6detail15normal_iteratorINS8_10device_ptrIxEEEEPxxNS8_4plusIxEEEE10hipError_tPvRmT1_T2_T3_mT4_P12ihipStream_tbEUlT_E1_NS1_11comp_targetILNS1_3genE10ELNS1_11target_archE1200ELNS1_3gpuE4ELNS1_3repE0EEENS1_30default_config_static_selectorELNS0_4arch9wavefront6targetE1EEEvSK_.kd
    .uniform_work_group_size: 1
    .uses_dynamic_stack: false
    .vgpr_count:     0
    .vgpr_spill_count: 0
    .wavefront_size: 64
  - .agpr_count:     0
    .args:
      - .offset:         0
        .size:           48
        .value_kind:     by_value
    .group_segment_fixed_size: 0
    .kernarg_segment_align: 8
    .kernarg_segment_size: 48
    .language:       OpenCL C
    .language_version:
      - 2
      - 0
    .max_flat_workgroup_size: 256
    .name:           _ZN7rocprim17ROCPRIM_400000_NS6detail17trampoline_kernelINS0_14default_configENS1_22reduce_config_selectorIxEEZNS1_11reduce_implILb1ES3_N6thrust23THRUST_200600_302600_NS6detail15normal_iteratorINS8_10device_ptrIxEEEEPxxNS8_4plusIxEEEE10hipError_tPvRmT1_T2_T3_mT4_P12ihipStream_tbEUlT_E1_NS1_11comp_targetILNS1_3genE9ELNS1_11target_archE1100ELNS1_3gpuE3ELNS1_3repE0EEENS1_30default_config_static_selectorELNS0_4arch9wavefront6targetE1EEEvSK_
    .private_segment_fixed_size: 0
    .sgpr_count:     6
    .sgpr_spill_count: 0
    .symbol:         _ZN7rocprim17ROCPRIM_400000_NS6detail17trampoline_kernelINS0_14default_configENS1_22reduce_config_selectorIxEEZNS1_11reduce_implILb1ES3_N6thrust23THRUST_200600_302600_NS6detail15normal_iteratorINS8_10device_ptrIxEEEEPxxNS8_4plusIxEEEE10hipError_tPvRmT1_T2_T3_mT4_P12ihipStream_tbEUlT_E1_NS1_11comp_targetILNS1_3genE9ELNS1_11target_archE1100ELNS1_3gpuE3ELNS1_3repE0EEENS1_30default_config_static_selectorELNS0_4arch9wavefront6targetE1EEEvSK_.kd
    .uniform_work_group_size: 1
    .uses_dynamic_stack: false
    .vgpr_count:     0
    .vgpr_spill_count: 0
    .wavefront_size: 64
  - .agpr_count:     0
    .args:
      - .offset:         0
        .size:           48
        .value_kind:     by_value
    .group_segment_fixed_size: 0
    .kernarg_segment_align: 8
    .kernarg_segment_size: 48
    .language:       OpenCL C
    .language_version:
      - 2
      - 0
    .max_flat_workgroup_size: 256
    .name:           _ZN7rocprim17ROCPRIM_400000_NS6detail17trampoline_kernelINS0_14default_configENS1_22reduce_config_selectorIxEEZNS1_11reduce_implILb1ES3_N6thrust23THRUST_200600_302600_NS6detail15normal_iteratorINS8_10device_ptrIxEEEEPxxNS8_4plusIxEEEE10hipError_tPvRmT1_T2_T3_mT4_P12ihipStream_tbEUlT_E1_NS1_11comp_targetILNS1_3genE8ELNS1_11target_archE1030ELNS1_3gpuE2ELNS1_3repE0EEENS1_30default_config_static_selectorELNS0_4arch9wavefront6targetE1EEEvSK_
    .private_segment_fixed_size: 0
    .sgpr_count:     6
    .sgpr_spill_count: 0
    .symbol:         _ZN7rocprim17ROCPRIM_400000_NS6detail17trampoline_kernelINS0_14default_configENS1_22reduce_config_selectorIxEEZNS1_11reduce_implILb1ES3_N6thrust23THRUST_200600_302600_NS6detail15normal_iteratorINS8_10device_ptrIxEEEEPxxNS8_4plusIxEEEE10hipError_tPvRmT1_T2_T3_mT4_P12ihipStream_tbEUlT_E1_NS1_11comp_targetILNS1_3genE8ELNS1_11target_archE1030ELNS1_3gpuE2ELNS1_3repE0EEENS1_30default_config_static_selectorELNS0_4arch9wavefront6targetE1EEEvSK_.kd
    .uniform_work_group_size: 1
    .uses_dynamic_stack: false
    .vgpr_count:     0
    .vgpr_spill_count: 0
    .wavefront_size: 64
  - .agpr_count:     0
    .args:
      - .offset:         0
        .size:           16
        .value_kind:     by_value
      - .offset:         16
        .size:           8
        .value_kind:     by_value
      - .offset:         24
        .size:           8
        .value_kind:     by_value
    .group_segment_fixed_size: 0
    .kernarg_segment_align: 8
    .kernarg_segment_size: 32
    .language:       OpenCL C
    .language_version:
      - 2
      - 0
    .max_flat_workgroup_size: 256
    .name:           _ZN6thrust23THRUST_200600_302600_NS11hip_rocprim14__parallel_for6kernelILj256ENS1_20__uninitialized_fill7functorINS0_10device_ptrIiEEiEEmLj1EEEvT0_T1_SA_
    .private_segment_fixed_size: 0
    .sgpr_count:     22
    .sgpr_spill_count: 0
    .symbol:         _ZN6thrust23THRUST_200600_302600_NS11hip_rocprim14__parallel_for6kernelILj256ENS1_20__uninitialized_fill7functorINS0_10device_ptrIiEEiEEmLj1EEEvT0_T1_SA_.kd
    .uniform_work_group_size: 1
    .uses_dynamic_stack: false
    .vgpr_count:     4
    .vgpr_spill_count: 0
    .wavefront_size: 64
  - .agpr_count:     0
    .args:
      - .offset:         0
        .size:           56
        .value_kind:     by_value
    .group_segment_fixed_size: 32
    .kernarg_segment_align: 8
    .kernarg_segment_size: 56
    .language:       OpenCL C
    .language_version:
      - 2
      - 0
    .max_flat_workgroup_size: 256
    .name:           _ZN7rocprim17ROCPRIM_400000_NS6detail17trampoline_kernelINS0_14default_configENS1_22reduce_config_selectorIiEEZNS1_11reduce_implILb1ES3_PiS7_iN6thrust23THRUST_200600_302600_NS4plusIiEEEE10hipError_tPvRmT1_T2_T3_mT4_P12ihipStream_tbEUlT_E0_NS1_11comp_targetILNS1_3genE0ELNS1_11target_archE4294967295ELNS1_3gpuE0ELNS1_3repE0EEENS1_30default_config_static_selectorELNS0_4arch9wavefront6targetE1EEEvSF_
    .private_segment_fixed_size: 0
    .sgpr_count:     26
    .sgpr_spill_count: 0
    .symbol:         _ZN7rocprim17ROCPRIM_400000_NS6detail17trampoline_kernelINS0_14default_configENS1_22reduce_config_selectorIiEEZNS1_11reduce_implILb1ES3_PiS7_iN6thrust23THRUST_200600_302600_NS4plusIiEEEE10hipError_tPvRmT1_T2_T3_mT4_P12ihipStream_tbEUlT_E0_NS1_11comp_targetILNS1_3genE0ELNS1_11target_archE4294967295ELNS1_3gpuE0ELNS1_3repE0EEENS1_30default_config_static_selectorELNS0_4arch9wavefront6targetE1EEEvSF_.kd
    .uniform_work_group_size: 1
    .uses_dynamic_stack: false
    .vgpr_count:     12
    .vgpr_spill_count: 0
    .wavefront_size: 64
  - .agpr_count:     0
    .args:
      - .offset:         0
        .size:           56
        .value_kind:     by_value
    .group_segment_fixed_size: 0
    .kernarg_segment_align: 8
    .kernarg_segment_size: 56
    .language:       OpenCL C
    .language_version:
      - 2
      - 0
    .max_flat_workgroup_size: 256
    .name:           _ZN7rocprim17ROCPRIM_400000_NS6detail17trampoline_kernelINS0_14default_configENS1_22reduce_config_selectorIiEEZNS1_11reduce_implILb1ES3_PiS7_iN6thrust23THRUST_200600_302600_NS4plusIiEEEE10hipError_tPvRmT1_T2_T3_mT4_P12ihipStream_tbEUlT_E0_NS1_11comp_targetILNS1_3genE5ELNS1_11target_archE942ELNS1_3gpuE9ELNS1_3repE0EEENS1_30default_config_static_selectorELNS0_4arch9wavefront6targetE1EEEvSF_
    .private_segment_fixed_size: 0
    .sgpr_count:     6
    .sgpr_spill_count: 0
    .symbol:         _ZN7rocprim17ROCPRIM_400000_NS6detail17trampoline_kernelINS0_14default_configENS1_22reduce_config_selectorIiEEZNS1_11reduce_implILb1ES3_PiS7_iN6thrust23THRUST_200600_302600_NS4plusIiEEEE10hipError_tPvRmT1_T2_T3_mT4_P12ihipStream_tbEUlT_E0_NS1_11comp_targetILNS1_3genE5ELNS1_11target_archE942ELNS1_3gpuE9ELNS1_3repE0EEENS1_30default_config_static_selectorELNS0_4arch9wavefront6targetE1EEEvSF_.kd
    .uniform_work_group_size: 1
    .uses_dynamic_stack: false
    .vgpr_count:     0
    .vgpr_spill_count: 0
    .wavefront_size: 64
  - .agpr_count:     0
    .args:
      - .offset:         0
        .size:           56
        .value_kind:     by_value
    .group_segment_fixed_size: 0
    .kernarg_segment_align: 8
    .kernarg_segment_size: 56
    .language:       OpenCL C
    .language_version:
      - 2
      - 0
    .max_flat_workgroup_size: 128
    .name:           _ZN7rocprim17ROCPRIM_400000_NS6detail17trampoline_kernelINS0_14default_configENS1_22reduce_config_selectorIiEEZNS1_11reduce_implILb1ES3_PiS7_iN6thrust23THRUST_200600_302600_NS4plusIiEEEE10hipError_tPvRmT1_T2_T3_mT4_P12ihipStream_tbEUlT_E0_NS1_11comp_targetILNS1_3genE4ELNS1_11target_archE910ELNS1_3gpuE8ELNS1_3repE0EEENS1_30default_config_static_selectorELNS0_4arch9wavefront6targetE1EEEvSF_
    .private_segment_fixed_size: 0
    .sgpr_count:     6
    .sgpr_spill_count: 0
    .symbol:         _ZN7rocprim17ROCPRIM_400000_NS6detail17trampoline_kernelINS0_14default_configENS1_22reduce_config_selectorIiEEZNS1_11reduce_implILb1ES3_PiS7_iN6thrust23THRUST_200600_302600_NS4plusIiEEEE10hipError_tPvRmT1_T2_T3_mT4_P12ihipStream_tbEUlT_E0_NS1_11comp_targetILNS1_3genE4ELNS1_11target_archE910ELNS1_3gpuE8ELNS1_3repE0EEENS1_30default_config_static_selectorELNS0_4arch9wavefront6targetE1EEEvSF_.kd
    .uniform_work_group_size: 1
    .uses_dynamic_stack: false
    .vgpr_count:     0
    .vgpr_spill_count: 0
    .wavefront_size: 64
  - .agpr_count:     0
    .args:
      - .offset:         0
        .size:           56
        .value_kind:     by_value
    .group_segment_fixed_size: 0
    .kernarg_segment_align: 8
    .kernarg_segment_size: 56
    .language:       OpenCL C
    .language_version:
      - 2
      - 0
    .max_flat_workgroup_size: 256
    .name:           _ZN7rocprim17ROCPRIM_400000_NS6detail17trampoline_kernelINS0_14default_configENS1_22reduce_config_selectorIiEEZNS1_11reduce_implILb1ES3_PiS7_iN6thrust23THRUST_200600_302600_NS4plusIiEEEE10hipError_tPvRmT1_T2_T3_mT4_P12ihipStream_tbEUlT_E0_NS1_11comp_targetILNS1_3genE3ELNS1_11target_archE908ELNS1_3gpuE7ELNS1_3repE0EEENS1_30default_config_static_selectorELNS0_4arch9wavefront6targetE1EEEvSF_
    .private_segment_fixed_size: 0
    .sgpr_count:     6
    .sgpr_spill_count: 0
    .symbol:         _ZN7rocprim17ROCPRIM_400000_NS6detail17trampoline_kernelINS0_14default_configENS1_22reduce_config_selectorIiEEZNS1_11reduce_implILb1ES3_PiS7_iN6thrust23THRUST_200600_302600_NS4plusIiEEEE10hipError_tPvRmT1_T2_T3_mT4_P12ihipStream_tbEUlT_E0_NS1_11comp_targetILNS1_3genE3ELNS1_11target_archE908ELNS1_3gpuE7ELNS1_3repE0EEENS1_30default_config_static_selectorELNS0_4arch9wavefront6targetE1EEEvSF_.kd
    .uniform_work_group_size: 1
    .uses_dynamic_stack: false
    .vgpr_count:     0
    .vgpr_spill_count: 0
    .wavefront_size: 64
  - .agpr_count:     0
    .args:
      - .offset:         0
        .size:           56
        .value_kind:     by_value
    .group_segment_fixed_size: 0
    .kernarg_segment_align: 8
    .kernarg_segment_size: 56
    .language:       OpenCL C
    .language_version:
      - 2
      - 0
    .max_flat_workgroup_size: 256
    .name:           _ZN7rocprim17ROCPRIM_400000_NS6detail17trampoline_kernelINS0_14default_configENS1_22reduce_config_selectorIiEEZNS1_11reduce_implILb1ES3_PiS7_iN6thrust23THRUST_200600_302600_NS4plusIiEEEE10hipError_tPvRmT1_T2_T3_mT4_P12ihipStream_tbEUlT_E0_NS1_11comp_targetILNS1_3genE2ELNS1_11target_archE906ELNS1_3gpuE6ELNS1_3repE0EEENS1_30default_config_static_selectorELNS0_4arch9wavefront6targetE1EEEvSF_
    .private_segment_fixed_size: 0
    .sgpr_count:     6
    .sgpr_spill_count: 0
    .symbol:         _ZN7rocprim17ROCPRIM_400000_NS6detail17trampoline_kernelINS0_14default_configENS1_22reduce_config_selectorIiEEZNS1_11reduce_implILb1ES3_PiS7_iN6thrust23THRUST_200600_302600_NS4plusIiEEEE10hipError_tPvRmT1_T2_T3_mT4_P12ihipStream_tbEUlT_E0_NS1_11comp_targetILNS1_3genE2ELNS1_11target_archE906ELNS1_3gpuE6ELNS1_3repE0EEENS1_30default_config_static_selectorELNS0_4arch9wavefront6targetE1EEEvSF_.kd
    .uniform_work_group_size: 1
    .uses_dynamic_stack: false
    .vgpr_count:     0
    .vgpr_spill_count: 0
    .wavefront_size: 64
  - .agpr_count:     0
    .args:
      - .offset:         0
        .size:           56
        .value_kind:     by_value
    .group_segment_fixed_size: 0
    .kernarg_segment_align: 8
    .kernarg_segment_size: 56
    .language:       OpenCL C
    .language_version:
      - 2
      - 0
    .max_flat_workgroup_size: 256
    .name:           _ZN7rocprim17ROCPRIM_400000_NS6detail17trampoline_kernelINS0_14default_configENS1_22reduce_config_selectorIiEEZNS1_11reduce_implILb1ES3_PiS7_iN6thrust23THRUST_200600_302600_NS4plusIiEEEE10hipError_tPvRmT1_T2_T3_mT4_P12ihipStream_tbEUlT_E0_NS1_11comp_targetILNS1_3genE10ELNS1_11target_archE1201ELNS1_3gpuE5ELNS1_3repE0EEENS1_30default_config_static_selectorELNS0_4arch9wavefront6targetE1EEEvSF_
    .private_segment_fixed_size: 0
    .sgpr_count:     6
    .sgpr_spill_count: 0
    .symbol:         _ZN7rocprim17ROCPRIM_400000_NS6detail17trampoline_kernelINS0_14default_configENS1_22reduce_config_selectorIiEEZNS1_11reduce_implILb1ES3_PiS7_iN6thrust23THRUST_200600_302600_NS4plusIiEEEE10hipError_tPvRmT1_T2_T3_mT4_P12ihipStream_tbEUlT_E0_NS1_11comp_targetILNS1_3genE10ELNS1_11target_archE1201ELNS1_3gpuE5ELNS1_3repE0EEENS1_30default_config_static_selectorELNS0_4arch9wavefront6targetE1EEEvSF_.kd
    .uniform_work_group_size: 1
    .uses_dynamic_stack: false
    .vgpr_count:     0
    .vgpr_spill_count: 0
    .wavefront_size: 64
  - .agpr_count:     0
    .args:
      - .offset:         0
        .size:           56
        .value_kind:     by_value
    .group_segment_fixed_size: 0
    .kernarg_segment_align: 8
    .kernarg_segment_size: 56
    .language:       OpenCL C
    .language_version:
      - 2
      - 0
    .max_flat_workgroup_size: 256
    .name:           _ZN7rocprim17ROCPRIM_400000_NS6detail17trampoline_kernelINS0_14default_configENS1_22reduce_config_selectorIiEEZNS1_11reduce_implILb1ES3_PiS7_iN6thrust23THRUST_200600_302600_NS4plusIiEEEE10hipError_tPvRmT1_T2_T3_mT4_P12ihipStream_tbEUlT_E0_NS1_11comp_targetILNS1_3genE10ELNS1_11target_archE1200ELNS1_3gpuE4ELNS1_3repE0EEENS1_30default_config_static_selectorELNS0_4arch9wavefront6targetE1EEEvSF_
    .private_segment_fixed_size: 0
    .sgpr_count:     6
    .sgpr_spill_count: 0
    .symbol:         _ZN7rocprim17ROCPRIM_400000_NS6detail17trampoline_kernelINS0_14default_configENS1_22reduce_config_selectorIiEEZNS1_11reduce_implILb1ES3_PiS7_iN6thrust23THRUST_200600_302600_NS4plusIiEEEE10hipError_tPvRmT1_T2_T3_mT4_P12ihipStream_tbEUlT_E0_NS1_11comp_targetILNS1_3genE10ELNS1_11target_archE1200ELNS1_3gpuE4ELNS1_3repE0EEENS1_30default_config_static_selectorELNS0_4arch9wavefront6targetE1EEEvSF_.kd
    .uniform_work_group_size: 1
    .uses_dynamic_stack: false
    .vgpr_count:     0
    .vgpr_spill_count: 0
    .wavefront_size: 64
  - .agpr_count:     0
    .args:
      - .offset:         0
        .size:           56
        .value_kind:     by_value
    .group_segment_fixed_size: 0
    .kernarg_segment_align: 8
    .kernarg_segment_size: 56
    .language:       OpenCL C
    .language_version:
      - 2
      - 0
    .max_flat_workgroup_size: 256
    .name:           _ZN7rocprim17ROCPRIM_400000_NS6detail17trampoline_kernelINS0_14default_configENS1_22reduce_config_selectorIiEEZNS1_11reduce_implILb1ES3_PiS7_iN6thrust23THRUST_200600_302600_NS4plusIiEEEE10hipError_tPvRmT1_T2_T3_mT4_P12ihipStream_tbEUlT_E0_NS1_11comp_targetILNS1_3genE9ELNS1_11target_archE1100ELNS1_3gpuE3ELNS1_3repE0EEENS1_30default_config_static_selectorELNS0_4arch9wavefront6targetE1EEEvSF_
    .private_segment_fixed_size: 0
    .sgpr_count:     6
    .sgpr_spill_count: 0
    .symbol:         _ZN7rocprim17ROCPRIM_400000_NS6detail17trampoline_kernelINS0_14default_configENS1_22reduce_config_selectorIiEEZNS1_11reduce_implILb1ES3_PiS7_iN6thrust23THRUST_200600_302600_NS4plusIiEEEE10hipError_tPvRmT1_T2_T3_mT4_P12ihipStream_tbEUlT_E0_NS1_11comp_targetILNS1_3genE9ELNS1_11target_archE1100ELNS1_3gpuE3ELNS1_3repE0EEENS1_30default_config_static_selectorELNS0_4arch9wavefront6targetE1EEEvSF_.kd
    .uniform_work_group_size: 1
    .uses_dynamic_stack: false
    .vgpr_count:     0
    .vgpr_spill_count: 0
    .wavefront_size: 64
  - .agpr_count:     0
    .args:
      - .offset:         0
        .size:           56
        .value_kind:     by_value
    .group_segment_fixed_size: 0
    .kernarg_segment_align: 8
    .kernarg_segment_size: 56
    .language:       OpenCL C
    .language_version:
      - 2
      - 0
    .max_flat_workgroup_size: 256
    .name:           _ZN7rocprim17ROCPRIM_400000_NS6detail17trampoline_kernelINS0_14default_configENS1_22reduce_config_selectorIiEEZNS1_11reduce_implILb1ES3_PiS7_iN6thrust23THRUST_200600_302600_NS4plusIiEEEE10hipError_tPvRmT1_T2_T3_mT4_P12ihipStream_tbEUlT_E0_NS1_11comp_targetILNS1_3genE8ELNS1_11target_archE1030ELNS1_3gpuE2ELNS1_3repE0EEENS1_30default_config_static_selectorELNS0_4arch9wavefront6targetE1EEEvSF_
    .private_segment_fixed_size: 0
    .sgpr_count:     6
    .sgpr_spill_count: 0
    .symbol:         _ZN7rocprim17ROCPRIM_400000_NS6detail17trampoline_kernelINS0_14default_configENS1_22reduce_config_selectorIiEEZNS1_11reduce_implILb1ES3_PiS7_iN6thrust23THRUST_200600_302600_NS4plusIiEEEE10hipError_tPvRmT1_T2_T3_mT4_P12ihipStream_tbEUlT_E0_NS1_11comp_targetILNS1_3genE8ELNS1_11target_archE1030ELNS1_3gpuE2ELNS1_3repE0EEENS1_30default_config_static_selectorELNS0_4arch9wavefront6targetE1EEEvSF_.kd
    .uniform_work_group_size: 1
    .uses_dynamic_stack: false
    .vgpr_count:     0
    .vgpr_spill_count: 0
    .wavefront_size: 64
  - .agpr_count:     0
    .args:
      - .offset:         0
        .size:           40
        .value_kind:     by_value
    .group_segment_fixed_size: 112
    .kernarg_segment_align: 8
    .kernarg_segment_size: 40
    .language:       OpenCL C
    .language_version:
      - 2
      - 0
    .max_flat_workgroup_size: 256
    .name:           _ZN7rocprim17ROCPRIM_400000_NS6detail17trampoline_kernelINS0_14default_configENS1_22reduce_config_selectorIiEEZNS1_11reduce_implILb1ES3_PiS7_iN6thrust23THRUST_200600_302600_NS4plusIiEEEE10hipError_tPvRmT1_T2_T3_mT4_P12ihipStream_tbEUlT_E1_NS1_11comp_targetILNS1_3genE0ELNS1_11target_archE4294967295ELNS1_3gpuE0ELNS1_3repE0EEENS1_30default_config_static_selectorELNS0_4arch9wavefront6targetE1EEEvSF_
    .private_segment_fixed_size: 0
    .sgpr_count:     83
    .sgpr_spill_count: 0
    .symbol:         _ZN7rocprim17ROCPRIM_400000_NS6detail17trampoline_kernelINS0_14default_configENS1_22reduce_config_selectorIiEEZNS1_11reduce_implILb1ES3_PiS7_iN6thrust23THRUST_200600_302600_NS4plusIiEEEE10hipError_tPvRmT1_T2_T3_mT4_P12ihipStream_tbEUlT_E1_NS1_11comp_targetILNS1_3genE0ELNS1_11target_archE4294967295ELNS1_3gpuE0ELNS1_3repE0EEENS1_30default_config_static_selectorELNS0_4arch9wavefront6targetE1EEEvSF_.kd
    .uniform_work_group_size: 1
    .uses_dynamic_stack: false
    .vgpr_count:     36
    .vgpr_spill_count: 0
    .wavefront_size: 64
  - .agpr_count:     0
    .args:
      - .offset:         0
        .size:           40
        .value_kind:     by_value
    .group_segment_fixed_size: 0
    .kernarg_segment_align: 8
    .kernarg_segment_size: 40
    .language:       OpenCL C
    .language_version:
      - 2
      - 0
    .max_flat_workgroup_size: 256
    .name:           _ZN7rocprim17ROCPRIM_400000_NS6detail17trampoline_kernelINS0_14default_configENS1_22reduce_config_selectorIiEEZNS1_11reduce_implILb1ES3_PiS7_iN6thrust23THRUST_200600_302600_NS4plusIiEEEE10hipError_tPvRmT1_T2_T3_mT4_P12ihipStream_tbEUlT_E1_NS1_11comp_targetILNS1_3genE5ELNS1_11target_archE942ELNS1_3gpuE9ELNS1_3repE0EEENS1_30default_config_static_selectorELNS0_4arch9wavefront6targetE1EEEvSF_
    .private_segment_fixed_size: 0
    .sgpr_count:     6
    .sgpr_spill_count: 0
    .symbol:         _ZN7rocprim17ROCPRIM_400000_NS6detail17trampoline_kernelINS0_14default_configENS1_22reduce_config_selectorIiEEZNS1_11reduce_implILb1ES3_PiS7_iN6thrust23THRUST_200600_302600_NS4plusIiEEEE10hipError_tPvRmT1_T2_T3_mT4_P12ihipStream_tbEUlT_E1_NS1_11comp_targetILNS1_3genE5ELNS1_11target_archE942ELNS1_3gpuE9ELNS1_3repE0EEENS1_30default_config_static_selectorELNS0_4arch9wavefront6targetE1EEEvSF_.kd
    .uniform_work_group_size: 1
    .uses_dynamic_stack: false
    .vgpr_count:     0
    .vgpr_spill_count: 0
    .wavefront_size: 64
  - .agpr_count:     0
    .args:
      - .offset:         0
        .size:           40
        .value_kind:     by_value
    .group_segment_fixed_size: 0
    .kernarg_segment_align: 8
    .kernarg_segment_size: 40
    .language:       OpenCL C
    .language_version:
      - 2
      - 0
    .max_flat_workgroup_size: 128
    .name:           _ZN7rocprim17ROCPRIM_400000_NS6detail17trampoline_kernelINS0_14default_configENS1_22reduce_config_selectorIiEEZNS1_11reduce_implILb1ES3_PiS7_iN6thrust23THRUST_200600_302600_NS4plusIiEEEE10hipError_tPvRmT1_T2_T3_mT4_P12ihipStream_tbEUlT_E1_NS1_11comp_targetILNS1_3genE4ELNS1_11target_archE910ELNS1_3gpuE8ELNS1_3repE0EEENS1_30default_config_static_selectorELNS0_4arch9wavefront6targetE1EEEvSF_
    .private_segment_fixed_size: 0
    .sgpr_count:     6
    .sgpr_spill_count: 0
    .symbol:         _ZN7rocprim17ROCPRIM_400000_NS6detail17trampoline_kernelINS0_14default_configENS1_22reduce_config_selectorIiEEZNS1_11reduce_implILb1ES3_PiS7_iN6thrust23THRUST_200600_302600_NS4plusIiEEEE10hipError_tPvRmT1_T2_T3_mT4_P12ihipStream_tbEUlT_E1_NS1_11comp_targetILNS1_3genE4ELNS1_11target_archE910ELNS1_3gpuE8ELNS1_3repE0EEENS1_30default_config_static_selectorELNS0_4arch9wavefront6targetE1EEEvSF_.kd
    .uniform_work_group_size: 1
    .uses_dynamic_stack: false
    .vgpr_count:     0
    .vgpr_spill_count: 0
    .wavefront_size: 64
  - .agpr_count:     0
    .args:
      - .offset:         0
        .size:           40
        .value_kind:     by_value
    .group_segment_fixed_size: 0
    .kernarg_segment_align: 8
    .kernarg_segment_size: 40
    .language:       OpenCL C
    .language_version:
      - 2
      - 0
    .max_flat_workgroup_size: 256
    .name:           _ZN7rocprim17ROCPRIM_400000_NS6detail17trampoline_kernelINS0_14default_configENS1_22reduce_config_selectorIiEEZNS1_11reduce_implILb1ES3_PiS7_iN6thrust23THRUST_200600_302600_NS4plusIiEEEE10hipError_tPvRmT1_T2_T3_mT4_P12ihipStream_tbEUlT_E1_NS1_11comp_targetILNS1_3genE3ELNS1_11target_archE908ELNS1_3gpuE7ELNS1_3repE0EEENS1_30default_config_static_selectorELNS0_4arch9wavefront6targetE1EEEvSF_
    .private_segment_fixed_size: 0
    .sgpr_count:     6
    .sgpr_spill_count: 0
    .symbol:         _ZN7rocprim17ROCPRIM_400000_NS6detail17trampoline_kernelINS0_14default_configENS1_22reduce_config_selectorIiEEZNS1_11reduce_implILb1ES3_PiS7_iN6thrust23THRUST_200600_302600_NS4plusIiEEEE10hipError_tPvRmT1_T2_T3_mT4_P12ihipStream_tbEUlT_E1_NS1_11comp_targetILNS1_3genE3ELNS1_11target_archE908ELNS1_3gpuE7ELNS1_3repE0EEENS1_30default_config_static_selectorELNS0_4arch9wavefront6targetE1EEEvSF_.kd
    .uniform_work_group_size: 1
    .uses_dynamic_stack: false
    .vgpr_count:     0
    .vgpr_spill_count: 0
    .wavefront_size: 64
  - .agpr_count:     0
    .args:
      - .offset:         0
        .size:           40
        .value_kind:     by_value
    .group_segment_fixed_size: 0
    .kernarg_segment_align: 8
    .kernarg_segment_size: 40
    .language:       OpenCL C
    .language_version:
      - 2
      - 0
    .max_flat_workgroup_size: 256
    .name:           _ZN7rocprim17ROCPRIM_400000_NS6detail17trampoline_kernelINS0_14default_configENS1_22reduce_config_selectorIiEEZNS1_11reduce_implILb1ES3_PiS7_iN6thrust23THRUST_200600_302600_NS4plusIiEEEE10hipError_tPvRmT1_T2_T3_mT4_P12ihipStream_tbEUlT_E1_NS1_11comp_targetILNS1_3genE2ELNS1_11target_archE906ELNS1_3gpuE6ELNS1_3repE0EEENS1_30default_config_static_selectorELNS0_4arch9wavefront6targetE1EEEvSF_
    .private_segment_fixed_size: 0
    .sgpr_count:     6
    .sgpr_spill_count: 0
    .symbol:         _ZN7rocprim17ROCPRIM_400000_NS6detail17trampoline_kernelINS0_14default_configENS1_22reduce_config_selectorIiEEZNS1_11reduce_implILb1ES3_PiS7_iN6thrust23THRUST_200600_302600_NS4plusIiEEEE10hipError_tPvRmT1_T2_T3_mT4_P12ihipStream_tbEUlT_E1_NS1_11comp_targetILNS1_3genE2ELNS1_11target_archE906ELNS1_3gpuE6ELNS1_3repE0EEENS1_30default_config_static_selectorELNS0_4arch9wavefront6targetE1EEEvSF_.kd
    .uniform_work_group_size: 1
    .uses_dynamic_stack: false
    .vgpr_count:     0
    .vgpr_spill_count: 0
    .wavefront_size: 64
  - .agpr_count:     0
    .args:
      - .offset:         0
        .size:           40
        .value_kind:     by_value
    .group_segment_fixed_size: 0
    .kernarg_segment_align: 8
    .kernarg_segment_size: 40
    .language:       OpenCL C
    .language_version:
      - 2
      - 0
    .max_flat_workgroup_size: 256
    .name:           _ZN7rocprim17ROCPRIM_400000_NS6detail17trampoline_kernelINS0_14default_configENS1_22reduce_config_selectorIiEEZNS1_11reduce_implILb1ES3_PiS7_iN6thrust23THRUST_200600_302600_NS4plusIiEEEE10hipError_tPvRmT1_T2_T3_mT4_P12ihipStream_tbEUlT_E1_NS1_11comp_targetILNS1_3genE10ELNS1_11target_archE1201ELNS1_3gpuE5ELNS1_3repE0EEENS1_30default_config_static_selectorELNS0_4arch9wavefront6targetE1EEEvSF_
    .private_segment_fixed_size: 0
    .sgpr_count:     6
    .sgpr_spill_count: 0
    .symbol:         _ZN7rocprim17ROCPRIM_400000_NS6detail17trampoline_kernelINS0_14default_configENS1_22reduce_config_selectorIiEEZNS1_11reduce_implILb1ES3_PiS7_iN6thrust23THRUST_200600_302600_NS4plusIiEEEE10hipError_tPvRmT1_T2_T3_mT4_P12ihipStream_tbEUlT_E1_NS1_11comp_targetILNS1_3genE10ELNS1_11target_archE1201ELNS1_3gpuE5ELNS1_3repE0EEENS1_30default_config_static_selectorELNS0_4arch9wavefront6targetE1EEEvSF_.kd
    .uniform_work_group_size: 1
    .uses_dynamic_stack: false
    .vgpr_count:     0
    .vgpr_spill_count: 0
    .wavefront_size: 64
  - .agpr_count:     0
    .args:
      - .offset:         0
        .size:           40
        .value_kind:     by_value
    .group_segment_fixed_size: 0
    .kernarg_segment_align: 8
    .kernarg_segment_size: 40
    .language:       OpenCL C
    .language_version:
      - 2
      - 0
    .max_flat_workgroup_size: 256
    .name:           _ZN7rocprim17ROCPRIM_400000_NS6detail17trampoline_kernelINS0_14default_configENS1_22reduce_config_selectorIiEEZNS1_11reduce_implILb1ES3_PiS7_iN6thrust23THRUST_200600_302600_NS4plusIiEEEE10hipError_tPvRmT1_T2_T3_mT4_P12ihipStream_tbEUlT_E1_NS1_11comp_targetILNS1_3genE10ELNS1_11target_archE1200ELNS1_3gpuE4ELNS1_3repE0EEENS1_30default_config_static_selectorELNS0_4arch9wavefront6targetE1EEEvSF_
    .private_segment_fixed_size: 0
    .sgpr_count:     6
    .sgpr_spill_count: 0
    .symbol:         _ZN7rocprim17ROCPRIM_400000_NS6detail17trampoline_kernelINS0_14default_configENS1_22reduce_config_selectorIiEEZNS1_11reduce_implILb1ES3_PiS7_iN6thrust23THRUST_200600_302600_NS4plusIiEEEE10hipError_tPvRmT1_T2_T3_mT4_P12ihipStream_tbEUlT_E1_NS1_11comp_targetILNS1_3genE10ELNS1_11target_archE1200ELNS1_3gpuE4ELNS1_3repE0EEENS1_30default_config_static_selectorELNS0_4arch9wavefront6targetE1EEEvSF_.kd
    .uniform_work_group_size: 1
    .uses_dynamic_stack: false
    .vgpr_count:     0
    .vgpr_spill_count: 0
    .wavefront_size: 64
  - .agpr_count:     0
    .args:
      - .offset:         0
        .size:           40
        .value_kind:     by_value
    .group_segment_fixed_size: 0
    .kernarg_segment_align: 8
    .kernarg_segment_size: 40
    .language:       OpenCL C
    .language_version:
      - 2
      - 0
    .max_flat_workgroup_size: 256
    .name:           _ZN7rocprim17ROCPRIM_400000_NS6detail17trampoline_kernelINS0_14default_configENS1_22reduce_config_selectorIiEEZNS1_11reduce_implILb1ES3_PiS7_iN6thrust23THRUST_200600_302600_NS4plusIiEEEE10hipError_tPvRmT1_T2_T3_mT4_P12ihipStream_tbEUlT_E1_NS1_11comp_targetILNS1_3genE9ELNS1_11target_archE1100ELNS1_3gpuE3ELNS1_3repE0EEENS1_30default_config_static_selectorELNS0_4arch9wavefront6targetE1EEEvSF_
    .private_segment_fixed_size: 0
    .sgpr_count:     6
    .sgpr_spill_count: 0
    .symbol:         _ZN7rocprim17ROCPRIM_400000_NS6detail17trampoline_kernelINS0_14default_configENS1_22reduce_config_selectorIiEEZNS1_11reduce_implILb1ES3_PiS7_iN6thrust23THRUST_200600_302600_NS4plusIiEEEE10hipError_tPvRmT1_T2_T3_mT4_P12ihipStream_tbEUlT_E1_NS1_11comp_targetILNS1_3genE9ELNS1_11target_archE1100ELNS1_3gpuE3ELNS1_3repE0EEENS1_30default_config_static_selectorELNS0_4arch9wavefront6targetE1EEEvSF_.kd
    .uniform_work_group_size: 1
    .uses_dynamic_stack: false
    .vgpr_count:     0
    .vgpr_spill_count: 0
    .wavefront_size: 64
  - .agpr_count:     0
    .args:
      - .offset:         0
        .size:           40
        .value_kind:     by_value
    .group_segment_fixed_size: 0
    .kernarg_segment_align: 8
    .kernarg_segment_size: 40
    .language:       OpenCL C
    .language_version:
      - 2
      - 0
    .max_flat_workgroup_size: 256
    .name:           _ZN7rocprim17ROCPRIM_400000_NS6detail17trampoline_kernelINS0_14default_configENS1_22reduce_config_selectorIiEEZNS1_11reduce_implILb1ES3_PiS7_iN6thrust23THRUST_200600_302600_NS4plusIiEEEE10hipError_tPvRmT1_T2_T3_mT4_P12ihipStream_tbEUlT_E1_NS1_11comp_targetILNS1_3genE8ELNS1_11target_archE1030ELNS1_3gpuE2ELNS1_3repE0EEENS1_30default_config_static_selectorELNS0_4arch9wavefront6targetE1EEEvSF_
    .private_segment_fixed_size: 0
    .sgpr_count:     6
    .sgpr_spill_count: 0
    .symbol:         _ZN7rocprim17ROCPRIM_400000_NS6detail17trampoline_kernelINS0_14default_configENS1_22reduce_config_selectorIiEEZNS1_11reduce_implILb1ES3_PiS7_iN6thrust23THRUST_200600_302600_NS4plusIiEEEE10hipError_tPvRmT1_T2_T3_mT4_P12ihipStream_tbEUlT_E1_NS1_11comp_targetILNS1_3genE8ELNS1_11target_archE1030ELNS1_3gpuE2ELNS1_3repE0EEENS1_30default_config_static_selectorELNS0_4arch9wavefront6targetE1EEEvSF_.kd
    .uniform_work_group_size: 1
    .uses_dynamic_stack: false
    .vgpr_count:     0
    .vgpr_spill_count: 0
    .wavefront_size: 64
  - .agpr_count:     0
    .args:
      - .offset:         0
        .size:           56
        .value_kind:     by_value
    .group_segment_fixed_size: 32
    .kernarg_segment_align: 8
    .kernarg_segment_size: 56
    .language:       OpenCL C
    .language_version:
      - 2
      - 0
    .max_flat_workgroup_size: 256
    .name:           _ZN7rocprim17ROCPRIM_400000_NS6detail17trampoline_kernelINS0_14default_configENS1_22reduce_config_selectorIiEEZNS1_11reduce_implILb1ES3_N6thrust23THRUST_200600_302600_NS6detail15normal_iteratorINS8_10device_ptrIiEEEEPiiNS8_4plusIiEEEE10hipError_tPvRmT1_T2_T3_mT4_P12ihipStream_tbEUlT_E0_NS1_11comp_targetILNS1_3genE0ELNS1_11target_archE4294967295ELNS1_3gpuE0ELNS1_3repE0EEENS1_30default_config_static_selectorELNS0_4arch9wavefront6targetE1EEEvSK_
    .private_segment_fixed_size: 0
    .sgpr_count:     26
    .sgpr_spill_count: 0
    .symbol:         _ZN7rocprim17ROCPRIM_400000_NS6detail17trampoline_kernelINS0_14default_configENS1_22reduce_config_selectorIiEEZNS1_11reduce_implILb1ES3_N6thrust23THRUST_200600_302600_NS6detail15normal_iteratorINS8_10device_ptrIiEEEEPiiNS8_4plusIiEEEE10hipError_tPvRmT1_T2_T3_mT4_P12ihipStream_tbEUlT_E0_NS1_11comp_targetILNS1_3genE0ELNS1_11target_archE4294967295ELNS1_3gpuE0ELNS1_3repE0EEENS1_30default_config_static_selectorELNS0_4arch9wavefront6targetE1EEEvSK_.kd
    .uniform_work_group_size: 1
    .uses_dynamic_stack: false
    .vgpr_count:     12
    .vgpr_spill_count: 0
    .wavefront_size: 64
  - .agpr_count:     0
    .args:
      - .offset:         0
        .size:           56
        .value_kind:     by_value
    .group_segment_fixed_size: 0
    .kernarg_segment_align: 8
    .kernarg_segment_size: 56
    .language:       OpenCL C
    .language_version:
      - 2
      - 0
    .max_flat_workgroup_size: 256
    .name:           _ZN7rocprim17ROCPRIM_400000_NS6detail17trampoline_kernelINS0_14default_configENS1_22reduce_config_selectorIiEEZNS1_11reduce_implILb1ES3_N6thrust23THRUST_200600_302600_NS6detail15normal_iteratorINS8_10device_ptrIiEEEEPiiNS8_4plusIiEEEE10hipError_tPvRmT1_T2_T3_mT4_P12ihipStream_tbEUlT_E0_NS1_11comp_targetILNS1_3genE5ELNS1_11target_archE942ELNS1_3gpuE9ELNS1_3repE0EEENS1_30default_config_static_selectorELNS0_4arch9wavefront6targetE1EEEvSK_
    .private_segment_fixed_size: 0
    .sgpr_count:     6
    .sgpr_spill_count: 0
    .symbol:         _ZN7rocprim17ROCPRIM_400000_NS6detail17trampoline_kernelINS0_14default_configENS1_22reduce_config_selectorIiEEZNS1_11reduce_implILb1ES3_N6thrust23THRUST_200600_302600_NS6detail15normal_iteratorINS8_10device_ptrIiEEEEPiiNS8_4plusIiEEEE10hipError_tPvRmT1_T2_T3_mT4_P12ihipStream_tbEUlT_E0_NS1_11comp_targetILNS1_3genE5ELNS1_11target_archE942ELNS1_3gpuE9ELNS1_3repE0EEENS1_30default_config_static_selectorELNS0_4arch9wavefront6targetE1EEEvSK_.kd
    .uniform_work_group_size: 1
    .uses_dynamic_stack: false
    .vgpr_count:     0
    .vgpr_spill_count: 0
    .wavefront_size: 64
  - .agpr_count:     0
    .args:
      - .offset:         0
        .size:           56
        .value_kind:     by_value
    .group_segment_fixed_size: 0
    .kernarg_segment_align: 8
    .kernarg_segment_size: 56
    .language:       OpenCL C
    .language_version:
      - 2
      - 0
    .max_flat_workgroup_size: 128
    .name:           _ZN7rocprim17ROCPRIM_400000_NS6detail17trampoline_kernelINS0_14default_configENS1_22reduce_config_selectorIiEEZNS1_11reduce_implILb1ES3_N6thrust23THRUST_200600_302600_NS6detail15normal_iteratorINS8_10device_ptrIiEEEEPiiNS8_4plusIiEEEE10hipError_tPvRmT1_T2_T3_mT4_P12ihipStream_tbEUlT_E0_NS1_11comp_targetILNS1_3genE4ELNS1_11target_archE910ELNS1_3gpuE8ELNS1_3repE0EEENS1_30default_config_static_selectorELNS0_4arch9wavefront6targetE1EEEvSK_
    .private_segment_fixed_size: 0
    .sgpr_count:     6
    .sgpr_spill_count: 0
    .symbol:         _ZN7rocprim17ROCPRIM_400000_NS6detail17trampoline_kernelINS0_14default_configENS1_22reduce_config_selectorIiEEZNS1_11reduce_implILb1ES3_N6thrust23THRUST_200600_302600_NS6detail15normal_iteratorINS8_10device_ptrIiEEEEPiiNS8_4plusIiEEEE10hipError_tPvRmT1_T2_T3_mT4_P12ihipStream_tbEUlT_E0_NS1_11comp_targetILNS1_3genE4ELNS1_11target_archE910ELNS1_3gpuE8ELNS1_3repE0EEENS1_30default_config_static_selectorELNS0_4arch9wavefront6targetE1EEEvSK_.kd
    .uniform_work_group_size: 1
    .uses_dynamic_stack: false
    .vgpr_count:     0
    .vgpr_spill_count: 0
    .wavefront_size: 64
  - .agpr_count:     0
    .args:
      - .offset:         0
        .size:           56
        .value_kind:     by_value
    .group_segment_fixed_size: 0
    .kernarg_segment_align: 8
    .kernarg_segment_size: 56
    .language:       OpenCL C
    .language_version:
      - 2
      - 0
    .max_flat_workgroup_size: 256
    .name:           _ZN7rocprim17ROCPRIM_400000_NS6detail17trampoline_kernelINS0_14default_configENS1_22reduce_config_selectorIiEEZNS1_11reduce_implILb1ES3_N6thrust23THRUST_200600_302600_NS6detail15normal_iteratorINS8_10device_ptrIiEEEEPiiNS8_4plusIiEEEE10hipError_tPvRmT1_T2_T3_mT4_P12ihipStream_tbEUlT_E0_NS1_11comp_targetILNS1_3genE3ELNS1_11target_archE908ELNS1_3gpuE7ELNS1_3repE0EEENS1_30default_config_static_selectorELNS0_4arch9wavefront6targetE1EEEvSK_
    .private_segment_fixed_size: 0
    .sgpr_count:     6
    .sgpr_spill_count: 0
    .symbol:         _ZN7rocprim17ROCPRIM_400000_NS6detail17trampoline_kernelINS0_14default_configENS1_22reduce_config_selectorIiEEZNS1_11reduce_implILb1ES3_N6thrust23THRUST_200600_302600_NS6detail15normal_iteratorINS8_10device_ptrIiEEEEPiiNS8_4plusIiEEEE10hipError_tPvRmT1_T2_T3_mT4_P12ihipStream_tbEUlT_E0_NS1_11comp_targetILNS1_3genE3ELNS1_11target_archE908ELNS1_3gpuE7ELNS1_3repE0EEENS1_30default_config_static_selectorELNS0_4arch9wavefront6targetE1EEEvSK_.kd
    .uniform_work_group_size: 1
    .uses_dynamic_stack: false
    .vgpr_count:     0
    .vgpr_spill_count: 0
    .wavefront_size: 64
  - .agpr_count:     0
    .args:
      - .offset:         0
        .size:           56
        .value_kind:     by_value
    .group_segment_fixed_size: 0
    .kernarg_segment_align: 8
    .kernarg_segment_size: 56
    .language:       OpenCL C
    .language_version:
      - 2
      - 0
    .max_flat_workgroup_size: 256
    .name:           _ZN7rocprim17ROCPRIM_400000_NS6detail17trampoline_kernelINS0_14default_configENS1_22reduce_config_selectorIiEEZNS1_11reduce_implILb1ES3_N6thrust23THRUST_200600_302600_NS6detail15normal_iteratorINS8_10device_ptrIiEEEEPiiNS8_4plusIiEEEE10hipError_tPvRmT1_T2_T3_mT4_P12ihipStream_tbEUlT_E0_NS1_11comp_targetILNS1_3genE2ELNS1_11target_archE906ELNS1_3gpuE6ELNS1_3repE0EEENS1_30default_config_static_selectorELNS0_4arch9wavefront6targetE1EEEvSK_
    .private_segment_fixed_size: 0
    .sgpr_count:     6
    .sgpr_spill_count: 0
    .symbol:         _ZN7rocprim17ROCPRIM_400000_NS6detail17trampoline_kernelINS0_14default_configENS1_22reduce_config_selectorIiEEZNS1_11reduce_implILb1ES3_N6thrust23THRUST_200600_302600_NS6detail15normal_iteratorINS8_10device_ptrIiEEEEPiiNS8_4plusIiEEEE10hipError_tPvRmT1_T2_T3_mT4_P12ihipStream_tbEUlT_E0_NS1_11comp_targetILNS1_3genE2ELNS1_11target_archE906ELNS1_3gpuE6ELNS1_3repE0EEENS1_30default_config_static_selectorELNS0_4arch9wavefront6targetE1EEEvSK_.kd
    .uniform_work_group_size: 1
    .uses_dynamic_stack: false
    .vgpr_count:     0
    .vgpr_spill_count: 0
    .wavefront_size: 64
  - .agpr_count:     0
    .args:
      - .offset:         0
        .size:           56
        .value_kind:     by_value
    .group_segment_fixed_size: 0
    .kernarg_segment_align: 8
    .kernarg_segment_size: 56
    .language:       OpenCL C
    .language_version:
      - 2
      - 0
    .max_flat_workgroup_size: 256
    .name:           _ZN7rocprim17ROCPRIM_400000_NS6detail17trampoline_kernelINS0_14default_configENS1_22reduce_config_selectorIiEEZNS1_11reduce_implILb1ES3_N6thrust23THRUST_200600_302600_NS6detail15normal_iteratorINS8_10device_ptrIiEEEEPiiNS8_4plusIiEEEE10hipError_tPvRmT1_T2_T3_mT4_P12ihipStream_tbEUlT_E0_NS1_11comp_targetILNS1_3genE10ELNS1_11target_archE1201ELNS1_3gpuE5ELNS1_3repE0EEENS1_30default_config_static_selectorELNS0_4arch9wavefront6targetE1EEEvSK_
    .private_segment_fixed_size: 0
    .sgpr_count:     6
    .sgpr_spill_count: 0
    .symbol:         _ZN7rocprim17ROCPRIM_400000_NS6detail17trampoline_kernelINS0_14default_configENS1_22reduce_config_selectorIiEEZNS1_11reduce_implILb1ES3_N6thrust23THRUST_200600_302600_NS6detail15normal_iteratorINS8_10device_ptrIiEEEEPiiNS8_4plusIiEEEE10hipError_tPvRmT1_T2_T3_mT4_P12ihipStream_tbEUlT_E0_NS1_11comp_targetILNS1_3genE10ELNS1_11target_archE1201ELNS1_3gpuE5ELNS1_3repE0EEENS1_30default_config_static_selectorELNS0_4arch9wavefront6targetE1EEEvSK_.kd
    .uniform_work_group_size: 1
    .uses_dynamic_stack: false
    .vgpr_count:     0
    .vgpr_spill_count: 0
    .wavefront_size: 64
  - .agpr_count:     0
    .args:
      - .offset:         0
        .size:           56
        .value_kind:     by_value
    .group_segment_fixed_size: 0
    .kernarg_segment_align: 8
    .kernarg_segment_size: 56
    .language:       OpenCL C
    .language_version:
      - 2
      - 0
    .max_flat_workgroup_size: 256
    .name:           _ZN7rocprim17ROCPRIM_400000_NS6detail17trampoline_kernelINS0_14default_configENS1_22reduce_config_selectorIiEEZNS1_11reduce_implILb1ES3_N6thrust23THRUST_200600_302600_NS6detail15normal_iteratorINS8_10device_ptrIiEEEEPiiNS8_4plusIiEEEE10hipError_tPvRmT1_T2_T3_mT4_P12ihipStream_tbEUlT_E0_NS1_11comp_targetILNS1_3genE10ELNS1_11target_archE1200ELNS1_3gpuE4ELNS1_3repE0EEENS1_30default_config_static_selectorELNS0_4arch9wavefront6targetE1EEEvSK_
    .private_segment_fixed_size: 0
    .sgpr_count:     6
    .sgpr_spill_count: 0
    .symbol:         _ZN7rocprim17ROCPRIM_400000_NS6detail17trampoline_kernelINS0_14default_configENS1_22reduce_config_selectorIiEEZNS1_11reduce_implILb1ES3_N6thrust23THRUST_200600_302600_NS6detail15normal_iteratorINS8_10device_ptrIiEEEEPiiNS8_4plusIiEEEE10hipError_tPvRmT1_T2_T3_mT4_P12ihipStream_tbEUlT_E0_NS1_11comp_targetILNS1_3genE10ELNS1_11target_archE1200ELNS1_3gpuE4ELNS1_3repE0EEENS1_30default_config_static_selectorELNS0_4arch9wavefront6targetE1EEEvSK_.kd
    .uniform_work_group_size: 1
    .uses_dynamic_stack: false
    .vgpr_count:     0
    .vgpr_spill_count: 0
    .wavefront_size: 64
  - .agpr_count:     0
    .args:
      - .offset:         0
        .size:           56
        .value_kind:     by_value
    .group_segment_fixed_size: 0
    .kernarg_segment_align: 8
    .kernarg_segment_size: 56
    .language:       OpenCL C
    .language_version:
      - 2
      - 0
    .max_flat_workgroup_size: 256
    .name:           _ZN7rocprim17ROCPRIM_400000_NS6detail17trampoline_kernelINS0_14default_configENS1_22reduce_config_selectorIiEEZNS1_11reduce_implILb1ES3_N6thrust23THRUST_200600_302600_NS6detail15normal_iteratorINS8_10device_ptrIiEEEEPiiNS8_4plusIiEEEE10hipError_tPvRmT1_T2_T3_mT4_P12ihipStream_tbEUlT_E0_NS1_11comp_targetILNS1_3genE9ELNS1_11target_archE1100ELNS1_3gpuE3ELNS1_3repE0EEENS1_30default_config_static_selectorELNS0_4arch9wavefront6targetE1EEEvSK_
    .private_segment_fixed_size: 0
    .sgpr_count:     6
    .sgpr_spill_count: 0
    .symbol:         _ZN7rocprim17ROCPRIM_400000_NS6detail17trampoline_kernelINS0_14default_configENS1_22reduce_config_selectorIiEEZNS1_11reduce_implILb1ES3_N6thrust23THRUST_200600_302600_NS6detail15normal_iteratorINS8_10device_ptrIiEEEEPiiNS8_4plusIiEEEE10hipError_tPvRmT1_T2_T3_mT4_P12ihipStream_tbEUlT_E0_NS1_11comp_targetILNS1_3genE9ELNS1_11target_archE1100ELNS1_3gpuE3ELNS1_3repE0EEENS1_30default_config_static_selectorELNS0_4arch9wavefront6targetE1EEEvSK_.kd
    .uniform_work_group_size: 1
    .uses_dynamic_stack: false
    .vgpr_count:     0
    .vgpr_spill_count: 0
    .wavefront_size: 64
  - .agpr_count:     0
    .args:
      - .offset:         0
        .size:           56
        .value_kind:     by_value
    .group_segment_fixed_size: 0
    .kernarg_segment_align: 8
    .kernarg_segment_size: 56
    .language:       OpenCL C
    .language_version:
      - 2
      - 0
    .max_flat_workgroup_size: 256
    .name:           _ZN7rocprim17ROCPRIM_400000_NS6detail17trampoline_kernelINS0_14default_configENS1_22reduce_config_selectorIiEEZNS1_11reduce_implILb1ES3_N6thrust23THRUST_200600_302600_NS6detail15normal_iteratorINS8_10device_ptrIiEEEEPiiNS8_4plusIiEEEE10hipError_tPvRmT1_T2_T3_mT4_P12ihipStream_tbEUlT_E0_NS1_11comp_targetILNS1_3genE8ELNS1_11target_archE1030ELNS1_3gpuE2ELNS1_3repE0EEENS1_30default_config_static_selectorELNS0_4arch9wavefront6targetE1EEEvSK_
    .private_segment_fixed_size: 0
    .sgpr_count:     6
    .sgpr_spill_count: 0
    .symbol:         _ZN7rocprim17ROCPRIM_400000_NS6detail17trampoline_kernelINS0_14default_configENS1_22reduce_config_selectorIiEEZNS1_11reduce_implILb1ES3_N6thrust23THRUST_200600_302600_NS6detail15normal_iteratorINS8_10device_ptrIiEEEEPiiNS8_4plusIiEEEE10hipError_tPvRmT1_T2_T3_mT4_P12ihipStream_tbEUlT_E0_NS1_11comp_targetILNS1_3genE8ELNS1_11target_archE1030ELNS1_3gpuE2ELNS1_3repE0EEENS1_30default_config_static_selectorELNS0_4arch9wavefront6targetE1EEEvSK_.kd
    .uniform_work_group_size: 1
    .uses_dynamic_stack: false
    .vgpr_count:     0
    .vgpr_spill_count: 0
    .wavefront_size: 64
  - .agpr_count:     0
    .args:
      - .offset:         0
        .size:           40
        .value_kind:     by_value
    .group_segment_fixed_size: 112
    .kernarg_segment_align: 8
    .kernarg_segment_size: 40
    .language:       OpenCL C
    .language_version:
      - 2
      - 0
    .max_flat_workgroup_size: 256
    .name:           _ZN7rocprim17ROCPRIM_400000_NS6detail17trampoline_kernelINS0_14default_configENS1_22reduce_config_selectorIiEEZNS1_11reduce_implILb1ES3_N6thrust23THRUST_200600_302600_NS6detail15normal_iteratorINS8_10device_ptrIiEEEEPiiNS8_4plusIiEEEE10hipError_tPvRmT1_T2_T3_mT4_P12ihipStream_tbEUlT_E1_NS1_11comp_targetILNS1_3genE0ELNS1_11target_archE4294967295ELNS1_3gpuE0ELNS1_3repE0EEENS1_30default_config_static_selectorELNS0_4arch9wavefront6targetE1EEEvSK_
    .private_segment_fixed_size: 0
    .sgpr_count:     83
    .sgpr_spill_count: 0
    .symbol:         _ZN7rocprim17ROCPRIM_400000_NS6detail17trampoline_kernelINS0_14default_configENS1_22reduce_config_selectorIiEEZNS1_11reduce_implILb1ES3_N6thrust23THRUST_200600_302600_NS6detail15normal_iteratorINS8_10device_ptrIiEEEEPiiNS8_4plusIiEEEE10hipError_tPvRmT1_T2_T3_mT4_P12ihipStream_tbEUlT_E1_NS1_11comp_targetILNS1_3genE0ELNS1_11target_archE4294967295ELNS1_3gpuE0ELNS1_3repE0EEENS1_30default_config_static_selectorELNS0_4arch9wavefront6targetE1EEEvSK_.kd
    .uniform_work_group_size: 1
    .uses_dynamic_stack: false
    .vgpr_count:     36
    .vgpr_spill_count: 0
    .wavefront_size: 64
  - .agpr_count:     0
    .args:
      - .offset:         0
        .size:           40
        .value_kind:     by_value
    .group_segment_fixed_size: 0
    .kernarg_segment_align: 8
    .kernarg_segment_size: 40
    .language:       OpenCL C
    .language_version:
      - 2
      - 0
    .max_flat_workgroup_size: 256
    .name:           _ZN7rocprim17ROCPRIM_400000_NS6detail17trampoline_kernelINS0_14default_configENS1_22reduce_config_selectorIiEEZNS1_11reduce_implILb1ES3_N6thrust23THRUST_200600_302600_NS6detail15normal_iteratorINS8_10device_ptrIiEEEEPiiNS8_4plusIiEEEE10hipError_tPvRmT1_T2_T3_mT4_P12ihipStream_tbEUlT_E1_NS1_11comp_targetILNS1_3genE5ELNS1_11target_archE942ELNS1_3gpuE9ELNS1_3repE0EEENS1_30default_config_static_selectorELNS0_4arch9wavefront6targetE1EEEvSK_
    .private_segment_fixed_size: 0
    .sgpr_count:     6
    .sgpr_spill_count: 0
    .symbol:         _ZN7rocprim17ROCPRIM_400000_NS6detail17trampoline_kernelINS0_14default_configENS1_22reduce_config_selectorIiEEZNS1_11reduce_implILb1ES3_N6thrust23THRUST_200600_302600_NS6detail15normal_iteratorINS8_10device_ptrIiEEEEPiiNS8_4plusIiEEEE10hipError_tPvRmT1_T2_T3_mT4_P12ihipStream_tbEUlT_E1_NS1_11comp_targetILNS1_3genE5ELNS1_11target_archE942ELNS1_3gpuE9ELNS1_3repE0EEENS1_30default_config_static_selectorELNS0_4arch9wavefront6targetE1EEEvSK_.kd
    .uniform_work_group_size: 1
    .uses_dynamic_stack: false
    .vgpr_count:     0
    .vgpr_spill_count: 0
    .wavefront_size: 64
  - .agpr_count:     0
    .args:
      - .offset:         0
        .size:           40
        .value_kind:     by_value
    .group_segment_fixed_size: 0
    .kernarg_segment_align: 8
    .kernarg_segment_size: 40
    .language:       OpenCL C
    .language_version:
      - 2
      - 0
    .max_flat_workgroup_size: 128
    .name:           _ZN7rocprim17ROCPRIM_400000_NS6detail17trampoline_kernelINS0_14default_configENS1_22reduce_config_selectorIiEEZNS1_11reduce_implILb1ES3_N6thrust23THRUST_200600_302600_NS6detail15normal_iteratorINS8_10device_ptrIiEEEEPiiNS8_4plusIiEEEE10hipError_tPvRmT1_T2_T3_mT4_P12ihipStream_tbEUlT_E1_NS1_11comp_targetILNS1_3genE4ELNS1_11target_archE910ELNS1_3gpuE8ELNS1_3repE0EEENS1_30default_config_static_selectorELNS0_4arch9wavefront6targetE1EEEvSK_
    .private_segment_fixed_size: 0
    .sgpr_count:     6
    .sgpr_spill_count: 0
    .symbol:         _ZN7rocprim17ROCPRIM_400000_NS6detail17trampoline_kernelINS0_14default_configENS1_22reduce_config_selectorIiEEZNS1_11reduce_implILb1ES3_N6thrust23THRUST_200600_302600_NS6detail15normal_iteratorINS8_10device_ptrIiEEEEPiiNS8_4plusIiEEEE10hipError_tPvRmT1_T2_T3_mT4_P12ihipStream_tbEUlT_E1_NS1_11comp_targetILNS1_3genE4ELNS1_11target_archE910ELNS1_3gpuE8ELNS1_3repE0EEENS1_30default_config_static_selectorELNS0_4arch9wavefront6targetE1EEEvSK_.kd
    .uniform_work_group_size: 1
    .uses_dynamic_stack: false
    .vgpr_count:     0
    .vgpr_spill_count: 0
    .wavefront_size: 64
  - .agpr_count:     0
    .args:
      - .offset:         0
        .size:           40
        .value_kind:     by_value
    .group_segment_fixed_size: 0
    .kernarg_segment_align: 8
    .kernarg_segment_size: 40
    .language:       OpenCL C
    .language_version:
      - 2
      - 0
    .max_flat_workgroup_size: 256
    .name:           _ZN7rocprim17ROCPRIM_400000_NS6detail17trampoline_kernelINS0_14default_configENS1_22reduce_config_selectorIiEEZNS1_11reduce_implILb1ES3_N6thrust23THRUST_200600_302600_NS6detail15normal_iteratorINS8_10device_ptrIiEEEEPiiNS8_4plusIiEEEE10hipError_tPvRmT1_T2_T3_mT4_P12ihipStream_tbEUlT_E1_NS1_11comp_targetILNS1_3genE3ELNS1_11target_archE908ELNS1_3gpuE7ELNS1_3repE0EEENS1_30default_config_static_selectorELNS0_4arch9wavefront6targetE1EEEvSK_
    .private_segment_fixed_size: 0
    .sgpr_count:     6
    .sgpr_spill_count: 0
    .symbol:         _ZN7rocprim17ROCPRIM_400000_NS6detail17trampoline_kernelINS0_14default_configENS1_22reduce_config_selectorIiEEZNS1_11reduce_implILb1ES3_N6thrust23THRUST_200600_302600_NS6detail15normal_iteratorINS8_10device_ptrIiEEEEPiiNS8_4plusIiEEEE10hipError_tPvRmT1_T2_T3_mT4_P12ihipStream_tbEUlT_E1_NS1_11comp_targetILNS1_3genE3ELNS1_11target_archE908ELNS1_3gpuE7ELNS1_3repE0EEENS1_30default_config_static_selectorELNS0_4arch9wavefront6targetE1EEEvSK_.kd
    .uniform_work_group_size: 1
    .uses_dynamic_stack: false
    .vgpr_count:     0
    .vgpr_spill_count: 0
    .wavefront_size: 64
  - .agpr_count:     0
    .args:
      - .offset:         0
        .size:           40
        .value_kind:     by_value
    .group_segment_fixed_size: 0
    .kernarg_segment_align: 8
    .kernarg_segment_size: 40
    .language:       OpenCL C
    .language_version:
      - 2
      - 0
    .max_flat_workgroup_size: 256
    .name:           _ZN7rocprim17ROCPRIM_400000_NS6detail17trampoline_kernelINS0_14default_configENS1_22reduce_config_selectorIiEEZNS1_11reduce_implILb1ES3_N6thrust23THRUST_200600_302600_NS6detail15normal_iteratorINS8_10device_ptrIiEEEEPiiNS8_4plusIiEEEE10hipError_tPvRmT1_T2_T3_mT4_P12ihipStream_tbEUlT_E1_NS1_11comp_targetILNS1_3genE2ELNS1_11target_archE906ELNS1_3gpuE6ELNS1_3repE0EEENS1_30default_config_static_selectorELNS0_4arch9wavefront6targetE1EEEvSK_
    .private_segment_fixed_size: 0
    .sgpr_count:     6
    .sgpr_spill_count: 0
    .symbol:         _ZN7rocprim17ROCPRIM_400000_NS6detail17trampoline_kernelINS0_14default_configENS1_22reduce_config_selectorIiEEZNS1_11reduce_implILb1ES3_N6thrust23THRUST_200600_302600_NS6detail15normal_iteratorINS8_10device_ptrIiEEEEPiiNS8_4plusIiEEEE10hipError_tPvRmT1_T2_T3_mT4_P12ihipStream_tbEUlT_E1_NS1_11comp_targetILNS1_3genE2ELNS1_11target_archE906ELNS1_3gpuE6ELNS1_3repE0EEENS1_30default_config_static_selectorELNS0_4arch9wavefront6targetE1EEEvSK_.kd
    .uniform_work_group_size: 1
    .uses_dynamic_stack: false
    .vgpr_count:     0
    .vgpr_spill_count: 0
    .wavefront_size: 64
  - .agpr_count:     0
    .args:
      - .offset:         0
        .size:           40
        .value_kind:     by_value
    .group_segment_fixed_size: 0
    .kernarg_segment_align: 8
    .kernarg_segment_size: 40
    .language:       OpenCL C
    .language_version:
      - 2
      - 0
    .max_flat_workgroup_size: 256
    .name:           _ZN7rocprim17ROCPRIM_400000_NS6detail17trampoline_kernelINS0_14default_configENS1_22reduce_config_selectorIiEEZNS1_11reduce_implILb1ES3_N6thrust23THRUST_200600_302600_NS6detail15normal_iteratorINS8_10device_ptrIiEEEEPiiNS8_4plusIiEEEE10hipError_tPvRmT1_T2_T3_mT4_P12ihipStream_tbEUlT_E1_NS1_11comp_targetILNS1_3genE10ELNS1_11target_archE1201ELNS1_3gpuE5ELNS1_3repE0EEENS1_30default_config_static_selectorELNS0_4arch9wavefront6targetE1EEEvSK_
    .private_segment_fixed_size: 0
    .sgpr_count:     6
    .sgpr_spill_count: 0
    .symbol:         _ZN7rocprim17ROCPRIM_400000_NS6detail17trampoline_kernelINS0_14default_configENS1_22reduce_config_selectorIiEEZNS1_11reduce_implILb1ES3_N6thrust23THRUST_200600_302600_NS6detail15normal_iteratorINS8_10device_ptrIiEEEEPiiNS8_4plusIiEEEE10hipError_tPvRmT1_T2_T3_mT4_P12ihipStream_tbEUlT_E1_NS1_11comp_targetILNS1_3genE10ELNS1_11target_archE1201ELNS1_3gpuE5ELNS1_3repE0EEENS1_30default_config_static_selectorELNS0_4arch9wavefront6targetE1EEEvSK_.kd
    .uniform_work_group_size: 1
    .uses_dynamic_stack: false
    .vgpr_count:     0
    .vgpr_spill_count: 0
    .wavefront_size: 64
  - .agpr_count:     0
    .args:
      - .offset:         0
        .size:           40
        .value_kind:     by_value
    .group_segment_fixed_size: 0
    .kernarg_segment_align: 8
    .kernarg_segment_size: 40
    .language:       OpenCL C
    .language_version:
      - 2
      - 0
    .max_flat_workgroup_size: 256
    .name:           _ZN7rocprim17ROCPRIM_400000_NS6detail17trampoline_kernelINS0_14default_configENS1_22reduce_config_selectorIiEEZNS1_11reduce_implILb1ES3_N6thrust23THRUST_200600_302600_NS6detail15normal_iteratorINS8_10device_ptrIiEEEEPiiNS8_4plusIiEEEE10hipError_tPvRmT1_T2_T3_mT4_P12ihipStream_tbEUlT_E1_NS1_11comp_targetILNS1_3genE10ELNS1_11target_archE1200ELNS1_3gpuE4ELNS1_3repE0EEENS1_30default_config_static_selectorELNS0_4arch9wavefront6targetE1EEEvSK_
    .private_segment_fixed_size: 0
    .sgpr_count:     6
    .sgpr_spill_count: 0
    .symbol:         _ZN7rocprim17ROCPRIM_400000_NS6detail17trampoline_kernelINS0_14default_configENS1_22reduce_config_selectorIiEEZNS1_11reduce_implILb1ES3_N6thrust23THRUST_200600_302600_NS6detail15normal_iteratorINS8_10device_ptrIiEEEEPiiNS8_4plusIiEEEE10hipError_tPvRmT1_T2_T3_mT4_P12ihipStream_tbEUlT_E1_NS1_11comp_targetILNS1_3genE10ELNS1_11target_archE1200ELNS1_3gpuE4ELNS1_3repE0EEENS1_30default_config_static_selectorELNS0_4arch9wavefront6targetE1EEEvSK_.kd
    .uniform_work_group_size: 1
    .uses_dynamic_stack: false
    .vgpr_count:     0
    .vgpr_spill_count: 0
    .wavefront_size: 64
  - .agpr_count:     0
    .args:
      - .offset:         0
        .size:           40
        .value_kind:     by_value
    .group_segment_fixed_size: 0
    .kernarg_segment_align: 8
    .kernarg_segment_size: 40
    .language:       OpenCL C
    .language_version:
      - 2
      - 0
    .max_flat_workgroup_size: 256
    .name:           _ZN7rocprim17ROCPRIM_400000_NS6detail17trampoline_kernelINS0_14default_configENS1_22reduce_config_selectorIiEEZNS1_11reduce_implILb1ES3_N6thrust23THRUST_200600_302600_NS6detail15normal_iteratorINS8_10device_ptrIiEEEEPiiNS8_4plusIiEEEE10hipError_tPvRmT1_T2_T3_mT4_P12ihipStream_tbEUlT_E1_NS1_11comp_targetILNS1_3genE9ELNS1_11target_archE1100ELNS1_3gpuE3ELNS1_3repE0EEENS1_30default_config_static_selectorELNS0_4arch9wavefront6targetE1EEEvSK_
    .private_segment_fixed_size: 0
    .sgpr_count:     6
    .sgpr_spill_count: 0
    .symbol:         _ZN7rocprim17ROCPRIM_400000_NS6detail17trampoline_kernelINS0_14default_configENS1_22reduce_config_selectorIiEEZNS1_11reduce_implILb1ES3_N6thrust23THRUST_200600_302600_NS6detail15normal_iteratorINS8_10device_ptrIiEEEEPiiNS8_4plusIiEEEE10hipError_tPvRmT1_T2_T3_mT4_P12ihipStream_tbEUlT_E1_NS1_11comp_targetILNS1_3genE9ELNS1_11target_archE1100ELNS1_3gpuE3ELNS1_3repE0EEENS1_30default_config_static_selectorELNS0_4arch9wavefront6targetE1EEEvSK_.kd
    .uniform_work_group_size: 1
    .uses_dynamic_stack: false
    .vgpr_count:     0
    .vgpr_spill_count: 0
    .wavefront_size: 64
  - .agpr_count:     0
    .args:
      - .offset:         0
        .size:           40
        .value_kind:     by_value
    .group_segment_fixed_size: 0
    .kernarg_segment_align: 8
    .kernarg_segment_size: 40
    .language:       OpenCL C
    .language_version:
      - 2
      - 0
    .max_flat_workgroup_size: 256
    .name:           _ZN7rocprim17ROCPRIM_400000_NS6detail17trampoline_kernelINS0_14default_configENS1_22reduce_config_selectorIiEEZNS1_11reduce_implILb1ES3_N6thrust23THRUST_200600_302600_NS6detail15normal_iteratorINS8_10device_ptrIiEEEEPiiNS8_4plusIiEEEE10hipError_tPvRmT1_T2_T3_mT4_P12ihipStream_tbEUlT_E1_NS1_11comp_targetILNS1_3genE8ELNS1_11target_archE1030ELNS1_3gpuE2ELNS1_3repE0EEENS1_30default_config_static_selectorELNS0_4arch9wavefront6targetE1EEEvSK_
    .private_segment_fixed_size: 0
    .sgpr_count:     6
    .sgpr_spill_count: 0
    .symbol:         _ZN7rocprim17ROCPRIM_400000_NS6detail17trampoline_kernelINS0_14default_configENS1_22reduce_config_selectorIiEEZNS1_11reduce_implILb1ES3_N6thrust23THRUST_200600_302600_NS6detail15normal_iteratorINS8_10device_ptrIiEEEEPiiNS8_4plusIiEEEE10hipError_tPvRmT1_T2_T3_mT4_P12ihipStream_tbEUlT_E1_NS1_11comp_targetILNS1_3genE8ELNS1_11target_archE1030ELNS1_3gpuE2ELNS1_3repE0EEENS1_30default_config_static_selectorELNS0_4arch9wavefront6targetE1EEEvSK_.kd
    .uniform_work_group_size: 1
    .uses_dynamic_stack: false
    .vgpr_count:     0
    .vgpr_spill_count: 0
    .wavefront_size: 64
  - .agpr_count:     0
    .args:
      - .offset:         0
        .size:           16
        .value_kind:     by_value
      - .offset:         16
        .size:           8
        .value_kind:     by_value
      - .offset:         24
        .size:           8
        .value_kind:     by_value
    .group_segment_fixed_size: 0
    .kernarg_segment_align: 8
    .kernarg_segment_size: 32
    .language:       OpenCL C
    .language_version:
      - 2
      - 0
    .max_flat_workgroup_size: 256
    .name:           _ZN6thrust23THRUST_200600_302600_NS11hip_rocprim14__parallel_for6kernelILj256ENS1_20__uninitialized_fill7functorINS0_10device_ptrIsEEsEEmLj1EEEvT0_T1_SA_
    .private_segment_fixed_size: 0
    .sgpr_count:     22
    .sgpr_spill_count: 0
    .symbol:         _ZN6thrust23THRUST_200600_302600_NS11hip_rocprim14__parallel_for6kernelILj256ENS1_20__uninitialized_fill7functorINS0_10device_ptrIsEEsEEmLj1EEEvT0_T1_SA_.kd
    .uniform_work_group_size: 1
    .uses_dynamic_stack: false
    .vgpr_count:     4
    .vgpr_spill_count: 0
    .wavefront_size: 64
  - .agpr_count:     0
    .args:
      - .offset:         0
        .size:           56
        .value_kind:     by_value
    .group_segment_fixed_size: 8
    .kernarg_segment_align: 8
    .kernarg_segment_size: 56
    .language:       OpenCL C
    .language_version:
      - 2
      - 0
    .max_flat_workgroup_size: 128
    .name:           _ZN7rocprim17ROCPRIM_400000_NS6detail17trampoline_kernelINS0_14default_configENS1_22reduce_config_selectorIsEEZNS1_11reduce_implILb1ES3_PsS7_sN6thrust23THRUST_200600_302600_NS4plusIsEEEE10hipError_tPvRmT1_T2_T3_mT4_P12ihipStream_tbEUlT_E0_NS1_11comp_targetILNS1_3genE0ELNS1_11target_archE4294967295ELNS1_3gpuE0ELNS1_3repE0EEENS1_30default_config_static_selectorELNS0_4arch9wavefront6targetE1EEEvSF_
    .private_segment_fixed_size: 0
    .sgpr_count:     34
    .sgpr_spill_count: 0
    .symbol:         _ZN7rocprim17ROCPRIM_400000_NS6detail17trampoline_kernelINS0_14default_configENS1_22reduce_config_selectorIsEEZNS1_11reduce_implILb1ES3_PsS7_sN6thrust23THRUST_200600_302600_NS4plusIsEEEE10hipError_tPvRmT1_T2_T3_mT4_P12ihipStream_tbEUlT_E0_NS1_11comp_targetILNS1_3genE0ELNS1_11target_archE4294967295ELNS1_3gpuE0ELNS1_3repE0EEENS1_30default_config_static_selectorELNS0_4arch9wavefront6targetE1EEEvSF_.kd
    .uniform_work_group_size: 1
    .uses_dynamic_stack: false
    .vgpr_count:     13
    .vgpr_spill_count: 0
    .wavefront_size: 64
  - .agpr_count:     0
    .args:
      - .offset:         0
        .size:           56
        .value_kind:     by_value
    .group_segment_fixed_size: 0
    .kernarg_segment_align: 8
    .kernarg_segment_size: 56
    .language:       OpenCL C
    .language_version:
      - 2
      - 0
    .max_flat_workgroup_size: 256
    .name:           _ZN7rocprim17ROCPRIM_400000_NS6detail17trampoline_kernelINS0_14default_configENS1_22reduce_config_selectorIsEEZNS1_11reduce_implILb1ES3_PsS7_sN6thrust23THRUST_200600_302600_NS4plusIsEEEE10hipError_tPvRmT1_T2_T3_mT4_P12ihipStream_tbEUlT_E0_NS1_11comp_targetILNS1_3genE5ELNS1_11target_archE942ELNS1_3gpuE9ELNS1_3repE0EEENS1_30default_config_static_selectorELNS0_4arch9wavefront6targetE1EEEvSF_
    .private_segment_fixed_size: 0
    .sgpr_count:     6
    .sgpr_spill_count: 0
    .symbol:         _ZN7rocprim17ROCPRIM_400000_NS6detail17trampoline_kernelINS0_14default_configENS1_22reduce_config_selectorIsEEZNS1_11reduce_implILb1ES3_PsS7_sN6thrust23THRUST_200600_302600_NS4plusIsEEEE10hipError_tPvRmT1_T2_T3_mT4_P12ihipStream_tbEUlT_E0_NS1_11comp_targetILNS1_3genE5ELNS1_11target_archE942ELNS1_3gpuE9ELNS1_3repE0EEENS1_30default_config_static_selectorELNS0_4arch9wavefront6targetE1EEEvSF_.kd
    .uniform_work_group_size: 1
    .uses_dynamic_stack: false
    .vgpr_count:     0
    .vgpr_spill_count: 0
    .wavefront_size: 64
  - .agpr_count:     0
    .args:
      - .offset:         0
        .size:           56
        .value_kind:     by_value
    .group_segment_fixed_size: 0
    .kernarg_segment_align: 8
    .kernarg_segment_size: 56
    .language:       OpenCL C
    .language_version:
      - 2
      - 0
    .max_flat_workgroup_size: 64
    .name:           _ZN7rocprim17ROCPRIM_400000_NS6detail17trampoline_kernelINS0_14default_configENS1_22reduce_config_selectorIsEEZNS1_11reduce_implILb1ES3_PsS7_sN6thrust23THRUST_200600_302600_NS4plusIsEEEE10hipError_tPvRmT1_T2_T3_mT4_P12ihipStream_tbEUlT_E0_NS1_11comp_targetILNS1_3genE4ELNS1_11target_archE910ELNS1_3gpuE8ELNS1_3repE0EEENS1_30default_config_static_selectorELNS0_4arch9wavefront6targetE1EEEvSF_
    .private_segment_fixed_size: 0
    .sgpr_count:     6
    .sgpr_spill_count: 0
    .symbol:         _ZN7rocprim17ROCPRIM_400000_NS6detail17trampoline_kernelINS0_14default_configENS1_22reduce_config_selectorIsEEZNS1_11reduce_implILb1ES3_PsS7_sN6thrust23THRUST_200600_302600_NS4plusIsEEEE10hipError_tPvRmT1_T2_T3_mT4_P12ihipStream_tbEUlT_E0_NS1_11comp_targetILNS1_3genE4ELNS1_11target_archE910ELNS1_3gpuE8ELNS1_3repE0EEENS1_30default_config_static_selectorELNS0_4arch9wavefront6targetE1EEEvSF_.kd
    .uniform_work_group_size: 1
    .uses_dynamic_stack: false
    .vgpr_count:     0
    .vgpr_spill_count: 0
    .wavefront_size: 64
  - .agpr_count:     0
    .args:
      - .offset:         0
        .size:           56
        .value_kind:     by_value
    .group_segment_fixed_size: 0
    .kernarg_segment_align: 8
    .kernarg_segment_size: 56
    .language:       OpenCL C
    .language_version:
      - 2
      - 0
    .max_flat_workgroup_size: 128
    .name:           _ZN7rocprim17ROCPRIM_400000_NS6detail17trampoline_kernelINS0_14default_configENS1_22reduce_config_selectorIsEEZNS1_11reduce_implILb1ES3_PsS7_sN6thrust23THRUST_200600_302600_NS4plusIsEEEE10hipError_tPvRmT1_T2_T3_mT4_P12ihipStream_tbEUlT_E0_NS1_11comp_targetILNS1_3genE3ELNS1_11target_archE908ELNS1_3gpuE7ELNS1_3repE0EEENS1_30default_config_static_selectorELNS0_4arch9wavefront6targetE1EEEvSF_
    .private_segment_fixed_size: 0
    .sgpr_count:     6
    .sgpr_spill_count: 0
    .symbol:         _ZN7rocprim17ROCPRIM_400000_NS6detail17trampoline_kernelINS0_14default_configENS1_22reduce_config_selectorIsEEZNS1_11reduce_implILb1ES3_PsS7_sN6thrust23THRUST_200600_302600_NS4plusIsEEEE10hipError_tPvRmT1_T2_T3_mT4_P12ihipStream_tbEUlT_E0_NS1_11comp_targetILNS1_3genE3ELNS1_11target_archE908ELNS1_3gpuE7ELNS1_3repE0EEENS1_30default_config_static_selectorELNS0_4arch9wavefront6targetE1EEEvSF_.kd
    .uniform_work_group_size: 1
    .uses_dynamic_stack: false
    .vgpr_count:     0
    .vgpr_spill_count: 0
    .wavefront_size: 64
  - .agpr_count:     0
    .args:
      - .offset:         0
        .size:           56
        .value_kind:     by_value
    .group_segment_fixed_size: 0
    .kernarg_segment_align: 8
    .kernarg_segment_size: 56
    .language:       OpenCL C
    .language_version:
      - 2
      - 0
    .max_flat_workgroup_size: 256
    .name:           _ZN7rocprim17ROCPRIM_400000_NS6detail17trampoline_kernelINS0_14default_configENS1_22reduce_config_selectorIsEEZNS1_11reduce_implILb1ES3_PsS7_sN6thrust23THRUST_200600_302600_NS4plusIsEEEE10hipError_tPvRmT1_T2_T3_mT4_P12ihipStream_tbEUlT_E0_NS1_11comp_targetILNS1_3genE2ELNS1_11target_archE906ELNS1_3gpuE6ELNS1_3repE0EEENS1_30default_config_static_selectorELNS0_4arch9wavefront6targetE1EEEvSF_
    .private_segment_fixed_size: 0
    .sgpr_count:     6
    .sgpr_spill_count: 0
    .symbol:         _ZN7rocprim17ROCPRIM_400000_NS6detail17trampoline_kernelINS0_14default_configENS1_22reduce_config_selectorIsEEZNS1_11reduce_implILb1ES3_PsS7_sN6thrust23THRUST_200600_302600_NS4plusIsEEEE10hipError_tPvRmT1_T2_T3_mT4_P12ihipStream_tbEUlT_E0_NS1_11comp_targetILNS1_3genE2ELNS1_11target_archE906ELNS1_3gpuE6ELNS1_3repE0EEENS1_30default_config_static_selectorELNS0_4arch9wavefront6targetE1EEEvSF_.kd
    .uniform_work_group_size: 1
    .uses_dynamic_stack: false
    .vgpr_count:     0
    .vgpr_spill_count: 0
    .wavefront_size: 64
  - .agpr_count:     0
    .args:
      - .offset:         0
        .size:           56
        .value_kind:     by_value
    .group_segment_fixed_size: 0
    .kernarg_segment_align: 8
    .kernarg_segment_size: 56
    .language:       OpenCL C
    .language_version:
      - 2
      - 0
    .max_flat_workgroup_size: 256
    .name:           _ZN7rocprim17ROCPRIM_400000_NS6detail17trampoline_kernelINS0_14default_configENS1_22reduce_config_selectorIsEEZNS1_11reduce_implILb1ES3_PsS7_sN6thrust23THRUST_200600_302600_NS4plusIsEEEE10hipError_tPvRmT1_T2_T3_mT4_P12ihipStream_tbEUlT_E0_NS1_11comp_targetILNS1_3genE10ELNS1_11target_archE1201ELNS1_3gpuE5ELNS1_3repE0EEENS1_30default_config_static_selectorELNS0_4arch9wavefront6targetE1EEEvSF_
    .private_segment_fixed_size: 0
    .sgpr_count:     6
    .sgpr_spill_count: 0
    .symbol:         _ZN7rocprim17ROCPRIM_400000_NS6detail17trampoline_kernelINS0_14default_configENS1_22reduce_config_selectorIsEEZNS1_11reduce_implILb1ES3_PsS7_sN6thrust23THRUST_200600_302600_NS4plusIsEEEE10hipError_tPvRmT1_T2_T3_mT4_P12ihipStream_tbEUlT_E0_NS1_11comp_targetILNS1_3genE10ELNS1_11target_archE1201ELNS1_3gpuE5ELNS1_3repE0EEENS1_30default_config_static_selectorELNS0_4arch9wavefront6targetE1EEEvSF_.kd
    .uniform_work_group_size: 1
    .uses_dynamic_stack: false
    .vgpr_count:     0
    .vgpr_spill_count: 0
    .wavefront_size: 64
  - .agpr_count:     0
    .args:
      - .offset:         0
        .size:           56
        .value_kind:     by_value
    .group_segment_fixed_size: 0
    .kernarg_segment_align: 8
    .kernarg_segment_size: 56
    .language:       OpenCL C
    .language_version:
      - 2
      - 0
    .max_flat_workgroup_size: 256
    .name:           _ZN7rocprim17ROCPRIM_400000_NS6detail17trampoline_kernelINS0_14default_configENS1_22reduce_config_selectorIsEEZNS1_11reduce_implILb1ES3_PsS7_sN6thrust23THRUST_200600_302600_NS4plusIsEEEE10hipError_tPvRmT1_T2_T3_mT4_P12ihipStream_tbEUlT_E0_NS1_11comp_targetILNS1_3genE10ELNS1_11target_archE1200ELNS1_3gpuE4ELNS1_3repE0EEENS1_30default_config_static_selectorELNS0_4arch9wavefront6targetE1EEEvSF_
    .private_segment_fixed_size: 0
    .sgpr_count:     6
    .sgpr_spill_count: 0
    .symbol:         _ZN7rocprim17ROCPRIM_400000_NS6detail17trampoline_kernelINS0_14default_configENS1_22reduce_config_selectorIsEEZNS1_11reduce_implILb1ES3_PsS7_sN6thrust23THRUST_200600_302600_NS4plusIsEEEE10hipError_tPvRmT1_T2_T3_mT4_P12ihipStream_tbEUlT_E0_NS1_11comp_targetILNS1_3genE10ELNS1_11target_archE1200ELNS1_3gpuE4ELNS1_3repE0EEENS1_30default_config_static_selectorELNS0_4arch9wavefront6targetE1EEEvSF_.kd
    .uniform_work_group_size: 1
    .uses_dynamic_stack: false
    .vgpr_count:     0
    .vgpr_spill_count: 0
    .wavefront_size: 64
  - .agpr_count:     0
    .args:
      - .offset:         0
        .size:           56
        .value_kind:     by_value
    .group_segment_fixed_size: 0
    .kernarg_segment_align: 8
    .kernarg_segment_size: 56
    .language:       OpenCL C
    .language_version:
      - 2
      - 0
    .max_flat_workgroup_size: 256
    .name:           _ZN7rocprim17ROCPRIM_400000_NS6detail17trampoline_kernelINS0_14default_configENS1_22reduce_config_selectorIsEEZNS1_11reduce_implILb1ES3_PsS7_sN6thrust23THRUST_200600_302600_NS4plusIsEEEE10hipError_tPvRmT1_T2_T3_mT4_P12ihipStream_tbEUlT_E0_NS1_11comp_targetILNS1_3genE9ELNS1_11target_archE1100ELNS1_3gpuE3ELNS1_3repE0EEENS1_30default_config_static_selectorELNS0_4arch9wavefront6targetE1EEEvSF_
    .private_segment_fixed_size: 0
    .sgpr_count:     6
    .sgpr_spill_count: 0
    .symbol:         _ZN7rocprim17ROCPRIM_400000_NS6detail17trampoline_kernelINS0_14default_configENS1_22reduce_config_selectorIsEEZNS1_11reduce_implILb1ES3_PsS7_sN6thrust23THRUST_200600_302600_NS4plusIsEEEE10hipError_tPvRmT1_T2_T3_mT4_P12ihipStream_tbEUlT_E0_NS1_11comp_targetILNS1_3genE9ELNS1_11target_archE1100ELNS1_3gpuE3ELNS1_3repE0EEENS1_30default_config_static_selectorELNS0_4arch9wavefront6targetE1EEEvSF_.kd
    .uniform_work_group_size: 1
    .uses_dynamic_stack: false
    .vgpr_count:     0
    .vgpr_spill_count: 0
    .wavefront_size: 64
  - .agpr_count:     0
    .args:
      - .offset:         0
        .size:           56
        .value_kind:     by_value
    .group_segment_fixed_size: 0
    .kernarg_segment_align: 8
    .kernarg_segment_size: 56
    .language:       OpenCL C
    .language_version:
      - 2
      - 0
    .max_flat_workgroup_size: 256
    .name:           _ZN7rocprim17ROCPRIM_400000_NS6detail17trampoline_kernelINS0_14default_configENS1_22reduce_config_selectorIsEEZNS1_11reduce_implILb1ES3_PsS7_sN6thrust23THRUST_200600_302600_NS4plusIsEEEE10hipError_tPvRmT1_T2_T3_mT4_P12ihipStream_tbEUlT_E0_NS1_11comp_targetILNS1_3genE8ELNS1_11target_archE1030ELNS1_3gpuE2ELNS1_3repE0EEENS1_30default_config_static_selectorELNS0_4arch9wavefront6targetE1EEEvSF_
    .private_segment_fixed_size: 0
    .sgpr_count:     6
    .sgpr_spill_count: 0
    .symbol:         _ZN7rocprim17ROCPRIM_400000_NS6detail17trampoline_kernelINS0_14default_configENS1_22reduce_config_selectorIsEEZNS1_11reduce_implILb1ES3_PsS7_sN6thrust23THRUST_200600_302600_NS4plusIsEEEE10hipError_tPvRmT1_T2_T3_mT4_P12ihipStream_tbEUlT_E0_NS1_11comp_targetILNS1_3genE8ELNS1_11target_archE1030ELNS1_3gpuE2ELNS1_3repE0EEENS1_30default_config_static_selectorELNS0_4arch9wavefront6targetE1EEEvSF_.kd
    .uniform_work_group_size: 1
    .uses_dynamic_stack: false
    .vgpr_count:     0
    .vgpr_spill_count: 0
    .wavefront_size: 64
  - .agpr_count:     0
    .args:
      - .offset:         0
        .size:           40
        .value_kind:     by_value
    .group_segment_fixed_size: 32
    .kernarg_segment_align: 8
    .kernarg_segment_size: 40
    .language:       OpenCL C
    .language_version:
      - 2
      - 0
    .max_flat_workgroup_size: 128
    .name:           _ZN7rocprim17ROCPRIM_400000_NS6detail17trampoline_kernelINS0_14default_configENS1_22reduce_config_selectorIsEEZNS1_11reduce_implILb1ES3_PsS7_sN6thrust23THRUST_200600_302600_NS4plusIsEEEE10hipError_tPvRmT1_T2_T3_mT4_P12ihipStream_tbEUlT_E1_NS1_11comp_targetILNS1_3genE0ELNS1_11target_archE4294967295ELNS1_3gpuE0ELNS1_3repE0EEENS1_30default_config_static_selectorELNS0_4arch9wavefront6targetE1EEEvSF_
    .private_segment_fixed_size: 0
    .sgpr_count:     106
    .sgpr_spill_count: 44
    .symbol:         _ZN7rocprim17ROCPRIM_400000_NS6detail17trampoline_kernelINS0_14default_configENS1_22reduce_config_selectorIsEEZNS1_11reduce_implILb1ES3_PsS7_sN6thrust23THRUST_200600_302600_NS4plusIsEEEE10hipError_tPvRmT1_T2_T3_mT4_P12ihipStream_tbEUlT_E1_NS1_11comp_targetILNS1_3genE0ELNS1_11target_archE4294967295ELNS1_3gpuE0ELNS1_3repE0EEENS1_30default_config_static_selectorELNS0_4arch9wavefront6targetE1EEEvSF_.kd
    .uniform_work_group_size: 1
    .uses_dynamic_stack: false
    .vgpr_count:     67
    .vgpr_spill_count: 0
    .wavefront_size: 64
  - .agpr_count:     0
    .args:
      - .offset:         0
        .size:           40
        .value_kind:     by_value
    .group_segment_fixed_size: 0
    .kernarg_segment_align: 8
    .kernarg_segment_size: 40
    .language:       OpenCL C
    .language_version:
      - 2
      - 0
    .max_flat_workgroup_size: 256
    .name:           _ZN7rocprim17ROCPRIM_400000_NS6detail17trampoline_kernelINS0_14default_configENS1_22reduce_config_selectorIsEEZNS1_11reduce_implILb1ES3_PsS7_sN6thrust23THRUST_200600_302600_NS4plusIsEEEE10hipError_tPvRmT1_T2_T3_mT4_P12ihipStream_tbEUlT_E1_NS1_11comp_targetILNS1_3genE5ELNS1_11target_archE942ELNS1_3gpuE9ELNS1_3repE0EEENS1_30default_config_static_selectorELNS0_4arch9wavefront6targetE1EEEvSF_
    .private_segment_fixed_size: 0
    .sgpr_count:     6
    .sgpr_spill_count: 0
    .symbol:         _ZN7rocprim17ROCPRIM_400000_NS6detail17trampoline_kernelINS0_14default_configENS1_22reduce_config_selectorIsEEZNS1_11reduce_implILb1ES3_PsS7_sN6thrust23THRUST_200600_302600_NS4plusIsEEEE10hipError_tPvRmT1_T2_T3_mT4_P12ihipStream_tbEUlT_E1_NS1_11comp_targetILNS1_3genE5ELNS1_11target_archE942ELNS1_3gpuE9ELNS1_3repE0EEENS1_30default_config_static_selectorELNS0_4arch9wavefront6targetE1EEEvSF_.kd
    .uniform_work_group_size: 1
    .uses_dynamic_stack: false
    .vgpr_count:     0
    .vgpr_spill_count: 0
    .wavefront_size: 64
  - .agpr_count:     0
    .args:
      - .offset:         0
        .size:           40
        .value_kind:     by_value
    .group_segment_fixed_size: 0
    .kernarg_segment_align: 8
    .kernarg_segment_size: 40
    .language:       OpenCL C
    .language_version:
      - 2
      - 0
    .max_flat_workgroup_size: 64
    .name:           _ZN7rocprim17ROCPRIM_400000_NS6detail17trampoline_kernelINS0_14default_configENS1_22reduce_config_selectorIsEEZNS1_11reduce_implILb1ES3_PsS7_sN6thrust23THRUST_200600_302600_NS4plusIsEEEE10hipError_tPvRmT1_T2_T3_mT4_P12ihipStream_tbEUlT_E1_NS1_11comp_targetILNS1_3genE4ELNS1_11target_archE910ELNS1_3gpuE8ELNS1_3repE0EEENS1_30default_config_static_selectorELNS0_4arch9wavefront6targetE1EEEvSF_
    .private_segment_fixed_size: 0
    .sgpr_count:     6
    .sgpr_spill_count: 0
    .symbol:         _ZN7rocprim17ROCPRIM_400000_NS6detail17trampoline_kernelINS0_14default_configENS1_22reduce_config_selectorIsEEZNS1_11reduce_implILb1ES3_PsS7_sN6thrust23THRUST_200600_302600_NS4plusIsEEEE10hipError_tPvRmT1_T2_T3_mT4_P12ihipStream_tbEUlT_E1_NS1_11comp_targetILNS1_3genE4ELNS1_11target_archE910ELNS1_3gpuE8ELNS1_3repE0EEENS1_30default_config_static_selectorELNS0_4arch9wavefront6targetE1EEEvSF_.kd
    .uniform_work_group_size: 1
    .uses_dynamic_stack: false
    .vgpr_count:     0
    .vgpr_spill_count: 0
    .wavefront_size: 64
  - .agpr_count:     0
    .args:
      - .offset:         0
        .size:           40
        .value_kind:     by_value
    .group_segment_fixed_size: 0
    .kernarg_segment_align: 8
    .kernarg_segment_size: 40
    .language:       OpenCL C
    .language_version:
      - 2
      - 0
    .max_flat_workgroup_size: 128
    .name:           _ZN7rocprim17ROCPRIM_400000_NS6detail17trampoline_kernelINS0_14default_configENS1_22reduce_config_selectorIsEEZNS1_11reduce_implILb1ES3_PsS7_sN6thrust23THRUST_200600_302600_NS4plusIsEEEE10hipError_tPvRmT1_T2_T3_mT4_P12ihipStream_tbEUlT_E1_NS1_11comp_targetILNS1_3genE3ELNS1_11target_archE908ELNS1_3gpuE7ELNS1_3repE0EEENS1_30default_config_static_selectorELNS0_4arch9wavefront6targetE1EEEvSF_
    .private_segment_fixed_size: 0
    .sgpr_count:     6
    .sgpr_spill_count: 0
    .symbol:         _ZN7rocprim17ROCPRIM_400000_NS6detail17trampoline_kernelINS0_14default_configENS1_22reduce_config_selectorIsEEZNS1_11reduce_implILb1ES3_PsS7_sN6thrust23THRUST_200600_302600_NS4plusIsEEEE10hipError_tPvRmT1_T2_T3_mT4_P12ihipStream_tbEUlT_E1_NS1_11comp_targetILNS1_3genE3ELNS1_11target_archE908ELNS1_3gpuE7ELNS1_3repE0EEENS1_30default_config_static_selectorELNS0_4arch9wavefront6targetE1EEEvSF_.kd
    .uniform_work_group_size: 1
    .uses_dynamic_stack: false
    .vgpr_count:     0
    .vgpr_spill_count: 0
    .wavefront_size: 64
  - .agpr_count:     0
    .args:
      - .offset:         0
        .size:           40
        .value_kind:     by_value
    .group_segment_fixed_size: 0
    .kernarg_segment_align: 8
    .kernarg_segment_size: 40
    .language:       OpenCL C
    .language_version:
      - 2
      - 0
    .max_flat_workgroup_size: 256
    .name:           _ZN7rocprim17ROCPRIM_400000_NS6detail17trampoline_kernelINS0_14default_configENS1_22reduce_config_selectorIsEEZNS1_11reduce_implILb1ES3_PsS7_sN6thrust23THRUST_200600_302600_NS4plusIsEEEE10hipError_tPvRmT1_T2_T3_mT4_P12ihipStream_tbEUlT_E1_NS1_11comp_targetILNS1_3genE2ELNS1_11target_archE906ELNS1_3gpuE6ELNS1_3repE0EEENS1_30default_config_static_selectorELNS0_4arch9wavefront6targetE1EEEvSF_
    .private_segment_fixed_size: 0
    .sgpr_count:     6
    .sgpr_spill_count: 0
    .symbol:         _ZN7rocprim17ROCPRIM_400000_NS6detail17trampoline_kernelINS0_14default_configENS1_22reduce_config_selectorIsEEZNS1_11reduce_implILb1ES3_PsS7_sN6thrust23THRUST_200600_302600_NS4plusIsEEEE10hipError_tPvRmT1_T2_T3_mT4_P12ihipStream_tbEUlT_E1_NS1_11comp_targetILNS1_3genE2ELNS1_11target_archE906ELNS1_3gpuE6ELNS1_3repE0EEENS1_30default_config_static_selectorELNS0_4arch9wavefront6targetE1EEEvSF_.kd
    .uniform_work_group_size: 1
    .uses_dynamic_stack: false
    .vgpr_count:     0
    .vgpr_spill_count: 0
    .wavefront_size: 64
  - .agpr_count:     0
    .args:
      - .offset:         0
        .size:           40
        .value_kind:     by_value
    .group_segment_fixed_size: 0
    .kernarg_segment_align: 8
    .kernarg_segment_size: 40
    .language:       OpenCL C
    .language_version:
      - 2
      - 0
    .max_flat_workgroup_size: 256
    .name:           _ZN7rocprim17ROCPRIM_400000_NS6detail17trampoline_kernelINS0_14default_configENS1_22reduce_config_selectorIsEEZNS1_11reduce_implILb1ES3_PsS7_sN6thrust23THRUST_200600_302600_NS4plusIsEEEE10hipError_tPvRmT1_T2_T3_mT4_P12ihipStream_tbEUlT_E1_NS1_11comp_targetILNS1_3genE10ELNS1_11target_archE1201ELNS1_3gpuE5ELNS1_3repE0EEENS1_30default_config_static_selectorELNS0_4arch9wavefront6targetE1EEEvSF_
    .private_segment_fixed_size: 0
    .sgpr_count:     6
    .sgpr_spill_count: 0
    .symbol:         _ZN7rocprim17ROCPRIM_400000_NS6detail17trampoline_kernelINS0_14default_configENS1_22reduce_config_selectorIsEEZNS1_11reduce_implILb1ES3_PsS7_sN6thrust23THRUST_200600_302600_NS4plusIsEEEE10hipError_tPvRmT1_T2_T3_mT4_P12ihipStream_tbEUlT_E1_NS1_11comp_targetILNS1_3genE10ELNS1_11target_archE1201ELNS1_3gpuE5ELNS1_3repE0EEENS1_30default_config_static_selectorELNS0_4arch9wavefront6targetE1EEEvSF_.kd
    .uniform_work_group_size: 1
    .uses_dynamic_stack: false
    .vgpr_count:     0
    .vgpr_spill_count: 0
    .wavefront_size: 64
  - .agpr_count:     0
    .args:
      - .offset:         0
        .size:           40
        .value_kind:     by_value
    .group_segment_fixed_size: 0
    .kernarg_segment_align: 8
    .kernarg_segment_size: 40
    .language:       OpenCL C
    .language_version:
      - 2
      - 0
    .max_flat_workgroup_size: 256
    .name:           _ZN7rocprim17ROCPRIM_400000_NS6detail17trampoline_kernelINS0_14default_configENS1_22reduce_config_selectorIsEEZNS1_11reduce_implILb1ES3_PsS7_sN6thrust23THRUST_200600_302600_NS4plusIsEEEE10hipError_tPvRmT1_T2_T3_mT4_P12ihipStream_tbEUlT_E1_NS1_11comp_targetILNS1_3genE10ELNS1_11target_archE1200ELNS1_3gpuE4ELNS1_3repE0EEENS1_30default_config_static_selectorELNS0_4arch9wavefront6targetE1EEEvSF_
    .private_segment_fixed_size: 0
    .sgpr_count:     6
    .sgpr_spill_count: 0
    .symbol:         _ZN7rocprim17ROCPRIM_400000_NS6detail17trampoline_kernelINS0_14default_configENS1_22reduce_config_selectorIsEEZNS1_11reduce_implILb1ES3_PsS7_sN6thrust23THRUST_200600_302600_NS4plusIsEEEE10hipError_tPvRmT1_T2_T3_mT4_P12ihipStream_tbEUlT_E1_NS1_11comp_targetILNS1_3genE10ELNS1_11target_archE1200ELNS1_3gpuE4ELNS1_3repE0EEENS1_30default_config_static_selectorELNS0_4arch9wavefront6targetE1EEEvSF_.kd
    .uniform_work_group_size: 1
    .uses_dynamic_stack: false
    .vgpr_count:     0
    .vgpr_spill_count: 0
    .wavefront_size: 64
  - .agpr_count:     0
    .args:
      - .offset:         0
        .size:           40
        .value_kind:     by_value
    .group_segment_fixed_size: 0
    .kernarg_segment_align: 8
    .kernarg_segment_size: 40
    .language:       OpenCL C
    .language_version:
      - 2
      - 0
    .max_flat_workgroup_size: 256
    .name:           _ZN7rocprim17ROCPRIM_400000_NS6detail17trampoline_kernelINS0_14default_configENS1_22reduce_config_selectorIsEEZNS1_11reduce_implILb1ES3_PsS7_sN6thrust23THRUST_200600_302600_NS4plusIsEEEE10hipError_tPvRmT1_T2_T3_mT4_P12ihipStream_tbEUlT_E1_NS1_11comp_targetILNS1_3genE9ELNS1_11target_archE1100ELNS1_3gpuE3ELNS1_3repE0EEENS1_30default_config_static_selectorELNS0_4arch9wavefront6targetE1EEEvSF_
    .private_segment_fixed_size: 0
    .sgpr_count:     6
    .sgpr_spill_count: 0
    .symbol:         _ZN7rocprim17ROCPRIM_400000_NS6detail17trampoline_kernelINS0_14default_configENS1_22reduce_config_selectorIsEEZNS1_11reduce_implILb1ES3_PsS7_sN6thrust23THRUST_200600_302600_NS4plusIsEEEE10hipError_tPvRmT1_T2_T3_mT4_P12ihipStream_tbEUlT_E1_NS1_11comp_targetILNS1_3genE9ELNS1_11target_archE1100ELNS1_3gpuE3ELNS1_3repE0EEENS1_30default_config_static_selectorELNS0_4arch9wavefront6targetE1EEEvSF_.kd
    .uniform_work_group_size: 1
    .uses_dynamic_stack: false
    .vgpr_count:     0
    .vgpr_spill_count: 0
    .wavefront_size: 64
  - .agpr_count:     0
    .args:
      - .offset:         0
        .size:           40
        .value_kind:     by_value
    .group_segment_fixed_size: 0
    .kernarg_segment_align: 8
    .kernarg_segment_size: 40
    .language:       OpenCL C
    .language_version:
      - 2
      - 0
    .max_flat_workgroup_size: 256
    .name:           _ZN7rocprim17ROCPRIM_400000_NS6detail17trampoline_kernelINS0_14default_configENS1_22reduce_config_selectorIsEEZNS1_11reduce_implILb1ES3_PsS7_sN6thrust23THRUST_200600_302600_NS4plusIsEEEE10hipError_tPvRmT1_T2_T3_mT4_P12ihipStream_tbEUlT_E1_NS1_11comp_targetILNS1_3genE8ELNS1_11target_archE1030ELNS1_3gpuE2ELNS1_3repE0EEENS1_30default_config_static_selectorELNS0_4arch9wavefront6targetE1EEEvSF_
    .private_segment_fixed_size: 0
    .sgpr_count:     6
    .sgpr_spill_count: 0
    .symbol:         _ZN7rocprim17ROCPRIM_400000_NS6detail17trampoline_kernelINS0_14default_configENS1_22reduce_config_selectorIsEEZNS1_11reduce_implILb1ES3_PsS7_sN6thrust23THRUST_200600_302600_NS4plusIsEEEE10hipError_tPvRmT1_T2_T3_mT4_P12ihipStream_tbEUlT_E1_NS1_11comp_targetILNS1_3genE8ELNS1_11target_archE1030ELNS1_3gpuE2ELNS1_3repE0EEENS1_30default_config_static_selectorELNS0_4arch9wavefront6targetE1EEEvSF_.kd
    .uniform_work_group_size: 1
    .uses_dynamic_stack: false
    .vgpr_count:     0
    .vgpr_spill_count: 0
    .wavefront_size: 64
  - .agpr_count:     0
    .args:
      - .offset:         0
        .size:           56
        .value_kind:     by_value
    .group_segment_fixed_size: 8
    .kernarg_segment_align: 8
    .kernarg_segment_size: 56
    .language:       OpenCL C
    .language_version:
      - 2
      - 0
    .max_flat_workgroup_size: 128
    .name:           _ZN7rocprim17ROCPRIM_400000_NS6detail17trampoline_kernelINS0_14default_configENS1_22reduce_config_selectorIsEEZNS1_11reduce_implILb1ES3_N6thrust23THRUST_200600_302600_NS6detail15normal_iteratorINS8_10device_ptrIsEEEEPssNS8_4plusIsEEEE10hipError_tPvRmT1_T2_T3_mT4_P12ihipStream_tbEUlT_E0_NS1_11comp_targetILNS1_3genE0ELNS1_11target_archE4294967295ELNS1_3gpuE0ELNS1_3repE0EEENS1_30default_config_static_selectorELNS0_4arch9wavefront6targetE1EEEvSK_
    .private_segment_fixed_size: 0
    .sgpr_count:     34
    .sgpr_spill_count: 0
    .symbol:         _ZN7rocprim17ROCPRIM_400000_NS6detail17trampoline_kernelINS0_14default_configENS1_22reduce_config_selectorIsEEZNS1_11reduce_implILb1ES3_N6thrust23THRUST_200600_302600_NS6detail15normal_iteratorINS8_10device_ptrIsEEEEPssNS8_4plusIsEEEE10hipError_tPvRmT1_T2_T3_mT4_P12ihipStream_tbEUlT_E0_NS1_11comp_targetILNS1_3genE0ELNS1_11target_archE4294967295ELNS1_3gpuE0ELNS1_3repE0EEENS1_30default_config_static_selectorELNS0_4arch9wavefront6targetE1EEEvSK_.kd
    .uniform_work_group_size: 1
    .uses_dynamic_stack: false
    .vgpr_count:     14
    .vgpr_spill_count: 0
    .wavefront_size: 64
  - .agpr_count:     0
    .args:
      - .offset:         0
        .size:           56
        .value_kind:     by_value
    .group_segment_fixed_size: 0
    .kernarg_segment_align: 8
    .kernarg_segment_size: 56
    .language:       OpenCL C
    .language_version:
      - 2
      - 0
    .max_flat_workgroup_size: 256
    .name:           _ZN7rocprim17ROCPRIM_400000_NS6detail17trampoline_kernelINS0_14default_configENS1_22reduce_config_selectorIsEEZNS1_11reduce_implILb1ES3_N6thrust23THRUST_200600_302600_NS6detail15normal_iteratorINS8_10device_ptrIsEEEEPssNS8_4plusIsEEEE10hipError_tPvRmT1_T2_T3_mT4_P12ihipStream_tbEUlT_E0_NS1_11comp_targetILNS1_3genE5ELNS1_11target_archE942ELNS1_3gpuE9ELNS1_3repE0EEENS1_30default_config_static_selectorELNS0_4arch9wavefront6targetE1EEEvSK_
    .private_segment_fixed_size: 0
    .sgpr_count:     6
    .sgpr_spill_count: 0
    .symbol:         _ZN7rocprim17ROCPRIM_400000_NS6detail17trampoline_kernelINS0_14default_configENS1_22reduce_config_selectorIsEEZNS1_11reduce_implILb1ES3_N6thrust23THRUST_200600_302600_NS6detail15normal_iteratorINS8_10device_ptrIsEEEEPssNS8_4plusIsEEEE10hipError_tPvRmT1_T2_T3_mT4_P12ihipStream_tbEUlT_E0_NS1_11comp_targetILNS1_3genE5ELNS1_11target_archE942ELNS1_3gpuE9ELNS1_3repE0EEENS1_30default_config_static_selectorELNS0_4arch9wavefront6targetE1EEEvSK_.kd
    .uniform_work_group_size: 1
    .uses_dynamic_stack: false
    .vgpr_count:     0
    .vgpr_spill_count: 0
    .wavefront_size: 64
  - .agpr_count:     0
    .args:
      - .offset:         0
        .size:           56
        .value_kind:     by_value
    .group_segment_fixed_size: 0
    .kernarg_segment_align: 8
    .kernarg_segment_size: 56
    .language:       OpenCL C
    .language_version:
      - 2
      - 0
    .max_flat_workgroup_size: 64
    .name:           _ZN7rocprim17ROCPRIM_400000_NS6detail17trampoline_kernelINS0_14default_configENS1_22reduce_config_selectorIsEEZNS1_11reduce_implILb1ES3_N6thrust23THRUST_200600_302600_NS6detail15normal_iteratorINS8_10device_ptrIsEEEEPssNS8_4plusIsEEEE10hipError_tPvRmT1_T2_T3_mT4_P12ihipStream_tbEUlT_E0_NS1_11comp_targetILNS1_3genE4ELNS1_11target_archE910ELNS1_3gpuE8ELNS1_3repE0EEENS1_30default_config_static_selectorELNS0_4arch9wavefront6targetE1EEEvSK_
    .private_segment_fixed_size: 0
    .sgpr_count:     6
    .sgpr_spill_count: 0
    .symbol:         _ZN7rocprim17ROCPRIM_400000_NS6detail17trampoline_kernelINS0_14default_configENS1_22reduce_config_selectorIsEEZNS1_11reduce_implILb1ES3_N6thrust23THRUST_200600_302600_NS6detail15normal_iteratorINS8_10device_ptrIsEEEEPssNS8_4plusIsEEEE10hipError_tPvRmT1_T2_T3_mT4_P12ihipStream_tbEUlT_E0_NS1_11comp_targetILNS1_3genE4ELNS1_11target_archE910ELNS1_3gpuE8ELNS1_3repE0EEENS1_30default_config_static_selectorELNS0_4arch9wavefront6targetE1EEEvSK_.kd
    .uniform_work_group_size: 1
    .uses_dynamic_stack: false
    .vgpr_count:     0
    .vgpr_spill_count: 0
    .wavefront_size: 64
  - .agpr_count:     0
    .args:
      - .offset:         0
        .size:           56
        .value_kind:     by_value
    .group_segment_fixed_size: 0
    .kernarg_segment_align: 8
    .kernarg_segment_size: 56
    .language:       OpenCL C
    .language_version:
      - 2
      - 0
    .max_flat_workgroup_size: 128
    .name:           _ZN7rocprim17ROCPRIM_400000_NS6detail17trampoline_kernelINS0_14default_configENS1_22reduce_config_selectorIsEEZNS1_11reduce_implILb1ES3_N6thrust23THRUST_200600_302600_NS6detail15normal_iteratorINS8_10device_ptrIsEEEEPssNS8_4plusIsEEEE10hipError_tPvRmT1_T2_T3_mT4_P12ihipStream_tbEUlT_E0_NS1_11comp_targetILNS1_3genE3ELNS1_11target_archE908ELNS1_3gpuE7ELNS1_3repE0EEENS1_30default_config_static_selectorELNS0_4arch9wavefront6targetE1EEEvSK_
    .private_segment_fixed_size: 0
    .sgpr_count:     6
    .sgpr_spill_count: 0
    .symbol:         _ZN7rocprim17ROCPRIM_400000_NS6detail17trampoline_kernelINS0_14default_configENS1_22reduce_config_selectorIsEEZNS1_11reduce_implILb1ES3_N6thrust23THRUST_200600_302600_NS6detail15normal_iteratorINS8_10device_ptrIsEEEEPssNS8_4plusIsEEEE10hipError_tPvRmT1_T2_T3_mT4_P12ihipStream_tbEUlT_E0_NS1_11comp_targetILNS1_3genE3ELNS1_11target_archE908ELNS1_3gpuE7ELNS1_3repE0EEENS1_30default_config_static_selectorELNS0_4arch9wavefront6targetE1EEEvSK_.kd
    .uniform_work_group_size: 1
    .uses_dynamic_stack: false
    .vgpr_count:     0
    .vgpr_spill_count: 0
    .wavefront_size: 64
  - .agpr_count:     0
    .args:
      - .offset:         0
        .size:           56
        .value_kind:     by_value
    .group_segment_fixed_size: 0
    .kernarg_segment_align: 8
    .kernarg_segment_size: 56
    .language:       OpenCL C
    .language_version:
      - 2
      - 0
    .max_flat_workgroup_size: 256
    .name:           _ZN7rocprim17ROCPRIM_400000_NS6detail17trampoline_kernelINS0_14default_configENS1_22reduce_config_selectorIsEEZNS1_11reduce_implILb1ES3_N6thrust23THRUST_200600_302600_NS6detail15normal_iteratorINS8_10device_ptrIsEEEEPssNS8_4plusIsEEEE10hipError_tPvRmT1_T2_T3_mT4_P12ihipStream_tbEUlT_E0_NS1_11comp_targetILNS1_3genE2ELNS1_11target_archE906ELNS1_3gpuE6ELNS1_3repE0EEENS1_30default_config_static_selectorELNS0_4arch9wavefront6targetE1EEEvSK_
    .private_segment_fixed_size: 0
    .sgpr_count:     6
    .sgpr_spill_count: 0
    .symbol:         _ZN7rocprim17ROCPRIM_400000_NS6detail17trampoline_kernelINS0_14default_configENS1_22reduce_config_selectorIsEEZNS1_11reduce_implILb1ES3_N6thrust23THRUST_200600_302600_NS6detail15normal_iteratorINS8_10device_ptrIsEEEEPssNS8_4plusIsEEEE10hipError_tPvRmT1_T2_T3_mT4_P12ihipStream_tbEUlT_E0_NS1_11comp_targetILNS1_3genE2ELNS1_11target_archE906ELNS1_3gpuE6ELNS1_3repE0EEENS1_30default_config_static_selectorELNS0_4arch9wavefront6targetE1EEEvSK_.kd
    .uniform_work_group_size: 1
    .uses_dynamic_stack: false
    .vgpr_count:     0
    .vgpr_spill_count: 0
    .wavefront_size: 64
  - .agpr_count:     0
    .args:
      - .offset:         0
        .size:           56
        .value_kind:     by_value
    .group_segment_fixed_size: 0
    .kernarg_segment_align: 8
    .kernarg_segment_size: 56
    .language:       OpenCL C
    .language_version:
      - 2
      - 0
    .max_flat_workgroup_size: 256
    .name:           _ZN7rocprim17ROCPRIM_400000_NS6detail17trampoline_kernelINS0_14default_configENS1_22reduce_config_selectorIsEEZNS1_11reduce_implILb1ES3_N6thrust23THRUST_200600_302600_NS6detail15normal_iteratorINS8_10device_ptrIsEEEEPssNS8_4plusIsEEEE10hipError_tPvRmT1_T2_T3_mT4_P12ihipStream_tbEUlT_E0_NS1_11comp_targetILNS1_3genE10ELNS1_11target_archE1201ELNS1_3gpuE5ELNS1_3repE0EEENS1_30default_config_static_selectorELNS0_4arch9wavefront6targetE1EEEvSK_
    .private_segment_fixed_size: 0
    .sgpr_count:     6
    .sgpr_spill_count: 0
    .symbol:         _ZN7rocprim17ROCPRIM_400000_NS6detail17trampoline_kernelINS0_14default_configENS1_22reduce_config_selectorIsEEZNS1_11reduce_implILb1ES3_N6thrust23THRUST_200600_302600_NS6detail15normal_iteratorINS8_10device_ptrIsEEEEPssNS8_4plusIsEEEE10hipError_tPvRmT1_T2_T3_mT4_P12ihipStream_tbEUlT_E0_NS1_11comp_targetILNS1_3genE10ELNS1_11target_archE1201ELNS1_3gpuE5ELNS1_3repE0EEENS1_30default_config_static_selectorELNS0_4arch9wavefront6targetE1EEEvSK_.kd
    .uniform_work_group_size: 1
    .uses_dynamic_stack: false
    .vgpr_count:     0
    .vgpr_spill_count: 0
    .wavefront_size: 64
  - .agpr_count:     0
    .args:
      - .offset:         0
        .size:           56
        .value_kind:     by_value
    .group_segment_fixed_size: 0
    .kernarg_segment_align: 8
    .kernarg_segment_size: 56
    .language:       OpenCL C
    .language_version:
      - 2
      - 0
    .max_flat_workgroup_size: 256
    .name:           _ZN7rocprim17ROCPRIM_400000_NS6detail17trampoline_kernelINS0_14default_configENS1_22reduce_config_selectorIsEEZNS1_11reduce_implILb1ES3_N6thrust23THRUST_200600_302600_NS6detail15normal_iteratorINS8_10device_ptrIsEEEEPssNS8_4plusIsEEEE10hipError_tPvRmT1_T2_T3_mT4_P12ihipStream_tbEUlT_E0_NS1_11comp_targetILNS1_3genE10ELNS1_11target_archE1200ELNS1_3gpuE4ELNS1_3repE0EEENS1_30default_config_static_selectorELNS0_4arch9wavefront6targetE1EEEvSK_
    .private_segment_fixed_size: 0
    .sgpr_count:     6
    .sgpr_spill_count: 0
    .symbol:         _ZN7rocprim17ROCPRIM_400000_NS6detail17trampoline_kernelINS0_14default_configENS1_22reduce_config_selectorIsEEZNS1_11reduce_implILb1ES3_N6thrust23THRUST_200600_302600_NS6detail15normal_iteratorINS8_10device_ptrIsEEEEPssNS8_4plusIsEEEE10hipError_tPvRmT1_T2_T3_mT4_P12ihipStream_tbEUlT_E0_NS1_11comp_targetILNS1_3genE10ELNS1_11target_archE1200ELNS1_3gpuE4ELNS1_3repE0EEENS1_30default_config_static_selectorELNS0_4arch9wavefront6targetE1EEEvSK_.kd
    .uniform_work_group_size: 1
    .uses_dynamic_stack: false
    .vgpr_count:     0
    .vgpr_spill_count: 0
    .wavefront_size: 64
  - .agpr_count:     0
    .args:
      - .offset:         0
        .size:           56
        .value_kind:     by_value
    .group_segment_fixed_size: 0
    .kernarg_segment_align: 8
    .kernarg_segment_size: 56
    .language:       OpenCL C
    .language_version:
      - 2
      - 0
    .max_flat_workgroup_size: 256
    .name:           _ZN7rocprim17ROCPRIM_400000_NS6detail17trampoline_kernelINS0_14default_configENS1_22reduce_config_selectorIsEEZNS1_11reduce_implILb1ES3_N6thrust23THRUST_200600_302600_NS6detail15normal_iteratorINS8_10device_ptrIsEEEEPssNS8_4plusIsEEEE10hipError_tPvRmT1_T2_T3_mT4_P12ihipStream_tbEUlT_E0_NS1_11comp_targetILNS1_3genE9ELNS1_11target_archE1100ELNS1_3gpuE3ELNS1_3repE0EEENS1_30default_config_static_selectorELNS0_4arch9wavefront6targetE1EEEvSK_
    .private_segment_fixed_size: 0
    .sgpr_count:     6
    .sgpr_spill_count: 0
    .symbol:         _ZN7rocprim17ROCPRIM_400000_NS6detail17trampoline_kernelINS0_14default_configENS1_22reduce_config_selectorIsEEZNS1_11reduce_implILb1ES3_N6thrust23THRUST_200600_302600_NS6detail15normal_iteratorINS8_10device_ptrIsEEEEPssNS8_4plusIsEEEE10hipError_tPvRmT1_T2_T3_mT4_P12ihipStream_tbEUlT_E0_NS1_11comp_targetILNS1_3genE9ELNS1_11target_archE1100ELNS1_3gpuE3ELNS1_3repE0EEENS1_30default_config_static_selectorELNS0_4arch9wavefront6targetE1EEEvSK_.kd
    .uniform_work_group_size: 1
    .uses_dynamic_stack: false
    .vgpr_count:     0
    .vgpr_spill_count: 0
    .wavefront_size: 64
  - .agpr_count:     0
    .args:
      - .offset:         0
        .size:           56
        .value_kind:     by_value
    .group_segment_fixed_size: 0
    .kernarg_segment_align: 8
    .kernarg_segment_size: 56
    .language:       OpenCL C
    .language_version:
      - 2
      - 0
    .max_flat_workgroup_size: 256
    .name:           _ZN7rocprim17ROCPRIM_400000_NS6detail17trampoline_kernelINS0_14default_configENS1_22reduce_config_selectorIsEEZNS1_11reduce_implILb1ES3_N6thrust23THRUST_200600_302600_NS6detail15normal_iteratorINS8_10device_ptrIsEEEEPssNS8_4plusIsEEEE10hipError_tPvRmT1_T2_T3_mT4_P12ihipStream_tbEUlT_E0_NS1_11comp_targetILNS1_3genE8ELNS1_11target_archE1030ELNS1_3gpuE2ELNS1_3repE0EEENS1_30default_config_static_selectorELNS0_4arch9wavefront6targetE1EEEvSK_
    .private_segment_fixed_size: 0
    .sgpr_count:     6
    .sgpr_spill_count: 0
    .symbol:         _ZN7rocprim17ROCPRIM_400000_NS6detail17trampoline_kernelINS0_14default_configENS1_22reduce_config_selectorIsEEZNS1_11reduce_implILb1ES3_N6thrust23THRUST_200600_302600_NS6detail15normal_iteratorINS8_10device_ptrIsEEEEPssNS8_4plusIsEEEE10hipError_tPvRmT1_T2_T3_mT4_P12ihipStream_tbEUlT_E0_NS1_11comp_targetILNS1_3genE8ELNS1_11target_archE1030ELNS1_3gpuE2ELNS1_3repE0EEENS1_30default_config_static_selectorELNS0_4arch9wavefront6targetE1EEEvSK_.kd
    .uniform_work_group_size: 1
    .uses_dynamic_stack: false
    .vgpr_count:     0
    .vgpr_spill_count: 0
    .wavefront_size: 64
  - .agpr_count:     0
    .args:
      - .offset:         0
        .size:           40
        .value_kind:     by_value
    .group_segment_fixed_size: 32
    .kernarg_segment_align: 8
    .kernarg_segment_size: 40
    .language:       OpenCL C
    .language_version:
      - 2
      - 0
    .max_flat_workgroup_size: 128
    .name:           _ZN7rocprim17ROCPRIM_400000_NS6detail17trampoline_kernelINS0_14default_configENS1_22reduce_config_selectorIsEEZNS1_11reduce_implILb1ES3_N6thrust23THRUST_200600_302600_NS6detail15normal_iteratorINS8_10device_ptrIsEEEEPssNS8_4plusIsEEEE10hipError_tPvRmT1_T2_T3_mT4_P12ihipStream_tbEUlT_E1_NS1_11comp_targetILNS1_3genE0ELNS1_11target_archE4294967295ELNS1_3gpuE0ELNS1_3repE0EEENS1_30default_config_static_selectorELNS0_4arch9wavefront6targetE1EEEvSK_
    .private_segment_fixed_size: 0
    .sgpr_count:     106
    .sgpr_spill_count: 44
    .symbol:         _ZN7rocprim17ROCPRIM_400000_NS6detail17trampoline_kernelINS0_14default_configENS1_22reduce_config_selectorIsEEZNS1_11reduce_implILb1ES3_N6thrust23THRUST_200600_302600_NS6detail15normal_iteratorINS8_10device_ptrIsEEEEPssNS8_4plusIsEEEE10hipError_tPvRmT1_T2_T3_mT4_P12ihipStream_tbEUlT_E1_NS1_11comp_targetILNS1_3genE0ELNS1_11target_archE4294967295ELNS1_3gpuE0ELNS1_3repE0EEENS1_30default_config_static_selectorELNS0_4arch9wavefront6targetE1EEEvSK_.kd
    .uniform_work_group_size: 1
    .uses_dynamic_stack: false
    .vgpr_count:     67
    .vgpr_spill_count: 0
    .wavefront_size: 64
  - .agpr_count:     0
    .args:
      - .offset:         0
        .size:           40
        .value_kind:     by_value
    .group_segment_fixed_size: 0
    .kernarg_segment_align: 8
    .kernarg_segment_size: 40
    .language:       OpenCL C
    .language_version:
      - 2
      - 0
    .max_flat_workgroup_size: 256
    .name:           _ZN7rocprim17ROCPRIM_400000_NS6detail17trampoline_kernelINS0_14default_configENS1_22reduce_config_selectorIsEEZNS1_11reduce_implILb1ES3_N6thrust23THRUST_200600_302600_NS6detail15normal_iteratorINS8_10device_ptrIsEEEEPssNS8_4plusIsEEEE10hipError_tPvRmT1_T2_T3_mT4_P12ihipStream_tbEUlT_E1_NS1_11comp_targetILNS1_3genE5ELNS1_11target_archE942ELNS1_3gpuE9ELNS1_3repE0EEENS1_30default_config_static_selectorELNS0_4arch9wavefront6targetE1EEEvSK_
    .private_segment_fixed_size: 0
    .sgpr_count:     6
    .sgpr_spill_count: 0
    .symbol:         _ZN7rocprim17ROCPRIM_400000_NS6detail17trampoline_kernelINS0_14default_configENS1_22reduce_config_selectorIsEEZNS1_11reduce_implILb1ES3_N6thrust23THRUST_200600_302600_NS6detail15normal_iteratorINS8_10device_ptrIsEEEEPssNS8_4plusIsEEEE10hipError_tPvRmT1_T2_T3_mT4_P12ihipStream_tbEUlT_E1_NS1_11comp_targetILNS1_3genE5ELNS1_11target_archE942ELNS1_3gpuE9ELNS1_3repE0EEENS1_30default_config_static_selectorELNS0_4arch9wavefront6targetE1EEEvSK_.kd
    .uniform_work_group_size: 1
    .uses_dynamic_stack: false
    .vgpr_count:     0
    .vgpr_spill_count: 0
    .wavefront_size: 64
  - .agpr_count:     0
    .args:
      - .offset:         0
        .size:           40
        .value_kind:     by_value
    .group_segment_fixed_size: 0
    .kernarg_segment_align: 8
    .kernarg_segment_size: 40
    .language:       OpenCL C
    .language_version:
      - 2
      - 0
    .max_flat_workgroup_size: 64
    .name:           _ZN7rocprim17ROCPRIM_400000_NS6detail17trampoline_kernelINS0_14default_configENS1_22reduce_config_selectorIsEEZNS1_11reduce_implILb1ES3_N6thrust23THRUST_200600_302600_NS6detail15normal_iteratorINS8_10device_ptrIsEEEEPssNS8_4plusIsEEEE10hipError_tPvRmT1_T2_T3_mT4_P12ihipStream_tbEUlT_E1_NS1_11comp_targetILNS1_3genE4ELNS1_11target_archE910ELNS1_3gpuE8ELNS1_3repE0EEENS1_30default_config_static_selectorELNS0_4arch9wavefront6targetE1EEEvSK_
    .private_segment_fixed_size: 0
    .sgpr_count:     6
    .sgpr_spill_count: 0
    .symbol:         _ZN7rocprim17ROCPRIM_400000_NS6detail17trampoline_kernelINS0_14default_configENS1_22reduce_config_selectorIsEEZNS1_11reduce_implILb1ES3_N6thrust23THRUST_200600_302600_NS6detail15normal_iteratorINS8_10device_ptrIsEEEEPssNS8_4plusIsEEEE10hipError_tPvRmT1_T2_T3_mT4_P12ihipStream_tbEUlT_E1_NS1_11comp_targetILNS1_3genE4ELNS1_11target_archE910ELNS1_3gpuE8ELNS1_3repE0EEENS1_30default_config_static_selectorELNS0_4arch9wavefront6targetE1EEEvSK_.kd
    .uniform_work_group_size: 1
    .uses_dynamic_stack: false
    .vgpr_count:     0
    .vgpr_spill_count: 0
    .wavefront_size: 64
  - .agpr_count:     0
    .args:
      - .offset:         0
        .size:           40
        .value_kind:     by_value
    .group_segment_fixed_size: 0
    .kernarg_segment_align: 8
    .kernarg_segment_size: 40
    .language:       OpenCL C
    .language_version:
      - 2
      - 0
    .max_flat_workgroup_size: 128
    .name:           _ZN7rocprim17ROCPRIM_400000_NS6detail17trampoline_kernelINS0_14default_configENS1_22reduce_config_selectorIsEEZNS1_11reduce_implILb1ES3_N6thrust23THRUST_200600_302600_NS6detail15normal_iteratorINS8_10device_ptrIsEEEEPssNS8_4plusIsEEEE10hipError_tPvRmT1_T2_T3_mT4_P12ihipStream_tbEUlT_E1_NS1_11comp_targetILNS1_3genE3ELNS1_11target_archE908ELNS1_3gpuE7ELNS1_3repE0EEENS1_30default_config_static_selectorELNS0_4arch9wavefront6targetE1EEEvSK_
    .private_segment_fixed_size: 0
    .sgpr_count:     6
    .sgpr_spill_count: 0
    .symbol:         _ZN7rocprim17ROCPRIM_400000_NS6detail17trampoline_kernelINS0_14default_configENS1_22reduce_config_selectorIsEEZNS1_11reduce_implILb1ES3_N6thrust23THRUST_200600_302600_NS6detail15normal_iteratorINS8_10device_ptrIsEEEEPssNS8_4plusIsEEEE10hipError_tPvRmT1_T2_T3_mT4_P12ihipStream_tbEUlT_E1_NS1_11comp_targetILNS1_3genE3ELNS1_11target_archE908ELNS1_3gpuE7ELNS1_3repE0EEENS1_30default_config_static_selectorELNS0_4arch9wavefront6targetE1EEEvSK_.kd
    .uniform_work_group_size: 1
    .uses_dynamic_stack: false
    .vgpr_count:     0
    .vgpr_spill_count: 0
    .wavefront_size: 64
  - .agpr_count:     0
    .args:
      - .offset:         0
        .size:           40
        .value_kind:     by_value
    .group_segment_fixed_size: 0
    .kernarg_segment_align: 8
    .kernarg_segment_size: 40
    .language:       OpenCL C
    .language_version:
      - 2
      - 0
    .max_flat_workgroup_size: 256
    .name:           _ZN7rocprim17ROCPRIM_400000_NS6detail17trampoline_kernelINS0_14default_configENS1_22reduce_config_selectorIsEEZNS1_11reduce_implILb1ES3_N6thrust23THRUST_200600_302600_NS6detail15normal_iteratorINS8_10device_ptrIsEEEEPssNS8_4plusIsEEEE10hipError_tPvRmT1_T2_T3_mT4_P12ihipStream_tbEUlT_E1_NS1_11comp_targetILNS1_3genE2ELNS1_11target_archE906ELNS1_3gpuE6ELNS1_3repE0EEENS1_30default_config_static_selectorELNS0_4arch9wavefront6targetE1EEEvSK_
    .private_segment_fixed_size: 0
    .sgpr_count:     6
    .sgpr_spill_count: 0
    .symbol:         _ZN7rocprim17ROCPRIM_400000_NS6detail17trampoline_kernelINS0_14default_configENS1_22reduce_config_selectorIsEEZNS1_11reduce_implILb1ES3_N6thrust23THRUST_200600_302600_NS6detail15normal_iteratorINS8_10device_ptrIsEEEEPssNS8_4plusIsEEEE10hipError_tPvRmT1_T2_T3_mT4_P12ihipStream_tbEUlT_E1_NS1_11comp_targetILNS1_3genE2ELNS1_11target_archE906ELNS1_3gpuE6ELNS1_3repE0EEENS1_30default_config_static_selectorELNS0_4arch9wavefront6targetE1EEEvSK_.kd
    .uniform_work_group_size: 1
    .uses_dynamic_stack: false
    .vgpr_count:     0
    .vgpr_spill_count: 0
    .wavefront_size: 64
  - .agpr_count:     0
    .args:
      - .offset:         0
        .size:           40
        .value_kind:     by_value
    .group_segment_fixed_size: 0
    .kernarg_segment_align: 8
    .kernarg_segment_size: 40
    .language:       OpenCL C
    .language_version:
      - 2
      - 0
    .max_flat_workgroup_size: 256
    .name:           _ZN7rocprim17ROCPRIM_400000_NS6detail17trampoline_kernelINS0_14default_configENS1_22reduce_config_selectorIsEEZNS1_11reduce_implILb1ES3_N6thrust23THRUST_200600_302600_NS6detail15normal_iteratorINS8_10device_ptrIsEEEEPssNS8_4plusIsEEEE10hipError_tPvRmT1_T2_T3_mT4_P12ihipStream_tbEUlT_E1_NS1_11comp_targetILNS1_3genE10ELNS1_11target_archE1201ELNS1_3gpuE5ELNS1_3repE0EEENS1_30default_config_static_selectorELNS0_4arch9wavefront6targetE1EEEvSK_
    .private_segment_fixed_size: 0
    .sgpr_count:     6
    .sgpr_spill_count: 0
    .symbol:         _ZN7rocprim17ROCPRIM_400000_NS6detail17trampoline_kernelINS0_14default_configENS1_22reduce_config_selectorIsEEZNS1_11reduce_implILb1ES3_N6thrust23THRUST_200600_302600_NS6detail15normal_iteratorINS8_10device_ptrIsEEEEPssNS8_4plusIsEEEE10hipError_tPvRmT1_T2_T3_mT4_P12ihipStream_tbEUlT_E1_NS1_11comp_targetILNS1_3genE10ELNS1_11target_archE1201ELNS1_3gpuE5ELNS1_3repE0EEENS1_30default_config_static_selectorELNS0_4arch9wavefront6targetE1EEEvSK_.kd
    .uniform_work_group_size: 1
    .uses_dynamic_stack: false
    .vgpr_count:     0
    .vgpr_spill_count: 0
    .wavefront_size: 64
  - .agpr_count:     0
    .args:
      - .offset:         0
        .size:           40
        .value_kind:     by_value
    .group_segment_fixed_size: 0
    .kernarg_segment_align: 8
    .kernarg_segment_size: 40
    .language:       OpenCL C
    .language_version:
      - 2
      - 0
    .max_flat_workgroup_size: 256
    .name:           _ZN7rocprim17ROCPRIM_400000_NS6detail17trampoline_kernelINS0_14default_configENS1_22reduce_config_selectorIsEEZNS1_11reduce_implILb1ES3_N6thrust23THRUST_200600_302600_NS6detail15normal_iteratorINS8_10device_ptrIsEEEEPssNS8_4plusIsEEEE10hipError_tPvRmT1_T2_T3_mT4_P12ihipStream_tbEUlT_E1_NS1_11comp_targetILNS1_3genE10ELNS1_11target_archE1200ELNS1_3gpuE4ELNS1_3repE0EEENS1_30default_config_static_selectorELNS0_4arch9wavefront6targetE1EEEvSK_
    .private_segment_fixed_size: 0
    .sgpr_count:     6
    .sgpr_spill_count: 0
    .symbol:         _ZN7rocprim17ROCPRIM_400000_NS6detail17trampoline_kernelINS0_14default_configENS1_22reduce_config_selectorIsEEZNS1_11reduce_implILb1ES3_N6thrust23THRUST_200600_302600_NS6detail15normal_iteratorINS8_10device_ptrIsEEEEPssNS8_4plusIsEEEE10hipError_tPvRmT1_T2_T3_mT4_P12ihipStream_tbEUlT_E1_NS1_11comp_targetILNS1_3genE10ELNS1_11target_archE1200ELNS1_3gpuE4ELNS1_3repE0EEENS1_30default_config_static_selectorELNS0_4arch9wavefront6targetE1EEEvSK_.kd
    .uniform_work_group_size: 1
    .uses_dynamic_stack: false
    .vgpr_count:     0
    .vgpr_spill_count: 0
    .wavefront_size: 64
  - .agpr_count:     0
    .args:
      - .offset:         0
        .size:           40
        .value_kind:     by_value
    .group_segment_fixed_size: 0
    .kernarg_segment_align: 8
    .kernarg_segment_size: 40
    .language:       OpenCL C
    .language_version:
      - 2
      - 0
    .max_flat_workgroup_size: 256
    .name:           _ZN7rocprim17ROCPRIM_400000_NS6detail17trampoline_kernelINS0_14default_configENS1_22reduce_config_selectorIsEEZNS1_11reduce_implILb1ES3_N6thrust23THRUST_200600_302600_NS6detail15normal_iteratorINS8_10device_ptrIsEEEEPssNS8_4plusIsEEEE10hipError_tPvRmT1_T2_T3_mT4_P12ihipStream_tbEUlT_E1_NS1_11comp_targetILNS1_3genE9ELNS1_11target_archE1100ELNS1_3gpuE3ELNS1_3repE0EEENS1_30default_config_static_selectorELNS0_4arch9wavefront6targetE1EEEvSK_
    .private_segment_fixed_size: 0
    .sgpr_count:     6
    .sgpr_spill_count: 0
    .symbol:         _ZN7rocprim17ROCPRIM_400000_NS6detail17trampoline_kernelINS0_14default_configENS1_22reduce_config_selectorIsEEZNS1_11reduce_implILb1ES3_N6thrust23THRUST_200600_302600_NS6detail15normal_iteratorINS8_10device_ptrIsEEEEPssNS8_4plusIsEEEE10hipError_tPvRmT1_T2_T3_mT4_P12ihipStream_tbEUlT_E1_NS1_11comp_targetILNS1_3genE9ELNS1_11target_archE1100ELNS1_3gpuE3ELNS1_3repE0EEENS1_30default_config_static_selectorELNS0_4arch9wavefront6targetE1EEEvSK_.kd
    .uniform_work_group_size: 1
    .uses_dynamic_stack: false
    .vgpr_count:     0
    .vgpr_spill_count: 0
    .wavefront_size: 64
  - .agpr_count:     0
    .args:
      - .offset:         0
        .size:           40
        .value_kind:     by_value
    .group_segment_fixed_size: 0
    .kernarg_segment_align: 8
    .kernarg_segment_size: 40
    .language:       OpenCL C
    .language_version:
      - 2
      - 0
    .max_flat_workgroup_size: 256
    .name:           _ZN7rocprim17ROCPRIM_400000_NS6detail17trampoline_kernelINS0_14default_configENS1_22reduce_config_selectorIsEEZNS1_11reduce_implILb1ES3_N6thrust23THRUST_200600_302600_NS6detail15normal_iteratorINS8_10device_ptrIsEEEEPssNS8_4plusIsEEEE10hipError_tPvRmT1_T2_T3_mT4_P12ihipStream_tbEUlT_E1_NS1_11comp_targetILNS1_3genE8ELNS1_11target_archE1030ELNS1_3gpuE2ELNS1_3repE0EEENS1_30default_config_static_selectorELNS0_4arch9wavefront6targetE1EEEvSK_
    .private_segment_fixed_size: 0
    .sgpr_count:     6
    .sgpr_spill_count: 0
    .symbol:         _ZN7rocprim17ROCPRIM_400000_NS6detail17trampoline_kernelINS0_14default_configENS1_22reduce_config_selectorIsEEZNS1_11reduce_implILb1ES3_N6thrust23THRUST_200600_302600_NS6detail15normal_iteratorINS8_10device_ptrIsEEEEPssNS8_4plusIsEEEE10hipError_tPvRmT1_T2_T3_mT4_P12ihipStream_tbEUlT_E1_NS1_11comp_targetILNS1_3genE8ELNS1_11target_archE1030ELNS1_3gpuE2ELNS1_3repE0EEENS1_30default_config_static_selectorELNS0_4arch9wavefront6targetE1EEEvSK_.kd
    .uniform_work_group_size: 1
    .uses_dynamic_stack: false
    .vgpr_count:     0
    .vgpr_spill_count: 0
    .wavefront_size: 64
  - .agpr_count:     0
    .args:
      - .offset:         0
        .size:           56
        .value_kind:     by_value
    .group_segment_fixed_size: 32
    .kernarg_segment_align: 8
    .kernarg_segment_size: 56
    .language:       OpenCL C
    .language_version:
      - 2
      - 0
    .max_flat_workgroup_size: 256
    .name:           _ZN7rocprim17ROCPRIM_400000_NS6detail17trampoline_kernelINS0_14default_configENS1_22reduce_config_selectorIdEEZNS1_11reduce_implILb1ES3_N6thrust23THRUST_200600_302600_NS6detail15normal_iteratorINS8_10device_ptrIdEEEEPiiNS8_4plusIiEEEE10hipError_tPvRmT1_T2_T3_mT4_P12ihipStream_tbEUlT_E0_NS1_11comp_targetILNS1_3genE0ELNS1_11target_archE4294967295ELNS1_3gpuE0ELNS1_3repE0EEENS1_30default_config_static_selectorELNS0_4arch9wavefront6targetE1EEEvSK_
    .private_segment_fixed_size: 0
    .sgpr_count:     54
    .sgpr_spill_count: 0
    .symbol:         _ZN7rocprim17ROCPRIM_400000_NS6detail17trampoline_kernelINS0_14default_configENS1_22reduce_config_selectorIdEEZNS1_11reduce_implILb1ES3_N6thrust23THRUST_200600_302600_NS6detail15normal_iteratorINS8_10device_ptrIdEEEEPiiNS8_4plusIiEEEE10hipError_tPvRmT1_T2_T3_mT4_P12ihipStream_tbEUlT_E0_NS1_11comp_targetILNS1_3genE0ELNS1_11target_archE4294967295ELNS1_3gpuE0ELNS1_3repE0EEENS1_30default_config_static_selectorELNS0_4arch9wavefront6targetE1EEEvSK_.kd
    .uniform_work_group_size: 1
    .uses_dynamic_stack: false
    .vgpr_count:     40
    .vgpr_spill_count: 0
    .wavefront_size: 64
  - .agpr_count:     0
    .args:
      - .offset:         0
        .size:           56
        .value_kind:     by_value
    .group_segment_fixed_size: 0
    .kernarg_segment_align: 8
    .kernarg_segment_size: 56
    .language:       OpenCL C
    .language_version:
      - 2
      - 0
    .max_flat_workgroup_size: 256
    .name:           _ZN7rocprim17ROCPRIM_400000_NS6detail17trampoline_kernelINS0_14default_configENS1_22reduce_config_selectorIdEEZNS1_11reduce_implILb1ES3_N6thrust23THRUST_200600_302600_NS6detail15normal_iteratorINS8_10device_ptrIdEEEEPiiNS8_4plusIiEEEE10hipError_tPvRmT1_T2_T3_mT4_P12ihipStream_tbEUlT_E0_NS1_11comp_targetILNS1_3genE5ELNS1_11target_archE942ELNS1_3gpuE9ELNS1_3repE0EEENS1_30default_config_static_selectorELNS0_4arch9wavefront6targetE1EEEvSK_
    .private_segment_fixed_size: 0
    .sgpr_count:     6
    .sgpr_spill_count: 0
    .symbol:         _ZN7rocprim17ROCPRIM_400000_NS6detail17trampoline_kernelINS0_14default_configENS1_22reduce_config_selectorIdEEZNS1_11reduce_implILb1ES3_N6thrust23THRUST_200600_302600_NS6detail15normal_iteratorINS8_10device_ptrIdEEEEPiiNS8_4plusIiEEEE10hipError_tPvRmT1_T2_T3_mT4_P12ihipStream_tbEUlT_E0_NS1_11comp_targetILNS1_3genE5ELNS1_11target_archE942ELNS1_3gpuE9ELNS1_3repE0EEENS1_30default_config_static_selectorELNS0_4arch9wavefront6targetE1EEEvSK_.kd
    .uniform_work_group_size: 1
    .uses_dynamic_stack: false
    .vgpr_count:     0
    .vgpr_spill_count: 0
    .wavefront_size: 64
  - .agpr_count:     0
    .args:
      - .offset:         0
        .size:           56
        .value_kind:     by_value
    .group_segment_fixed_size: 0
    .kernarg_segment_align: 8
    .kernarg_segment_size: 56
    .language:       OpenCL C
    .language_version:
      - 2
      - 0
    .max_flat_workgroup_size: 256
    .name:           _ZN7rocprim17ROCPRIM_400000_NS6detail17trampoline_kernelINS0_14default_configENS1_22reduce_config_selectorIdEEZNS1_11reduce_implILb1ES3_N6thrust23THRUST_200600_302600_NS6detail15normal_iteratorINS8_10device_ptrIdEEEEPiiNS8_4plusIiEEEE10hipError_tPvRmT1_T2_T3_mT4_P12ihipStream_tbEUlT_E0_NS1_11comp_targetILNS1_3genE4ELNS1_11target_archE910ELNS1_3gpuE8ELNS1_3repE0EEENS1_30default_config_static_selectorELNS0_4arch9wavefront6targetE1EEEvSK_
    .private_segment_fixed_size: 0
    .sgpr_count:     6
    .sgpr_spill_count: 0
    .symbol:         _ZN7rocprim17ROCPRIM_400000_NS6detail17trampoline_kernelINS0_14default_configENS1_22reduce_config_selectorIdEEZNS1_11reduce_implILb1ES3_N6thrust23THRUST_200600_302600_NS6detail15normal_iteratorINS8_10device_ptrIdEEEEPiiNS8_4plusIiEEEE10hipError_tPvRmT1_T2_T3_mT4_P12ihipStream_tbEUlT_E0_NS1_11comp_targetILNS1_3genE4ELNS1_11target_archE910ELNS1_3gpuE8ELNS1_3repE0EEENS1_30default_config_static_selectorELNS0_4arch9wavefront6targetE1EEEvSK_.kd
    .uniform_work_group_size: 1
    .uses_dynamic_stack: false
    .vgpr_count:     0
    .vgpr_spill_count: 0
    .wavefront_size: 64
  - .agpr_count:     0
    .args:
      - .offset:         0
        .size:           56
        .value_kind:     by_value
    .group_segment_fixed_size: 0
    .kernarg_segment_align: 8
    .kernarg_segment_size: 56
    .language:       OpenCL C
    .language_version:
      - 2
      - 0
    .max_flat_workgroup_size: 256
    .name:           _ZN7rocprim17ROCPRIM_400000_NS6detail17trampoline_kernelINS0_14default_configENS1_22reduce_config_selectorIdEEZNS1_11reduce_implILb1ES3_N6thrust23THRUST_200600_302600_NS6detail15normal_iteratorINS8_10device_ptrIdEEEEPiiNS8_4plusIiEEEE10hipError_tPvRmT1_T2_T3_mT4_P12ihipStream_tbEUlT_E0_NS1_11comp_targetILNS1_3genE3ELNS1_11target_archE908ELNS1_3gpuE7ELNS1_3repE0EEENS1_30default_config_static_selectorELNS0_4arch9wavefront6targetE1EEEvSK_
    .private_segment_fixed_size: 0
    .sgpr_count:     6
    .sgpr_spill_count: 0
    .symbol:         _ZN7rocprim17ROCPRIM_400000_NS6detail17trampoline_kernelINS0_14default_configENS1_22reduce_config_selectorIdEEZNS1_11reduce_implILb1ES3_N6thrust23THRUST_200600_302600_NS6detail15normal_iteratorINS8_10device_ptrIdEEEEPiiNS8_4plusIiEEEE10hipError_tPvRmT1_T2_T3_mT4_P12ihipStream_tbEUlT_E0_NS1_11comp_targetILNS1_3genE3ELNS1_11target_archE908ELNS1_3gpuE7ELNS1_3repE0EEENS1_30default_config_static_selectorELNS0_4arch9wavefront6targetE1EEEvSK_.kd
    .uniform_work_group_size: 1
    .uses_dynamic_stack: false
    .vgpr_count:     0
    .vgpr_spill_count: 0
    .wavefront_size: 64
  - .agpr_count:     0
    .args:
      - .offset:         0
        .size:           56
        .value_kind:     by_value
    .group_segment_fixed_size: 0
    .kernarg_segment_align: 8
    .kernarg_segment_size: 56
    .language:       OpenCL C
    .language_version:
      - 2
      - 0
    .max_flat_workgroup_size: 128
    .name:           _ZN7rocprim17ROCPRIM_400000_NS6detail17trampoline_kernelINS0_14default_configENS1_22reduce_config_selectorIdEEZNS1_11reduce_implILb1ES3_N6thrust23THRUST_200600_302600_NS6detail15normal_iteratorINS8_10device_ptrIdEEEEPiiNS8_4plusIiEEEE10hipError_tPvRmT1_T2_T3_mT4_P12ihipStream_tbEUlT_E0_NS1_11comp_targetILNS1_3genE2ELNS1_11target_archE906ELNS1_3gpuE6ELNS1_3repE0EEENS1_30default_config_static_selectorELNS0_4arch9wavefront6targetE1EEEvSK_
    .private_segment_fixed_size: 0
    .sgpr_count:     6
    .sgpr_spill_count: 0
    .symbol:         _ZN7rocprim17ROCPRIM_400000_NS6detail17trampoline_kernelINS0_14default_configENS1_22reduce_config_selectorIdEEZNS1_11reduce_implILb1ES3_N6thrust23THRUST_200600_302600_NS6detail15normal_iteratorINS8_10device_ptrIdEEEEPiiNS8_4plusIiEEEE10hipError_tPvRmT1_T2_T3_mT4_P12ihipStream_tbEUlT_E0_NS1_11comp_targetILNS1_3genE2ELNS1_11target_archE906ELNS1_3gpuE6ELNS1_3repE0EEENS1_30default_config_static_selectorELNS0_4arch9wavefront6targetE1EEEvSK_.kd
    .uniform_work_group_size: 1
    .uses_dynamic_stack: false
    .vgpr_count:     0
    .vgpr_spill_count: 0
    .wavefront_size: 64
  - .agpr_count:     0
    .args:
      - .offset:         0
        .size:           56
        .value_kind:     by_value
    .group_segment_fixed_size: 0
    .kernarg_segment_align: 8
    .kernarg_segment_size: 56
    .language:       OpenCL C
    .language_version:
      - 2
      - 0
    .max_flat_workgroup_size: 256
    .name:           _ZN7rocprim17ROCPRIM_400000_NS6detail17trampoline_kernelINS0_14default_configENS1_22reduce_config_selectorIdEEZNS1_11reduce_implILb1ES3_N6thrust23THRUST_200600_302600_NS6detail15normal_iteratorINS8_10device_ptrIdEEEEPiiNS8_4plusIiEEEE10hipError_tPvRmT1_T2_T3_mT4_P12ihipStream_tbEUlT_E0_NS1_11comp_targetILNS1_3genE10ELNS1_11target_archE1201ELNS1_3gpuE5ELNS1_3repE0EEENS1_30default_config_static_selectorELNS0_4arch9wavefront6targetE1EEEvSK_
    .private_segment_fixed_size: 0
    .sgpr_count:     6
    .sgpr_spill_count: 0
    .symbol:         _ZN7rocprim17ROCPRIM_400000_NS6detail17trampoline_kernelINS0_14default_configENS1_22reduce_config_selectorIdEEZNS1_11reduce_implILb1ES3_N6thrust23THRUST_200600_302600_NS6detail15normal_iteratorINS8_10device_ptrIdEEEEPiiNS8_4plusIiEEEE10hipError_tPvRmT1_T2_T3_mT4_P12ihipStream_tbEUlT_E0_NS1_11comp_targetILNS1_3genE10ELNS1_11target_archE1201ELNS1_3gpuE5ELNS1_3repE0EEENS1_30default_config_static_selectorELNS0_4arch9wavefront6targetE1EEEvSK_.kd
    .uniform_work_group_size: 1
    .uses_dynamic_stack: false
    .vgpr_count:     0
    .vgpr_spill_count: 0
    .wavefront_size: 64
  - .agpr_count:     0
    .args:
      - .offset:         0
        .size:           56
        .value_kind:     by_value
    .group_segment_fixed_size: 0
    .kernarg_segment_align: 8
    .kernarg_segment_size: 56
    .language:       OpenCL C
    .language_version:
      - 2
      - 0
    .max_flat_workgroup_size: 256
    .name:           _ZN7rocprim17ROCPRIM_400000_NS6detail17trampoline_kernelINS0_14default_configENS1_22reduce_config_selectorIdEEZNS1_11reduce_implILb1ES3_N6thrust23THRUST_200600_302600_NS6detail15normal_iteratorINS8_10device_ptrIdEEEEPiiNS8_4plusIiEEEE10hipError_tPvRmT1_T2_T3_mT4_P12ihipStream_tbEUlT_E0_NS1_11comp_targetILNS1_3genE10ELNS1_11target_archE1200ELNS1_3gpuE4ELNS1_3repE0EEENS1_30default_config_static_selectorELNS0_4arch9wavefront6targetE1EEEvSK_
    .private_segment_fixed_size: 0
    .sgpr_count:     6
    .sgpr_spill_count: 0
    .symbol:         _ZN7rocprim17ROCPRIM_400000_NS6detail17trampoline_kernelINS0_14default_configENS1_22reduce_config_selectorIdEEZNS1_11reduce_implILb1ES3_N6thrust23THRUST_200600_302600_NS6detail15normal_iteratorINS8_10device_ptrIdEEEEPiiNS8_4plusIiEEEE10hipError_tPvRmT1_T2_T3_mT4_P12ihipStream_tbEUlT_E0_NS1_11comp_targetILNS1_3genE10ELNS1_11target_archE1200ELNS1_3gpuE4ELNS1_3repE0EEENS1_30default_config_static_selectorELNS0_4arch9wavefront6targetE1EEEvSK_.kd
    .uniform_work_group_size: 1
    .uses_dynamic_stack: false
    .vgpr_count:     0
    .vgpr_spill_count: 0
    .wavefront_size: 64
  - .agpr_count:     0
    .args:
      - .offset:         0
        .size:           56
        .value_kind:     by_value
    .group_segment_fixed_size: 0
    .kernarg_segment_align: 8
    .kernarg_segment_size: 56
    .language:       OpenCL C
    .language_version:
      - 2
      - 0
    .max_flat_workgroup_size: 256
    .name:           _ZN7rocprim17ROCPRIM_400000_NS6detail17trampoline_kernelINS0_14default_configENS1_22reduce_config_selectorIdEEZNS1_11reduce_implILb1ES3_N6thrust23THRUST_200600_302600_NS6detail15normal_iteratorINS8_10device_ptrIdEEEEPiiNS8_4plusIiEEEE10hipError_tPvRmT1_T2_T3_mT4_P12ihipStream_tbEUlT_E0_NS1_11comp_targetILNS1_3genE9ELNS1_11target_archE1100ELNS1_3gpuE3ELNS1_3repE0EEENS1_30default_config_static_selectorELNS0_4arch9wavefront6targetE1EEEvSK_
    .private_segment_fixed_size: 0
    .sgpr_count:     6
    .sgpr_spill_count: 0
    .symbol:         _ZN7rocprim17ROCPRIM_400000_NS6detail17trampoline_kernelINS0_14default_configENS1_22reduce_config_selectorIdEEZNS1_11reduce_implILb1ES3_N6thrust23THRUST_200600_302600_NS6detail15normal_iteratorINS8_10device_ptrIdEEEEPiiNS8_4plusIiEEEE10hipError_tPvRmT1_T2_T3_mT4_P12ihipStream_tbEUlT_E0_NS1_11comp_targetILNS1_3genE9ELNS1_11target_archE1100ELNS1_3gpuE3ELNS1_3repE0EEENS1_30default_config_static_selectorELNS0_4arch9wavefront6targetE1EEEvSK_.kd
    .uniform_work_group_size: 1
    .uses_dynamic_stack: false
    .vgpr_count:     0
    .vgpr_spill_count: 0
    .wavefront_size: 64
  - .agpr_count:     0
    .args:
      - .offset:         0
        .size:           56
        .value_kind:     by_value
    .group_segment_fixed_size: 0
    .kernarg_segment_align: 8
    .kernarg_segment_size: 56
    .language:       OpenCL C
    .language_version:
      - 2
      - 0
    .max_flat_workgroup_size: 256
    .name:           _ZN7rocprim17ROCPRIM_400000_NS6detail17trampoline_kernelINS0_14default_configENS1_22reduce_config_selectorIdEEZNS1_11reduce_implILb1ES3_N6thrust23THRUST_200600_302600_NS6detail15normal_iteratorINS8_10device_ptrIdEEEEPiiNS8_4plusIiEEEE10hipError_tPvRmT1_T2_T3_mT4_P12ihipStream_tbEUlT_E0_NS1_11comp_targetILNS1_3genE8ELNS1_11target_archE1030ELNS1_3gpuE2ELNS1_3repE0EEENS1_30default_config_static_selectorELNS0_4arch9wavefront6targetE1EEEvSK_
    .private_segment_fixed_size: 0
    .sgpr_count:     6
    .sgpr_spill_count: 0
    .symbol:         _ZN7rocprim17ROCPRIM_400000_NS6detail17trampoline_kernelINS0_14default_configENS1_22reduce_config_selectorIdEEZNS1_11reduce_implILb1ES3_N6thrust23THRUST_200600_302600_NS6detail15normal_iteratorINS8_10device_ptrIdEEEEPiiNS8_4plusIiEEEE10hipError_tPvRmT1_T2_T3_mT4_P12ihipStream_tbEUlT_E0_NS1_11comp_targetILNS1_3genE8ELNS1_11target_archE1030ELNS1_3gpuE2ELNS1_3repE0EEENS1_30default_config_static_selectorELNS0_4arch9wavefront6targetE1EEEvSK_.kd
    .uniform_work_group_size: 1
    .uses_dynamic_stack: false
    .vgpr_count:     0
    .vgpr_spill_count: 0
    .wavefront_size: 64
  - .agpr_count:     0
    .args:
      - .offset:         0
        .size:           40
        .value_kind:     by_value
    .group_segment_fixed_size: 96
    .kernarg_segment_align: 8
    .kernarg_segment_size: 40
    .language:       OpenCL C
    .language_version:
      - 2
      - 0
    .max_flat_workgroup_size: 256
    .name:           _ZN7rocprim17ROCPRIM_400000_NS6detail17trampoline_kernelINS0_14default_configENS1_22reduce_config_selectorIdEEZNS1_11reduce_implILb1ES3_N6thrust23THRUST_200600_302600_NS6detail15normal_iteratorINS8_10device_ptrIdEEEEPiiNS8_4plusIiEEEE10hipError_tPvRmT1_T2_T3_mT4_P12ihipStream_tbEUlT_E1_NS1_11comp_targetILNS1_3genE0ELNS1_11target_archE4294967295ELNS1_3gpuE0ELNS1_3repE0EEENS1_30default_config_static_selectorELNS0_4arch9wavefront6targetE1EEEvSK_
    .private_segment_fixed_size: 0
    .sgpr_count:     51
    .sgpr_spill_count: 0
    .symbol:         _ZN7rocprim17ROCPRIM_400000_NS6detail17trampoline_kernelINS0_14default_configENS1_22reduce_config_selectorIdEEZNS1_11reduce_implILb1ES3_N6thrust23THRUST_200600_302600_NS6detail15normal_iteratorINS8_10device_ptrIdEEEEPiiNS8_4plusIiEEEE10hipError_tPvRmT1_T2_T3_mT4_P12ihipStream_tbEUlT_E1_NS1_11comp_targetILNS1_3genE0ELNS1_11target_archE4294967295ELNS1_3gpuE0ELNS1_3repE0EEENS1_30default_config_static_selectorELNS0_4arch9wavefront6targetE1EEEvSK_.kd
    .uniform_work_group_size: 1
    .uses_dynamic_stack: false
    .vgpr_count:     36
    .vgpr_spill_count: 0
    .wavefront_size: 64
  - .agpr_count:     0
    .args:
      - .offset:         0
        .size:           40
        .value_kind:     by_value
    .group_segment_fixed_size: 0
    .kernarg_segment_align: 8
    .kernarg_segment_size: 40
    .language:       OpenCL C
    .language_version:
      - 2
      - 0
    .max_flat_workgroup_size: 256
    .name:           _ZN7rocprim17ROCPRIM_400000_NS6detail17trampoline_kernelINS0_14default_configENS1_22reduce_config_selectorIdEEZNS1_11reduce_implILb1ES3_N6thrust23THRUST_200600_302600_NS6detail15normal_iteratorINS8_10device_ptrIdEEEEPiiNS8_4plusIiEEEE10hipError_tPvRmT1_T2_T3_mT4_P12ihipStream_tbEUlT_E1_NS1_11comp_targetILNS1_3genE5ELNS1_11target_archE942ELNS1_3gpuE9ELNS1_3repE0EEENS1_30default_config_static_selectorELNS0_4arch9wavefront6targetE1EEEvSK_
    .private_segment_fixed_size: 0
    .sgpr_count:     6
    .sgpr_spill_count: 0
    .symbol:         _ZN7rocprim17ROCPRIM_400000_NS6detail17trampoline_kernelINS0_14default_configENS1_22reduce_config_selectorIdEEZNS1_11reduce_implILb1ES3_N6thrust23THRUST_200600_302600_NS6detail15normal_iteratorINS8_10device_ptrIdEEEEPiiNS8_4plusIiEEEE10hipError_tPvRmT1_T2_T3_mT4_P12ihipStream_tbEUlT_E1_NS1_11comp_targetILNS1_3genE5ELNS1_11target_archE942ELNS1_3gpuE9ELNS1_3repE0EEENS1_30default_config_static_selectorELNS0_4arch9wavefront6targetE1EEEvSK_.kd
    .uniform_work_group_size: 1
    .uses_dynamic_stack: false
    .vgpr_count:     0
    .vgpr_spill_count: 0
    .wavefront_size: 64
  - .agpr_count:     0
    .args:
      - .offset:         0
        .size:           40
        .value_kind:     by_value
    .group_segment_fixed_size: 0
    .kernarg_segment_align: 8
    .kernarg_segment_size: 40
    .language:       OpenCL C
    .language_version:
      - 2
      - 0
    .max_flat_workgroup_size: 256
    .name:           _ZN7rocprim17ROCPRIM_400000_NS6detail17trampoline_kernelINS0_14default_configENS1_22reduce_config_selectorIdEEZNS1_11reduce_implILb1ES3_N6thrust23THRUST_200600_302600_NS6detail15normal_iteratorINS8_10device_ptrIdEEEEPiiNS8_4plusIiEEEE10hipError_tPvRmT1_T2_T3_mT4_P12ihipStream_tbEUlT_E1_NS1_11comp_targetILNS1_3genE4ELNS1_11target_archE910ELNS1_3gpuE8ELNS1_3repE0EEENS1_30default_config_static_selectorELNS0_4arch9wavefront6targetE1EEEvSK_
    .private_segment_fixed_size: 0
    .sgpr_count:     6
    .sgpr_spill_count: 0
    .symbol:         _ZN7rocprim17ROCPRIM_400000_NS6detail17trampoline_kernelINS0_14default_configENS1_22reduce_config_selectorIdEEZNS1_11reduce_implILb1ES3_N6thrust23THRUST_200600_302600_NS6detail15normal_iteratorINS8_10device_ptrIdEEEEPiiNS8_4plusIiEEEE10hipError_tPvRmT1_T2_T3_mT4_P12ihipStream_tbEUlT_E1_NS1_11comp_targetILNS1_3genE4ELNS1_11target_archE910ELNS1_3gpuE8ELNS1_3repE0EEENS1_30default_config_static_selectorELNS0_4arch9wavefront6targetE1EEEvSK_.kd
    .uniform_work_group_size: 1
    .uses_dynamic_stack: false
    .vgpr_count:     0
    .vgpr_spill_count: 0
    .wavefront_size: 64
  - .agpr_count:     0
    .args:
      - .offset:         0
        .size:           40
        .value_kind:     by_value
    .group_segment_fixed_size: 0
    .kernarg_segment_align: 8
    .kernarg_segment_size: 40
    .language:       OpenCL C
    .language_version:
      - 2
      - 0
    .max_flat_workgroup_size: 256
    .name:           _ZN7rocprim17ROCPRIM_400000_NS6detail17trampoline_kernelINS0_14default_configENS1_22reduce_config_selectorIdEEZNS1_11reduce_implILb1ES3_N6thrust23THRUST_200600_302600_NS6detail15normal_iteratorINS8_10device_ptrIdEEEEPiiNS8_4plusIiEEEE10hipError_tPvRmT1_T2_T3_mT4_P12ihipStream_tbEUlT_E1_NS1_11comp_targetILNS1_3genE3ELNS1_11target_archE908ELNS1_3gpuE7ELNS1_3repE0EEENS1_30default_config_static_selectorELNS0_4arch9wavefront6targetE1EEEvSK_
    .private_segment_fixed_size: 0
    .sgpr_count:     6
    .sgpr_spill_count: 0
    .symbol:         _ZN7rocprim17ROCPRIM_400000_NS6detail17trampoline_kernelINS0_14default_configENS1_22reduce_config_selectorIdEEZNS1_11reduce_implILb1ES3_N6thrust23THRUST_200600_302600_NS6detail15normal_iteratorINS8_10device_ptrIdEEEEPiiNS8_4plusIiEEEE10hipError_tPvRmT1_T2_T3_mT4_P12ihipStream_tbEUlT_E1_NS1_11comp_targetILNS1_3genE3ELNS1_11target_archE908ELNS1_3gpuE7ELNS1_3repE0EEENS1_30default_config_static_selectorELNS0_4arch9wavefront6targetE1EEEvSK_.kd
    .uniform_work_group_size: 1
    .uses_dynamic_stack: false
    .vgpr_count:     0
    .vgpr_spill_count: 0
    .wavefront_size: 64
  - .agpr_count:     0
    .args:
      - .offset:         0
        .size:           40
        .value_kind:     by_value
    .group_segment_fixed_size: 0
    .kernarg_segment_align: 8
    .kernarg_segment_size: 40
    .language:       OpenCL C
    .language_version:
      - 2
      - 0
    .max_flat_workgroup_size: 128
    .name:           _ZN7rocprim17ROCPRIM_400000_NS6detail17trampoline_kernelINS0_14default_configENS1_22reduce_config_selectorIdEEZNS1_11reduce_implILb1ES3_N6thrust23THRUST_200600_302600_NS6detail15normal_iteratorINS8_10device_ptrIdEEEEPiiNS8_4plusIiEEEE10hipError_tPvRmT1_T2_T3_mT4_P12ihipStream_tbEUlT_E1_NS1_11comp_targetILNS1_3genE2ELNS1_11target_archE906ELNS1_3gpuE6ELNS1_3repE0EEENS1_30default_config_static_selectorELNS0_4arch9wavefront6targetE1EEEvSK_
    .private_segment_fixed_size: 0
    .sgpr_count:     6
    .sgpr_spill_count: 0
    .symbol:         _ZN7rocprim17ROCPRIM_400000_NS6detail17trampoline_kernelINS0_14default_configENS1_22reduce_config_selectorIdEEZNS1_11reduce_implILb1ES3_N6thrust23THRUST_200600_302600_NS6detail15normal_iteratorINS8_10device_ptrIdEEEEPiiNS8_4plusIiEEEE10hipError_tPvRmT1_T2_T3_mT4_P12ihipStream_tbEUlT_E1_NS1_11comp_targetILNS1_3genE2ELNS1_11target_archE906ELNS1_3gpuE6ELNS1_3repE0EEENS1_30default_config_static_selectorELNS0_4arch9wavefront6targetE1EEEvSK_.kd
    .uniform_work_group_size: 1
    .uses_dynamic_stack: false
    .vgpr_count:     0
    .vgpr_spill_count: 0
    .wavefront_size: 64
  - .agpr_count:     0
    .args:
      - .offset:         0
        .size:           40
        .value_kind:     by_value
    .group_segment_fixed_size: 0
    .kernarg_segment_align: 8
    .kernarg_segment_size: 40
    .language:       OpenCL C
    .language_version:
      - 2
      - 0
    .max_flat_workgroup_size: 256
    .name:           _ZN7rocprim17ROCPRIM_400000_NS6detail17trampoline_kernelINS0_14default_configENS1_22reduce_config_selectorIdEEZNS1_11reduce_implILb1ES3_N6thrust23THRUST_200600_302600_NS6detail15normal_iteratorINS8_10device_ptrIdEEEEPiiNS8_4plusIiEEEE10hipError_tPvRmT1_T2_T3_mT4_P12ihipStream_tbEUlT_E1_NS1_11comp_targetILNS1_3genE10ELNS1_11target_archE1201ELNS1_3gpuE5ELNS1_3repE0EEENS1_30default_config_static_selectorELNS0_4arch9wavefront6targetE1EEEvSK_
    .private_segment_fixed_size: 0
    .sgpr_count:     6
    .sgpr_spill_count: 0
    .symbol:         _ZN7rocprim17ROCPRIM_400000_NS6detail17trampoline_kernelINS0_14default_configENS1_22reduce_config_selectorIdEEZNS1_11reduce_implILb1ES3_N6thrust23THRUST_200600_302600_NS6detail15normal_iteratorINS8_10device_ptrIdEEEEPiiNS8_4plusIiEEEE10hipError_tPvRmT1_T2_T3_mT4_P12ihipStream_tbEUlT_E1_NS1_11comp_targetILNS1_3genE10ELNS1_11target_archE1201ELNS1_3gpuE5ELNS1_3repE0EEENS1_30default_config_static_selectorELNS0_4arch9wavefront6targetE1EEEvSK_.kd
    .uniform_work_group_size: 1
    .uses_dynamic_stack: false
    .vgpr_count:     0
    .vgpr_spill_count: 0
    .wavefront_size: 64
  - .agpr_count:     0
    .args:
      - .offset:         0
        .size:           40
        .value_kind:     by_value
    .group_segment_fixed_size: 0
    .kernarg_segment_align: 8
    .kernarg_segment_size: 40
    .language:       OpenCL C
    .language_version:
      - 2
      - 0
    .max_flat_workgroup_size: 256
    .name:           _ZN7rocprim17ROCPRIM_400000_NS6detail17trampoline_kernelINS0_14default_configENS1_22reduce_config_selectorIdEEZNS1_11reduce_implILb1ES3_N6thrust23THRUST_200600_302600_NS6detail15normal_iteratorINS8_10device_ptrIdEEEEPiiNS8_4plusIiEEEE10hipError_tPvRmT1_T2_T3_mT4_P12ihipStream_tbEUlT_E1_NS1_11comp_targetILNS1_3genE10ELNS1_11target_archE1200ELNS1_3gpuE4ELNS1_3repE0EEENS1_30default_config_static_selectorELNS0_4arch9wavefront6targetE1EEEvSK_
    .private_segment_fixed_size: 0
    .sgpr_count:     6
    .sgpr_spill_count: 0
    .symbol:         _ZN7rocprim17ROCPRIM_400000_NS6detail17trampoline_kernelINS0_14default_configENS1_22reduce_config_selectorIdEEZNS1_11reduce_implILb1ES3_N6thrust23THRUST_200600_302600_NS6detail15normal_iteratorINS8_10device_ptrIdEEEEPiiNS8_4plusIiEEEE10hipError_tPvRmT1_T2_T3_mT4_P12ihipStream_tbEUlT_E1_NS1_11comp_targetILNS1_3genE10ELNS1_11target_archE1200ELNS1_3gpuE4ELNS1_3repE0EEENS1_30default_config_static_selectorELNS0_4arch9wavefront6targetE1EEEvSK_.kd
    .uniform_work_group_size: 1
    .uses_dynamic_stack: false
    .vgpr_count:     0
    .vgpr_spill_count: 0
    .wavefront_size: 64
  - .agpr_count:     0
    .args:
      - .offset:         0
        .size:           40
        .value_kind:     by_value
    .group_segment_fixed_size: 0
    .kernarg_segment_align: 8
    .kernarg_segment_size: 40
    .language:       OpenCL C
    .language_version:
      - 2
      - 0
    .max_flat_workgroup_size: 256
    .name:           _ZN7rocprim17ROCPRIM_400000_NS6detail17trampoline_kernelINS0_14default_configENS1_22reduce_config_selectorIdEEZNS1_11reduce_implILb1ES3_N6thrust23THRUST_200600_302600_NS6detail15normal_iteratorINS8_10device_ptrIdEEEEPiiNS8_4plusIiEEEE10hipError_tPvRmT1_T2_T3_mT4_P12ihipStream_tbEUlT_E1_NS1_11comp_targetILNS1_3genE9ELNS1_11target_archE1100ELNS1_3gpuE3ELNS1_3repE0EEENS1_30default_config_static_selectorELNS0_4arch9wavefront6targetE1EEEvSK_
    .private_segment_fixed_size: 0
    .sgpr_count:     6
    .sgpr_spill_count: 0
    .symbol:         _ZN7rocprim17ROCPRIM_400000_NS6detail17trampoline_kernelINS0_14default_configENS1_22reduce_config_selectorIdEEZNS1_11reduce_implILb1ES3_N6thrust23THRUST_200600_302600_NS6detail15normal_iteratorINS8_10device_ptrIdEEEEPiiNS8_4plusIiEEEE10hipError_tPvRmT1_T2_T3_mT4_P12ihipStream_tbEUlT_E1_NS1_11comp_targetILNS1_3genE9ELNS1_11target_archE1100ELNS1_3gpuE3ELNS1_3repE0EEENS1_30default_config_static_selectorELNS0_4arch9wavefront6targetE1EEEvSK_.kd
    .uniform_work_group_size: 1
    .uses_dynamic_stack: false
    .vgpr_count:     0
    .vgpr_spill_count: 0
    .wavefront_size: 64
  - .agpr_count:     0
    .args:
      - .offset:         0
        .size:           40
        .value_kind:     by_value
    .group_segment_fixed_size: 0
    .kernarg_segment_align: 8
    .kernarg_segment_size: 40
    .language:       OpenCL C
    .language_version:
      - 2
      - 0
    .max_flat_workgroup_size: 256
    .name:           _ZN7rocprim17ROCPRIM_400000_NS6detail17trampoline_kernelINS0_14default_configENS1_22reduce_config_selectorIdEEZNS1_11reduce_implILb1ES3_N6thrust23THRUST_200600_302600_NS6detail15normal_iteratorINS8_10device_ptrIdEEEEPiiNS8_4plusIiEEEE10hipError_tPvRmT1_T2_T3_mT4_P12ihipStream_tbEUlT_E1_NS1_11comp_targetILNS1_3genE8ELNS1_11target_archE1030ELNS1_3gpuE2ELNS1_3repE0EEENS1_30default_config_static_selectorELNS0_4arch9wavefront6targetE1EEEvSK_
    .private_segment_fixed_size: 0
    .sgpr_count:     6
    .sgpr_spill_count: 0
    .symbol:         _ZN7rocprim17ROCPRIM_400000_NS6detail17trampoline_kernelINS0_14default_configENS1_22reduce_config_selectorIdEEZNS1_11reduce_implILb1ES3_N6thrust23THRUST_200600_302600_NS6detail15normal_iteratorINS8_10device_ptrIdEEEEPiiNS8_4plusIiEEEE10hipError_tPvRmT1_T2_T3_mT4_P12ihipStream_tbEUlT_E1_NS1_11comp_targetILNS1_3genE8ELNS1_11target_archE1030ELNS1_3gpuE2ELNS1_3repE0EEENS1_30default_config_static_selectorELNS0_4arch9wavefront6targetE1EEEvSK_.kd
    .uniform_work_group_size: 1
    .uses_dynamic_stack: false
    .vgpr_count:     0
    .vgpr_spill_count: 0
    .wavefront_size: 64
  - .agpr_count:     0
    .args:
      - .offset:         0
        .size:           56
        .value_kind:     by_value
    .group_segment_fixed_size: 32
    .kernarg_segment_align: 8
    .kernarg_segment_size: 56
    .language:       OpenCL C
    .language_version:
      - 2
      - 0
    .max_flat_workgroup_size: 256
    .name:           _ZN7rocprim17ROCPRIM_400000_NS6detail17trampoline_kernelINS0_14default_configENS1_22reduce_config_selectorIdEEZNS1_11reduce_implILb1ES3_N6thrust23THRUST_200600_302600_NS6detail15normal_iteratorINS8_10device_ptrIdEEEEPffNS8_4plusIfEEEE10hipError_tPvRmT1_T2_T3_mT4_P12ihipStream_tbEUlT_E0_NS1_11comp_targetILNS1_3genE0ELNS1_11target_archE4294967295ELNS1_3gpuE0ELNS1_3repE0EEENS1_30default_config_static_selectorELNS0_4arch9wavefront6targetE1EEEvSK_
    .private_segment_fixed_size: 0
    .sgpr_count:     54
    .sgpr_spill_count: 0
    .symbol:         _ZN7rocprim17ROCPRIM_400000_NS6detail17trampoline_kernelINS0_14default_configENS1_22reduce_config_selectorIdEEZNS1_11reduce_implILb1ES3_N6thrust23THRUST_200600_302600_NS6detail15normal_iteratorINS8_10device_ptrIdEEEEPffNS8_4plusIfEEEE10hipError_tPvRmT1_T2_T3_mT4_P12ihipStream_tbEUlT_E0_NS1_11comp_targetILNS1_3genE0ELNS1_11target_archE4294967295ELNS1_3gpuE0ELNS1_3repE0EEENS1_30default_config_static_selectorELNS0_4arch9wavefront6targetE1EEEvSK_.kd
    .uniform_work_group_size: 1
    .uses_dynamic_stack: false
    .vgpr_count:     40
    .vgpr_spill_count: 0
    .wavefront_size: 64
  - .agpr_count:     0
    .args:
      - .offset:         0
        .size:           56
        .value_kind:     by_value
    .group_segment_fixed_size: 0
    .kernarg_segment_align: 8
    .kernarg_segment_size: 56
    .language:       OpenCL C
    .language_version:
      - 2
      - 0
    .max_flat_workgroup_size: 256
    .name:           _ZN7rocprim17ROCPRIM_400000_NS6detail17trampoline_kernelINS0_14default_configENS1_22reduce_config_selectorIdEEZNS1_11reduce_implILb1ES3_N6thrust23THRUST_200600_302600_NS6detail15normal_iteratorINS8_10device_ptrIdEEEEPffNS8_4plusIfEEEE10hipError_tPvRmT1_T2_T3_mT4_P12ihipStream_tbEUlT_E0_NS1_11comp_targetILNS1_3genE5ELNS1_11target_archE942ELNS1_3gpuE9ELNS1_3repE0EEENS1_30default_config_static_selectorELNS0_4arch9wavefront6targetE1EEEvSK_
    .private_segment_fixed_size: 0
    .sgpr_count:     6
    .sgpr_spill_count: 0
    .symbol:         _ZN7rocprim17ROCPRIM_400000_NS6detail17trampoline_kernelINS0_14default_configENS1_22reduce_config_selectorIdEEZNS1_11reduce_implILb1ES3_N6thrust23THRUST_200600_302600_NS6detail15normal_iteratorINS8_10device_ptrIdEEEEPffNS8_4plusIfEEEE10hipError_tPvRmT1_T2_T3_mT4_P12ihipStream_tbEUlT_E0_NS1_11comp_targetILNS1_3genE5ELNS1_11target_archE942ELNS1_3gpuE9ELNS1_3repE0EEENS1_30default_config_static_selectorELNS0_4arch9wavefront6targetE1EEEvSK_.kd
    .uniform_work_group_size: 1
    .uses_dynamic_stack: false
    .vgpr_count:     0
    .vgpr_spill_count: 0
    .wavefront_size: 64
  - .agpr_count:     0
    .args:
      - .offset:         0
        .size:           56
        .value_kind:     by_value
    .group_segment_fixed_size: 0
    .kernarg_segment_align: 8
    .kernarg_segment_size: 56
    .language:       OpenCL C
    .language_version:
      - 2
      - 0
    .max_flat_workgroup_size: 256
    .name:           _ZN7rocprim17ROCPRIM_400000_NS6detail17trampoline_kernelINS0_14default_configENS1_22reduce_config_selectorIdEEZNS1_11reduce_implILb1ES3_N6thrust23THRUST_200600_302600_NS6detail15normal_iteratorINS8_10device_ptrIdEEEEPffNS8_4plusIfEEEE10hipError_tPvRmT1_T2_T3_mT4_P12ihipStream_tbEUlT_E0_NS1_11comp_targetILNS1_3genE4ELNS1_11target_archE910ELNS1_3gpuE8ELNS1_3repE0EEENS1_30default_config_static_selectorELNS0_4arch9wavefront6targetE1EEEvSK_
    .private_segment_fixed_size: 0
    .sgpr_count:     6
    .sgpr_spill_count: 0
    .symbol:         _ZN7rocprim17ROCPRIM_400000_NS6detail17trampoline_kernelINS0_14default_configENS1_22reduce_config_selectorIdEEZNS1_11reduce_implILb1ES3_N6thrust23THRUST_200600_302600_NS6detail15normal_iteratorINS8_10device_ptrIdEEEEPffNS8_4plusIfEEEE10hipError_tPvRmT1_T2_T3_mT4_P12ihipStream_tbEUlT_E0_NS1_11comp_targetILNS1_3genE4ELNS1_11target_archE910ELNS1_3gpuE8ELNS1_3repE0EEENS1_30default_config_static_selectorELNS0_4arch9wavefront6targetE1EEEvSK_.kd
    .uniform_work_group_size: 1
    .uses_dynamic_stack: false
    .vgpr_count:     0
    .vgpr_spill_count: 0
    .wavefront_size: 64
  - .agpr_count:     0
    .args:
      - .offset:         0
        .size:           56
        .value_kind:     by_value
    .group_segment_fixed_size: 0
    .kernarg_segment_align: 8
    .kernarg_segment_size: 56
    .language:       OpenCL C
    .language_version:
      - 2
      - 0
    .max_flat_workgroup_size: 256
    .name:           _ZN7rocprim17ROCPRIM_400000_NS6detail17trampoline_kernelINS0_14default_configENS1_22reduce_config_selectorIdEEZNS1_11reduce_implILb1ES3_N6thrust23THRUST_200600_302600_NS6detail15normal_iteratorINS8_10device_ptrIdEEEEPffNS8_4plusIfEEEE10hipError_tPvRmT1_T2_T3_mT4_P12ihipStream_tbEUlT_E0_NS1_11comp_targetILNS1_3genE3ELNS1_11target_archE908ELNS1_3gpuE7ELNS1_3repE0EEENS1_30default_config_static_selectorELNS0_4arch9wavefront6targetE1EEEvSK_
    .private_segment_fixed_size: 0
    .sgpr_count:     6
    .sgpr_spill_count: 0
    .symbol:         _ZN7rocprim17ROCPRIM_400000_NS6detail17trampoline_kernelINS0_14default_configENS1_22reduce_config_selectorIdEEZNS1_11reduce_implILb1ES3_N6thrust23THRUST_200600_302600_NS6detail15normal_iteratorINS8_10device_ptrIdEEEEPffNS8_4plusIfEEEE10hipError_tPvRmT1_T2_T3_mT4_P12ihipStream_tbEUlT_E0_NS1_11comp_targetILNS1_3genE3ELNS1_11target_archE908ELNS1_3gpuE7ELNS1_3repE0EEENS1_30default_config_static_selectorELNS0_4arch9wavefront6targetE1EEEvSK_.kd
    .uniform_work_group_size: 1
    .uses_dynamic_stack: false
    .vgpr_count:     0
    .vgpr_spill_count: 0
    .wavefront_size: 64
  - .agpr_count:     0
    .args:
      - .offset:         0
        .size:           56
        .value_kind:     by_value
    .group_segment_fixed_size: 0
    .kernarg_segment_align: 8
    .kernarg_segment_size: 56
    .language:       OpenCL C
    .language_version:
      - 2
      - 0
    .max_flat_workgroup_size: 128
    .name:           _ZN7rocprim17ROCPRIM_400000_NS6detail17trampoline_kernelINS0_14default_configENS1_22reduce_config_selectorIdEEZNS1_11reduce_implILb1ES3_N6thrust23THRUST_200600_302600_NS6detail15normal_iteratorINS8_10device_ptrIdEEEEPffNS8_4plusIfEEEE10hipError_tPvRmT1_T2_T3_mT4_P12ihipStream_tbEUlT_E0_NS1_11comp_targetILNS1_3genE2ELNS1_11target_archE906ELNS1_3gpuE6ELNS1_3repE0EEENS1_30default_config_static_selectorELNS0_4arch9wavefront6targetE1EEEvSK_
    .private_segment_fixed_size: 0
    .sgpr_count:     6
    .sgpr_spill_count: 0
    .symbol:         _ZN7rocprim17ROCPRIM_400000_NS6detail17trampoline_kernelINS0_14default_configENS1_22reduce_config_selectorIdEEZNS1_11reduce_implILb1ES3_N6thrust23THRUST_200600_302600_NS6detail15normal_iteratorINS8_10device_ptrIdEEEEPffNS8_4plusIfEEEE10hipError_tPvRmT1_T2_T3_mT4_P12ihipStream_tbEUlT_E0_NS1_11comp_targetILNS1_3genE2ELNS1_11target_archE906ELNS1_3gpuE6ELNS1_3repE0EEENS1_30default_config_static_selectorELNS0_4arch9wavefront6targetE1EEEvSK_.kd
    .uniform_work_group_size: 1
    .uses_dynamic_stack: false
    .vgpr_count:     0
    .vgpr_spill_count: 0
    .wavefront_size: 64
  - .agpr_count:     0
    .args:
      - .offset:         0
        .size:           56
        .value_kind:     by_value
    .group_segment_fixed_size: 0
    .kernarg_segment_align: 8
    .kernarg_segment_size: 56
    .language:       OpenCL C
    .language_version:
      - 2
      - 0
    .max_flat_workgroup_size: 256
    .name:           _ZN7rocprim17ROCPRIM_400000_NS6detail17trampoline_kernelINS0_14default_configENS1_22reduce_config_selectorIdEEZNS1_11reduce_implILb1ES3_N6thrust23THRUST_200600_302600_NS6detail15normal_iteratorINS8_10device_ptrIdEEEEPffNS8_4plusIfEEEE10hipError_tPvRmT1_T2_T3_mT4_P12ihipStream_tbEUlT_E0_NS1_11comp_targetILNS1_3genE10ELNS1_11target_archE1201ELNS1_3gpuE5ELNS1_3repE0EEENS1_30default_config_static_selectorELNS0_4arch9wavefront6targetE1EEEvSK_
    .private_segment_fixed_size: 0
    .sgpr_count:     6
    .sgpr_spill_count: 0
    .symbol:         _ZN7rocprim17ROCPRIM_400000_NS6detail17trampoline_kernelINS0_14default_configENS1_22reduce_config_selectorIdEEZNS1_11reduce_implILb1ES3_N6thrust23THRUST_200600_302600_NS6detail15normal_iteratorINS8_10device_ptrIdEEEEPffNS8_4plusIfEEEE10hipError_tPvRmT1_T2_T3_mT4_P12ihipStream_tbEUlT_E0_NS1_11comp_targetILNS1_3genE10ELNS1_11target_archE1201ELNS1_3gpuE5ELNS1_3repE0EEENS1_30default_config_static_selectorELNS0_4arch9wavefront6targetE1EEEvSK_.kd
    .uniform_work_group_size: 1
    .uses_dynamic_stack: false
    .vgpr_count:     0
    .vgpr_spill_count: 0
    .wavefront_size: 64
  - .agpr_count:     0
    .args:
      - .offset:         0
        .size:           56
        .value_kind:     by_value
    .group_segment_fixed_size: 0
    .kernarg_segment_align: 8
    .kernarg_segment_size: 56
    .language:       OpenCL C
    .language_version:
      - 2
      - 0
    .max_flat_workgroup_size: 256
    .name:           _ZN7rocprim17ROCPRIM_400000_NS6detail17trampoline_kernelINS0_14default_configENS1_22reduce_config_selectorIdEEZNS1_11reduce_implILb1ES3_N6thrust23THRUST_200600_302600_NS6detail15normal_iteratorINS8_10device_ptrIdEEEEPffNS8_4plusIfEEEE10hipError_tPvRmT1_T2_T3_mT4_P12ihipStream_tbEUlT_E0_NS1_11comp_targetILNS1_3genE10ELNS1_11target_archE1200ELNS1_3gpuE4ELNS1_3repE0EEENS1_30default_config_static_selectorELNS0_4arch9wavefront6targetE1EEEvSK_
    .private_segment_fixed_size: 0
    .sgpr_count:     6
    .sgpr_spill_count: 0
    .symbol:         _ZN7rocprim17ROCPRIM_400000_NS6detail17trampoline_kernelINS0_14default_configENS1_22reduce_config_selectorIdEEZNS1_11reduce_implILb1ES3_N6thrust23THRUST_200600_302600_NS6detail15normal_iteratorINS8_10device_ptrIdEEEEPffNS8_4plusIfEEEE10hipError_tPvRmT1_T2_T3_mT4_P12ihipStream_tbEUlT_E0_NS1_11comp_targetILNS1_3genE10ELNS1_11target_archE1200ELNS1_3gpuE4ELNS1_3repE0EEENS1_30default_config_static_selectorELNS0_4arch9wavefront6targetE1EEEvSK_.kd
    .uniform_work_group_size: 1
    .uses_dynamic_stack: false
    .vgpr_count:     0
    .vgpr_spill_count: 0
    .wavefront_size: 64
  - .agpr_count:     0
    .args:
      - .offset:         0
        .size:           56
        .value_kind:     by_value
    .group_segment_fixed_size: 0
    .kernarg_segment_align: 8
    .kernarg_segment_size: 56
    .language:       OpenCL C
    .language_version:
      - 2
      - 0
    .max_flat_workgroup_size: 256
    .name:           _ZN7rocprim17ROCPRIM_400000_NS6detail17trampoline_kernelINS0_14default_configENS1_22reduce_config_selectorIdEEZNS1_11reduce_implILb1ES3_N6thrust23THRUST_200600_302600_NS6detail15normal_iteratorINS8_10device_ptrIdEEEEPffNS8_4plusIfEEEE10hipError_tPvRmT1_T2_T3_mT4_P12ihipStream_tbEUlT_E0_NS1_11comp_targetILNS1_3genE9ELNS1_11target_archE1100ELNS1_3gpuE3ELNS1_3repE0EEENS1_30default_config_static_selectorELNS0_4arch9wavefront6targetE1EEEvSK_
    .private_segment_fixed_size: 0
    .sgpr_count:     6
    .sgpr_spill_count: 0
    .symbol:         _ZN7rocprim17ROCPRIM_400000_NS6detail17trampoline_kernelINS0_14default_configENS1_22reduce_config_selectorIdEEZNS1_11reduce_implILb1ES3_N6thrust23THRUST_200600_302600_NS6detail15normal_iteratorINS8_10device_ptrIdEEEEPffNS8_4plusIfEEEE10hipError_tPvRmT1_T2_T3_mT4_P12ihipStream_tbEUlT_E0_NS1_11comp_targetILNS1_3genE9ELNS1_11target_archE1100ELNS1_3gpuE3ELNS1_3repE0EEENS1_30default_config_static_selectorELNS0_4arch9wavefront6targetE1EEEvSK_.kd
    .uniform_work_group_size: 1
    .uses_dynamic_stack: false
    .vgpr_count:     0
    .vgpr_spill_count: 0
    .wavefront_size: 64
  - .agpr_count:     0
    .args:
      - .offset:         0
        .size:           56
        .value_kind:     by_value
    .group_segment_fixed_size: 0
    .kernarg_segment_align: 8
    .kernarg_segment_size: 56
    .language:       OpenCL C
    .language_version:
      - 2
      - 0
    .max_flat_workgroup_size: 256
    .name:           _ZN7rocprim17ROCPRIM_400000_NS6detail17trampoline_kernelINS0_14default_configENS1_22reduce_config_selectorIdEEZNS1_11reduce_implILb1ES3_N6thrust23THRUST_200600_302600_NS6detail15normal_iteratorINS8_10device_ptrIdEEEEPffNS8_4plusIfEEEE10hipError_tPvRmT1_T2_T3_mT4_P12ihipStream_tbEUlT_E0_NS1_11comp_targetILNS1_3genE8ELNS1_11target_archE1030ELNS1_3gpuE2ELNS1_3repE0EEENS1_30default_config_static_selectorELNS0_4arch9wavefront6targetE1EEEvSK_
    .private_segment_fixed_size: 0
    .sgpr_count:     6
    .sgpr_spill_count: 0
    .symbol:         _ZN7rocprim17ROCPRIM_400000_NS6detail17trampoline_kernelINS0_14default_configENS1_22reduce_config_selectorIdEEZNS1_11reduce_implILb1ES3_N6thrust23THRUST_200600_302600_NS6detail15normal_iteratorINS8_10device_ptrIdEEEEPffNS8_4plusIfEEEE10hipError_tPvRmT1_T2_T3_mT4_P12ihipStream_tbEUlT_E0_NS1_11comp_targetILNS1_3genE8ELNS1_11target_archE1030ELNS1_3gpuE2ELNS1_3repE0EEENS1_30default_config_static_selectorELNS0_4arch9wavefront6targetE1EEEvSK_.kd
    .uniform_work_group_size: 1
    .uses_dynamic_stack: false
    .vgpr_count:     0
    .vgpr_spill_count: 0
    .wavefront_size: 64
  - .agpr_count:     0
    .args:
      - .offset:         0
        .size:           40
        .value_kind:     by_value
    .group_segment_fixed_size: 96
    .kernarg_segment_align: 8
    .kernarg_segment_size: 40
    .language:       OpenCL C
    .language_version:
      - 2
      - 0
    .max_flat_workgroup_size: 256
    .name:           _ZN7rocprim17ROCPRIM_400000_NS6detail17trampoline_kernelINS0_14default_configENS1_22reduce_config_selectorIdEEZNS1_11reduce_implILb1ES3_N6thrust23THRUST_200600_302600_NS6detail15normal_iteratorINS8_10device_ptrIdEEEEPffNS8_4plusIfEEEE10hipError_tPvRmT1_T2_T3_mT4_P12ihipStream_tbEUlT_E1_NS1_11comp_targetILNS1_3genE0ELNS1_11target_archE4294967295ELNS1_3gpuE0ELNS1_3repE0EEENS1_30default_config_static_selectorELNS0_4arch9wavefront6targetE1EEEvSK_
    .private_segment_fixed_size: 0
    .sgpr_count:     51
    .sgpr_spill_count: 0
    .symbol:         _ZN7rocprim17ROCPRIM_400000_NS6detail17trampoline_kernelINS0_14default_configENS1_22reduce_config_selectorIdEEZNS1_11reduce_implILb1ES3_N6thrust23THRUST_200600_302600_NS6detail15normal_iteratorINS8_10device_ptrIdEEEEPffNS8_4plusIfEEEE10hipError_tPvRmT1_T2_T3_mT4_P12ihipStream_tbEUlT_E1_NS1_11comp_targetILNS1_3genE0ELNS1_11target_archE4294967295ELNS1_3gpuE0ELNS1_3repE0EEENS1_30default_config_static_selectorELNS0_4arch9wavefront6targetE1EEEvSK_.kd
    .uniform_work_group_size: 1
    .uses_dynamic_stack: false
    .vgpr_count:     36
    .vgpr_spill_count: 0
    .wavefront_size: 64
  - .agpr_count:     0
    .args:
      - .offset:         0
        .size:           40
        .value_kind:     by_value
    .group_segment_fixed_size: 0
    .kernarg_segment_align: 8
    .kernarg_segment_size: 40
    .language:       OpenCL C
    .language_version:
      - 2
      - 0
    .max_flat_workgroup_size: 256
    .name:           _ZN7rocprim17ROCPRIM_400000_NS6detail17trampoline_kernelINS0_14default_configENS1_22reduce_config_selectorIdEEZNS1_11reduce_implILb1ES3_N6thrust23THRUST_200600_302600_NS6detail15normal_iteratorINS8_10device_ptrIdEEEEPffNS8_4plusIfEEEE10hipError_tPvRmT1_T2_T3_mT4_P12ihipStream_tbEUlT_E1_NS1_11comp_targetILNS1_3genE5ELNS1_11target_archE942ELNS1_3gpuE9ELNS1_3repE0EEENS1_30default_config_static_selectorELNS0_4arch9wavefront6targetE1EEEvSK_
    .private_segment_fixed_size: 0
    .sgpr_count:     6
    .sgpr_spill_count: 0
    .symbol:         _ZN7rocprim17ROCPRIM_400000_NS6detail17trampoline_kernelINS0_14default_configENS1_22reduce_config_selectorIdEEZNS1_11reduce_implILb1ES3_N6thrust23THRUST_200600_302600_NS6detail15normal_iteratorINS8_10device_ptrIdEEEEPffNS8_4plusIfEEEE10hipError_tPvRmT1_T2_T3_mT4_P12ihipStream_tbEUlT_E1_NS1_11comp_targetILNS1_3genE5ELNS1_11target_archE942ELNS1_3gpuE9ELNS1_3repE0EEENS1_30default_config_static_selectorELNS0_4arch9wavefront6targetE1EEEvSK_.kd
    .uniform_work_group_size: 1
    .uses_dynamic_stack: false
    .vgpr_count:     0
    .vgpr_spill_count: 0
    .wavefront_size: 64
  - .agpr_count:     0
    .args:
      - .offset:         0
        .size:           40
        .value_kind:     by_value
    .group_segment_fixed_size: 0
    .kernarg_segment_align: 8
    .kernarg_segment_size: 40
    .language:       OpenCL C
    .language_version:
      - 2
      - 0
    .max_flat_workgroup_size: 256
    .name:           _ZN7rocprim17ROCPRIM_400000_NS6detail17trampoline_kernelINS0_14default_configENS1_22reduce_config_selectorIdEEZNS1_11reduce_implILb1ES3_N6thrust23THRUST_200600_302600_NS6detail15normal_iteratorINS8_10device_ptrIdEEEEPffNS8_4plusIfEEEE10hipError_tPvRmT1_T2_T3_mT4_P12ihipStream_tbEUlT_E1_NS1_11comp_targetILNS1_3genE4ELNS1_11target_archE910ELNS1_3gpuE8ELNS1_3repE0EEENS1_30default_config_static_selectorELNS0_4arch9wavefront6targetE1EEEvSK_
    .private_segment_fixed_size: 0
    .sgpr_count:     6
    .sgpr_spill_count: 0
    .symbol:         _ZN7rocprim17ROCPRIM_400000_NS6detail17trampoline_kernelINS0_14default_configENS1_22reduce_config_selectorIdEEZNS1_11reduce_implILb1ES3_N6thrust23THRUST_200600_302600_NS6detail15normal_iteratorINS8_10device_ptrIdEEEEPffNS8_4plusIfEEEE10hipError_tPvRmT1_T2_T3_mT4_P12ihipStream_tbEUlT_E1_NS1_11comp_targetILNS1_3genE4ELNS1_11target_archE910ELNS1_3gpuE8ELNS1_3repE0EEENS1_30default_config_static_selectorELNS0_4arch9wavefront6targetE1EEEvSK_.kd
    .uniform_work_group_size: 1
    .uses_dynamic_stack: false
    .vgpr_count:     0
    .vgpr_spill_count: 0
    .wavefront_size: 64
  - .agpr_count:     0
    .args:
      - .offset:         0
        .size:           40
        .value_kind:     by_value
    .group_segment_fixed_size: 0
    .kernarg_segment_align: 8
    .kernarg_segment_size: 40
    .language:       OpenCL C
    .language_version:
      - 2
      - 0
    .max_flat_workgroup_size: 256
    .name:           _ZN7rocprim17ROCPRIM_400000_NS6detail17trampoline_kernelINS0_14default_configENS1_22reduce_config_selectorIdEEZNS1_11reduce_implILb1ES3_N6thrust23THRUST_200600_302600_NS6detail15normal_iteratorINS8_10device_ptrIdEEEEPffNS8_4plusIfEEEE10hipError_tPvRmT1_T2_T3_mT4_P12ihipStream_tbEUlT_E1_NS1_11comp_targetILNS1_3genE3ELNS1_11target_archE908ELNS1_3gpuE7ELNS1_3repE0EEENS1_30default_config_static_selectorELNS0_4arch9wavefront6targetE1EEEvSK_
    .private_segment_fixed_size: 0
    .sgpr_count:     6
    .sgpr_spill_count: 0
    .symbol:         _ZN7rocprim17ROCPRIM_400000_NS6detail17trampoline_kernelINS0_14default_configENS1_22reduce_config_selectorIdEEZNS1_11reduce_implILb1ES3_N6thrust23THRUST_200600_302600_NS6detail15normal_iteratorINS8_10device_ptrIdEEEEPffNS8_4plusIfEEEE10hipError_tPvRmT1_T2_T3_mT4_P12ihipStream_tbEUlT_E1_NS1_11comp_targetILNS1_3genE3ELNS1_11target_archE908ELNS1_3gpuE7ELNS1_3repE0EEENS1_30default_config_static_selectorELNS0_4arch9wavefront6targetE1EEEvSK_.kd
    .uniform_work_group_size: 1
    .uses_dynamic_stack: false
    .vgpr_count:     0
    .vgpr_spill_count: 0
    .wavefront_size: 64
  - .agpr_count:     0
    .args:
      - .offset:         0
        .size:           40
        .value_kind:     by_value
    .group_segment_fixed_size: 0
    .kernarg_segment_align: 8
    .kernarg_segment_size: 40
    .language:       OpenCL C
    .language_version:
      - 2
      - 0
    .max_flat_workgroup_size: 128
    .name:           _ZN7rocprim17ROCPRIM_400000_NS6detail17trampoline_kernelINS0_14default_configENS1_22reduce_config_selectorIdEEZNS1_11reduce_implILb1ES3_N6thrust23THRUST_200600_302600_NS6detail15normal_iteratorINS8_10device_ptrIdEEEEPffNS8_4plusIfEEEE10hipError_tPvRmT1_T2_T3_mT4_P12ihipStream_tbEUlT_E1_NS1_11comp_targetILNS1_3genE2ELNS1_11target_archE906ELNS1_3gpuE6ELNS1_3repE0EEENS1_30default_config_static_selectorELNS0_4arch9wavefront6targetE1EEEvSK_
    .private_segment_fixed_size: 0
    .sgpr_count:     6
    .sgpr_spill_count: 0
    .symbol:         _ZN7rocprim17ROCPRIM_400000_NS6detail17trampoline_kernelINS0_14default_configENS1_22reduce_config_selectorIdEEZNS1_11reduce_implILb1ES3_N6thrust23THRUST_200600_302600_NS6detail15normal_iteratorINS8_10device_ptrIdEEEEPffNS8_4plusIfEEEE10hipError_tPvRmT1_T2_T3_mT4_P12ihipStream_tbEUlT_E1_NS1_11comp_targetILNS1_3genE2ELNS1_11target_archE906ELNS1_3gpuE6ELNS1_3repE0EEENS1_30default_config_static_selectorELNS0_4arch9wavefront6targetE1EEEvSK_.kd
    .uniform_work_group_size: 1
    .uses_dynamic_stack: false
    .vgpr_count:     0
    .vgpr_spill_count: 0
    .wavefront_size: 64
  - .agpr_count:     0
    .args:
      - .offset:         0
        .size:           40
        .value_kind:     by_value
    .group_segment_fixed_size: 0
    .kernarg_segment_align: 8
    .kernarg_segment_size: 40
    .language:       OpenCL C
    .language_version:
      - 2
      - 0
    .max_flat_workgroup_size: 256
    .name:           _ZN7rocprim17ROCPRIM_400000_NS6detail17trampoline_kernelINS0_14default_configENS1_22reduce_config_selectorIdEEZNS1_11reduce_implILb1ES3_N6thrust23THRUST_200600_302600_NS6detail15normal_iteratorINS8_10device_ptrIdEEEEPffNS8_4plusIfEEEE10hipError_tPvRmT1_T2_T3_mT4_P12ihipStream_tbEUlT_E1_NS1_11comp_targetILNS1_3genE10ELNS1_11target_archE1201ELNS1_3gpuE5ELNS1_3repE0EEENS1_30default_config_static_selectorELNS0_4arch9wavefront6targetE1EEEvSK_
    .private_segment_fixed_size: 0
    .sgpr_count:     6
    .sgpr_spill_count: 0
    .symbol:         _ZN7rocprim17ROCPRIM_400000_NS6detail17trampoline_kernelINS0_14default_configENS1_22reduce_config_selectorIdEEZNS1_11reduce_implILb1ES3_N6thrust23THRUST_200600_302600_NS6detail15normal_iteratorINS8_10device_ptrIdEEEEPffNS8_4plusIfEEEE10hipError_tPvRmT1_T2_T3_mT4_P12ihipStream_tbEUlT_E1_NS1_11comp_targetILNS1_3genE10ELNS1_11target_archE1201ELNS1_3gpuE5ELNS1_3repE0EEENS1_30default_config_static_selectorELNS0_4arch9wavefront6targetE1EEEvSK_.kd
    .uniform_work_group_size: 1
    .uses_dynamic_stack: false
    .vgpr_count:     0
    .vgpr_spill_count: 0
    .wavefront_size: 64
  - .agpr_count:     0
    .args:
      - .offset:         0
        .size:           40
        .value_kind:     by_value
    .group_segment_fixed_size: 0
    .kernarg_segment_align: 8
    .kernarg_segment_size: 40
    .language:       OpenCL C
    .language_version:
      - 2
      - 0
    .max_flat_workgroup_size: 256
    .name:           _ZN7rocprim17ROCPRIM_400000_NS6detail17trampoline_kernelINS0_14default_configENS1_22reduce_config_selectorIdEEZNS1_11reduce_implILb1ES3_N6thrust23THRUST_200600_302600_NS6detail15normal_iteratorINS8_10device_ptrIdEEEEPffNS8_4plusIfEEEE10hipError_tPvRmT1_T2_T3_mT4_P12ihipStream_tbEUlT_E1_NS1_11comp_targetILNS1_3genE10ELNS1_11target_archE1200ELNS1_3gpuE4ELNS1_3repE0EEENS1_30default_config_static_selectorELNS0_4arch9wavefront6targetE1EEEvSK_
    .private_segment_fixed_size: 0
    .sgpr_count:     6
    .sgpr_spill_count: 0
    .symbol:         _ZN7rocprim17ROCPRIM_400000_NS6detail17trampoline_kernelINS0_14default_configENS1_22reduce_config_selectorIdEEZNS1_11reduce_implILb1ES3_N6thrust23THRUST_200600_302600_NS6detail15normal_iteratorINS8_10device_ptrIdEEEEPffNS8_4plusIfEEEE10hipError_tPvRmT1_T2_T3_mT4_P12ihipStream_tbEUlT_E1_NS1_11comp_targetILNS1_3genE10ELNS1_11target_archE1200ELNS1_3gpuE4ELNS1_3repE0EEENS1_30default_config_static_selectorELNS0_4arch9wavefront6targetE1EEEvSK_.kd
    .uniform_work_group_size: 1
    .uses_dynamic_stack: false
    .vgpr_count:     0
    .vgpr_spill_count: 0
    .wavefront_size: 64
  - .agpr_count:     0
    .args:
      - .offset:         0
        .size:           40
        .value_kind:     by_value
    .group_segment_fixed_size: 0
    .kernarg_segment_align: 8
    .kernarg_segment_size: 40
    .language:       OpenCL C
    .language_version:
      - 2
      - 0
    .max_flat_workgroup_size: 256
    .name:           _ZN7rocprim17ROCPRIM_400000_NS6detail17trampoline_kernelINS0_14default_configENS1_22reduce_config_selectorIdEEZNS1_11reduce_implILb1ES3_N6thrust23THRUST_200600_302600_NS6detail15normal_iteratorINS8_10device_ptrIdEEEEPffNS8_4plusIfEEEE10hipError_tPvRmT1_T2_T3_mT4_P12ihipStream_tbEUlT_E1_NS1_11comp_targetILNS1_3genE9ELNS1_11target_archE1100ELNS1_3gpuE3ELNS1_3repE0EEENS1_30default_config_static_selectorELNS0_4arch9wavefront6targetE1EEEvSK_
    .private_segment_fixed_size: 0
    .sgpr_count:     6
    .sgpr_spill_count: 0
    .symbol:         _ZN7rocprim17ROCPRIM_400000_NS6detail17trampoline_kernelINS0_14default_configENS1_22reduce_config_selectorIdEEZNS1_11reduce_implILb1ES3_N6thrust23THRUST_200600_302600_NS6detail15normal_iteratorINS8_10device_ptrIdEEEEPffNS8_4plusIfEEEE10hipError_tPvRmT1_T2_T3_mT4_P12ihipStream_tbEUlT_E1_NS1_11comp_targetILNS1_3genE9ELNS1_11target_archE1100ELNS1_3gpuE3ELNS1_3repE0EEENS1_30default_config_static_selectorELNS0_4arch9wavefront6targetE1EEEvSK_.kd
    .uniform_work_group_size: 1
    .uses_dynamic_stack: false
    .vgpr_count:     0
    .vgpr_spill_count: 0
    .wavefront_size: 64
  - .agpr_count:     0
    .args:
      - .offset:         0
        .size:           40
        .value_kind:     by_value
    .group_segment_fixed_size: 0
    .kernarg_segment_align: 8
    .kernarg_segment_size: 40
    .language:       OpenCL C
    .language_version:
      - 2
      - 0
    .max_flat_workgroup_size: 256
    .name:           _ZN7rocprim17ROCPRIM_400000_NS6detail17trampoline_kernelINS0_14default_configENS1_22reduce_config_selectorIdEEZNS1_11reduce_implILb1ES3_N6thrust23THRUST_200600_302600_NS6detail15normal_iteratorINS8_10device_ptrIdEEEEPffNS8_4plusIfEEEE10hipError_tPvRmT1_T2_T3_mT4_P12ihipStream_tbEUlT_E1_NS1_11comp_targetILNS1_3genE8ELNS1_11target_archE1030ELNS1_3gpuE2ELNS1_3repE0EEENS1_30default_config_static_selectorELNS0_4arch9wavefront6targetE1EEEvSK_
    .private_segment_fixed_size: 0
    .sgpr_count:     6
    .sgpr_spill_count: 0
    .symbol:         _ZN7rocprim17ROCPRIM_400000_NS6detail17trampoline_kernelINS0_14default_configENS1_22reduce_config_selectorIdEEZNS1_11reduce_implILb1ES3_N6thrust23THRUST_200600_302600_NS6detail15normal_iteratorINS8_10device_ptrIdEEEEPffNS8_4plusIfEEEE10hipError_tPvRmT1_T2_T3_mT4_P12ihipStream_tbEUlT_E1_NS1_11comp_targetILNS1_3genE8ELNS1_11target_archE1030ELNS1_3gpuE2ELNS1_3repE0EEENS1_30default_config_static_selectorELNS0_4arch9wavefront6targetE1EEEvSK_.kd
    .uniform_work_group_size: 1
    .uses_dynamic_stack: false
    .vgpr_count:     0
    .vgpr_spill_count: 0
    .wavefront_size: 64
  - .agpr_count:     0
    .args:
      - .offset:         0
        .size:           56
        .value_kind:     by_value
    .group_segment_fixed_size: 32
    .kernarg_segment_align: 8
    .kernarg_segment_size: 56
    .language:       OpenCL C
    .language_version:
      - 2
      - 0
    .max_flat_workgroup_size: 256
    .name:           _ZN7rocprim17ROCPRIM_400000_NS6detail17trampoline_kernelINS0_14default_configENS1_22reduce_config_selectorIfEEZNS1_11reduce_implILb1ES3_N6thrust23THRUST_200600_302600_NS6detail15normal_iteratorINS8_10device_ptrIfEEEEPiiNS8_4plusIiEEEE10hipError_tPvRmT1_T2_T3_mT4_P12ihipStream_tbEUlT_E0_NS1_11comp_targetILNS1_3genE0ELNS1_11target_archE4294967295ELNS1_3gpuE0ELNS1_3repE0EEENS1_30default_config_static_selectorELNS0_4arch9wavefront6targetE1EEEvSK_
    .private_segment_fixed_size: 0
    .sgpr_count:     26
    .sgpr_spill_count: 0
    .symbol:         _ZN7rocprim17ROCPRIM_400000_NS6detail17trampoline_kernelINS0_14default_configENS1_22reduce_config_selectorIfEEZNS1_11reduce_implILb1ES3_N6thrust23THRUST_200600_302600_NS6detail15normal_iteratorINS8_10device_ptrIfEEEEPiiNS8_4plusIiEEEE10hipError_tPvRmT1_T2_T3_mT4_P12ihipStream_tbEUlT_E0_NS1_11comp_targetILNS1_3genE0ELNS1_11target_archE4294967295ELNS1_3gpuE0ELNS1_3repE0EEENS1_30default_config_static_selectorELNS0_4arch9wavefront6targetE1EEEvSK_.kd
    .uniform_work_group_size: 1
    .uses_dynamic_stack: false
    .vgpr_count:     12
    .vgpr_spill_count: 0
    .wavefront_size: 64
  - .agpr_count:     0
    .args:
      - .offset:         0
        .size:           56
        .value_kind:     by_value
    .group_segment_fixed_size: 0
    .kernarg_segment_align: 8
    .kernarg_segment_size: 56
    .language:       OpenCL C
    .language_version:
      - 2
      - 0
    .max_flat_workgroup_size: 128
    .name:           _ZN7rocprim17ROCPRIM_400000_NS6detail17trampoline_kernelINS0_14default_configENS1_22reduce_config_selectorIfEEZNS1_11reduce_implILb1ES3_N6thrust23THRUST_200600_302600_NS6detail15normal_iteratorINS8_10device_ptrIfEEEEPiiNS8_4plusIiEEEE10hipError_tPvRmT1_T2_T3_mT4_P12ihipStream_tbEUlT_E0_NS1_11comp_targetILNS1_3genE5ELNS1_11target_archE942ELNS1_3gpuE9ELNS1_3repE0EEENS1_30default_config_static_selectorELNS0_4arch9wavefront6targetE1EEEvSK_
    .private_segment_fixed_size: 0
    .sgpr_count:     6
    .sgpr_spill_count: 0
    .symbol:         _ZN7rocprim17ROCPRIM_400000_NS6detail17trampoline_kernelINS0_14default_configENS1_22reduce_config_selectorIfEEZNS1_11reduce_implILb1ES3_N6thrust23THRUST_200600_302600_NS6detail15normal_iteratorINS8_10device_ptrIfEEEEPiiNS8_4plusIiEEEE10hipError_tPvRmT1_T2_T3_mT4_P12ihipStream_tbEUlT_E0_NS1_11comp_targetILNS1_3genE5ELNS1_11target_archE942ELNS1_3gpuE9ELNS1_3repE0EEENS1_30default_config_static_selectorELNS0_4arch9wavefront6targetE1EEEvSK_.kd
    .uniform_work_group_size: 1
    .uses_dynamic_stack: false
    .vgpr_count:     0
    .vgpr_spill_count: 0
    .wavefront_size: 64
  - .agpr_count:     0
    .args:
      - .offset:         0
        .size:           56
        .value_kind:     by_value
    .group_segment_fixed_size: 0
    .kernarg_segment_align: 8
    .kernarg_segment_size: 56
    .language:       OpenCL C
    .language_version:
      - 2
      - 0
    .max_flat_workgroup_size: 128
    .name:           _ZN7rocprim17ROCPRIM_400000_NS6detail17trampoline_kernelINS0_14default_configENS1_22reduce_config_selectorIfEEZNS1_11reduce_implILb1ES3_N6thrust23THRUST_200600_302600_NS6detail15normal_iteratorINS8_10device_ptrIfEEEEPiiNS8_4plusIiEEEE10hipError_tPvRmT1_T2_T3_mT4_P12ihipStream_tbEUlT_E0_NS1_11comp_targetILNS1_3genE4ELNS1_11target_archE910ELNS1_3gpuE8ELNS1_3repE0EEENS1_30default_config_static_selectorELNS0_4arch9wavefront6targetE1EEEvSK_
    .private_segment_fixed_size: 0
    .sgpr_count:     6
    .sgpr_spill_count: 0
    .symbol:         _ZN7rocprim17ROCPRIM_400000_NS6detail17trampoline_kernelINS0_14default_configENS1_22reduce_config_selectorIfEEZNS1_11reduce_implILb1ES3_N6thrust23THRUST_200600_302600_NS6detail15normal_iteratorINS8_10device_ptrIfEEEEPiiNS8_4plusIiEEEE10hipError_tPvRmT1_T2_T3_mT4_P12ihipStream_tbEUlT_E0_NS1_11comp_targetILNS1_3genE4ELNS1_11target_archE910ELNS1_3gpuE8ELNS1_3repE0EEENS1_30default_config_static_selectorELNS0_4arch9wavefront6targetE1EEEvSK_.kd
    .uniform_work_group_size: 1
    .uses_dynamic_stack: false
    .vgpr_count:     0
    .vgpr_spill_count: 0
    .wavefront_size: 64
  - .agpr_count:     0
    .args:
      - .offset:         0
        .size:           56
        .value_kind:     by_value
    .group_segment_fixed_size: 0
    .kernarg_segment_align: 8
    .kernarg_segment_size: 56
    .language:       OpenCL C
    .language_version:
      - 2
      - 0
    .max_flat_workgroup_size: 256
    .name:           _ZN7rocprim17ROCPRIM_400000_NS6detail17trampoline_kernelINS0_14default_configENS1_22reduce_config_selectorIfEEZNS1_11reduce_implILb1ES3_N6thrust23THRUST_200600_302600_NS6detail15normal_iteratorINS8_10device_ptrIfEEEEPiiNS8_4plusIiEEEE10hipError_tPvRmT1_T2_T3_mT4_P12ihipStream_tbEUlT_E0_NS1_11comp_targetILNS1_3genE3ELNS1_11target_archE908ELNS1_3gpuE7ELNS1_3repE0EEENS1_30default_config_static_selectorELNS0_4arch9wavefront6targetE1EEEvSK_
    .private_segment_fixed_size: 0
    .sgpr_count:     6
    .sgpr_spill_count: 0
    .symbol:         _ZN7rocprim17ROCPRIM_400000_NS6detail17trampoline_kernelINS0_14default_configENS1_22reduce_config_selectorIfEEZNS1_11reduce_implILb1ES3_N6thrust23THRUST_200600_302600_NS6detail15normal_iteratorINS8_10device_ptrIfEEEEPiiNS8_4plusIiEEEE10hipError_tPvRmT1_T2_T3_mT4_P12ihipStream_tbEUlT_E0_NS1_11comp_targetILNS1_3genE3ELNS1_11target_archE908ELNS1_3gpuE7ELNS1_3repE0EEENS1_30default_config_static_selectorELNS0_4arch9wavefront6targetE1EEEvSK_.kd
    .uniform_work_group_size: 1
    .uses_dynamic_stack: false
    .vgpr_count:     0
    .vgpr_spill_count: 0
    .wavefront_size: 64
  - .agpr_count:     0
    .args:
      - .offset:         0
        .size:           56
        .value_kind:     by_value
    .group_segment_fixed_size: 0
    .kernarg_segment_align: 8
    .kernarg_segment_size: 56
    .language:       OpenCL C
    .language_version:
      - 2
      - 0
    .max_flat_workgroup_size: 256
    .name:           _ZN7rocprim17ROCPRIM_400000_NS6detail17trampoline_kernelINS0_14default_configENS1_22reduce_config_selectorIfEEZNS1_11reduce_implILb1ES3_N6thrust23THRUST_200600_302600_NS6detail15normal_iteratorINS8_10device_ptrIfEEEEPiiNS8_4plusIiEEEE10hipError_tPvRmT1_T2_T3_mT4_P12ihipStream_tbEUlT_E0_NS1_11comp_targetILNS1_3genE2ELNS1_11target_archE906ELNS1_3gpuE6ELNS1_3repE0EEENS1_30default_config_static_selectorELNS0_4arch9wavefront6targetE1EEEvSK_
    .private_segment_fixed_size: 0
    .sgpr_count:     6
    .sgpr_spill_count: 0
    .symbol:         _ZN7rocprim17ROCPRIM_400000_NS6detail17trampoline_kernelINS0_14default_configENS1_22reduce_config_selectorIfEEZNS1_11reduce_implILb1ES3_N6thrust23THRUST_200600_302600_NS6detail15normal_iteratorINS8_10device_ptrIfEEEEPiiNS8_4plusIiEEEE10hipError_tPvRmT1_T2_T3_mT4_P12ihipStream_tbEUlT_E0_NS1_11comp_targetILNS1_3genE2ELNS1_11target_archE906ELNS1_3gpuE6ELNS1_3repE0EEENS1_30default_config_static_selectorELNS0_4arch9wavefront6targetE1EEEvSK_.kd
    .uniform_work_group_size: 1
    .uses_dynamic_stack: false
    .vgpr_count:     0
    .vgpr_spill_count: 0
    .wavefront_size: 64
  - .agpr_count:     0
    .args:
      - .offset:         0
        .size:           56
        .value_kind:     by_value
    .group_segment_fixed_size: 0
    .kernarg_segment_align: 8
    .kernarg_segment_size: 56
    .language:       OpenCL C
    .language_version:
      - 2
      - 0
    .max_flat_workgroup_size: 256
    .name:           _ZN7rocprim17ROCPRIM_400000_NS6detail17trampoline_kernelINS0_14default_configENS1_22reduce_config_selectorIfEEZNS1_11reduce_implILb1ES3_N6thrust23THRUST_200600_302600_NS6detail15normal_iteratorINS8_10device_ptrIfEEEEPiiNS8_4plusIiEEEE10hipError_tPvRmT1_T2_T3_mT4_P12ihipStream_tbEUlT_E0_NS1_11comp_targetILNS1_3genE10ELNS1_11target_archE1201ELNS1_3gpuE5ELNS1_3repE0EEENS1_30default_config_static_selectorELNS0_4arch9wavefront6targetE1EEEvSK_
    .private_segment_fixed_size: 0
    .sgpr_count:     6
    .sgpr_spill_count: 0
    .symbol:         _ZN7rocprim17ROCPRIM_400000_NS6detail17trampoline_kernelINS0_14default_configENS1_22reduce_config_selectorIfEEZNS1_11reduce_implILb1ES3_N6thrust23THRUST_200600_302600_NS6detail15normal_iteratorINS8_10device_ptrIfEEEEPiiNS8_4plusIiEEEE10hipError_tPvRmT1_T2_T3_mT4_P12ihipStream_tbEUlT_E0_NS1_11comp_targetILNS1_3genE10ELNS1_11target_archE1201ELNS1_3gpuE5ELNS1_3repE0EEENS1_30default_config_static_selectorELNS0_4arch9wavefront6targetE1EEEvSK_.kd
    .uniform_work_group_size: 1
    .uses_dynamic_stack: false
    .vgpr_count:     0
    .vgpr_spill_count: 0
    .wavefront_size: 64
  - .agpr_count:     0
    .args:
      - .offset:         0
        .size:           56
        .value_kind:     by_value
    .group_segment_fixed_size: 0
    .kernarg_segment_align: 8
    .kernarg_segment_size: 56
    .language:       OpenCL C
    .language_version:
      - 2
      - 0
    .max_flat_workgroup_size: 256
    .name:           _ZN7rocprim17ROCPRIM_400000_NS6detail17trampoline_kernelINS0_14default_configENS1_22reduce_config_selectorIfEEZNS1_11reduce_implILb1ES3_N6thrust23THRUST_200600_302600_NS6detail15normal_iteratorINS8_10device_ptrIfEEEEPiiNS8_4plusIiEEEE10hipError_tPvRmT1_T2_T3_mT4_P12ihipStream_tbEUlT_E0_NS1_11comp_targetILNS1_3genE10ELNS1_11target_archE1200ELNS1_3gpuE4ELNS1_3repE0EEENS1_30default_config_static_selectorELNS0_4arch9wavefront6targetE1EEEvSK_
    .private_segment_fixed_size: 0
    .sgpr_count:     6
    .sgpr_spill_count: 0
    .symbol:         _ZN7rocprim17ROCPRIM_400000_NS6detail17trampoline_kernelINS0_14default_configENS1_22reduce_config_selectorIfEEZNS1_11reduce_implILb1ES3_N6thrust23THRUST_200600_302600_NS6detail15normal_iteratorINS8_10device_ptrIfEEEEPiiNS8_4plusIiEEEE10hipError_tPvRmT1_T2_T3_mT4_P12ihipStream_tbEUlT_E0_NS1_11comp_targetILNS1_3genE10ELNS1_11target_archE1200ELNS1_3gpuE4ELNS1_3repE0EEENS1_30default_config_static_selectorELNS0_4arch9wavefront6targetE1EEEvSK_.kd
    .uniform_work_group_size: 1
    .uses_dynamic_stack: false
    .vgpr_count:     0
    .vgpr_spill_count: 0
    .wavefront_size: 64
  - .agpr_count:     0
    .args:
      - .offset:         0
        .size:           56
        .value_kind:     by_value
    .group_segment_fixed_size: 0
    .kernarg_segment_align: 8
    .kernarg_segment_size: 56
    .language:       OpenCL C
    .language_version:
      - 2
      - 0
    .max_flat_workgroup_size: 256
    .name:           _ZN7rocprim17ROCPRIM_400000_NS6detail17trampoline_kernelINS0_14default_configENS1_22reduce_config_selectorIfEEZNS1_11reduce_implILb1ES3_N6thrust23THRUST_200600_302600_NS6detail15normal_iteratorINS8_10device_ptrIfEEEEPiiNS8_4plusIiEEEE10hipError_tPvRmT1_T2_T3_mT4_P12ihipStream_tbEUlT_E0_NS1_11comp_targetILNS1_3genE9ELNS1_11target_archE1100ELNS1_3gpuE3ELNS1_3repE0EEENS1_30default_config_static_selectorELNS0_4arch9wavefront6targetE1EEEvSK_
    .private_segment_fixed_size: 0
    .sgpr_count:     6
    .sgpr_spill_count: 0
    .symbol:         _ZN7rocprim17ROCPRIM_400000_NS6detail17trampoline_kernelINS0_14default_configENS1_22reduce_config_selectorIfEEZNS1_11reduce_implILb1ES3_N6thrust23THRUST_200600_302600_NS6detail15normal_iteratorINS8_10device_ptrIfEEEEPiiNS8_4plusIiEEEE10hipError_tPvRmT1_T2_T3_mT4_P12ihipStream_tbEUlT_E0_NS1_11comp_targetILNS1_3genE9ELNS1_11target_archE1100ELNS1_3gpuE3ELNS1_3repE0EEENS1_30default_config_static_selectorELNS0_4arch9wavefront6targetE1EEEvSK_.kd
    .uniform_work_group_size: 1
    .uses_dynamic_stack: false
    .vgpr_count:     0
    .vgpr_spill_count: 0
    .wavefront_size: 64
  - .agpr_count:     0
    .args:
      - .offset:         0
        .size:           56
        .value_kind:     by_value
    .group_segment_fixed_size: 0
    .kernarg_segment_align: 8
    .kernarg_segment_size: 56
    .language:       OpenCL C
    .language_version:
      - 2
      - 0
    .max_flat_workgroup_size: 256
    .name:           _ZN7rocprim17ROCPRIM_400000_NS6detail17trampoline_kernelINS0_14default_configENS1_22reduce_config_selectorIfEEZNS1_11reduce_implILb1ES3_N6thrust23THRUST_200600_302600_NS6detail15normal_iteratorINS8_10device_ptrIfEEEEPiiNS8_4plusIiEEEE10hipError_tPvRmT1_T2_T3_mT4_P12ihipStream_tbEUlT_E0_NS1_11comp_targetILNS1_3genE8ELNS1_11target_archE1030ELNS1_3gpuE2ELNS1_3repE0EEENS1_30default_config_static_selectorELNS0_4arch9wavefront6targetE1EEEvSK_
    .private_segment_fixed_size: 0
    .sgpr_count:     6
    .sgpr_spill_count: 0
    .symbol:         _ZN7rocprim17ROCPRIM_400000_NS6detail17trampoline_kernelINS0_14default_configENS1_22reduce_config_selectorIfEEZNS1_11reduce_implILb1ES3_N6thrust23THRUST_200600_302600_NS6detail15normal_iteratorINS8_10device_ptrIfEEEEPiiNS8_4plusIiEEEE10hipError_tPvRmT1_T2_T3_mT4_P12ihipStream_tbEUlT_E0_NS1_11comp_targetILNS1_3genE8ELNS1_11target_archE1030ELNS1_3gpuE2ELNS1_3repE0EEENS1_30default_config_static_selectorELNS0_4arch9wavefront6targetE1EEEvSK_.kd
    .uniform_work_group_size: 1
    .uses_dynamic_stack: false
    .vgpr_count:     0
    .vgpr_spill_count: 0
    .wavefront_size: 64
  - .agpr_count:     0
    .args:
      - .offset:         0
        .size:           40
        .value_kind:     by_value
    .group_segment_fixed_size: 112
    .kernarg_segment_align: 8
    .kernarg_segment_size: 40
    .language:       OpenCL C
    .language_version:
      - 2
      - 0
    .max_flat_workgroup_size: 256
    .name:           _ZN7rocprim17ROCPRIM_400000_NS6detail17trampoline_kernelINS0_14default_configENS1_22reduce_config_selectorIfEEZNS1_11reduce_implILb1ES3_N6thrust23THRUST_200600_302600_NS6detail15normal_iteratorINS8_10device_ptrIfEEEEPiiNS8_4plusIiEEEE10hipError_tPvRmT1_T2_T3_mT4_P12ihipStream_tbEUlT_E1_NS1_11comp_targetILNS1_3genE0ELNS1_11target_archE4294967295ELNS1_3gpuE0ELNS1_3repE0EEENS1_30default_config_static_selectorELNS0_4arch9wavefront6targetE1EEEvSK_
    .private_segment_fixed_size: 0
    .sgpr_count:     83
    .sgpr_spill_count: 0
    .symbol:         _ZN7rocprim17ROCPRIM_400000_NS6detail17trampoline_kernelINS0_14default_configENS1_22reduce_config_selectorIfEEZNS1_11reduce_implILb1ES3_N6thrust23THRUST_200600_302600_NS6detail15normal_iteratorINS8_10device_ptrIfEEEEPiiNS8_4plusIiEEEE10hipError_tPvRmT1_T2_T3_mT4_P12ihipStream_tbEUlT_E1_NS1_11comp_targetILNS1_3genE0ELNS1_11target_archE4294967295ELNS1_3gpuE0ELNS1_3repE0EEENS1_30default_config_static_selectorELNS0_4arch9wavefront6targetE1EEEvSK_.kd
    .uniform_work_group_size: 1
    .uses_dynamic_stack: false
    .vgpr_count:     36
    .vgpr_spill_count: 0
    .wavefront_size: 64
  - .agpr_count:     0
    .args:
      - .offset:         0
        .size:           40
        .value_kind:     by_value
    .group_segment_fixed_size: 0
    .kernarg_segment_align: 8
    .kernarg_segment_size: 40
    .language:       OpenCL C
    .language_version:
      - 2
      - 0
    .max_flat_workgroup_size: 128
    .name:           _ZN7rocprim17ROCPRIM_400000_NS6detail17trampoline_kernelINS0_14default_configENS1_22reduce_config_selectorIfEEZNS1_11reduce_implILb1ES3_N6thrust23THRUST_200600_302600_NS6detail15normal_iteratorINS8_10device_ptrIfEEEEPiiNS8_4plusIiEEEE10hipError_tPvRmT1_T2_T3_mT4_P12ihipStream_tbEUlT_E1_NS1_11comp_targetILNS1_3genE5ELNS1_11target_archE942ELNS1_3gpuE9ELNS1_3repE0EEENS1_30default_config_static_selectorELNS0_4arch9wavefront6targetE1EEEvSK_
    .private_segment_fixed_size: 0
    .sgpr_count:     6
    .sgpr_spill_count: 0
    .symbol:         _ZN7rocprim17ROCPRIM_400000_NS6detail17trampoline_kernelINS0_14default_configENS1_22reduce_config_selectorIfEEZNS1_11reduce_implILb1ES3_N6thrust23THRUST_200600_302600_NS6detail15normal_iteratorINS8_10device_ptrIfEEEEPiiNS8_4plusIiEEEE10hipError_tPvRmT1_T2_T3_mT4_P12ihipStream_tbEUlT_E1_NS1_11comp_targetILNS1_3genE5ELNS1_11target_archE942ELNS1_3gpuE9ELNS1_3repE0EEENS1_30default_config_static_selectorELNS0_4arch9wavefront6targetE1EEEvSK_.kd
    .uniform_work_group_size: 1
    .uses_dynamic_stack: false
    .vgpr_count:     0
    .vgpr_spill_count: 0
    .wavefront_size: 64
  - .agpr_count:     0
    .args:
      - .offset:         0
        .size:           40
        .value_kind:     by_value
    .group_segment_fixed_size: 0
    .kernarg_segment_align: 8
    .kernarg_segment_size: 40
    .language:       OpenCL C
    .language_version:
      - 2
      - 0
    .max_flat_workgroup_size: 128
    .name:           _ZN7rocprim17ROCPRIM_400000_NS6detail17trampoline_kernelINS0_14default_configENS1_22reduce_config_selectorIfEEZNS1_11reduce_implILb1ES3_N6thrust23THRUST_200600_302600_NS6detail15normal_iteratorINS8_10device_ptrIfEEEEPiiNS8_4plusIiEEEE10hipError_tPvRmT1_T2_T3_mT4_P12ihipStream_tbEUlT_E1_NS1_11comp_targetILNS1_3genE4ELNS1_11target_archE910ELNS1_3gpuE8ELNS1_3repE0EEENS1_30default_config_static_selectorELNS0_4arch9wavefront6targetE1EEEvSK_
    .private_segment_fixed_size: 0
    .sgpr_count:     6
    .sgpr_spill_count: 0
    .symbol:         _ZN7rocprim17ROCPRIM_400000_NS6detail17trampoline_kernelINS0_14default_configENS1_22reduce_config_selectorIfEEZNS1_11reduce_implILb1ES3_N6thrust23THRUST_200600_302600_NS6detail15normal_iteratorINS8_10device_ptrIfEEEEPiiNS8_4plusIiEEEE10hipError_tPvRmT1_T2_T3_mT4_P12ihipStream_tbEUlT_E1_NS1_11comp_targetILNS1_3genE4ELNS1_11target_archE910ELNS1_3gpuE8ELNS1_3repE0EEENS1_30default_config_static_selectorELNS0_4arch9wavefront6targetE1EEEvSK_.kd
    .uniform_work_group_size: 1
    .uses_dynamic_stack: false
    .vgpr_count:     0
    .vgpr_spill_count: 0
    .wavefront_size: 64
  - .agpr_count:     0
    .args:
      - .offset:         0
        .size:           40
        .value_kind:     by_value
    .group_segment_fixed_size: 0
    .kernarg_segment_align: 8
    .kernarg_segment_size: 40
    .language:       OpenCL C
    .language_version:
      - 2
      - 0
    .max_flat_workgroup_size: 256
    .name:           _ZN7rocprim17ROCPRIM_400000_NS6detail17trampoline_kernelINS0_14default_configENS1_22reduce_config_selectorIfEEZNS1_11reduce_implILb1ES3_N6thrust23THRUST_200600_302600_NS6detail15normal_iteratorINS8_10device_ptrIfEEEEPiiNS8_4plusIiEEEE10hipError_tPvRmT1_T2_T3_mT4_P12ihipStream_tbEUlT_E1_NS1_11comp_targetILNS1_3genE3ELNS1_11target_archE908ELNS1_3gpuE7ELNS1_3repE0EEENS1_30default_config_static_selectorELNS0_4arch9wavefront6targetE1EEEvSK_
    .private_segment_fixed_size: 0
    .sgpr_count:     6
    .sgpr_spill_count: 0
    .symbol:         _ZN7rocprim17ROCPRIM_400000_NS6detail17trampoline_kernelINS0_14default_configENS1_22reduce_config_selectorIfEEZNS1_11reduce_implILb1ES3_N6thrust23THRUST_200600_302600_NS6detail15normal_iteratorINS8_10device_ptrIfEEEEPiiNS8_4plusIiEEEE10hipError_tPvRmT1_T2_T3_mT4_P12ihipStream_tbEUlT_E1_NS1_11comp_targetILNS1_3genE3ELNS1_11target_archE908ELNS1_3gpuE7ELNS1_3repE0EEENS1_30default_config_static_selectorELNS0_4arch9wavefront6targetE1EEEvSK_.kd
    .uniform_work_group_size: 1
    .uses_dynamic_stack: false
    .vgpr_count:     0
    .vgpr_spill_count: 0
    .wavefront_size: 64
  - .agpr_count:     0
    .args:
      - .offset:         0
        .size:           40
        .value_kind:     by_value
    .group_segment_fixed_size: 0
    .kernarg_segment_align: 8
    .kernarg_segment_size: 40
    .language:       OpenCL C
    .language_version:
      - 2
      - 0
    .max_flat_workgroup_size: 256
    .name:           _ZN7rocprim17ROCPRIM_400000_NS6detail17trampoline_kernelINS0_14default_configENS1_22reduce_config_selectorIfEEZNS1_11reduce_implILb1ES3_N6thrust23THRUST_200600_302600_NS6detail15normal_iteratorINS8_10device_ptrIfEEEEPiiNS8_4plusIiEEEE10hipError_tPvRmT1_T2_T3_mT4_P12ihipStream_tbEUlT_E1_NS1_11comp_targetILNS1_3genE2ELNS1_11target_archE906ELNS1_3gpuE6ELNS1_3repE0EEENS1_30default_config_static_selectorELNS0_4arch9wavefront6targetE1EEEvSK_
    .private_segment_fixed_size: 0
    .sgpr_count:     6
    .sgpr_spill_count: 0
    .symbol:         _ZN7rocprim17ROCPRIM_400000_NS6detail17trampoline_kernelINS0_14default_configENS1_22reduce_config_selectorIfEEZNS1_11reduce_implILb1ES3_N6thrust23THRUST_200600_302600_NS6detail15normal_iteratorINS8_10device_ptrIfEEEEPiiNS8_4plusIiEEEE10hipError_tPvRmT1_T2_T3_mT4_P12ihipStream_tbEUlT_E1_NS1_11comp_targetILNS1_3genE2ELNS1_11target_archE906ELNS1_3gpuE6ELNS1_3repE0EEENS1_30default_config_static_selectorELNS0_4arch9wavefront6targetE1EEEvSK_.kd
    .uniform_work_group_size: 1
    .uses_dynamic_stack: false
    .vgpr_count:     0
    .vgpr_spill_count: 0
    .wavefront_size: 64
  - .agpr_count:     0
    .args:
      - .offset:         0
        .size:           40
        .value_kind:     by_value
    .group_segment_fixed_size: 0
    .kernarg_segment_align: 8
    .kernarg_segment_size: 40
    .language:       OpenCL C
    .language_version:
      - 2
      - 0
    .max_flat_workgroup_size: 256
    .name:           _ZN7rocprim17ROCPRIM_400000_NS6detail17trampoline_kernelINS0_14default_configENS1_22reduce_config_selectorIfEEZNS1_11reduce_implILb1ES3_N6thrust23THRUST_200600_302600_NS6detail15normal_iteratorINS8_10device_ptrIfEEEEPiiNS8_4plusIiEEEE10hipError_tPvRmT1_T2_T3_mT4_P12ihipStream_tbEUlT_E1_NS1_11comp_targetILNS1_3genE10ELNS1_11target_archE1201ELNS1_3gpuE5ELNS1_3repE0EEENS1_30default_config_static_selectorELNS0_4arch9wavefront6targetE1EEEvSK_
    .private_segment_fixed_size: 0
    .sgpr_count:     6
    .sgpr_spill_count: 0
    .symbol:         _ZN7rocprim17ROCPRIM_400000_NS6detail17trampoline_kernelINS0_14default_configENS1_22reduce_config_selectorIfEEZNS1_11reduce_implILb1ES3_N6thrust23THRUST_200600_302600_NS6detail15normal_iteratorINS8_10device_ptrIfEEEEPiiNS8_4plusIiEEEE10hipError_tPvRmT1_T2_T3_mT4_P12ihipStream_tbEUlT_E1_NS1_11comp_targetILNS1_3genE10ELNS1_11target_archE1201ELNS1_3gpuE5ELNS1_3repE0EEENS1_30default_config_static_selectorELNS0_4arch9wavefront6targetE1EEEvSK_.kd
    .uniform_work_group_size: 1
    .uses_dynamic_stack: false
    .vgpr_count:     0
    .vgpr_spill_count: 0
    .wavefront_size: 64
  - .agpr_count:     0
    .args:
      - .offset:         0
        .size:           40
        .value_kind:     by_value
    .group_segment_fixed_size: 0
    .kernarg_segment_align: 8
    .kernarg_segment_size: 40
    .language:       OpenCL C
    .language_version:
      - 2
      - 0
    .max_flat_workgroup_size: 256
    .name:           _ZN7rocprim17ROCPRIM_400000_NS6detail17trampoline_kernelINS0_14default_configENS1_22reduce_config_selectorIfEEZNS1_11reduce_implILb1ES3_N6thrust23THRUST_200600_302600_NS6detail15normal_iteratorINS8_10device_ptrIfEEEEPiiNS8_4plusIiEEEE10hipError_tPvRmT1_T2_T3_mT4_P12ihipStream_tbEUlT_E1_NS1_11comp_targetILNS1_3genE10ELNS1_11target_archE1200ELNS1_3gpuE4ELNS1_3repE0EEENS1_30default_config_static_selectorELNS0_4arch9wavefront6targetE1EEEvSK_
    .private_segment_fixed_size: 0
    .sgpr_count:     6
    .sgpr_spill_count: 0
    .symbol:         _ZN7rocprim17ROCPRIM_400000_NS6detail17trampoline_kernelINS0_14default_configENS1_22reduce_config_selectorIfEEZNS1_11reduce_implILb1ES3_N6thrust23THRUST_200600_302600_NS6detail15normal_iteratorINS8_10device_ptrIfEEEEPiiNS8_4plusIiEEEE10hipError_tPvRmT1_T2_T3_mT4_P12ihipStream_tbEUlT_E1_NS1_11comp_targetILNS1_3genE10ELNS1_11target_archE1200ELNS1_3gpuE4ELNS1_3repE0EEENS1_30default_config_static_selectorELNS0_4arch9wavefront6targetE1EEEvSK_.kd
    .uniform_work_group_size: 1
    .uses_dynamic_stack: false
    .vgpr_count:     0
    .vgpr_spill_count: 0
    .wavefront_size: 64
  - .agpr_count:     0
    .args:
      - .offset:         0
        .size:           40
        .value_kind:     by_value
    .group_segment_fixed_size: 0
    .kernarg_segment_align: 8
    .kernarg_segment_size: 40
    .language:       OpenCL C
    .language_version:
      - 2
      - 0
    .max_flat_workgroup_size: 256
    .name:           _ZN7rocprim17ROCPRIM_400000_NS6detail17trampoline_kernelINS0_14default_configENS1_22reduce_config_selectorIfEEZNS1_11reduce_implILb1ES3_N6thrust23THRUST_200600_302600_NS6detail15normal_iteratorINS8_10device_ptrIfEEEEPiiNS8_4plusIiEEEE10hipError_tPvRmT1_T2_T3_mT4_P12ihipStream_tbEUlT_E1_NS1_11comp_targetILNS1_3genE9ELNS1_11target_archE1100ELNS1_3gpuE3ELNS1_3repE0EEENS1_30default_config_static_selectorELNS0_4arch9wavefront6targetE1EEEvSK_
    .private_segment_fixed_size: 0
    .sgpr_count:     6
    .sgpr_spill_count: 0
    .symbol:         _ZN7rocprim17ROCPRIM_400000_NS6detail17trampoline_kernelINS0_14default_configENS1_22reduce_config_selectorIfEEZNS1_11reduce_implILb1ES3_N6thrust23THRUST_200600_302600_NS6detail15normal_iteratorINS8_10device_ptrIfEEEEPiiNS8_4plusIiEEEE10hipError_tPvRmT1_T2_T3_mT4_P12ihipStream_tbEUlT_E1_NS1_11comp_targetILNS1_3genE9ELNS1_11target_archE1100ELNS1_3gpuE3ELNS1_3repE0EEENS1_30default_config_static_selectorELNS0_4arch9wavefront6targetE1EEEvSK_.kd
    .uniform_work_group_size: 1
    .uses_dynamic_stack: false
    .vgpr_count:     0
    .vgpr_spill_count: 0
    .wavefront_size: 64
  - .agpr_count:     0
    .args:
      - .offset:         0
        .size:           40
        .value_kind:     by_value
    .group_segment_fixed_size: 0
    .kernarg_segment_align: 8
    .kernarg_segment_size: 40
    .language:       OpenCL C
    .language_version:
      - 2
      - 0
    .max_flat_workgroup_size: 256
    .name:           _ZN7rocprim17ROCPRIM_400000_NS6detail17trampoline_kernelINS0_14default_configENS1_22reduce_config_selectorIfEEZNS1_11reduce_implILb1ES3_N6thrust23THRUST_200600_302600_NS6detail15normal_iteratorINS8_10device_ptrIfEEEEPiiNS8_4plusIiEEEE10hipError_tPvRmT1_T2_T3_mT4_P12ihipStream_tbEUlT_E1_NS1_11comp_targetILNS1_3genE8ELNS1_11target_archE1030ELNS1_3gpuE2ELNS1_3repE0EEENS1_30default_config_static_selectorELNS0_4arch9wavefront6targetE1EEEvSK_
    .private_segment_fixed_size: 0
    .sgpr_count:     6
    .sgpr_spill_count: 0
    .symbol:         _ZN7rocprim17ROCPRIM_400000_NS6detail17trampoline_kernelINS0_14default_configENS1_22reduce_config_selectorIfEEZNS1_11reduce_implILb1ES3_N6thrust23THRUST_200600_302600_NS6detail15normal_iteratorINS8_10device_ptrIfEEEEPiiNS8_4plusIiEEEE10hipError_tPvRmT1_T2_T3_mT4_P12ihipStream_tbEUlT_E1_NS1_11comp_targetILNS1_3genE8ELNS1_11target_archE1030ELNS1_3gpuE2ELNS1_3repE0EEENS1_30default_config_static_selectorELNS0_4arch9wavefront6targetE1EEEvSK_.kd
    .uniform_work_group_size: 1
    .uses_dynamic_stack: false
    .vgpr_count:     0
    .vgpr_spill_count: 0
    .wavefront_size: 64
  - .agpr_count:     0
    .args:
      - .offset:         0
        .size:           56
        .value_kind:     by_value
    .group_segment_fixed_size: 32
    .kernarg_segment_align: 8
    .kernarg_segment_size: 56
    .language:       OpenCL C
    .language_version:
      - 2
      - 0
    .max_flat_workgroup_size: 256
    .name:           _ZN7rocprim17ROCPRIM_400000_NS6detail17trampoline_kernelINS0_14default_configENS1_22reduce_config_selectorIyEEZNS1_11reduce_implILb1ES3_N6thrust23THRUST_200600_302600_NS6detail15normal_iteratorINS8_10device_ptrIyEEEEPiiNS8_4plusIiEEEE10hipError_tPvRmT1_T2_T3_mT4_P12ihipStream_tbEUlT_E0_NS1_11comp_targetILNS1_3genE0ELNS1_11target_archE4294967295ELNS1_3gpuE0ELNS1_3repE0EEENS1_30default_config_static_selectorELNS0_4arch9wavefront6targetE1EEEvSK_
    .private_segment_fixed_size: 0
    .sgpr_count:     54
    .sgpr_spill_count: 0
    .symbol:         _ZN7rocprim17ROCPRIM_400000_NS6detail17trampoline_kernelINS0_14default_configENS1_22reduce_config_selectorIyEEZNS1_11reduce_implILb1ES3_N6thrust23THRUST_200600_302600_NS6detail15normal_iteratorINS8_10device_ptrIyEEEEPiiNS8_4plusIiEEEE10hipError_tPvRmT1_T2_T3_mT4_P12ihipStream_tbEUlT_E0_NS1_11comp_targetILNS1_3genE0ELNS1_11target_archE4294967295ELNS1_3gpuE0ELNS1_3repE0EEENS1_30default_config_static_selectorELNS0_4arch9wavefront6targetE1EEEvSK_.kd
    .uniform_work_group_size: 1
    .uses_dynamic_stack: false
    .vgpr_count:     36
    .vgpr_spill_count: 0
    .wavefront_size: 64
  - .agpr_count:     0
    .args:
      - .offset:         0
        .size:           56
        .value_kind:     by_value
    .group_segment_fixed_size: 0
    .kernarg_segment_align: 8
    .kernarg_segment_size: 56
    .language:       OpenCL C
    .language_version:
      - 2
      - 0
    .max_flat_workgroup_size: 256
    .name:           _ZN7rocprim17ROCPRIM_400000_NS6detail17trampoline_kernelINS0_14default_configENS1_22reduce_config_selectorIyEEZNS1_11reduce_implILb1ES3_N6thrust23THRUST_200600_302600_NS6detail15normal_iteratorINS8_10device_ptrIyEEEEPiiNS8_4plusIiEEEE10hipError_tPvRmT1_T2_T3_mT4_P12ihipStream_tbEUlT_E0_NS1_11comp_targetILNS1_3genE5ELNS1_11target_archE942ELNS1_3gpuE9ELNS1_3repE0EEENS1_30default_config_static_selectorELNS0_4arch9wavefront6targetE1EEEvSK_
    .private_segment_fixed_size: 0
    .sgpr_count:     6
    .sgpr_spill_count: 0
    .symbol:         _ZN7rocprim17ROCPRIM_400000_NS6detail17trampoline_kernelINS0_14default_configENS1_22reduce_config_selectorIyEEZNS1_11reduce_implILb1ES3_N6thrust23THRUST_200600_302600_NS6detail15normal_iteratorINS8_10device_ptrIyEEEEPiiNS8_4plusIiEEEE10hipError_tPvRmT1_T2_T3_mT4_P12ihipStream_tbEUlT_E0_NS1_11comp_targetILNS1_3genE5ELNS1_11target_archE942ELNS1_3gpuE9ELNS1_3repE0EEENS1_30default_config_static_selectorELNS0_4arch9wavefront6targetE1EEEvSK_.kd
    .uniform_work_group_size: 1
    .uses_dynamic_stack: false
    .vgpr_count:     0
    .vgpr_spill_count: 0
    .wavefront_size: 64
  - .agpr_count:     0
    .args:
      - .offset:         0
        .size:           56
        .value_kind:     by_value
    .group_segment_fixed_size: 0
    .kernarg_segment_align: 8
    .kernarg_segment_size: 56
    .language:       OpenCL C
    .language_version:
      - 2
      - 0
    .max_flat_workgroup_size: 256
    .name:           _ZN7rocprim17ROCPRIM_400000_NS6detail17trampoline_kernelINS0_14default_configENS1_22reduce_config_selectorIyEEZNS1_11reduce_implILb1ES3_N6thrust23THRUST_200600_302600_NS6detail15normal_iteratorINS8_10device_ptrIyEEEEPiiNS8_4plusIiEEEE10hipError_tPvRmT1_T2_T3_mT4_P12ihipStream_tbEUlT_E0_NS1_11comp_targetILNS1_3genE4ELNS1_11target_archE910ELNS1_3gpuE8ELNS1_3repE0EEENS1_30default_config_static_selectorELNS0_4arch9wavefront6targetE1EEEvSK_
    .private_segment_fixed_size: 0
    .sgpr_count:     6
    .sgpr_spill_count: 0
    .symbol:         _ZN7rocprim17ROCPRIM_400000_NS6detail17trampoline_kernelINS0_14default_configENS1_22reduce_config_selectorIyEEZNS1_11reduce_implILb1ES3_N6thrust23THRUST_200600_302600_NS6detail15normal_iteratorINS8_10device_ptrIyEEEEPiiNS8_4plusIiEEEE10hipError_tPvRmT1_T2_T3_mT4_P12ihipStream_tbEUlT_E0_NS1_11comp_targetILNS1_3genE4ELNS1_11target_archE910ELNS1_3gpuE8ELNS1_3repE0EEENS1_30default_config_static_selectorELNS0_4arch9wavefront6targetE1EEEvSK_.kd
    .uniform_work_group_size: 1
    .uses_dynamic_stack: false
    .vgpr_count:     0
    .vgpr_spill_count: 0
    .wavefront_size: 64
  - .agpr_count:     0
    .args:
      - .offset:         0
        .size:           56
        .value_kind:     by_value
    .group_segment_fixed_size: 0
    .kernarg_segment_align: 8
    .kernarg_segment_size: 56
    .language:       OpenCL C
    .language_version:
      - 2
      - 0
    .max_flat_workgroup_size: 256
    .name:           _ZN7rocprim17ROCPRIM_400000_NS6detail17trampoline_kernelINS0_14default_configENS1_22reduce_config_selectorIyEEZNS1_11reduce_implILb1ES3_N6thrust23THRUST_200600_302600_NS6detail15normal_iteratorINS8_10device_ptrIyEEEEPiiNS8_4plusIiEEEE10hipError_tPvRmT1_T2_T3_mT4_P12ihipStream_tbEUlT_E0_NS1_11comp_targetILNS1_3genE3ELNS1_11target_archE908ELNS1_3gpuE7ELNS1_3repE0EEENS1_30default_config_static_selectorELNS0_4arch9wavefront6targetE1EEEvSK_
    .private_segment_fixed_size: 0
    .sgpr_count:     6
    .sgpr_spill_count: 0
    .symbol:         _ZN7rocprim17ROCPRIM_400000_NS6detail17trampoline_kernelINS0_14default_configENS1_22reduce_config_selectorIyEEZNS1_11reduce_implILb1ES3_N6thrust23THRUST_200600_302600_NS6detail15normal_iteratorINS8_10device_ptrIyEEEEPiiNS8_4plusIiEEEE10hipError_tPvRmT1_T2_T3_mT4_P12ihipStream_tbEUlT_E0_NS1_11comp_targetILNS1_3genE3ELNS1_11target_archE908ELNS1_3gpuE7ELNS1_3repE0EEENS1_30default_config_static_selectorELNS0_4arch9wavefront6targetE1EEEvSK_.kd
    .uniform_work_group_size: 1
    .uses_dynamic_stack: false
    .vgpr_count:     0
    .vgpr_spill_count: 0
    .wavefront_size: 64
  - .agpr_count:     0
    .args:
      - .offset:         0
        .size:           56
        .value_kind:     by_value
    .group_segment_fixed_size: 0
    .kernarg_segment_align: 8
    .kernarg_segment_size: 56
    .language:       OpenCL C
    .language_version:
      - 2
      - 0
    .max_flat_workgroup_size: 256
    .name:           _ZN7rocprim17ROCPRIM_400000_NS6detail17trampoline_kernelINS0_14default_configENS1_22reduce_config_selectorIyEEZNS1_11reduce_implILb1ES3_N6thrust23THRUST_200600_302600_NS6detail15normal_iteratorINS8_10device_ptrIyEEEEPiiNS8_4plusIiEEEE10hipError_tPvRmT1_T2_T3_mT4_P12ihipStream_tbEUlT_E0_NS1_11comp_targetILNS1_3genE2ELNS1_11target_archE906ELNS1_3gpuE6ELNS1_3repE0EEENS1_30default_config_static_selectorELNS0_4arch9wavefront6targetE1EEEvSK_
    .private_segment_fixed_size: 0
    .sgpr_count:     6
    .sgpr_spill_count: 0
    .symbol:         _ZN7rocprim17ROCPRIM_400000_NS6detail17trampoline_kernelINS0_14default_configENS1_22reduce_config_selectorIyEEZNS1_11reduce_implILb1ES3_N6thrust23THRUST_200600_302600_NS6detail15normal_iteratorINS8_10device_ptrIyEEEEPiiNS8_4plusIiEEEE10hipError_tPvRmT1_T2_T3_mT4_P12ihipStream_tbEUlT_E0_NS1_11comp_targetILNS1_3genE2ELNS1_11target_archE906ELNS1_3gpuE6ELNS1_3repE0EEENS1_30default_config_static_selectorELNS0_4arch9wavefront6targetE1EEEvSK_.kd
    .uniform_work_group_size: 1
    .uses_dynamic_stack: false
    .vgpr_count:     0
    .vgpr_spill_count: 0
    .wavefront_size: 64
  - .agpr_count:     0
    .args:
      - .offset:         0
        .size:           56
        .value_kind:     by_value
    .group_segment_fixed_size: 0
    .kernarg_segment_align: 8
    .kernarg_segment_size: 56
    .language:       OpenCL C
    .language_version:
      - 2
      - 0
    .max_flat_workgroup_size: 256
    .name:           _ZN7rocprim17ROCPRIM_400000_NS6detail17trampoline_kernelINS0_14default_configENS1_22reduce_config_selectorIyEEZNS1_11reduce_implILb1ES3_N6thrust23THRUST_200600_302600_NS6detail15normal_iteratorINS8_10device_ptrIyEEEEPiiNS8_4plusIiEEEE10hipError_tPvRmT1_T2_T3_mT4_P12ihipStream_tbEUlT_E0_NS1_11comp_targetILNS1_3genE10ELNS1_11target_archE1201ELNS1_3gpuE5ELNS1_3repE0EEENS1_30default_config_static_selectorELNS0_4arch9wavefront6targetE1EEEvSK_
    .private_segment_fixed_size: 0
    .sgpr_count:     6
    .sgpr_spill_count: 0
    .symbol:         _ZN7rocprim17ROCPRIM_400000_NS6detail17trampoline_kernelINS0_14default_configENS1_22reduce_config_selectorIyEEZNS1_11reduce_implILb1ES3_N6thrust23THRUST_200600_302600_NS6detail15normal_iteratorINS8_10device_ptrIyEEEEPiiNS8_4plusIiEEEE10hipError_tPvRmT1_T2_T3_mT4_P12ihipStream_tbEUlT_E0_NS1_11comp_targetILNS1_3genE10ELNS1_11target_archE1201ELNS1_3gpuE5ELNS1_3repE0EEENS1_30default_config_static_selectorELNS0_4arch9wavefront6targetE1EEEvSK_.kd
    .uniform_work_group_size: 1
    .uses_dynamic_stack: false
    .vgpr_count:     0
    .vgpr_spill_count: 0
    .wavefront_size: 64
  - .agpr_count:     0
    .args:
      - .offset:         0
        .size:           56
        .value_kind:     by_value
    .group_segment_fixed_size: 0
    .kernarg_segment_align: 8
    .kernarg_segment_size: 56
    .language:       OpenCL C
    .language_version:
      - 2
      - 0
    .max_flat_workgroup_size: 256
    .name:           _ZN7rocprim17ROCPRIM_400000_NS6detail17trampoline_kernelINS0_14default_configENS1_22reduce_config_selectorIyEEZNS1_11reduce_implILb1ES3_N6thrust23THRUST_200600_302600_NS6detail15normal_iteratorINS8_10device_ptrIyEEEEPiiNS8_4plusIiEEEE10hipError_tPvRmT1_T2_T3_mT4_P12ihipStream_tbEUlT_E0_NS1_11comp_targetILNS1_3genE10ELNS1_11target_archE1200ELNS1_3gpuE4ELNS1_3repE0EEENS1_30default_config_static_selectorELNS0_4arch9wavefront6targetE1EEEvSK_
    .private_segment_fixed_size: 0
    .sgpr_count:     6
    .sgpr_spill_count: 0
    .symbol:         _ZN7rocprim17ROCPRIM_400000_NS6detail17trampoline_kernelINS0_14default_configENS1_22reduce_config_selectorIyEEZNS1_11reduce_implILb1ES3_N6thrust23THRUST_200600_302600_NS6detail15normal_iteratorINS8_10device_ptrIyEEEEPiiNS8_4plusIiEEEE10hipError_tPvRmT1_T2_T3_mT4_P12ihipStream_tbEUlT_E0_NS1_11comp_targetILNS1_3genE10ELNS1_11target_archE1200ELNS1_3gpuE4ELNS1_3repE0EEENS1_30default_config_static_selectorELNS0_4arch9wavefront6targetE1EEEvSK_.kd
    .uniform_work_group_size: 1
    .uses_dynamic_stack: false
    .vgpr_count:     0
    .vgpr_spill_count: 0
    .wavefront_size: 64
  - .agpr_count:     0
    .args:
      - .offset:         0
        .size:           56
        .value_kind:     by_value
    .group_segment_fixed_size: 0
    .kernarg_segment_align: 8
    .kernarg_segment_size: 56
    .language:       OpenCL C
    .language_version:
      - 2
      - 0
    .max_flat_workgroup_size: 256
    .name:           _ZN7rocprim17ROCPRIM_400000_NS6detail17trampoline_kernelINS0_14default_configENS1_22reduce_config_selectorIyEEZNS1_11reduce_implILb1ES3_N6thrust23THRUST_200600_302600_NS6detail15normal_iteratorINS8_10device_ptrIyEEEEPiiNS8_4plusIiEEEE10hipError_tPvRmT1_T2_T3_mT4_P12ihipStream_tbEUlT_E0_NS1_11comp_targetILNS1_3genE9ELNS1_11target_archE1100ELNS1_3gpuE3ELNS1_3repE0EEENS1_30default_config_static_selectorELNS0_4arch9wavefront6targetE1EEEvSK_
    .private_segment_fixed_size: 0
    .sgpr_count:     6
    .sgpr_spill_count: 0
    .symbol:         _ZN7rocprim17ROCPRIM_400000_NS6detail17trampoline_kernelINS0_14default_configENS1_22reduce_config_selectorIyEEZNS1_11reduce_implILb1ES3_N6thrust23THRUST_200600_302600_NS6detail15normal_iteratorINS8_10device_ptrIyEEEEPiiNS8_4plusIiEEEE10hipError_tPvRmT1_T2_T3_mT4_P12ihipStream_tbEUlT_E0_NS1_11comp_targetILNS1_3genE9ELNS1_11target_archE1100ELNS1_3gpuE3ELNS1_3repE0EEENS1_30default_config_static_selectorELNS0_4arch9wavefront6targetE1EEEvSK_.kd
    .uniform_work_group_size: 1
    .uses_dynamic_stack: false
    .vgpr_count:     0
    .vgpr_spill_count: 0
    .wavefront_size: 64
  - .agpr_count:     0
    .args:
      - .offset:         0
        .size:           56
        .value_kind:     by_value
    .group_segment_fixed_size: 0
    .kernarg_segment_align: 8
    .kernarg_segment_size: 56
    .language:       OpenCL C
    .language_version:
      - 2
      - 0
    .max_flat_workgroup_size: 256
    .name:           _ZN7rocprim17ROCPRIM_400000_NS6detail17trampoline_kernelINS0_14default_configENS1_22reduce_config_selectorIyEEZNS1_11reduce_implILb1ES3_N6thrust23THRUST_200600_302600_NS6detail15normal_iteratorINS8_10device_ptrIyEEEEPiiNS8_4plusIiEEEE10hipError_tPvRmT1_T2_T3_mT4_P12ihipStream_tbEUlT_E0_NS1_11comp_targetILNS1_3genE8ELNS1_11target_archE1030ELNS1_3gpuE2ELNS1_3repE0EEENS1_30default_config_static_selectorELNS0_4arch9wavefront6targetE1EEEvSK_
    .private_segment_fixed_size: 0
    .sgpr_count:     6
    .sgpr_spill_count: 0
    .symbol:         _ZN7rocprim17ROCPRIM_400000_NS6detail17trampoline_kernelINS0_14default_configENS1_22reduce_config_selectorIyEEZNS1_11reduce_implILb1ES3_N6thrust23THRUST_200600_302600_NS6detail15normal_iteratorINS8_10device_ptrIyEEEEPiiNS8_4plusIiEEEE10hipError_tPvRmT1_T2_T3_mT4_P12ihipStream_tbEUlT_E0_NS1_11comp_targetILNS1_3genE8ELNS1_11target_archE1030ELNS1_3gpuE2ELNS1_3repE0EEENS1_30default_config_static_selectorELNS0_4arch9wavefront6targetE1EEEvSK_.kd
    .uniform_work_group_size: 1
    .uses_dynamic_stack: false
    .vgpr_count:     0
    .vgpr_spill_count: 0
    .wavefront_size: 64
  - .agpr_count:     0
    .args:
      - .offset:         0
        .size:           40
        .value_kind:     by_value
    .group_segment_fixed_size: 96
    .kernarg_segment_align: 8
    .kernarg_segment_size: 40
    .language:       OpenCL C
    .language_version:
      - 2
      - 0
    .max_flat_workgroup_size: 256
    .name:           _ZN7rocprim17ROCPRIM_400000_NS6detail17trampoline_kernelINS0_14default_configENS1_22reduce_config_selectorIyEEZNS1_11reduce_implILb1ES3_N6thrust23THRUST_200600_302600_NS6detail15normal_iteratorINS8_10device_ptrIyEEEEPiiNS8_4plusIiEEEE10hipError_tPvRmT1_T2_T3_mT4_P12ihipStream_tbEUlT_E1_NS1_11comp_targetILNS1_3genE0ELNS1_11target_archE4294967295ELNS1_3gpuE0ELNS1_3repE0EEENS1_30default_config_static_selectorELNS0_4arch9wavefront6targetE1EEEvSK_
    .private_segment_fixed_size: 0
    .sgpr_count:     51
    .sgpr_spill_count: 0
    .symbol:         _ZN7rocprim17ROCPRIM_400000_NS6detail17trampoline_kernelINS0_14default_configENS1_22reduce_config_selectorIyEEZNS1_11reduce_implILb1ES3_N6thrust23THRUST_200600_302600_NS6detail15normal_iteratorINS8_10device_ptrIyEEEEPiiNS8_4plusIiEEEE10hipError_tPvRmT1_T2_T3_mT4_P12ihipStream_tbEUlT_E1_NS1_11comp_targetILNS1_3genE0ELNS1_11target_archE4294967295ELNS1_3gpuE0ELNS1_3repE0EEENS1_30default_config_static_selectorELNS0_4arch9wavefront6targetE1EEEvSK_.kd
    .uniform_work_group_size: 1
    .uses_dynamic_stack: false
    .vgpr_count:     23
    .vgpr_spill_count: 0
    .wavefront_size: 64
  - .agpr_count:     0
    .args:
      - .offset:         0
        .size:           40
        .value_kind:     by_value
    .group_segment_fixed_size: 0
    .kernarg_segment_align: 8
    .kernarg_segment_size: 40
    .language:       OpenCL C
    .language_version:
      - 2
      - 0
    .max_flat_workgroup_size: 256
    .name:           _ZN7rocprim17ROCPRIM_400000_NS6detail17trampoline_kernelINS0_14default_configENS1_22reduce_config_selectorIyEEZNS1_11reduce_implILb1ES3_N6thrust23THRUST_200600_302600_NS6detail15normal_iteratorINS8_10device_ptrIyEEEEPiiNS8_4plusIiEEEE10hipError_tPvRmT1_T2_T3_mT4_P12ihipStream_tbEUlT_E1_NS1_11comp_targetILNS1_3genE5ELNS1_11target_archE942ELNS1_3gpuE9ELNS1_3repE0EEENS1_30default_config_static_selectorELNS0_4arch9wavefront6targetE1EEEvSK_
    .private_segment_fixed_size: 0
    .sgpr_count:     6
    .sgpr_spill_count: 0
    .symbol:         _ZN7rocprim17ROCPRIM_400000_NS6detail17trampoline_kernelINS0_14default_configENS1_22reduce_config_selectorIyEEZNS1_11reduce_implILb1ES3_N6thrust23THRUST_200600_302600_NS6detail15normal_iteratorINS8_10device_ptrIyEEEEPiiNS8_4plusIiEEEE10hipError_tPvRmT1_T2_T3_mT4_P12ihipStream_tbEUlT_E1_NS1_11comp_targetILNS1_3genE5ELNS1_11target_archE942ELNS1_3gpuE9ELNS1_3repE0EEENS1_30default_config_static_selectorELNS0_4arch9wavefront6targetE1EEEvSK_.kd
    .uniform_work_group_size: 1
    .uses_dynamic_stack: false
    .vgpr_count:     0
    .vgpr_spill_count: 0
    .wavefront_size: 64
  - .agpr_count:     0
    .args:
      - .offset:         0
        .size:           40
        .value_kind:     by_value
    .group_segment_fixed_size: 0
    .kernarg_segment_align: 8
    .kernarg_segment_size: 40
    .language:       OpenCL C
    .language_version:
      - 2
      - 0
    .max_flat_workgroup_size: 256
    .name:           _ZN7rocprim17ROCPRIM_400000_NS6detail17trampoline_kernelINS0_14default_configENS1_22reduce_config_selectorIyEEZNS1_11reduce_implILb1ES3_N6thrust23THRUST_200600_302600_NS6detail15normal_iteratorINS8_10device_ptrIyEEEEPiiNS8_4plusIiEEEE10hipError_tPvRmT1_T2_T3_mT4_P12ihipStream_tbEUlT_E1_NS1_11comp_targetILNS1_3genE4ELNS1_11target_archE910ELNS1_3gpuE8ELNS1_3repE0EEENS1_30default_config_static_selectorELNS0_4arch9wavefront6targetE1EEEvSK_
    .private_segment_fixed_size: 0
    .sgpr_count:     6
    .sgpr_spill_count: 0
    .symbol:         _ZN7rocprim17ROCPRIM_400000_NS6detail17trampoline_kernelINS0_14default_configENS1_22reduce_config_selectorIyEEZNS1_11reduce_implILb1ES3_N6thrust23THRUST_200600_302600_NS6detail15normal_iteratorINS8_10device_ptrIyEEEEPiiNS8_4plusIiEEEE10hipError_tPvRmT1_T2_T3_mT4_P12ihipStream_tbEUlT_E1_NS1_11comp_targetILNS1_3genE4ELNS1_11target_archE910ELNS1_3gpuE8ELNS1_3repE0EEENS1_30default_config_static_selectorELNS0_4arch9wavefront6targetE1EEEvSK_.kd
    .uniform_work_group_size: 1
    .uses_dynamic_stack: false
    .vgpr_count:     0
    .vgpr_spill_count: 0
    .wavefront_size: 64
  - .agpr_count:     0
    .args:
      - .offset:         0
        .size:           40
        .value_kind:     by_value
    .group_segment_fixed_size: 0
    .kernarg_segment_align: 8
    .kernarg_segment_size: 40
    .language:       OpenCL C
    .language_version:
      - 2
      - 0
    .max_flat_workgroup_size: 256
    .name:           _ZN7rocprim17ROCPRIM_400000_NS6detail17trampoline_kernelINS0_14default_configENS1_22reduce_config_selectorIyEEZNS1_11reduce_implILb1ES3_N6thrust23THRUST_200600_302600_NS6detail15normal_iteratorINS8_10device_ptrIyEEEEPiiNS8_4plusIiEEEE10hipError_tPvRmT1_T2_T3_mT4_P12ihipStream_tbEUlT_E1_NS1_11comp_targetILNS1_3genE3ELNS1_11target_archE908ELNS1_3gpuE7ELNS1_3repE0EEENS1_30default_config_static_selectorELNS0_4arch9wavefront6targetE1EEEvSK_
    .private_segment_fixed_size: 0
    .sgpr_count:     6
    .sgpr_spill_count: 0
    .symbol:         _ZN7rocprim17ROCPRIM_400000_NS6detail17trampoline_kernelINS0_14default_configENS1_22reduce_config_selectorIyEEZNS1_11reduce_implILb1ES3_N6thrust23THRUST_200600_302600_NS6detail15normal_iteratorINS8_10device_ptrIyEEEEPiiNS8_4plusIiEEEE10hipError_tPvRmT1_T2_T3_mT4_P12ihipStream_tbEUlT_E1_NS1_11comp_targetILNS1_3genE3ELNS1_11target_archE908ELNS1_3gpuE7ELNS1_3repE0EEENS1_30default_config_static_selectorELNS0_4arch9wavefront6targetE1EEEvSK_.kd
    .uniform_work_group_size: 1
    .uses_dynamic_stack: false
    .vgpr_count:     0
    .vgpr_spill_count: 0
    .wavefront_size: 64
  - .agpr_count:     0
    .args:
      - .offset:         0
        .size:           40
        .value_kind:     by_value
    .group_segment_fixed_size: 0
    .kernarg_segment_align: 8
    .kernarg_segment_size: 40
    .language:       OpenCL C
    .language_version:
      - 2
      - 0
    .max_flat_workgroup_size: 256
    .name:           _ZN7rocprim17ROCPRIM_400000_NS6detail17trampoline_kernelINS0_14default_configENS1_22reduce_config_selectorIyEEZNS1_11reduce_implILb1ES3_N6thrust23THRUST_200600_302600_NS6detail15normal_iteratorINS8_10device_ptrIyEEEEPiiNS8_4plusIiEEEE10hipError_tPvRmT1_T2_T3_mT4_P12ihipStream_tbEUlT_E1_NS1_11comp_targetILNS1_3genE2ELNS1_11target_archE906ELNS1_3gpuE6ELNS1_3repE0EEENS1_30default_config_static_selectorELNS0_4arch9wavefront6targetE1EEEvSK_
    .private_segment_fixed_size: 0
    .sgpr_count:     6
    .sgpr_spill_count: 0
    .symbol:         _ZN7rocprim17ROCPRIM_400000_NS6detail17trampoline_kernelINS0_14default_configENS1_22reduce_config_selectorIyEEZNS1_11reduce_implILb1ES3_N6thrust23THRUST_200600_302600_NS6detail15normal_iteratorINS8_10device_ptrIyEEEEPiiNS8_4plusIiEEEE10hipError_tPvRmT1_T2_T3_mT4_P12ihipStream_tbEUlT_E1_NS1_11comp_targetILNS1_3genE2ELNS1_11target_archE906ELNS1_3gpuE6ELNS1_3repE0EEENS1_30default_config_static_selectorELNS0_4arch9wavefront6targetE1EEEvSK_.kd
    .uniform_work_group_size: 1
    .uses_dynamic_stack: false
    .vgpr_count:     0
    .vgpr_spill_count: 0
    .wavefront_size: 64
  - .agpr_count:     0
    .args:
      - .offset:         0
        .size:           40
        .value_kind:     by_value
    .group_segment_fixed_size: 0
    .kernarg_segment_align: 8
    .kernarg_segment_size: 40
    .language:       OpenCL C
    .language_version:
      - 2
      - 0
    .max_flat_workgroup_size: 256
    .name:           _ZN7rocprim17ROCPRIM_400000_NS6detail17trampoline_kernelINS0_14default_configENS1_22reduce_config_selectorIyEEZNS1_11reduce_implILb1ES3_N6thrust23THRUST_200600_302600_NS6detail15normal_iteratorINS8_10device_ptrIyEEEEPiiNS8_4plusIiEEEE10hipError_tPvRmT1_T2_T3_mT4_P12ihipStream_tbEUlT_E1_NS1_11comp_targetILNS1_3genE10ELNS1_11target_archE1201ELNS1_3gpuE5ELNS1_3repE0EEENS1_30default_config_static_selectorELNS0_4arch9wavefront6targetE1EEEvSK_
    .private_segment_fixed_size: 0
    .sgpr_count:     6
    .sgpr_spill_count: 0
    .symbol:         _ZN7rocprim17ROCPRIM_400000_NS6detail17trampoline_kernelINS0_14default_configENS1_22reduce_config_selectorIyEEZNS1_11reduce_implILb1ES3_N6thrust23THRUST_200600_302600_NS6detail15normal_iteratorINS8_10device_ptrIyEEEEPiiNS8_4plusIiEEEE10hipError_tPvRmT1_T2_T3_mT4_P12ihipStream_tbEUlT_E1_NS1_11comp_targetILNS1_3genE10ELNS1_11target_archE1201ELNS1_3gpuE5ELNS1_3repE0EEENS1_30default_config_static_selectorELNS0_4arch9wavefront6targetE1EEEvSK_.kd
    .uniform_work_group_size: 1
    .uses_dynamic_stack: false
    .vgpr_count:     0
    .vgpr_spill_count: 0
    .wavefront_size: 64
  - .agpr_count:     0
    .args:
      - .offset:         0
        .size:           40
        .value_kind:     by_value
    .group_segment_fixed_size: 0
    .kernarg_segment_align: 8
    .kernarg_segment_size: 40
    .language:       OpenCL C
    .language_version:
      - 2
      - 0
    .max_flat_workgroup_size: 256
    .name:           _ZN7rocprim17ROCPRIM_400000_NS6detail17trampoline_kernelINS0_14default_configENS1_22reduce_config_selectorIyEEZNS1_11reduce_implILb1ES3_N6thrust23THRUST_200600_302600_NS6detail15normal_iteratorINS8_10device_ptrIyEEEEPiiNS8_4plusIiEEEE10hipError_tPvRmT1_T2_T3_mT4_P12ihipStream_tbEUlT_E1_NS1_11comp_targetILNS1_3genE10ELNS1_11target_archE1200ELNS1_3gpuE4ELNS1_3repE0EEENS1_30default_config_static_selectorELNS0_4arch9wavefront6targetE1EEEvSK_
    .private_segment_fixed_size: 0
    .sgpr_count:     6
    .sgpr_spill_count: 0
    .symbol:         _ZN7rocprim17ROCPRIM_400000_NS6detail17trampoline_kernelINS0_14default_configENS1_22reduce_config_selectorIyEEZNS1_11reduce_implILb1ES3_N6thrust23THRUST_200600_302600_NS6detail15normal_iteratorINS8_10device_ptrIyEEEEPiiNS8_4plusIiEEEE10hipError_tPvRmT1_T2_T3_mT4_P12ihipStream_tbEUlT_E1_NS1_11comp_targetILNS1_3genE10ELNS1_11target_archE1200ELNS1_3gpuE4ELNS1_3repE0EEENS1_30default_config_static_selectorELNS0_4arch9wavefront6targetE1EEEvSK_.kd
    .uniform_work_group_size: 1
    .uses_dynamic_stack: false
    .vgpr_count:     0
    .vgpr_spill_count: 0
    .wavefront_size: 64
  - .agpr_count:     0
    .args:
      - .offset:         0
        .size:           40
        .value_kind:     by_value
    .group_segment_fixed_size: 0
    .kernarg_segment_align: 8
    .kernarg_segment_size: 40
    .language:       OpenCL C
    .language_version:
      - 2
      - 0
    .max_flat_workgroup_size: 256
    .name:           _ZN7rocprim17ROCPRIM_400000_NS6detail17trampoline_kernelINS0_14default_configENS1_22reduce_config_selectorIyEEZNS1_11reduce_implILb1ES3_N6thrust23THRUST_200600_302600_NS6detail15normal_iteratorINS8_10device_ptrIyEEEEPiiNS8_4plusIiEEEE10hipError_tPvRmT1_T2_T3_mT4_P12ihipStream_tbEUlT_E1_NS1_11comp_targetILNS1_3genE9ELNS1_11target_archE1100ELNS1_3gpuE3ELNS1_3repE0EEENS1_30default_config_static_selectorELNS0_4arch9wavefront6targetE1EEEvSK_
    .private_segment_fixed_size: 0
    .sgpr_count:     6
    .sgpr_spill_count: 0
    .symbol:         _ZN7rocprim17ROCPRIM_400000_NS6detail17trampoline_kernelINS0_14default_configENS1_22reduce_config_selectorIyEEZNS1_11reduce_implILb1ES3_N6thrust23THRUST_200600_302600_NS6detail15normal_iteratorINS8_10device_ptrIyEEEEPiiNS8_4plusIiEEEE10hipError_tPvRmT1_T2_T3_mT4_P12ihipStream_tbEUlT_E1_NS1_11comp_targetILNS1_3genE9ELNS1_11target_archE1100ELNS1_3gpuE3ELNS1_3repE0EEENS1_30default_config_static_selectorELNS0_4arch9wavefront6targetE1EEEvSK_.kd
    .uniform_work_group_size: 1
    .uses_dynamic_stack: false
    .vgpr_count:     0
    .vgpr_spill_count: 0
    .wavefront_size: 64
  - .agpr_count:     0
    .args:
      - .offset:         0
        .size:           40
        .value_kind:     by_value
    .group_segment_fixed_size: 0
    .kernarg_segment_align: 8
    .kernarg_segment_size: 40
    .language:       OpenCL C
    .language_version:
      - 2
      - 0
    .max_flat_workgroup_size: 256
    .name:           _ZN7rocprim17ROCPRIM_400000_NS6detail17trampoline_kernelINS0_14default_configENS1_22reduce_config_selectorIyEEZNS1_11reduce_implILb1ES3_N6thrust23THRUST_200600_302600_NS6detail15normal_iteratorINS8_10device_ptrIyEEEEPiiNS8_4plusIiEEEE10hipError_tPvRmT1_T2_T3_mT4_P12ihipStream_tbEUlT_E1_NS1_11comp_targetILNS1_3genE8ELNS1_11target_archE1030ELNS1_3gpuE2ELNS1_3repE0EEENS1_30default_config_static_selectorELNS0_4arch9wavefront6targetE1EEEvSK_
    .private_segment_fixed_size: 0
    .sgpr_count:     6
    .sgpr_spill_count: 0
    .symbol:         _ZN7rocprim17ROCPRIM_400000_NS6detail17trampoline_kernelINS0_14default_configENS1_22reduce_config_selectorIyEEZNS1_11reduce_implILb1ES3_N6thrust23THRUST_200600_302600_NS6detail15normal_iteratorINS8_10device_ptrIyEEEEPiiNS8_4plusIiEEEE10hipError_tPvRmT1_T2_T3_mT4_P12ihipStream_tbEUlT_E1_NS1_11comp_targetILNS1_3genE8ELNS1_11target_archE1030ELNS1_3gpuE2ELNS1_3repE0EEENS1_30default_config_static_selectorELNS0_4arch9wavefront6targetE1EEEvSK_.kd
    .uniform_work_group_size: 1
    .uses_dynamic_stack: false
    .vgpr_count:     0
    .vgpr_spill_count: 0
    .wavefront_size: 64
  - .agpr_count:     0
    .args:
      - .offset:         0
        .size:           56
        .value_kind:     by_value
    .group_segment_fixed_size: 32
    .kernarg_segment_align: 8
    .kernarg_segment_size: 56
    .language:       OpenCL C
    .language_version:
      - 2
      - 0
    .max_flat_workgroup_size: 256
    .name:           _ZN7rocprim17ROCPRIM_400000_NS6detail17trampoline_kernelINS0_14default_configENS1_22reduce_config_selectorIyEEZNS1_11reduce_implILb1ES3_N6thrust23THRUST_200600_302600_NS6detail15normal_iteratorINS8_10device_ptrIyEEEEPffNS8_4plusIfEEEE10hipError_tPvRmT1_T2_T3_mT4_P12ihipStream_tbEUlT_E0_NS1_11comp_targetILNS1_3genE0ELNS1_11target_archE4294967295ELNS1_3gpuE0ELNS1_3repE0EEENS1_30default_config_static_selectorELNS0_4arch9wavefront6targetE1EEEvSK_
    .private_segment_fixed_size: 0
    .sgpr_count:     54
    .sgpr_spill_count: 0
    .symbol:         _ZN7rocprim17ROCPRIM_400000_NS6detail17trampoline_kernelINS0_14default_configENS1_22reduce_config_selectorIyEEZNS1_11reduce_implILb1ES3_N6thrust23THRUST_200600_302600_NS6detail15normal_iteratorINS8_10device_ptrIyEEEEPffNS8_4plusIfEEEE10hipError_tPvRmT1_T2_T3_mT4_P12ihipStream_tbEUlT_E0_NS1_11comp_targetILNS1_3genE0ELNS1_11target_archE4294967295ELNS1_3gpuE0ELNS1_3repE0EEENS1_30default_config_static_selectorELNS0_4arch9wavefront6targetE1EEEvSK_.kd
    .uniform_work_group_size: 1
    .uses_dynamic_stack: false
    .vgpr_count:     43
    .vgpr_spill_count: 0
    .wavefront_size: 64
  - .agpr_count:     0
    .args:
      - .offset:         0
        .size:           56
        .value_kind:     by_value
    .group_segment_fixed_size: 0
    .kernarg_segment_align: 8
    .kernarg_segment_size: 56
    .language:       OpenCL C
    .language_version:
      - 2
      - 0
    .max_flat_workgroup_size: 256
    .name:           _ZN7rocprim17ROCPRIM_400000_NS6detail17trampoline_kernelINS0_14default_configENS1_22reduce_config_selectorIyEEZNS1_11reduce_implILb1ES3_N6thrust23THRUST_200600_302600_NS6detail15normal_iteratorINS8_10device_ptrIyEEEEPffNS8_4plusIfEEEE10hipError_tPvRmT1_T2_T3_mT4_P12ihipStream_tbEUlT_E0_NS1_11comp_targetILNS1_3genE5ELNS1_11target_archE942ELNS1_3gpuE9ELNS1_3repE0EEENS1_30default_config_static_selectorELNS0_4arch9wavefront6targetE1EEEvSK_
    .private_segment_fixed_size: 0
    .sgpr_count:     6
    .sgpr_spill_count: 0
    .symbol:         _ZN7rocprim17ROCPRIM_400000_NS6detail17trampoline_kernelINS0_14default_configENS1_22reduce_config_selectorIyEEZNS1_11reduce_implILb1ES3_N6thrust23THRUST_200600_302600_NS6detail15normal_iteratorINS8_10device_ptrIyEEEEPffNS8_4plusIfEEEE10hipError_tPvRmT1_T2_T3_mT4_P12ihipStream_tbEUlT_E0_NS1_11comp_targetILNS1_3genE5ELNS1_11target_archE942ELNS1_3gpuE9ELNS1_3repE0EEENS1_30default_config_static_selectorELNS0_4arch9wavefront6targetE1EEEvSK_.kd
    .uniform_work_group_size: 1
    .uses_dynamic_stack: false
    .vgpr_count:     0
    .vgpr_spill_count: 0
    .wavefront_size: 64
  - .agpr_count:     0
    .args:
      - .offset:         0
        .size:           56
        .value_kind:     by_value
    .group_segment_fixed_size: 0
    .kernarg_segment_align: 8
    .kernarg_segment_size: 56
    .language:       OpenCL C
    .language_version:
      - 2
      - 0
    .max_flat_workgroup_size: 256
    .name:           _ZN7rocprim17ROCPRIM_400000_NS6detail17trampoline_kernelINS0_14default_configENS1_22reduce_config_selectorIyEEZNS1_11reduce_implILb1ES3_N6thrust23THRUST_200600_302600_NS6detail15normal_iteratorINS8_10device_ptrIyEEEEPffNS8_4plusIfEEEE10hipError_tPvRmT1_T2_T3_mT4_P12ihipStream_tbEUlT_E0_NS1_11comp_targetILNS1_3genE4ELNS1_11target_archE910ELNS1_3gpuE8ELNS1_3repE0EEENS1_30default_config_static_selectorELNS0_4arch9wavefront6targetE1EEEvSK_
    .private_segment_fixed_size: 0
    .sgpr_count:     6
    .sgpr_spill_count: 0
    .symbol:         _ZN7rocprim17ROCPRIM_400000_NS6detail17trampoline_kernelINS0_14default_configENS1_22reduce_config_selectorIyEEZNS1_11reduce_implILb1ES3_N6thrust23THRUST_200600_302600_NS6detail15normal_iteratorINS8_10device_ptrIyEEEEPffNS8_4plusIfEEEE10hipError_tPvRmT1_T2_T3_mT4_P12ihipStream_tbEUlT_E0_NS1_11comp_targetILNS1_3genE4ELNS1_11target_archE910ELNS1_3gpuE8ELNS1_3repE0EEENS1_30default_config_static_selectorELNS0_4arch9wavefront6targetE1EEEvSK_.kd
    .uniform_work_group_size: 1
    .uses_dynamic_stack: false
    .vgpr_count:     0
    .vgpr_spill_count: 0
    .wavefront_size: 64
  - .agpr_count:     0
    .args:
      - .offset:         0
        .size:           56
        .value_kind:     by_value
    .group_segment_fixed_size: 0
    .kernarg_segment_align: 8
    .kernarg_segment_size: 56
    .language:       OpenCL C
    .language_version:
      - 2
      - 0
    .max_flat_workgroup_size: 256
    .name:           _ZN7rocprim17ROCPRIM_400000_NS6detail17trampoline_kernelINS0_14default_configENS1_22reduce_config_selectorIyEEZNS1_11reduce_implILb1ES3_N6thrust23THRUST_200600_302600_NS6detail15normal_iteratorINS8_10device_ptrIyEEEEPffNS8_4plusIfEEEE10hipError_tPvRmT1_T2_T3_mT4_P12ihipStream_tbEUlT_E0_NS1_11comp_targetILNS1_3genE3ELNS1_11target_archE908ELNS1_3gpuE7ELNS1_3repE0EEENS1_30default_config_static_selectorELNS0_4arch9wavefront6targetE1EEEvSK_
    .private_segment_fixed_size: 0
    .sgpr_count:     6
    .sgpr_spill_count: 0
    .symbol:         _ZN7rocprim17ROCPRIM_400000_NS6detail17trampoline_kernelINS0_14default_configENS1_22reduce_config_selectorIyEEZNS1_11reduce_implILb1ES3_N6thrust23THRUST_200600_302600_NS6detail15normal_iteratorINS8_10device_ptrIyEEEEPffNS8_4plusIfEEEE10hipError_tPvRmT1_T2_T3_mT4_P12ihipStream_tbEUlT_E0_NS1_11comp_targetILNS1_3genE3ELNS1_11target_archE908ELNS1_3gpuE7ELNS1_3repE0EEENS1_30default_config_static_selectorELNS0_4arch9wavefront6targetE1EEEvSK_.kd
    .uniform_work_group_size: 1
    .uses_dynamic_stack: false
    .vgpr_count:     0
    .vgpr_spill_count: 0
    .wavefront_size: 64
  - .agpr_count:     0
    .args:
      - .offset:         0
        .size:           56
        .value_kind:     by_value
    .group_segment_fixed_size: 0
    .kernarg_segment_align: 8
    .kernarg_segment_size: 56
    .language:       OpenCL C
    .language_version:
      - 2
      - 0
    .max_flat_workgroup_size: 256
    .name:           _ZN7rocprim17ROCPRIM_400000_NS6detail17trampoline_kernelINS0_14default_configENS1_22reduce_config_selectorIyEEZNS1_11reduce_implILb1ES3_N6thrust23THRUST_200600_302600_NS6detail15normal_iteratorINS8_10device_ptrIyEEEEPffNS8_4plusIfEEEE10hipError_tPvRmT1_T2_T3_mT4_P12ihipStream_tbEUlT_E0_NS1_11comp_targetILNS1_3genE2ELNS1_11target_archE906ELNS1_3gpuE6ELNS1_3repE0EEENS1_30default_config_static_selectorELNS0_4arch9wavefront6targetE1EEEvSK_
    .private_segment_fixed_size: 0
    .sgpr_count:     6
    .sgpr_spill_count: 0
    .symbol:         _ZN7rocprim17ROCPRIM_400000_NS6detail17trampoline_kernelINS0_14default_configENS1_22reduce_config_selectorIyEEZNS1_11reduce_implILb1ES3_N6thrust23THRUST_200600_302600_NS6detail15normal_iteratorINS8_10device_ptrIyEEEEPffNS8_4plusIfEEEE10hipError_tPvRmT1_T2_T3_mT4_P12ihipStream_tbEUlT_E0_NS1_11comp_targetILNS1_3genE2ELNS1_11target_archE906ELNS1_3gpuE6ELNS1_3repE0EEENS1_30default_config_static_selectorELNS0_4arch9wavefront6targetE1EEEvSK_.kd
    .uniform_work_group_size: 1
    .uses_dynamic_stack: false
    .vgpr_count:     0
    .vgpr_spill_count: 0
    .wavefront_size: 64
  - .agpr_count:     0
    .args:
      - .offset:         0
        .size:           56
        .value_kind:     by_value
    .group_segment_fixed_size: 0
    .kernarg_segment_align: 8
    .kernarg_segment_size: 56
    .language:       OpenCL C
    .language_version:
      - 2
      - 0
    .max_flat_workgroup_size: 256
    .name:           _ZN7rocprim17ROCPRIM_400000_NS6detail17trampoline_kernelINS0_14default_configENS1_22reduce_config_selectorIyEEZNS1_11reduce_implILb1ES3_N6thrust23THRUST_200600_302600_NS6detail15normal_iteratorINS8_10device_ptrIyEEEEPffNS8_4plusIfEEEE10hipError_tPvRmT1_T2_T3_mT4_P12ihipStream_tbEUlT_E0_NS1_11comp_targetILNS1_3genE10ELNS1_11target_archE1201ELNS1_3gpuE5ELNS1_3repE0EEENS1_30default_config_static_selectorELNS0_4arch9wavefront6targetE1EEEvSK_
    .private_segment_fixed_size: 0
    .sgpr_count:     6
    .sgpr_spill_count: 0
    .symbol:         _ZN7rocprim17ROCPRIM_400000_NS6detail17trampoline_kernelINS0_14default_configENS1_22reduce_config_selectorIyEEZNS1_11reduce_implILb1ES3_N6thrust23THRUST_200600_302600_NS6detail15normal_iteratorINS8_10device_ptrIyEEEEPffNS8_4plusIfEEEE10hipError_tPvRmT1_T2_T3_mT4_P12ihipStream_tbEUlT_E0_NS1_11comp_targetILNS1_3genE10ELNS1_11target_archE1201ELNS1_3gpuE5ELNS1_3repE0EEENS1_30default_config_static_selectorELNS0_4arch9wavefront6targetE1EEEvSK_.kd
    .uniform_work_group_size: 1
    .uses_dynamic_stack: false
    .vgpr_count:     0
    .vgpr_spill_count: 0
    .wavefront_size: 64
  - .agpr_count:     0
    .args:
      - .offset:         0
        .size:           56
        .value_kind:     by_value
    .group_segment_fixed_size: 0
    .kernarg_segment_align: 8
    .kernarg_segment_size: 56
    .language:       OpenCL C
    .language_version:
      - 2
      - 0
    .max_flat_workgroup_size: 256
    .name:           _ZN7rocprim17ROCPRIM_400000_NS6detail17trampoline_kernelINS0_14default_configENS1_22reduce_config_selectorIyEEZNS1_11reduce_implILb1ES3_N6thrust23THRUST_200600_302600_NS6detail15normal_iteratorINS8_10device_ptrIyEEEEPffNS8_4plusIfEEEE10hipError_tPvRmT1_T2_T3_mT4_P12ihipStream_tbEUlT_E0_NS1_11comp_targetILNS1_3genE10ELNS1_11target_archE1200ELNS1_3gpuE4ELNS1_3repE0EEENS1_30default_config_static_selectorELNS0_4arch9wavefront6targetE1EEEvSK_
    .private_segment_fixed_size: 0
    .sgpr_count:     6
    .sgpr_spill_count: 0
    .symbol:         _ZN7rocprim17ROCPRIM_400000_NS6detail17trampoline_kernelINS0_14default_configENS1_22reduce_config_selectorIyEEZNS1_11reduce_implILb1ES3_N6thrust23THRUST_200600_302600_NS6detail15normal_iteratorINS8_10device_ptrIyEEEEPffNS8_4plusIfEEEE10hipError_tPvRmT1_T2_T3_mT4_P12ihipStream_tbEUlT_E0_NS1_11comp_targetILNS1_3genE10ELNS1_11target_archE1200ELNS1_3gpuE4ELNS1_3repE0EEENS1_30default_config_static_selectorELNS0_4arch9wavefront6targetE1EEEvSK_.kd
    .uniform_work_group_size: 1
    .uses_dynamic_stack: false
    .vgpr_count:     0
    .vgpr_spill_count: 0
    .wavefront_size: 64
  - .agpr_count:     0
    .args:
      - .offset:         0
        .size:           56
        .value_kind:     by_value
    .group_segment_fixed_size: 0
    .kernarg_segment_align: 8
    .kernarg_segment_size: 56
    .language:       OpenCL C
    .language_version:
      - 2
      - 0
    .max_flat_workgroup_size: 256
    .name:           _ZN7rocprim17ROCPRIM_400000_NS6detail17trampoline_kernelINS0_14default_configENS1_22reduce_config_selectorIyEEZNS1_11reduce_implILb1ES3_N6thrust23THRUST_200600_302600_NS6detail15normal_iteratorINS8_10device_ptrIyEEEEPffNS8_4plusIfEEEE10hipError_tPvRmT1_T2_T3_mT4_P12ihipStream_tbEUlT_E0_NS1_11comp_targetILNS1_3genE9ELNS1_11target_archE1100ELNS1_3gpuE3ELNS1_3repE0EEENS1_30default_config_static_selectorELNS0_4arch9wavefront6targetE1EEEvSK_
    .private_segment_fixed_size: 0
    .sgpr_count:     6
    .sgpr_spill_count: 0
    .symbol:         _ZN7rocprim17ROCPRIM_400000_NS6detail17trampoline_kernelINS0_14default_configENS1_22reduce_config_selectorIyEEZNS1_11reduce_implILb1ES3_N6thrust23THRUST_200600_302600_NS6detail15normal_iteratorINS8_10device_ptrIyEEEEPffNS8_4plusIfEEEE10hipError_tPvRmT1_T2_T3_mT4_P12ihipStream_tbEUlT_E0_NS1_11comp_targetILNS1_3genE9ELNS1_11target_archE1100ELNS1_3gpuE3ELNS1_3repE0EEENS1_30default_config_static_selectorELNS0_4arch9wavefront6targetE1EEEvSK_.kd
    .uniform_work_group_size: 1
    .uses_dynamic_stack: false
    .vgpr_count:     0
    .vgpr_spill_count: 0
    .wavefront_size: 64
  - .agpr_count:     0
    .args:
      - .offset:         0
        .size:           56
        .value_kind:     by_value
    .group_segment_fixed_size: 0
    .kernarg_segment_align: 8
    .kernarg_segment_size: 56
    .language:       OpenCL C
    .language_version:
      - 2
      - 0
    .max_flat_workgroup_size: 256
    .name:           _ZN7rocprim17ROCPRIM_400000_NS6detail17trampoline_kernelINS0_14default_configENS1_22reduce_config_selectorIyEEZNS1_11reduce_implILb1ES3_N6thrust23THRUST_200600_302600_NS6detail15normal_iteratorINS8_10device_ptrIyEEEEPffNS8_4plusIfEEEE10hipError_tPvRmT1_T2_T3_mT4_P12ihipStream_tbEUlT_E0_NS1_11comp_targetILNS1_3genE8ELNS1_11target_archE1030ELNS1_3gpuE2ELNS1_3repE0EEENS1_30default_config_static_selectorELNS0_4arch9wavefront6targetE1EEEvSK_
    .private_segment_fixed_size: 0
    .sgpr_count:     6
    .sgpr_spill_count: 0
    .symbol:         _ZN7rocprim17ROCPRIM_400000_NS6detail17trampoline_kernelINS0_14default_configENS1_22reduce_config_selectorIyEEZNS1_11reduce_implILb1ES3_N6thrust23THRUST_200600_302600_NS6detail15normal_iteratorINS8_10device_ptrIyEEEEPffNS8_4plusIfEEEE10hipError_tPvRmT1_T2_T3_mT4_P12ihipStream_tbEUlT_E0_NS1_11comp_targetILNS1_3genE8ELNS1_11target_archE1030ELNS1_3gpuE2ELNS1_3repE0EEENS1_30default_config_static_selectorELNS0_4arch9wavefront6targetE1EEEvSK_.kd
    .uniform_work_group_size: 1
    .uses_dynamic_stack: false
    .vgpr_count:     0
    .vgpr_spill_count: 0
    .wavefront_size: 64
  - .agpr_count:     0
    .args:
      - .offset:         0
        .size:           40
        .value_kind:     by_value
    .group_segment_fixed_size: 96
    .kernarg_segment_align: 8
    .kernarg_segment_size: 40
    .language:       OpenCL C
    .language_version:
      - 2
      - 0
    .max_flat_workgroup_size: 256
    .name:           _ZN7rocprim17ROCPRIM_400000_NS6detail17trampoline_kernelINS0_14default_configENS1_22reduce_config_selectorIyEEZNS1_11reduce_implILb1ES3_N6thrust23THRUST_200600_302600_NS6detail15normal_iteratorINS8_10device_ptrIyEEEEPffNS8_4plusIfEEEE10hipError_tPvRmT1_T2_T3_mT4_P12ihipStream_tbEUlT_E1_NS1_11comp_targetILNS1_3genE0ELNS1_11target_archE4294967295ELNS1_3gpuE0ELNS1_3repE0EEENS1_30default_config_static_selectorELNS0_4arch9wavefront6targetE1EEEvSK_
    .private_segment_fixed_size: 0
    .sgpr_count:     51
    .sgpr_spill_count: 0
    .symbol:         _ZN7rocprim17ROCPRIM_400000_NS6detail17trampoline_kernelINS0_14default_configENS1_22reduce_config_selectorIyEEZNS1_11reduce_implILb1ES3_N6thrust23THRUST_200600_302600_NS6detail15normal_iteratorINS8_10device_ptrIyEEEEPffNS8_4plusIfEEEE10hipError_tPvRmT1_T2_T3_mT4_P12ihipStream_tbEUlT_E1_NS1_11comp_targetILNS1_3genE0ELNS1_11target_archE4294967295ELNS1_3gpuE0ELNS1_3repE0EEENS1_30default_config_static_selectorELNS0_4arch9wavefront6targetE1EEEvSK_.kd
    .uniform_work_group_size: 1
    .uses_dynamic_stack: false
    .vgpr_count:     41
    .vgpr_spill_count: 0
    .wavefront_size: 64
  - .agpr_count:     0
    .args:
      - .offset:         0
        .size:           40
        .value_kind:     by_value
    .group_segment_fixed_size: 0
    .kernarg_segment_align: 8
    .kernarg_segment_size: 40
    .language:       OpenCL C
    .language_version:
      - 2
      - 0
    .max_flat_workgroup_size: 256
    .name:           _ZN7rocprim17ROCPRIM_400000_NS6detail17trampoline_kernelINS0_14default_configENS1_22reduce_config_selectorIyEEZNS1_11reduce_implILb1ES3_N6thrust23THRUST_200600_302600_NS6detail15normal_iteratorINS8_10device_ptrIyEEEEPffNS8_4plusIfEEEE10hipError_tPvRmT1_T2_T3_mT4_P12ihipStream_tbEUlT_E1_NS1_11comp_targetILNS1_3genE5ELNS1_11target_archE942ELNS1_3gpuE9ELNS1_3repE0EEENS1_30default_config_static_selectorELNS0_4arch9wavefront6targetE1EEEvSK_
    .private_segment_fixed_size: 0
    .sgpr_count:     6
    .sgpr_spill_count: 0
    .symbol:         _ZN7rocprim17ROCPRIM_400000_NS6detail17trampoline_kernelINS0_14default_configENS1_22reduce_config_selectorIyEEZNS1_11reduce_implILb1ES3_N6thrust23THRUST_200600_302600_NS6detail15normal_iteratorINS8_10device_ptrIyEEEEPffNS8_4plusIfEEEE10hipError_tPvRmT1_T2_T3_mT4_P12ihipStream_tbEUlT_E1_NS1_11comp_targetILNS1_3genE5ELNS1_11target_archE942ELNS1_3gpuE9ELNS1_3repE0EEENS1_30default_config_static_selectorELNS0_4arch9wavefront6targetE1EEEvSK_.kd
    .uniform_work_group_size: 1
    .uses_dynamic_stack: false
    .vgpr_count:     0
    .vgpr_spill_count: 0
    .wavefront_size: 64
  - .agpr_count:     0
    .args:
      - .offset:         0
        .size:           40
        .value_kind:     by_value
    .group_segment_fixed_size: 0
    .kernarg_segment_align: 8
    .kernarg_segment_size: 40
    .language:       OpenCL C
    .language_version:
      - 2
      - 0
    .max_flat_workgroup_size: 256
    .name:           _ZN7rocprim17ROCPRIM_400000_NS6detail17trampoline_kernelINS0_14default_configENS1_22reduce_config_selectorIyEEZNS1_11reduce_implILb1ES3_N6thrust23THRUST_200600_302600_NS6detail15normal_iteratorINS8_10device_ptrIyEEEEPffNS8_4plusIfEEEE10hipError_tPvRmT1_T2_T3_mT4_P12ihipStream_tbEUlT_E1_NS1_11comp_targetILNS1_3genE4ELNS1_11target_archE910ELNS1_3gpuE8ELNS1_3repE0EEENS1_30default_config_static_selectorELNS0_4arch9wavefront6targetE1EEEvSK_
    .private_segment_fixed_size: 0
    .sgpr_count:     6
    .sgpr_spill_count: 0
    .symbol:         _ZN7rocprim17ROCPRIM_400000_NS6detail17trampoline_kernelINS0_14default_configENS1_22reduce_config_selectorIyEEZNS1_11reduce_implILb1ES3_N6thrust23THRUST_200600_302600_NS6detail15normal_iteratorINS8_10device_ptrIyEEEEPffNS8_4plusIfEEEE10hipError_tPvRmT1_T2_T3_mT4_P12ihipStream_tbEUlT_E1_NS1_11comp_targetILNS1_3genE4ELNS1_11target_archE910ELNS1_3gpuE8ELNS1_3repE0EEENS1_30default_config_static_selectorELNS0_4arch9wavefront6targetE1EEEvSK_.kd
    .uniform_work_group_size: 1
    .uses_dynamic_stack: false
    .vgpr_count:     0
    .vgpr_spill_count: 0
    .wavefront_size: 64
  - .agpr_count:     0
    .args:
      - .offset:         0
        .size:           40
        .value_kind:     by_value
    .group_segment_fixed_size: 0
    .kernarg_segment_align: 8
    .kernarg_segment_size: 40
    .language:       OpenCL C
    .language_version:
      - 2
      - 0
    .max_flat_workgroup_size: 256
    .name:           _ZN7rocprim17ROCPRIM_400000_NS6detail17trampoline_kernelINS0_14default_configENS1_22reduce_config_selectorIyEEZNS1_11reduce_implILb1ES3_N6thrust23THRUST_200600_302600_NS6detail15normal_iteratorINS8_10device_ptrIyEEEEPffNS8_4plusIfEEEE10hipError_tPvRmT1_T2_T3_mT4_P12ihipStream_tbEUlT_E1_NS1_11comp_targetILNS1_3genE3ELNS1_11target_archE908ELNS1_3gpuE7ELNS1_3repE0EEENS1_30default_config_static_selectorELNS0_4arch9wavefront6targetE1EEEvSK_
    .private_segment_fixed_size: 0
    .sgpr_count:     6
    .sgpr_spill_count: 0
    .symbol:         _ZN7rocprim17ROCPRIM_400000_NS6detail17trampoline_kernelINS0_14default_configENS1_22reduce_config_selectorIyEEZNS1_11reduce_implILb1ES3_N6thrust23THRUST_200600_302600_NS6detail15normal_iteratorINS8_10device_ptrIyEEEEPffNS8_4plusIfEEEE10hipError_tPvRmT1_T2_T3_mT4_P12ihipStream_tbEUlT_E1_NS1_11comp_targetILNS1_3genE3ELNS1_11target_archE908ELNS1_3gpuE7ELNS1_3repE0EEENS1_30default_config_static_selectorELNS0_4arch9wavefront6targetE1EEEvSK_.kd
    .uniform_work_group_size: 1
    .uses_dynamic_stack: false
    .vgpr_count:     0
    .vgpr_spill_count: 0
    .wavefront_size: 64
  - .agpr_count:     0
    .args:
      - .offset:         0
        .size:           40
        .value_kind:     by_value
    .group_segment_fixed_size: 0
    .kernarg_segment_align: 8
    .kernarg_segment_size: 40
    .language:       OpenCL C
    .language_version:
      - 2
      - 0
    .max_flat_workgroup_size: 256
    .name:           _ZN7rocprim17ROCPRIM_400000_NS6detail17trampoline_kernelINS0_14default_configENS1_22reduce_config_selectorIyEEZNS1_11reduce_implILb1ES3_N6thrust23THRUST_200600_302600_NS6detail15normal_iteratorINS8_10device_ptrIyEEEEPffNS8_4plusIfEEEE10hipError_tPvRmT1_T2_T3_mT4_P12ihipStream_tbEUlT_E1_NS1_11comp_targetILNS1_3genE2ELNS1_11target_archE906ELNS1_3gpuE6ELNS1_3repE0EEENS1_30default_config_static_selectorELNS0_4arch9wavefront6targetE1EEEvSK_
    .private_segment_fixed_size: 0
    .sgpr_count:     6
    .sgpr_spill_count: 0
    .symbol:         _ZN7rocprim17ROCPRIM_400000_NS6detail17trampoline_kernelINS0_14default_configENS1_22reduce_config_selectorIyEEZNS1_11reduce_implILb1ES3_N6thrust23THRUST_200600_302600_NS6detail15normal_iteratorINS8_10device_ptrIyEEEEPffNS8_4plusIfEEEE10hipError_tPvRmT1_T2_T3_mT4_P12ihipStream_tbEUlT_E1_NS1_11comp_targetILNS1_3genE2ELNS1_11target_archE906ELNS1_3gpuE6ELNS1_3repE0EEENS1_30default_config_static_selectorELNS0_4arch9wavefront6targetE1EEEvSK_.kd
    .uniform_work_group_size: 1
    .uses_dynamic_stack: false
    .vgpr_count:     0
    .vgpr_spill_count: 0
    .wavefront_size: 64
  - .agpr_count:     0
    .args:
      - .offset:         0
        .size:           40
        .value_kind:     by_value
    .group_segment_fixed_size: 0
    .kernarg_segment_align: 8
    .kernarg_segment_size: 40
    .language:       OpenCL C
    .language_version:
      - 2
      - 0
    .max_flat_workgroup_size: 256
    .name:           _ZN7rocprim17ROCPRIM_400000_NS6detail17trampoline_kernelINS0_14default_configENS1_22reduce_config_selectorIyEEZNS1_11reduce_implILb1ES3_N6thrust23THRUST_200600_302600_NS6detail15normal_iteratorINS8_10device_ptrIyEEEEPffNS8_4plusIfEEEE10hipError_tPvRmT1_T2_T3_mT4_P12ihipStream_tbEUlT_E1_NS1_11comp_targetILNS1_3genE10ELNS1_11target_archE1201ELNS1_3gpuE5ELNS1_3repE0EEENS1_30default_config_static_selectorELNS0_4arch9wavefront6targetE1EEEvSK_
    .private_segment_fixed_size: 0
    .sgpr_count:     6
    .sgpr_spill_count: 0
    .symbol:         _ZN7rocprim17ROCPRIM_400000_NS6detail17trampoline_kernelINS0_14default_configENS1_22reduce_config_selectorIyEEZNS1_11reduce_implILb1ES3_N6thrust23THRUST_200600_302600_NS6detail15normal_iteratorINS8_10device_ptrIyEEEEPffNS8_4plusIfEEEE10hipError_tPvRmT1_T2_T3_mT4_P12ihipStream_tbEUlT_E1_NS1_11comp_targetILNS1_3genE10ELNS1_11target_archE1201ELNS1_3gpuE5ELNS1_3repE0EEENS1_30default_config_static_selectorELNS0_4arch9wavefront6targetE1EEEvSK_.kd
    .uniform_work_group_size: 1
    .uses_dynamic_stack: false
    .vgpr_count:     0
    .vgpr_spill_count: 0
    .wavefront_size: 64
  - .agpr_count:     0
    .args:
      - .offset:         0
        .size:           40
        .value_kind:     by_value
    .group_segment_fixed_size: 0
    .kernarg_segment_align: 8
    .kernarg_segment_size: 40
    .language:       OpenCL C
    .language_version:
      - 2
      - 0
    .max_flat_workgroup_size: 256
    .name:           _ZN7rocprim17ROCPRIM_400000_NS6detail17trampoline_kernelINS0_14default_configENS1_22reduce_config_selectorIyEEZNS1_11reduce_implILb1ES3_N6thrust23THRUST_200600_302600_NS6detail15normal_iteratorINS8_10device_ptrIyEEEEPffNS8_4plusIfEEEE10hipError_tPvRmT1_T2_T3_mT4_P12ihipStream_tbEUlT_E1_NS1_11comp_targetILNS1_3genE10ELNS1_11target_archE1200ELNS1_3gpuE4ELNS1_3repE0EEENS1_30default_config_static_selectorELNS0_4arch9wavefront6targetE1EEEvSK_
    .private_segment_fixed_size: 0
    .sgpr_count:     6
    .sgpr_spill_count: 0
    .symbol:         _ZN7rocprim17ROCPRIM_400000_NS6detail17trampoline_kernelINS0_14default_configENS1_22reduce_config_selectorIyEEZNS1_11reduce_implILb1ES3_N6thrust23THRUST_200600_302600_NS6detail15normal_iteratorINS8_10device_ptrIyEEEEPffNS8_4plusIfEEEE10hipError_tPvRmT1_T2_T3_mT4_P12ihipStream_tbEUlT_E1_NS1_11comp_targetILNS1_3genE10ELNS1_11target_archE1200ELNS1_3gpuE4ELNS1_3repE0EEENS1_30default_config_static_selectorELNS0_4arch9wavefront6targetE1EEEvSK_.kd
    .uniform_work_group_size: 1
    .uses_dynamic_stack: false
    .vgpr_count:     0
    .vgpr_spill_count: 0
    .wavefront_size: 64
  - .agpr_count:     0
    .args:
      - .offset:         0
        .size:           40
        .value_kind:     by_value
    .group_segment_fixed_size: 0
    .kernarg_segment_align: 8
    .kernarg_segment_size: 40
    .language:       OpenCL C
    .language_version:
      - 2
      - 0
    .max_flat_workgroup_size: 256
    .name:           _ZN7rocprim17ROCPRIM_400000_NS6detail17trampoline_kernelINS0_14default_configENS1_22reduce_config_selectorIyEEZNS1_11reduce_implILb1ES3_N6thrust23THRUST_200600_302600_NS6detail15normal_iteratorINS8_10device_ptrIyEEEEPffNS8_4plusIfEEEE10hipError_tPvRmT1_T2_T3_mT4_P12ihipStream_tbEUlT_E1_NS1_11comp_targetILNS1_3genE9ELNS1_11target_archE1100ELNS1_3gpuE3ELNS1_3repE0EEENS1_30default_config_static_selectorELNS0_4arch9wavefront6targetE1EEEvSK_
    .private_segment_fixed_size: 0
    .sgpr_count:     6
    .sgpr_spill_count: 0
    .symbol:         _ZN7rocprim17ROCPRIM_400000_NS6detail17trampoline_kernelINS0_14default_configENS1_22reduce_config_selectorIyEEZNS1_11reduce_implILb1ES3_N6thrust23THRUST_200600_302600_NS6detail15normal_iteratorINS8_10device_ptrIyEEEEPffNS8_4plusIfEEEE10hipError_tPvRmT1_T2_T3_mT4_P12ihipStream_tbEUlT_E1_NS1_11comp_targetILNS1_3genE9ELNS1_11target_archE1100ELNS1_3gpuE3ELNS1_3repE0EEENS1_30default_config_static_selectorELNS0_4arch9wavefront6targetE1EEEvSK_.kd
    .uniform_work_group_size: 1
    .uses_dynamic_stack: false
    .vgpr_count:     0
    .vgpr_spill_count: 0
    .wavefront_size: 64
  - .agpr_count:     0
    .args:
      - .offset:         0
        .size:           40
        .value_kind:     by_value
    .group_segment_fixed_size: 0
    .kernarg_segment_align: 8
    .kernarg_segment_size: 40
    .language:       OpenCL C
    .language_version:
      - 2
      - 0
    .max_flat_workgroup_size: 256
    .name:           _ZN7rocprim17ROCPRIM_400000_NS6detail17trampoline_kernelINS0_14default_configENS1_22reduce_config_selectorIyEEZNS1_11reduce_implILb1ES3_N6thrust23THRUST_200600_302600_NS6detail15normal_iteratorINS8_10device_ptrIyEEEEPffNS8_4plusIfEEEE10hipError_tPvRmT1_T2_T3_mT4_P12ihipStream_tbEUlT_E1_NS1_11comp_targetILNS1_3genE8ELNS1_11target_archE1030ELNS1_3gpuE2ELNS1_3repE0EEENS1_30default_config_static_selectorELNS0_4arch9wavefront6targetE1EEEvSK_
    .private_segment_fixed_size: 0
    .sgpr_count:     6
    .sgpr_spill_count: 0
    .symbol:         _ZN7rocprim17ROCPRIM_400000_NS6detail17trampoline_kernelINS0_14default_configENS1_22reduce_config_selectorIyEEZNS1_11reduce_implILb1ES3_N6thrust23THRUST_200600_302600_NS6detail15normal_iteratorINS8_10device_ptrIyEEEEPffNS8_4plusIfEEEE10hipError_tPvRmT1_T2_T3_mT4_P12ihipStream_tbEUlT_E1_NS1_11comp_targetILNS1_3genE8ELNS1_11target_archE1030ELNS1_3gpuE2ELNS1_3repE0EEENS1_30default_config_static_selectorELNS0_4arch9wavefront6targetE1EEEvSK_.kd
    .uniform_work_group_size: 1
    .uses_dynamic_stack: false
    .vgpr_count:     0
    .vgpr_spill_count: 0
    .wavefront_size: 64
  - .agpr_count:     0
    .args:
      - .offset:         0
        .size:           56
        .value_kind:     by_value
    .group_segment_fixed_size: 32
    .kernarg_segment_align: 8
    .kernarg_segment_size: 56
    .language:       OpenCL C
    .language_version:
      - 2
      - 0
    .max_flat_workgroup_size: 256
    .name:           _ZN7rocprim17ROCPRIM_400000_NS6detail17trampoline_kernelINS0_14default_configENS1_22reduce_config_selectorIjEEZNS1_11reduce_implILb1ES3_N6thrust23THRUST_200600_302600_NS6detail15normal_iteratorINS8_10device_ptrIjEEEEPiiNS8_4plusIiEEEE10hipError_tPvRmT1_T2_T3_mT4_P12ihipStream_tbEUlT_E0_NS1_11comp_targetILNS1_3genE0ELNS1_11target_archE4294967295ELNS1_3gpuE0ELNS1_3repE0EEENS1_30default_config_static_selectorELNS0_4arch9wavefront6targetE1EEEvSK_
    .private_segment_fixed_size: 0
    .sgpr_count:     26
    .sgpr_spill_count: 0
    .symbol:         _ZN7rocprim17ROCPRIM_400000_NS6detail17trampoline_kernelINS0_14default_configENS1_22reduce_config_selectorIjEEZNS1_11reduce_implILb1ES3_N6thrust23THRUST_200600_302600_NS6detail15normal_iteratorINS8_10device_ptrIjEEEEPiiNS8_4plusIiEEEE10hipError_tPvRmT1_T2_T3_mT4_P12ihipStream_tbEUlT_E0_NS1_11comp_targetILNS1_3genE0ELNS1_11target_archE4294967295ELNS1_3gpuE0ELNS1_3repE0EEENS1_30default_config_static_selectorELNS0_4arch9wavefront6targetE1EEEvSK_.kd
    .uniform_work_group_size: 1
    .uses_dynamic_stack: false
    .vgpr_count:     12
    .vgpr_spill_count: 0
    .wavefront_size: 64
  - .agpr_count:     0
    .args:
      - .offset:         0
        .size:           56
        .value_kind:     by_value
    .group_segment_fixed_size: 0
    .kernarg_segment_align: 8
    .kernarg_segment_size: 56
    .language:       OpenCL C
    .language_version:
      - 2
      - 0
    .max_flat_workgroup_size: 256
    .name:           _ZN7rocprim17ROCPRIM_400000_NS6detail17trampoline_kernelINS0_14default_configENS1_22reduce_config_selectorIjEEZNS1_11reduce_implILb1ES3_N6thrust23THRUST_200600_302600_NS6detail15normal_iteratorINS8_10device_ptrIjEEEEPiiNS8_4plusIiEEEE10hipError_tPvRmT1_T2_T3_mT4_P12ihipStream_tbEUlT_E0_NS1_11comp_targetILNS1_3genE5ELNS1_11target_archE942ELNS1_3gpuE9ELNS1_3repE0EEENS1_30default_config_static_selectorELNS0_4arch9wavefront6targetE1EEEvSK_
    .private_segment_fixed_size: 0
    .sgpr_count:     6
    .sgpr_spill_count: 0
    .symbol:         _ZN7rocprim17ROCPRIM_400000_NS6detail17trampoline_kernelINS0_14default_configENS1_22reduce_config_selectorIjEEZNS1_11reduce_implILb1ES3_N6thrust23THRUST_200600_302600_NS6detail15normal_iteratorINS8_10device_ptrIjEEEEPiiNS8_4plusIiEEEE10hipError_tPvRmT1_T2_T3_mT4_P12ihipStream_tbEUlT_E0_NS1_11comp_targetILNS1_3genE5ELNS1_11target_archE942ELNS1_3gpuE9ELNS1_3repE0EEENS1_30default_config_static_selectorELNS0_4arch9wavefront6targetE1EEEvSK_.kd
    .uniform_work_group_size: 1
    .uses_dynamic_stack: false
    .vgpr_count:     0
    .vgpr_spill_count: 0
    .wavefront_size: 64
  - .agpr_count:     0
    .args:
      - .offset:         0
        .size:           56
        .value_kind:     by_value
    .group_segment_fixed_size: 0
    .kernarg_segment_align: 8
    .kernarg_segment_size: 56
    .language:       OpenCL C
    .language_version:
      - 2
      - 0
    .max_flat_workgroup_size: 128
    .name:           _ZN7rocprim17ROCPRIM_400000_NS6detail17trampoline_kernelINS0_14default_configENS1_22reduce_config_selectorIjEEZNS1_11reduce_implILb1ES3_N6thrust23THRUST_200600_302600_NS6detail15normal_iteratorINS8_10device_ptrIjEEEEPiiNS8_4plusIiEEEE10hipError_tPvRmT1_T2_T3_mT4_P12ihipStream_tbEUlT_E0_NS1_11comp_targetILNS1_3genE4ELNS1_11target_archE910ELNS1_3gpuE8ELNS1_3repE0EEENS1_30default_config_static_selectorELNS0_4arch9wavefront6targetE1EEEvSK_
    .private_segment_fixed_size: 0
    .sgpr_count:     6
    .sgpr_spill_count: 0
    .symbol:         _ZN7rocprim17ROCPRIM_400000_NS6detail17trampoline_kernelINS0_14default_configENS1_22reduce_config_selectorIjEEZNS1_11reduce_implILb1ES3_N6thrust23THRUST_200600_302600_NS6detail15normal_iteratorINS8_10device_ptrIjEEEEPiiNS8_4plusIiEEEE10hipError_tPvRmT1_T2_T3_mT4_P12ihipStream_tbEUlT_E0_NS1_11comp_targetILNS1_3genE4ELNS1_11target_archE910ELNS1_3gpuE8ELNS1_3repE0EEENS1_30default_config_static_selectorELNS0_4arch9wavefront6targetE1EEEvSK_.kd
    .uniform_work_group_size: 1
    .uses_dynamic_stack: false
    .vgpr_count:     0
    .vgpr_spill_count: 0
    .wavefront_size: 64
  - .agpr_count:     0
    .args:
      - .offset:         0
        .size:           56
        .value_kind:     by_value
    .group_segment_fixed_size: 0
    .kernarg_segment_align: 8
    .kernarg_segment_size: 56
    .language:       OpenCL C
    .language_version:
      - 2
      - 0
    .max_flat_workgroup_size: 256
    .name:           _ZN7rocprim17ROCPRIM_400000_NS6detail17trampoline_kernelINS0_14default_configENS1_22reduce_config_selectorIjEEZNS1_11reduce_implILb1ES3_N6thrust23THRUST_200600_302600_NS6detail15normal_iteratorINS8_10device_ptrIjEEEEPiiNS8_4plusIiEEEE10hipError_tPvRmT1_T2_T3_mT4_P12ihipStream_tbEUlT_E0_NS1_11comp_targetILNS1_3genE3ELNS1_11target_archE908ELNS1_3gpuE7ELNS1_3repE0EEENS1_30default_config_static_selectorELNS0_4arch9wavefront6targetE1EEEvSK_
    .private_segment_fixed_size: 0
    .sgpr_count:     6
    .sgpr_spill_count: 0
    .symbol:         _ZN7rocprim17ROCPRIM_400000_NS6detail17trampoline_kernelINS0_14default_configENS1_22reduce_config_selectorIjEEZNS1_11reduce_implILb1ES3_N6thrust23THRUST_200600_302600_NS6detail15normal_iteratorINS8_10device_ptrIjEEEEPiiNS8_4plusIiEEEE10hipError_tPvRmT1_T2_T3_mT4_P12ihipStream_tbEUlT_E0_NS1_11comp_targetILNS1_3genE3ELNS1_11target_archE908ELNS1_3gpuE7ELNS1_3repE0EEENS1_30default_config_static_selectorELNS0_4arch9wavefront6targetE1EEEvSK_.kd
    .uniform_work_group_size: 1
    .uses_dynamic_stack: false
    .vgpr_count:     0
    .vgpr_spill_count: 0
    .wavefront_size: 64
  - .agpr_count:     0
    .args:
      - .offset:         0
        .size:           56
        .value_kind:     by_value
    .group_segment_fixed_size: 0
    .kernarg_segment_align: 8
    .kernarg_segment_size: 56
    .language:       OpenCL C
    .language_version:
      - 2
      - 0
    .max_flat_workgroup_size: 256
    .name:           _ZN7rocprim17ROCPRIM_400000_NS6detail17trampoline_kernelINS0_14default_configENS1_22reduce_config_selectorIjEEZNS1_11reduce_implILb1ES3_N6thrust23THRUST_200600_302600_NS6detail15normal_iteratorINS8_10device_ptrIjEEEEPiiNS8_4plusIiEEEE10hipError_tPvRmT1_T2_T3_mT4_P12ihipStream_tbEUlT_E0_NS1_11comp_targetILNS1_3genE2ELNS1_11target_archE906ELNS1_3gpuE6ELNS1_3repE0EEENS1_30default_config_static_selectorELNS0_4arch9wavefront6targetE1EEEvSK_
    .private_segment_fixed_size: 0
    .sgpr_count:     6
    .sgpr_spill_count: 0
    .symbol:         _ZN7rocprim17ROCPRIM_400000_NS6detail17trampoline_kernelINS0_14default_configENS1_22reduce_config_selectorIjEEZNS1_11reduce_implILb1ES3_N6thrust23THRUST_200600_302600_NS6detail15normal_iteratorINS8_10device_ptrIjEEEEPiiNS8_4plusIiEEEE10hipError_tPvRmT1_T2_T3_mT4_P12ihipStream_tbEUlT_E0_NS1_11comp_targetILNS1_3genE2ELNS1_11target_archE906ELNS1_3gpuE6ELNS1_3repE0EEENS1_30default_config_static_selectorELNS0_4arch9wavefront6targetE1EEEvSK_.kd
    .uniform_work_group_size: 1
    .uses_dynamic_stack: false
    .vgpr_count:     0
    .vgpr_spill_count: 0
    .wavefront_size: 64
  - .agpr_count:     0
    .args:
      - .offset:         0
        .size:           56
        .value_kind:     by_value
    .group_segment_fixed_size: 0
    .kernarg_segment_align: 8
    .kernarg_segment_size: 56
    .language:       OpenCL C
    .language_version:
      - 2
      - 0
    .max_flat_workgroup_size: 256
    .name:           _ZN7rocprim17ROCPRIM_400000_NS6detail17trampoline_kernelINS0_14default_configENS1_22reduce_config_selectorIjEEZNS1_11reduce_implILb1ES3_N6thrust23THRUST_200600_302600_NS6detail15normal_iteratorINS8_10device_ptrIjEEEEPiiNS8_4plusIiEEEE10hipError_tPvRmT1_T2_T3_mT4_P12ihipStream_tbEUlT_E0_NS1_11comp_targetILNS1_3genE10ELNS1_11target_archE1201ELNS1_3gpuE5ELNS1_3repE0EEENS1_30default_config_static_selectorELNS0_4arch9wavefront6targetE1EEEvSK_
    .private_segment_fixed_size: 0
    .sgpr_count:     6
    .sgpr_spill_count: 0
    .symbol:         _ZN7rocprim17ROCPRIM_400000_NS6detail17trampoline_kernelINS0_14default_configENS1_22reduce_config_selectorIjEEZNS1_11reduce_implILb1ES3_N6thrust23THRUST_200600_302600_NS6detail15normal_iteratorINS8_10device_ptrIjEEEEPiiNS8_4plusIiEEEE10hipError_tPvRmT1_T2_T3_mT4_P12ihipStream_tbEUlT_E0_NS1_11comp_targetILNS1_3genE10ELNS1_11target_archE1201ELNS1_3gpuE5ELNS1_3repE0EEENS1_30default_config_static_selectorELNS0_4arch9wavefront6targetE1EEEvSK_.kd
    .uniform_work_group_size: 1
    .uses_dynamic_stack: false
    .vgpr_count:     0
    .vgpr_spill_count: 0
    .wavefront_size: 64
  - .agpr_count:     0
    .args:
      - .offset:         0
        .size:           56
        .value_kind:     by_value
    .group_segment_fixed_size: 0
    .kernarg_segment_align: 8
    .kernarg_segment_size: 56
    .language:       OpenCL C
    .language_version:
      - 2
      - 0
    .max_flat_workgroup_size: 256
    .name:           _ZN7rocprim17ROCPRIM_400000_NS6detail17trampoline_kernelINS0_14default_configENS1_22reduce_config_selectorIjEEZNS1_11reduce_implILb1ES3_N6thrust23THRUST_200600_302600_NS6detail15normal_iteratorINS8_10device_ptrIjEEEEPiiNS8_4plusIiEEEE10hipError_tPvRmT1_T2_T3_mT4_P12ihipStream_tbEUlT_E0_NS1_11comp_targetILNS1_3genE10ELNS1_11target_archE1200ELNS1_3gpuE4ELNS1_3repE0EEENS1_30default_config_static_selectorELNS0_4arch9wavefront6targetE1EEEvSK_
    .private_segment_fixed_size: 0
    .sgpr_count:     6
    .sgpr_spill_count: 0
    .symbol:         _ZN7rocprim17ROCPRIM_400000_NS6detail17trampoline_kernelINS0_14default_configENS1_22reduce_config_selectorIjEEZNS1_11reduce_implILb1ES3_N6thrust23THRUST_200600_302600_NS6detail15normal_iteratorINS8_10device_ptrIjEEEEPiiNS8_4plusIiEEEE10hipError_tPvRmT1_T2_T3_mT4_P12ihipStream_tbEUlT_E0_NS1_11comp_targetILNS1_3genE10ELNS1_11target_archE1200ELNS1_3gpuE4ELNS1_3repE0EEENS1_30default_config_static_selectorELNS0_4arch9wavefront6targetE1EEEvSK_.kd
    .uniform_work_group_size: 1
    .uses_dynamic_stack: false
    .vgpr_count:     0
    .vgpr_spill_count: 0
    .wavefront_size: 64
  - .agpr_count:     0
    .args:
      - .offset:         0
        .size:           56
        .value_kind:     by_value
    .group_segment_fixed_size: 0
    .kernarg_segment_align: 8
    .kernarg_segment_size: 56
    .language:       OpenCL C
    .language_version:
      - 2
      - 0
    .max_flat_workgroup_size: 256
    .name:           _ZN7rocprim17ROCPRIM_400000_NS6detail17trampoline_kernelINS0_14default_configENS1_22reduce_config_selectorIjEEZNS1_11reduce_implILb1ES3_N6thrust23THRUST_200600_302600_NS6detail15normal_iteratorINS8_10device_ptrIjEEEEPiiNS8_4plusIiEEEE10hipError_tPvRmT1_T2_T3_mT4_P12ihipStream_tbEUlT_E0_NS1_11comp_targetILNS1_3genE9ELNS1_11target_archE1100ELNS1_3gpuE3ELNS1_3repE0EEENS1_30default_config_static_selectorELNS0_4arch9wavefront6targetE1EEEvSK_
    .private_segment_fixed_size: 0
    .sgpr_count:     6
    .sgpr_spill_count: 0
    .symbol:         _ZN7rocprim17ROCPRIM_400000_NS6detail17trampoline_kernelINS0_14default_configENS1_22reduce_config_selectorIjEEZNS1_11reduce_implILb1ES3_N6thrust23THRUST_200600_302600_NS6detail15normal_iteratorINS8_10device_ptrIjEEEEPiiNS8_4plusIiEEEE10hipError_tPvRmT1_T2_T3_mT4_P12ihipStream_tbEUlT_E0_NS1_11comp_targetILNS1_3genE9ELNS1_11target_archE1100ELNS1_3gpuE3ELNS1_3repE0EEENS1_30default_config_static_selectorELNS0_4arch9wavefront6targetE1EEEvSK_.kd
    .uniform_work_group_size: 1
    .uses_dynamic_stack: false
    .vgpr_count:     0
    .vgpr_spill_count: 0
    .wavefront_size: 64
  - .agpr_count:     0
    .args:
      - .offset:         0
        .size:           56
        .value_kind:     by_value
    .group_segment_fixed_size: 0
    .kernarg_segment_align: 8
    .kernarg_segment_size: 56
    .language:       OpenCL C
    .language_version:
      - 2
      - 0
    .max_flat_workgroup_size: 256
    .name:           _ZN7rocprim17ROCPRIM_400000_NS6detail17trampoline_kernelINS0_14default_configENS1_22reduce_config_selectorIjEEZNS1_11reduce_implILb1ES3_N6thrust23THRUST_200600_302600_NS6detail15normal_iteratorINS8_10device_ptrIjEEEEPiiNS8_4plusIiEEEE10hipError_tPvRmT1_T2_T3_mT4_P12ihipStream_tbEUlT_E0_NS1_11comp_targetILNS1_3genE8ELNS1_11target_archE1030ELNS1_3gpuE2ELNS1_3repE0EEENS1_30default_config_static_selectorELNS0_4arch9wavefront6targetE1EEEvSK_
    .private_segment_fixed_size: 0
    .sgpr_count:     6
    .sgpr_spill_count: 0
    .symbol:         _ZN7rocprim17ROCPRIM_400000_NS6detail17trampoline_kernelINS0_14default_configENS1_22reduce_config_selectorIjEEZNS1_11reduce_implILb1ES3_N6thrust23THRUST_200600_302600_NS6detail15normal_iteratorINS8_10device_ptrIjEEEEPiiNS8_4plusIiEEEE10hipError_tPvRmT1_T2_T3_mT4_P12ihipStream_tbEUlT_E0_NS1_11comp_targetILNS1_3genE8ELNS1_11target_archE1030ELNS1_3gpuE2ELNS1_3repE0EEENS1_30default_config_static_selectorELNS0_4arch9wavefront6targetE1EEEvSK_.kd
    .uniform_work_group_size: 1
    .uses_dynamic_stack: false
    .vgpr_count:     0
    .vgpr_spill_count: 0
    .wavefront_size: 64
  - .agpr_count:     0
    .args:
      - .offset:         0
        .size:           40
        .value_kind:     by_value
    .group_segment_fixed_size: 112
    .kernarg_segment_align: 8
    .kernarg_segment_size: 40
    .language:       OpenCL C
    .language_version:
      - 2
      - 0
    .max_flat_workgroup_size: 256
    .name:           _ZN7rocprim17ROCPRIM_400000_NS6detail17trampoline_kernelINS0_14default_configENS1_22reduce_config_selectorIjEEZNS1_11reduce_implILb1ES3_N6thrust23THRUST_200600_302600_NS6detail15normal_iteratorINS8_10device_ptrIjEEEEPiiNS8_4plusIiEEEE10hipError_tPvRmT1_T2_T3_mT4_P12ihipStream_tbEUlT_E1_NS1_11comp_targetILNS1_3genE0ELNS1_11target_archE4294967295ELNS1_3gpuE0ELNS1_3repE0EEENS1_30default_config_static_selectorELNS0_4arch9wavefront6targetE1EEEvSK_
    .private_segment_fixed_size: 0
    .sgpr_count:     83
    .sgpr_spill_count: 0
    .symbol:         _ZN7rocprim17ROCPRIM_400000_NS6detail17trampoline_kernelINS0_14default_configENS1_22reduce_config_selectorIjEEZNS1_11reduce_implILb1ES3_N6thrust23THRUST_200600_302600_NS6detail15normal_iteratorINS8_10device_ptrIjEEEEPiiNS8_4plusIiEEEE10hipError_tPvRmT1_T2_T3_mT4_P12ihipStream_tbEUlT_E1_NS1_11comp_targetILNS1_3genE0ELNS1_11target_archE4294967295ELNS1_3gpuE0ELNS1_3repE0EEENS1_30default_config_static_selectorELNS0_4arch9wavefront6targetE1EEEvSK_.kd
    .uniform_work_group_size: 1
    .uses_dynamic_stack: false
    .vgpr_count:     36
    .vgpr_spill_count: 0
    .wavefront_size: 64
  - .agpr_count:     0
    .args:
      - .offset:         0
        .size:           40
        .value_kind:     by_value
    .group_segment_fixed_size: 0
    .kernarg_segment_align: 8
    .kernarg_segment_size: 40
    .language:       OpenCL C
    .language_version:
      - 2
      - 0
    .max_flat_workgroup_size: 256
    .name:           _ZN7rocprim17ROCPRIM_400000_NS6detail17trampoline_kernelINS0_14default_configENS1_22reduce_config_selectorIjEEZNS1_11reduce_implILb1ES3_N6thrust23THRUST_200600_302600_NS6detail15normal_iteratorINS8_10device_ptrIjEEEEPiiNS8_4plusIiEEEE10hipError_tPvRmT1_T2_T3_mT4_P12ihipStream_tbEUlT_E1_NS1_11comp_targetILNS1_3genE5ELNS1_11target_archE942ELNS1_3gpuE9ELNS1_3repE0EEENS1_30default_config_static_selectorELNS0_4arch9wavefront6targetE1EEEvSK_
    .private_segment_fixed_size: 0
    .sgpr_count:     6
    .sgpr_spill_count: 0
    .symbol:         _ZN7rocprim17ROCPRIM_400000_NS6detail17trampoline_kernelINS0_14default_configENS1_22reduce_config_selectorIjEEZNS1_11reduce_implILb1ES3_N6thrust23THRUST_200600_302600_NS6detail15normal_iteratorINS8_10device_ptrIjEEEEPiiNS8_4plusIiEEEE10hipError_tPvRmT1_T2_T3_mT4_P12ihipStream_tbEUlT_E1_NS1_11comp_targetILNS1_3genE5ELNS1_11target_archE942ELNS1_3gpuE9ELNS1_3repE0EEENS1_30default_config_static_selectorELNS0_4arch9wavefront6targetE1EEEvSK_.kd
    .uniform_work_group_size: 1
    .uses_dynamic_stack: false
    .vgpr_count:     0
    .vgpr_spill_count: 0
    .wavefront_size: 64
  - .agpr_count:     0
    .args:
      - .offset:         0
        .size:           40
        .value_kind:     by_value
    .group_segment_fixed_size: 0
    .kernarg_segment_align: 8
    .kernarg_segment_size: 40
    .language:       OpenCL C
    .language_version:
      - 2
      - 0
    .max_flat_workgroup_size: 128
    .name:           _ZN7rocprim17ROCPRIM_400000_NS6detail17trampoline_kernelINS0_14default_configENS1_22reduce_config_selectorIjEEZNS1_11reduce_implILb1ES3_N6thrust23THRUST_200600_302600_NS6detail15normal_iteratorINS8_10device_ptrIjEEEEPiiNS8_4plusIiEEEE10hipError_tPvRmT1_T2_T3_mT4_P12ihipStream_tbEUlT_E1_NS1_11comp_targetILNS1_3genE4ELNS1_11target_archE910ELNS1_3gpuE8ELNS1_3repE0EEENS1_30default_config_static_selectorELNS0_4arch9wavefront6targetE1EEEvSK_
    .private_segment_fixed_size: 0
    .sgpr_count:     6
    .sgpr_spill_count: 0
    .symbol:         _ZN7rocprim17ROCPRIM_400000_NS6detail17trampoline_kernelINS0_14default_configENS1_22reduce_config_selectorIjEEZNS1_11reduce_implILb1ES3_N6thrust23THRUST_200600_302600_NS6detail15normal_iteratorINS8_10device_ptrIjEEEEPiiNS8_4plusIiEEEE10hipError_tPvRmT1_T2_T3_mT4_P12ihipStream_tbEUlT_E1_NS1_11comp_targetILNS1_3genE4ELNS1_11target_archE910ELNS1_3gpuE8ELNS1_3repE0EEENS1_30default_config_static_selectorELNS0_4arch9wavefront6targetE1EEEvSK_.kd
    .uniform_work_group_size: 1
    .uses_dynamic_stack: false
    .vgpr_count:     0
    .vgpr_spill_count: 0
    .wavefront_size: 64
  - .agpr_count:     0
    .args:
      - .offset:         0
        .size:           40
        .value_kind:     by_value
    .group_segment_fixed_size: 0
    .kernarg_segment_align: 8
    .kernarg_segment_size: 40
    .language:       OpenCL C
    .language_version:
      - 2
      - 0
    .max_flat_workgroup_size: 256
    .name:           _ZN7rocprim17ROCPRIM_400000_NS6detail17trampoline_kernelINS0_14default_configENS1_22reduce_config_selectorIjEEZNS1_11reduce_implILb1ES3_N6thrust23THRUST_200600_302600_NS6detail15normal_iteratorINS8_10device_ptrIjEEEEPiiNS8_4plusIiEEEE10hipError_tPvRmT1_T2_T3_mT4_P12ihipStream_tbEUlT_E1_NS1_11comp_targetILNS1_3genE3ELNS1_11target_archE908ELNS1_3gpuE7ELNS1_3repE0EEENS1_30default_config_static_selectorELNS0_4arch9wavefront6targetE1EEEvSK_
    .private_segment_fixed_size: 0
    .sgpr_count:     6
    .sgpr_spill_count: 0
    .symbol:         _ZN7rocprim17ROCPRIM_400000_NS6detail17trampoline_kernelINS0_14default_configENS1_22reduce_config_selectorIjEEZNS1_11reduce_implILb1ES3_N6thrust23THRUST_200600_302600_NS6detail15normal_iteratorINS8_10device_ptrIjEEEEPiiNS8_4plusIiEEEE10hipError_tPvRmT1_T2_T3_mT4_P12ihipStream_tbEUlT_E1_NS1_11comp_targetILNS1_3genE3ELNS1_11target_archE908ELNS1_3gpuE7ELNS1_3repE0EEENS1_30default_config_static_selectorELNS0_4arch9wavefront6targetE1EEEvSK_.kd
    .uniform_work_group_size: 1
    .uses_dynamic_stack: false
    .vgpr_count:     0
    .vgpr_spill_count: 0
    .wavefront_size: 64
  - .agpr_count:     0
    .args:
      - .offset:         0
        .size:           40
        .value_kind:     by_value
    .group_segment_fixed_size: 0
    .kernarg_segment_align: 8
    .kernarg_segment_size: 40
    .language:       OpenCL C
    .language_version:
      - 2
      - 0
    .max_flat_workgroup_size: 256
    .name:           _ZN7rocprim17ROCPRIM_400000_NS6detail17trampoline_kernelINS0_14default_configENS1_22reduce_config_selectorIjEEZNS1_11reduce_implILb1ES3_N6thrust23THRUST_200600_302600_NS6detail15normal_iteratorINS8_10device_ptrIjEEEEPiiNS8_4plusIiEEEE10hipError_tPvRmT1_T2_T3_mT4_P12ihipStream_tbEUlT_E1_NS1_11comp_targetILNS1_3genE2ELNS1_11target_archE906ELNS1_3gpuE6ELNS1_3repE0EEENS1_30default_config_static_selectorELNS0_4arch9wavefront6targetE1EEEvSK_
    .private_segment_fixed_size: 0
    .sgpr_count:     6
    .sgpr_spill_count: 0
    .symbol:         _ZN7rocprim17ROCPRIM_400000_NS6detail17trampoline_kernelINS0_14default_configENS1_22reduce_config_selectorIjEEZNS1_11reduce_implILb1ES3_N6thrust23THRUST_200600_302600_NS6detail15normal_iteratorINS8_10device_ptrIjEEEEPiiNS8_4plusIiEEEE10hipError_tPvRmT1_T2_T3_mT4_P12ihipStream_tbEUlT_E1_NS1_11comp_targetILNS1_3genE2ELNS1_11target_archE906ELNS1_3gpuE6ELNS1_3repE0EEENS1_30default_config_static_selectorELNS0_4arch9wavefront6targetE1EEEvSK_.kd
    .uniform_work_group_size: 1
    .uses_dynamic_stack: false
    .vgpr_count:     0
    .vgpr_spill_count: 0
    .wavefront_size: 64
  - .agpr_count:     0
    .args:
      - .offset:         0
        .size:           40
        .value_kind:     by_value
    .group_segment_fixed_size: 0
    .kernarg_segment_align: 8
    .kernarg_segment_size: 40
    .language:       OpenCL C
    .language_version:
      - 2
      - 0
    .max_flat_workgroup_size: 256
    .name:           _ZN7rocprim17ROCPRIM_400000_NS6detail17trampoline_kernelINS0_14default_configENS1_22reduce_config_selectorIjEEZNS1_11reduce_implILb1ES3_N6thrust23THRUST_200600_302600_NS6detail15normal_iteratorINS8_10device_ptrIjEEEEPiiNS8_4plusIiEEEE10hipError_tPvRmT1_T2_T3_mT4_P12ihipStream_tbEUlT_E1_NS1_11comp_targetILNS1_3genE10ELNS1_11target_archE1201ELNS1_3gpuE5ELNS1_3repE0EEENS1_30default_config_static_selectorELNS0_4arch9wavefront6targetE1EEEvSK_
    .private_segment_fixed_size: 0
    .sgpr_count:     6
    .sgpr_spill_count: 0
    .symbol:         _ZN7rocprim17ROCPRIM_400000_NS6detail17trampoline_kernelINS0_14default_configENS1_22reduce_config_selectorIjEEZNS1_11reduce_implILb1ES3_N6thrust23THRUST_200600_302600_NS6detail15normal_iteratorINS8_10device_ptrIjEEEEPiiNS8_4plusIiEEEE10hipError_tPvRmT1_T2_T3_mT4_P12ihipStream_tbEUlT_E1_NS1_11comp_targetILNS1_3genE10ELNS1_11target_archE1201ELNS1_3gpuE5ELNS1_3repE0EEENS1_30default_config_static_selectorELNS0_4arch9wavefront6targetE1EEEvSK_.kd
    .uniform_work_group_size: 1
    .uses_dynamic_stack: false
    .vgpr_count:     0
    .vgpr_spill_count: 0
    .wavefront_size: 64
  - .agpr_count:     0
    .args:
      - .offset:         0
        .size:           40
        .value_kind:     by_value
    .group_segment_fixed_size: 0
    .kernarg_segment_align: 8
    .kernarg_segment_size: 40
    .language:       OpenCL C
    .language_version:
      - 2
      - 0
    .max_flat_workgroup_size: 256
    .name:           _ZN7rocprim17ROCPRIM_400000_NS6detail17trampoline_kernelINS0_14default_configENS1_22reduce_config_selectorIjEEZNS1_11reduce_implILb1ES3_N6thrust23THRUST_200600_302600_NS6detail15normal_iteratorINS8_10device_ptrIjEEEEPiiNS8_4plusIiEEEE10hipError_tPvRmT1_T2_T3_mT4_P12ihipStream_tbEUlT_E1_NS1_11comp_targetILNS1_3genE10ELNS1_11target_archE1200ELNS1_3gpuE4ELNS1_3repE0EEENS1_30default_config_static_selectorELNS0_4arch9wavefront6targetE1EEEvSK_
    .private_segment_fixed_size: 0
    .sgpr_count:     6
    .sgpr_spill_count: 0
    .symbol:         _ZN7rocprim17ROCPRIM_400000_NS6detail17trampoline_kernelINS0_14default_configENS1_22reduce_config_selectorIjEEZNS1_11reduce_implILb1ES3_N6thrust23THRUST_200600_302600_NS6detail15normal_iteratorINS8_10device_ptrIjEEEEPiiNS8_4plusIiEEEE10hipError_tPvRmT1_T2_T3_mT4_P12ihipStream_tbEUlT_E1_NS1_11comp_targetILNS1_3genE10ELNS1_11target_archE1200ELNS1_3gpuE4ELNS1_3repE0EEENS1_30default_config_static_selectorELNS0_4arch9wavefront6targetE1EEEvSK_.kd
    .uniform_work_group_size: 1
    .uses_dynamic_stack: false
    .vgpr_count:     0
    .vgpr_spill_count: 0
    .wavefront_size: 64
  - .agpr_count:     0
    .args:
      - .offset:         0
        .size:           40
        .value_kind:     by_value
    .group_segment_fixed_size: 0
    .kernarg_segment_align: 8
    .kernarg_segment_size: 40
    .language:       OpenCL C
    .language_version:
      - 2
      - 0
    .max_flat_workgroup_size: 256
    .name:           _ZN7rocprim17ROCPRIM_400000_NS6detail17trampoline_kernelINS0_14default_configENS1_22reduce_config_selectorIjEEZNS1_11reduce_implILb1ES3_N6thrust23THRUST_200600_302600_NS6detail15normal_iteratorINS8_10device_ptrIjEEEEPiiNS8_4plusIiEEEE10hipError_tPvRmT1_T2_T3_mT4_P12ihipStream_tbEUlT_E1_NS1_11comp_targetILNS1_3genE9ELNS1_11target_archE1100ELNS1_3gpuE3ELNS1_3repE0EEENS1_30default_config_static_selectorELNS0_4arch9wavefront6targetE1EEEvSK_
    .private_segment_fixed_size: 0
    .sgpr_count:     6
    .sgpr_spill_count: 0
    .symbol:         _ZN7rocprim17ROCPRIM_400000_NS6detail17trampoline_kernelINS0_14default_configENS1_22reduce_config_selectorIjEEZNS1_11reduce_implILb1ES3_N6thrust23THRUST_200600_302600_NS6detail15normal_iteratorINS8_10device_ptrIjEEEEPiiNS8_4plusIiEEEE10hipError_tPvRmT1_T2_T3_mT4_P12ihipStream_tbEUlT_E1_NS1_11comp_targetILNS1_3genE9ELNS1_11target_archE1100ELNS1_3gpuE3ELNS1_3repE0EEENS1_30default_config_static_selectorELNS0_4arch9wavefront6targetE1EEEvSK_.kd
    .uniform_work_group_size: 1
    .uses_dynamic_stack: false
    .vgpr_count:     0
    .vgpr_spill_count: 0
    .wavefront_size: 64
  - .agpr_count:     0
    .args:
      - .offset:         0
        .size:           40
        .value_kind:     by_value
    .group_segment_fixed_size: 0
    .kernarg_segment_align: 8
    .kernarg_segment_size: 40
    .language:       OpenCL C
    .language_version:
      - 2
      - 0
    .max_flat_workgroup_size: 256
    .name:           _ZN7rocprim17ROCPRIM_400000_NS6detail17trampoline_kernelINS0_14default_configENS1_22reduce_config_selectorIjEEZNS1_11reduce_implILb1ES3_N6thrust23THRUST_200600_302600_NS6detail15normal_iteratorINS8_10device_ptrIjEEEEPiiNS8_4plusIiEEEE10hipError_tPvRmT1_T2_T3_mT4_P12ihipStream_tbEUlT_E1_NS1_11comp_targetILNS1_3genE8ELNS1_11target_archE1030ELNS1_3gpuE2ELNS1_3repE0EEENS1_30default_config_static_selectorELNS0_4arch9wavefront6targetE1EEEvSK_
    .private_segment_fixed_size: 0
    .sgpr_count:     6
    .sgpr_spill_count: 0
    .symbol:         _ZN7rocprim17ROCPRIM_400000_NS6detail17trampoline_kernelINS0_14default_configENS1_22reduce_config_selectorIjEEZNS1_11reduce_implILb1ES3_N6thrust23THRUST_200600_302600_NS6detail15normal_iteratorINS8_10device_ptrIjEEEEPiiNS8_4plusIiEEEE10hipError_tPvRmT1_T2_T3_mT4_P12ihipStream_tbEUlT_E1_NS1_11comp_targetILNS1_3genE8ELNS1_11target_archE1030ELNS1_3gpuE2ELNS1_3repE0EEENS1_30default_config_static_selectorELNS0_4arch9wavefront6targetE1EEEvSK_.kd
    .uniform_work_group_size: 1
    .uses_dynamic_stack: false
    .vgpr_count:     0
    .vgpr_spill_count: 0
    .wavefront_size: 64
  - .agpr_count:     0
    .args:
      - .offset:         0
        .size:           56
        .value_kind:     by_value
    .group_segment_fixed_size: 32
    .kernarg_segment_align: 8
    .kernarg_segment_size: 56
    .language:       OpenCL C
    .language_version:
      - 2
      - 0
    .max_flat_workgroup_size: 256
    .name:           _ZN7rocprim17ROCPRIM_400000_NS6detail17trampoline_kernelINS0_14default_configENS1_22reduce_config_selectorIjEEZNS1_11reduce_implILb1ES3_N6thrust23THRUST_200600_302600_NS6detail15normal_iteratorINS8_10device_ptrIjEEEEPffNS8_4plusIfEEEE10hipError_tPvRmT1_T2_T3_mT4_P12ihipStream_tbEUlT_E0_NS1_11comp_targetILNS1_3genE0ELNS1_11target_archE4294967295ELNS1_3gpuE0ELNS1_3repE0EEENS1_30default_config_static_selectorELNS0_4arch9wavefront6targetE1EEEvSK_
    .private_segment_fixed_size: 0
    .sgpr_count:     26
    .sgpr_spill_count: 0
    .symbol:         _ZN7rocprim17ROCPRIM_400000_NS6detail17trampoline_kernelINS0_14default_configENS1_22reduce_config_selectorIjEEZNS1_11reduce_implILb1ES3_N6thrust23THRUST_200600_302600_NS6detail15normal_iteratorINS8_10device_ptrIjEEEEPffNS8_4plusIfEEEE10hipError_tPvRmT1_T2_T3_mT4_P12ihipStream_tbEUlT_E0_NS1_11comp_targetILNS1_3genE0ELNS1_11target_archE4294967295ELNS1_3gpuE0ELNS1_3repE0EEENS1_30default_config_static_selectorELNS0_4arch9wavefront6targetE1EEEvSK_.kd
    .uniform_work_group_size: 1
    .uses_dynamic_stack: false
    .vgpr_count:     12
    .vgpr_spill_count: 0
    .wavefront_size: 64
  - .agpr_count:     0
    .args:
      - .offset:         0
        .size:           56
        .value_kind:     by_value
    .group_segment_fixed_size: 0
    .kernarg_segment_align: 8
    .kernarg_segment_size: 56
    .language:       OpenCL C
    .language_version:
      - 2
      - 0
    .max_flat_workgroup_size: 256
    .name:           _ZN7rocprim17ROCPRIM_400000_NS6detail17trampoline_kernelINS0_14default_configENS1_22reduce_config_selectorIjEEZNS1_11reduce_implILb1ES3_N6thrust23THRUST_200600_302600_NS6detail15normal_iteratorINS8_10device_ptrIjEEEEPffNS8_4plusIfEEEE10hipError_tPvRmT1_T2_T3_mT4_P12ihipStream_tbEUlT_E0_NS1_11comp_targetILNS1_3genE5ELNS1_11target_archE942ELNS1_3gpuE9ELNS1_3repE0EEENS1_30default_config_static_selectorELNS0_4arch9wavefront6targetE1EEEvSK_
    .private_segment_fixed_size: 0
    .sgpr_count:     6
    .sgpr_spill_count: 0
    .symbol:         _ZN7rocprim17ROCPRIM_400000_NS6detail17trampoline_kernelINS0_14default_configENS1_22reduce_config_selectorIjEEZNS1_11reduce_implILb1ES3_N6thrust23THRUST_200600_302600_NS6detail15normal_iteratorINS8_10device_ptrIjEEEEPffNS8_4plusIfEEEE10hipError_tPvRmT1_T2_T3_mT4_P12ihipStream_tbEUlT_E0_NS1_11comp_targetILNS1_3genE5ELNS1_11target_archE942ELNS1_3gpuE9ELNS1_3repE0EEENS1_30default_config_static_selectorELNS0_4arch9wavefront6targetE1EEEvSK_.kd
    .uniform_work_group_size: 1
    .uses_dynamic_stack: false
    .vgpr_count:     0
    .vgpr_spill_count: 0
    .wavefront_size: 64
  - .agpr_count:     0
    .args:
      - .offset:         0
        .size:           56
        .value_kind:     by_value
    .group_segment_fixed_size: 0
    .kernarg_segment_align: 8
    .kernarg_segment_size: 56
    .language:       OpenCL C
    .language_version:
      - 2
      - 0
    .max_flat_workgroup_size: 128
    .name:           _ZN7rocprim17ROCPRIM_400000_NS6detail17trampoline_kernelINS0_14default_configENS1_22reduce_config_selectorIjEEZNS1_11reduce_implILb1ES3_N6thrust23THRUST_200600_302600_NS6detail15normal_iteratorINS8_10device_ptrIjEEEEPffNS8_4plusIfEEEE10hipError_tPvRmT1_T2_T3_mT4_P12ihipStream_tbEUlT_E0_NS1_11comp_targetILNS1_3genE4ELNS1_11target_archE910ELNS1_3gpuE8ELNS1_3repE0EEENS1_30default_config_static_selectorELNS0_4arch9wavefront6targetE1EEEvSK_
    .private_segment_fixed_size: 0
    .sgpr_count:     6
    .sgpr_spill_count: 0
    .symbol:         _ZN7rocprim17ROCPRIM_400000_NS6detail17trampoline_kernelINS0_14default_configENS1_22reduce_config_selectorIjEEZNS1_11reduce_implILb1ES3_N6thrust23THRUST_200600_302600_NS6detail15normal_iteratorINS8_10device_ptrIjEEEEPffNS8_4plusIfEEEE10hipError_tPvRmT1_T2_T3_mT4_P12ihipStream_tbEUlT_E0_NS1_11comp_targetILNS1_3genE4ELNS1_11target_archE910ELNS1_3gpuE8ELNS1_3repE0EEENS1_30default_config_static_selectorELNS0_4arch9wavefront6targetE1EEEvSK_.kd
    .uniform_work_group_size: 1
    .uses_dynamic_stack: false
    .vgpr_count:     0
    .vgpr_spill_count: 0
    .wavefront_size: 64
  - .agpr_count:     0
    .args:
      - .offset:         0
        .size:           56
        .value_kind:     by_value
    .group_segment_fixed_size: 0
    .kernarg_segment_align: 8
    .kernarg_segment_size: 56
    .language:       OpenCL C
    .language_version:
      - 2
      - 0
    .max_flat_workgroup_size: 256
    .name:           _ZN7rocprim17ROCPRIM_400000_NS6detail17trampoline_kernelINS0_14default_configENS1_22reduce_config_selectorIjEEZNS1_11reduce_implILb1ES3_N6thrust23THRUST_200600_302600_NS6detail15normal_iteratorINS8_10device_ptrIjEEEEPffNS8_4plusIfEEEE10hipError_tPvRmT1_T2_T3_mT4_P12ihipStream_tbEUlT_E0_NS1_11comp_targetILNS1_3genE3ELNS1_11target_archE908ELNS1_3gpuE7ELNS1_3repE0EEENS1_30default_config_static_selectorELNS0_4arch9wavefront6targetE1EEEvSK_
    .private_segment_fixed_size: 0
    .sgpr_count:     6
    .sgpr_spill_count: 0
    .symbol:         _ZN7rocprim17ROCPRIM_400000_NS6detail17trampoline_kernelINS0_14default_configENS1_22reduce_config_selectorIjEEZNS1_11reduce_implILb1ES3_N6thrust23THRUST_200600_302600_NS6detail15normal_iteratorINS8_10device_ptrIjEEEEPffNS8_4plusIfEEEE10hipError_tPvRmT1_T2_T3_mT4_P12ihipStream_tbEUlT_E0_NS1_11comp_targetILNS1_3genE3ELNS1_11target_archE908ELNS1_3gpuE7ELNS1_3repE0EEENS1_30default_config_static_selectorELNS0_4arch9wavefront6targetE1EEEvSK_.kd
    .uniform_work_group_size: 1
    .uses_dynamic_stack: false
    .vgpr_count:     0
    .vgpr_spill_count: 0
    .wavefront_size: 64
  - .agpr_count:     0
    .args:
      - .offset:         0
        .size:           56
        .value_kind:     by_value
    .group_segment_fixed_size: 0
    .kernarg_segment_align: 8
    .kernarg_segment_size: 56
    .language:       OpenCL C
    .language_version:
      - 2
      - 0
    .max_flat_workgroup_size: 256
    .name:           _ZN7rocprim17ROCPRIM_400000_NS6detail17trampoline_kernelINS0_14default_configENS1_22reduce_config_selectorIjEEZNS1_11reduce_implILb1ES3_N6thrust23THRUST_200600_302600_NS6detail15normal_iteratorINS8_10device_ptrIjEEEEPffNS8_4plusIfEEEE10hipError_tPvRmT1_T2_T3_mT4_P12ihipStream_tbEUlT_E0_NS1_11comp_targetILNS1_3genE2ELNS1_11target_archE906ELNS1_3gpuE6ELNS1_3repE0EEENS1_30default_config_static_selectorELNS0_4arch9wavefront6targetE1EEEvSK_
    .private_segment_fixed_size: 0
    .sgpr_count:     6
    .sgpr_spill_count: 0
    .symbol:         _ZN7rocprim17ROCPRIM_400000_NS6detail17trampoline_kernelINS0_14default_configENS1_22reduce_config_selectorIjEEZNS1_11reduce_implILb1ES3_N6thrust23THRUST_200600_302600_NS6detail15normal_iteratorINS8_10device_ptrIjEEEEPffNS8_4plusIfEEEE10hipError_tPvRmT1_T2_T3_mT4_P12ihipStream_tbEUlT_E0_NS1_11comp_targetILNS1_3genE2ELNS1_11target_archE906ELNS1_3gpuE6ELNS1_3repE0EEENS1_30default_config_static_selectorELNS0_4arch9wavefront6targetE1EEEvSK_.kd
    .uniform_work_group_size: 1
    .uses_dynamic_stack: false
    .vgpr_count:     0
    .vgpr_spill_count: 0
    .wavefront_size: 64
  - .agpr_count:     0
    .args:
      - .offset:         0
        .size:           56
        .value_kind:     by_value
    .group_segment_fixed_size: 0
    .kernarg_segment_align: 8
    .kernarg_segment_size: 56
    .language:       OpenCL C
    .language_version:
      - 2
      - 0
    .max_flat_workgroup_size: 256
    .name:           _ZN7rocprim17ROCPRIM_400000_NS6detail17trampoline_kernelINS0_14default_configENS1_22reduce_config_selectorIjEEZNS1_11reduce_implILb1ES3_N6thrust23THRUST_200600_302600_NS6detail15normal_iteratorINS8_10device_ptrIjEEEEPffNS8_4plusIfEEEE10hipError_tPvRmT1_T2_T3_mT4_P12ihipStream_tbEUlT_E0_NS1_11comp_targetILNS1_3genE10ELNS1_11target_archE1201ELNS1_3gpuE5ELNS1_3repE0EEENS1_30default_config_static_selectorELNS0_4arch9wavefront6targetE1EEEvSK_
    .private_segment_fixed_size: 0
    .sgpr_count:     6
    .sgpr_spill_count: 0
    .symbol:         _ZN7rocprim17ROCPRIM_400000_NS6detail17trampoline_kernelINS0_14default_configENS1_22reduce_config_selectorIjEEZNS1_11reduce_implILb1ES3_N6thrust23THRUST_200600_302600_NS6detail15normal_iteratorINS8_10device_ptrIjEEEEPffNS8_4plusIfEEEE10hipError_tPvRmT1_T2_T3_mT4_P12ihipStream_tbEUlT_E0_NS1_11comp_targetILNS1_3genE10ELNS1_11target_archE1201ELNS1_3gpuE5ELNS1_3repE0EEENS1_30default_config_static_selectorELNS0_4arch9wavefront6targetE1EEEvSK_.kd
    .uniform_work_group_size: 1
    .uses_dynamic_stack: false
    .vgpr_count:     0
    .vgpr_spill_count: 0
    .wavefront_size: 64
  - .agpr_count:     0
    .args:
      - .offset:         0
        .size:           56
        .value_kind:     by_value
    .group_segment_fixed_size: 0
    .kernarg_segment_align: 8
    .kernarg_segment_size: 56
    .language:       OpenCL C
    .language_version:
      - 2
      - 0
    .max_flat_workgroup_size: 256
    .name:           _ZN7rocprim17ROCPRIM_400000_NS6detail17trampoline_kernelINS0_14default_configENS1_22reduce_config_selectorIjEEZNS1_11reduce_implILb1ES3_N6thrust23THRUST_200600_302600_NS6detail15normal_iteratorINS8_10device_ptrIjEEEEPffNS8_4plusIfEEEE10hipError_tPvRmT1_T2_T3_mT4_P12ihipStream_tbEUlT_E0_NS1_11comp_targetILNS1_3genE10ELNS1_11target_archE1200ELNS1_3gpuE4ELNS1_3repE0EEENS1_30default_config_static_selectorELNS0_4arch9wavefront6targetE1EEEvSK_
    .private_segment_fixed_size: 0
    .sgpr_count:     6
    .sgpr_spill_count: 0
    .symbol:         _ZN7rocprim17ROCPRIM_400000_NS6detail17trampoline_kernelINS0_14default_configENS1_22reduce_config_selectorIjEEZNS1_11reduce_implILb1ES3_N6thrust23THRUST_200600_302600_NS6detail15normal_iteratorINS8_10device_ptrIjEEEEPffNS8_4plusIfEEEE10hipError_tPvRmT1_T2_T3_mT4_P12ihipStream_tbEUlT_E0_NS1_11comp_targetILNS1_3genE10ELNS1_11target_archE1200ELNS1_3gpuE4ELNS1_3repE0EEENS1_30default_config_static_selectorELNS0_4arch9wavefront6targetE1EEEvSK_.kd
    .uniform_work_group_size: 1
    .uses_dynamic_stack: false
    .vgpr_count:     0
    .vgpr_spill_count: 0
    .wavefront_size: 64
  - .agpr_count:     0
    .args:
      - .offset:         0
        .size:           56
        .value_kind:     by_value
    .group_segment_fixed_size: 0
    .kernarg_segment_align: 8
    .kernarg_segment_size: 56
    .language:       OpenCL C
    .language_version:
      - 2
      - 0
    .max_flat_workgroup_size: 256
    .name:           _ZN7rocprim17ROCPRIM_400000_NS6detail17trampoline_kernelINS0_14default_configENS1_22reduce_config_selectorIjEEZNS1_11reduce_implILb1ES3_N6thrust23THRUST_200600_302600_NS6detail15normal_iteratorINS8_10device_ptrIjEEEEPffNS8_4plusIfEEEE10hipError_tPvRmT1_T2_T3_mT4_P12ihipStream_tbEUlT_E0_NS1_11comp_targetILNS1_3genE9ELNS1_11target_archE1100ELNS1_3gpuE3ELNS1_3repE0EEENS1_30default_config_static_selectorELNS0_4arch9wavefront6targetE1EEEvSK_
    .private_segment_fixed_size: 0
    .sgpr_count:     6
    .sgpr_spill_count: 0
    .symbol:         _ZN7rocprim17ROCPRIM_400000_NS6detail17trampoline_kernelINS0_14default_configENS1_22reduce_config_selectorIjEEZNS1_11reduce_implILb1ES3_N6thrust23THRUST_200600_302600_NS6detail15normal_iteratorINS8_10device_ptrIjEEEEPffNS8_4plusIfEEEE10hipError_tPvRmT1_T2_T3_mT4_P12ihipStream_tbEUlT_E0_NS1_11comp_targetILNS1_3genE9ELNS1_11target_archE1100ELNS1_3gpuE3ELNS1_3repE0EEENS1_30default_config_static_selectorELNS0_4arch9wavefront6targetE1EEEvSK_.kd
    .uniform_work_group_size: 1
    .uses_dynamic_stack: false
    .vgpr_count:     0
    .vgpr_spill_count: 0
    .wavefront_size: 64
  - .agpr_count:     0
    .args:
      - .offset:         0
        .size:           56
        .value_kind:     by_value
    .group_segment_fixed_size: 0
    .kernarg_segment_align: 8
    .kernarg_segment_size: 56
    .language:       OpenCL C
    .language_version:
      - 2
      - 0
    .max_flat_workgroup_size: 256
    .name:           _ZN7rocprim17ROCPRIM_400000_NS6detail17trampoline_kernelINS0_14default_configENS1_22reduce_config_selectorIjEEZNS1_11reduce_implILb1ES3_N6thrust23THRUST_200600_302600_NS6detail15normal_iteratorINS8_10device_ptrIjEEEEPffNS8_4plusIfEEEE10hipError_tPvRmT1_T2_T3_mT4_P12ihipStream_tbEUlT_E0_NS1_11comp_targetILNS1_3genE8ELNS1_11target_archE1030ELNS1_3gpuE2ELNS1_3repE0EEENS1_30default_config_static_selectorELNS0_4arch9wavefront6targetE1EEEvSK_
    .private_segment_fixed_size: 0
    .sgpr_count:     6
    .sgpr_spill_count: 0
    .symbol:         _ZN7rocprim17ROCPRIM_400000_NS6detail17trampoline_kernelINS0_14default_configENS1_22reduce_config_selectorIjEEZNS1_11reduce_implILb1ES3_N6thrust23THRUST_200600_302600_NS6detail15normal_iteratorINS8_10device_ptrIjEEEEPffNS8_4plusIfEEEE10hipError_tPvRmT1_T2_T3_mT4_P12ihipStream_tbEUlT_E0_NS1_11comp_targetILNS1_3genE8ELNS1_11target_archE1030ELNS1_3gpuE2ELNS1_3repE0EEENS1_30default_config_static_selectorELNS0_4arch9wavefront6targetE1EEEvSK_.kd
    .uniform_work_group_size: 1
    .uses_dynamic_stack: false
    .vgpr_count:     0
    .vgpr_spill_count: 0
    .wavefront_size: 64
  - .agpr_count:     0
    .args:
      - .offset:         0
        .size:           40
        .value_kind:     by_value
    .group_segment_fixed_size: 112
    .kernarg_segment_align: 8
    .kernarg_segment_size: 40
    .language:       OpenCL C
    .language_version:
      - 2
      - 0
    .max_flat_workgroup_size: 256
    .name:           _ZN7rocprim17ROCPRIM_400000_NS6detail17trampoline_kernelINS0_14default_configENS1_22reduce_config_selectorIjEEZNS1_11reduce_implILb1ES3_N6thrust23THRUST_200600_302600_NS6detail15normal_iteratorINS8_10device_ptrIjEEEEPffNS8_4plusIfEEEE10hipError_tPvRmT1_T2_T3_mT4_P12ihipStream_tbEUlT_E1_NS1_11comp_targetILNS1_3genE0ELNS1_11target_archE4294967295ELNS1_3gpuE0ELNS1_3repE0EEENS1_30default_config_static_selectorELNS0_4arch9wavefront6targetE1EEEvSK_
    .private_segment_fixed_size: 0
    .sgpr_count:     83
    .sgpr_spill_count: 0
    .symbol:         _ZN7rocprim17ROCPRIM_400000_NS6detail17trampoline_kernelINS0_14default_configENS1_22reduce_config_selectorIjEEZNS1_11reduce_implILb1ES3_N6thrust23THRUST_200600_302600_NS6detail15normal_iteratorINS8_10device_ptrIjEEEEPffNS8_4plusIfEEEE10hipError_tPvRmT1_T2_T3_mT4_P12ihipStream_tbEUlT_E1_NS1_11comp_targetILNS1_3genE0ELNS1_11target_archE4294967295ELNS1_3gpuE0ELNS1_3repE0EEENS1_30default_config_static_selectorELNS0_4arch9wavefront6targetE1EEEvSK_.kd
    .uniform_work_group_size: 1
    .uses_dynamic_stack: false
    .vgpr_count:     36
    .vgpr_spill_count: 0
    .wavefront_size: 64
  - .agpr_count:     0
    .args:
      - .offset:         0
        .size:           40
        .value_kind:     by_value
    .group_segment_fixed_size: 0
    .kernarg_segment_align: 8
    .kernarg_segment_size: 40
    .language:       OpenCL C
    .language_version:
      - 2
      - 0
    .max_flat_workgroup_size: 256
    .name:           _ZN7rocprim17ROCPRIM_400000_NS6detail17trampoline_kernelINS0_14default_configENS1_22reduce_config_selectorIjEEZNS1_11reduce_implILb1ES3_N6thrust23THRUST_200600_302600_NS6detail15normal_iteratorINS8_10device_ptrIjEEEEPffNS8_4plusIfEEEE10hipError_tPvRmT1_T2_T3_mT4_P12ihipStream_tbEUlT_E1_NS1_11comp_targetILNS1_3genE5ELNS1_11target_archE942ELNS1_3gpuE9ELNS1_3repE0EEENS1_30default_config_static_selectorELNS0_4arch9wavefront6targetE1EEEvSK_
    .private_segment_fixed_size: 0
    .sgpr_count:     6
    .sgpr_spill_count: 0
    .symbol:         _ZN7rocprim17ROCPRIM_400000_NS6detail17trampoline_kernelINS0_14default_configENS1_22reduce_config_selectorIjEEZNS1_11reduce_implILb1ES3_N6thrust23THRUST_200600_302600_NS6detail15normal_iteratorINS8_10device_ptrIjEEEEPffNS8_4plusIfEEEE10hipError_tPvRmT1_T2_T3_mT4_P12ihipStream_tbEUlT_E1_NS1_11comp_targetILNS1_3genE5ELNS1_11target_archE942ELNS1_3gpuE9ELNS1_3repE0EEENS1_30default_config_static_selectorELNS0_4arch9wavefront6targetE1EEEvSK_.kd
    .uniform_work_group_size: 1
    .uses_dynamic_stack: false
    .vgpr_count:     0
    .vgpr_spill_count: 0
    .wavefront_size: 64
  - .agpr_count:     0
    .args:
      - .offset:         0
        .size:           40
        .value_kind:     by_value
    .group_segment_fixed_size: 0
    .kernarg_segment_align: 8
    .kernarg_segment_size: 40
    .language:       OpenCL C
    .language_version:
      - 2
      - 0
    .max_flat_workgroup_size: 128
    .name:           _ZN7rocprim17ROCPRIM_400000_NS6detail17trampoline_kernelINS0_14default_configENS1_22reduce_config_selectorIjEEZNS1_11reduce_implILb1ES3_N6thrust23THRUST_200600_302600_NS6detail15normal_iteratorINS8_10device_ptrIjEEEEPffNS8_4plusIfEEEE10hipError_tPvRmT1_T2_T3_mT4_P12ihipStream_tbEUlT_E1_NS1_11comp_targetILNS1_3genE4ELNS1_11target_archE910ELNS1_3gpuE8ELNS1_3repE0EEENS1_30default_config_static_selectorELNS0_4arch9wavefront6targetE1EEEvSK_
    .private_segment_fixed_size: 0
    .sgpr_count:     6
    .sgpr_spill_count: 0
    .symbol:         _ZN7rocprim17ROCPRIM_400000_NS6detail17trampoline_kernelINS0_14default_configENS1_22reduce_config_selectorIjEEZNS1_11reduce_implILb1ES3_N6thrust23THRUST_200600_302600_NS6detail15normal_iteratorINS8_10device_ptrIjEEEEPffNS8_4plusIfEEEE10hipError_tPvRmT1_T2_T3_mT4_P12ihipStream_tbEUlT_E1_NS1_11comp_targetILNS1_3genE4ELNS1_11target_archE910ELNS1_3gpuE8ELNS1_3repE0EEENS1_30default_config_static_selectorELNS0_4arch9wavefront6targetE1EEEvSK_.kd
    .uniform_work_group_size: 1
    .uses_dynamic_stack: false
    .vgpr_count:     0
    .vgpr_spill_count: 0
    .wavefront_size: 64
  - .agpr_count:     0
    .args:
      - .offset:         0
        .size:           40
        .value_kind:     by_value
    .group_segment_fixed_size: 0
    .kernarg_segment_align: 8
    .kernarg_segment_size: 40
    .language:       OpenCL C
    .language_version:
      - 2
      - 0
    .max_flat_workgroup_size: 256
    .name:           _ZN7rocprim17ROCPRIM_400000_NS6detail17trampoline_kernelINS0_14default_configENS1_22reduce_config_selectorIjEEZNS1_11reduce_implILb1ES3_N6thrust23THRUST_200600_302600_NS6detail15normal_iteratorINS8_10device_ptrIjEEEEPffNS8_4plusIfEEEE10hipError_tPvRmT1_T2_T3_mT4_P12ihipStream_tbEUlT_E1_NS1_11comp_targetILNS1_3genE3ELNS1_11target_archE908ELNS1_3gpuE7ELNS1_3repE0EEENS1_30default_config_static_selectorELNS0_4arch9wavefront6targetE1EEEvSK_
    .private_segment_fixed_size: 0
    .sgpr_count:     6
    .sgpr_spill_count: 0
    .symbol:         _ZN7rocprim17ROCPRIM_400000_NS6detail17trampoline_kernelINS0_14default_configENS1_22reduce_config_selectorIjEEZNS1_11reduce_implILb1ES3_N6thrust23THRUST_200600_302600_NS6detail15normal_iteratorINS8_10device_ptrIjEEEEPffNS8_4plusIfEEEE10hipError_tPvRmT1_T2_T3_mT4_P12ihipStream_tbEUlT_E1_NS1_11comp_targetILNS1_3genE3ELNS1_11target_archE908ELNS1_3gpuE7ELNS1_3repE0EEENS1_30default_config_static_selectorELNS0_4arch9wavefront6targetE1EEEvSK_.kd
    .uniform_work_group_size: 1
    .uses_dynamic_stack: false
    .vgpr_count:     0
    .vgpr_spill_count: 0
    .wavefront_size: 64
  - .agpr_count:     0
    .args:
      - .offset:         0
        .size:           40
        .value_kind:     by_value
    .group_segment_fixed_size: 0
    .kernarg_segment_align: 8
    .kernarg_segment_size: 40
    .language:       OpenCL C
    .language_version:
      - 2
      - 0
    .max_flat_workgroup_size: 256
    .name:           _ZN7rocprim17ROCPRIM_400000_NS6detail17trampoline_kernelINS0_14default_configENS1_22reduce_config_selectorIjEEZNS1_11reduce_implILb1ES3_N6thrust23THRUST_200600_302600_NS6detail15normal_iteratorINS8_10device_ptrIjEEEEPffNS8_4plusIfEEEE10hipError_tPvRmT1_T2_T3_mT4_P12ihipStream_tbEUlT_E1_NS1_11comp_targetILNS1_3genE2ELNS1_11target_archE906ELNS1_3gpuE6ELNS1_3repE0EEENS1_30default_config_static_selectorELNS0_4arch9wavefront6targetE1EEEvSK_
    .private_segment_fixed_size: 0
    .sgpr_count:     6
    .sgpr_spill_count: 0
    .symbol:         _ZN7rocprim17ROCPRIM_400000_NS6detail17trampoline_kernelINS0_14default_configENS1_22reduce_config_selectorIjEEZNS1_11reduce_implILb1ES3_N6thrust23THRUST_200600_302600_NS6detail15normal_iteratorINS8_10device_ptrIjEEEEPffNS8_4plusIfEEEE10hipError_tPvRmT1_T2_T3_mT4_P12ihipStream_tbEUlT_E1_NS1_11comp_targetILNS1_3genE2ELNS1_11target_archE906ELNS1_3gpuE6ELNS1_3repE0EEENS1_30default_config_static_selectorELNS0_4arch9wavefront6targetE1EEEvSK_.kd
    .uniform_work_group_size: 1
    .uses_dynamic_stack: false
    .vgpr_count:     0
    .vgpr_spill_count: 0
    .wavefront_size: 64
  - .agpr_count:     0
    .args:
      - .offset:         0
        .size:           40
        .value_kind:     by_value
    .group_segment_fixed_size: 0
    .kernarg_segment_align: 8
    .kernarg_segment_size: 40
    .language:       OpenCL C
    .language_version:
      - 2
      - 0
    .max_flat_workgroup_size: 256
    .name:           _ZN7rocprim17ROCPRIM_400000_NS6detail17trampoline_kernelINS0_14default_configENS1_22reduce_config_selectorIjEEZNS1_11reduce_implILb1ES3_N6thrust23THRUST_200600_302600_NS6detail15normal_iteratorINS8_10device_ptrIjEEEEPffNS8_4plusIfEEEE10hipError_tPvRmT1_T2_T3_mT4_P12ihipStream_tbEUlT_E1_NS1_11comp_targetILNS1_3genE10ELNS1_11target_archE1201ELNS1_3gpuE5ELNS1_3repE0EEENS1_30default_config_static_selectorELNS0_4arch9wavefront6targetE1EEEvSK_
    .private_segment_fixed_size: 0
    .sgpr_count:     6
    .sgpr_spill_count: 0
    .symbol:         _ZN7rocprim17ROCPRIM_400000_NS6detail17trampoline_kernelINS0_14default_configENS1_22reduce_config_selectorIjEEZNS1_11reduce_implILb1ES3_N6thrust23THRUST_200600_302600_NS6detail15normal_iteratorINS8_10device_ptrIjEEEEPffNS8_4plusIfEEEE10hipError_tPvRmT1_T2_T3_mT4_P12ihipStream_tbEUlT_E1_NS1_11comp_targetILNS1_3genE10ELNS1_11target_archE1201ELNS1_3gpuE5ELNS1_3repE0EEENS1_30default_config_static_selectorELNS0_4arch9wavefront6targetE1EEEvSK_.kd
    .uniform_work_group_size: 1
    .uses_dynamic_stack: false
    .vgpr_count:     0
    .vgpr_spill_count: 0
    .wavefront_size: 64
  - .agpr_count:     0
    .args:
      - .offset:         0
        .size:           40
        .value_kind:     by_value
    .group_segment_fixed_size: 0
    .kernarg_segment_align: 8
    .kernarg_segment_size: 40
    .language:       OpenCL C
    .language_version:
      - 2
      - 0
    .max_flat_workgroup_size: 256
    .name:           _ZN7rocprim17ROCPRIM_400000_NS6detail17trampoline_kernelINS0_14default_configENS1_22reduce_config_selectorIjEEZNS1_11reduce_implILb1ES3_N6thrust23THRUST_200600_302600_NS6detail15normal_iteratorINS8_10device_ptrIjEEEEPffNS8_4plusIfEEEE10hipError_tPvRmT1_T2_T3_mT4_P12ihipStream_tbEUlT_E1_NS1_11comp_targetILNS1_3genE10ELNS1_11target_archE1200ELNS1_3gpuE4ELNS1_3repE0EEENS1_30default_config_static_selectorELNS0_4arch9wavefront6targetE1EEEvSK_
    .private_segment_fixed_size: 0
    .sgpr_count:     6
    .sgpr_spill_count: 0
    .symbol:         _ZN7rocprim17ROCPRIM_400000_NS6detail17trampoline_kernelINS0_14default_configENS1_22reduce_config_selectorIjEEZNS1_11reduce_implILb1ES3_N6thrust23THRUST_200600_302600_NS6detail15normal_iteratorINS8_10device_ptrIjEEEEPffNS8_4plusIfEEEE10hipError_tPvRmT1_T2_T3_mT4_P12ihipStream_tbEUlT_E1_NS1_11comp_targetILNS1_3genE10ELNS1_11target_archE1200ELNS1_3gpuE4ELNS1_3repE0EEENS1_30default_config_static_selectorELNS0_4arch9wavefront6targetE1EEEvSK_.kd
    .uniform_work_group_size: 1
    .uses_dynamic_stack: false
    .vgpr_count:     0
    .vgpr_spill_count: 0
    .wavefront_size: 64
  - .agpr_count:     0
    .args:
      - .offset:         0
        .size:           40
        .value_kind:     by_value
    .group_segment_fixed_size: 0
    .kernarg_segment_align: 8
    .kernarg_segment_size: 40
    .language:       OpenCL C
    .language_version:
      - 2
      - 0
    .max_flat_workgroup_size: 256
    .name:           _ZN7rocprim17ROCPRIM_400000_NS6detail17trampoline_kernelINS0_14default_configENS1_22reduce_config_selectorIjEEZNS1_11reduce_implILb1ES3_N6thrust23THRUST_200600_302600_NS6detail15normal_iteratorINS8_10device_ptrIjEEEEPffNS8_4plusIfEEEE10hipError_tPvRmT1_T2_T3_mT4_P12ihipStream_tbEUlT_E1_NS1_11comp_targetILNS1_3genE9ELNS1_11target_archE1100ELNS1_3gpuE3ELNS1_3repE0EEENS1_30default_config_static_selectorELNS0_4arch9wavefront6targetE1EEEvSK_
    .private_segment_fixed_size: 0
    .sgpr_count:     6
    .sgpr_spill_count: 0
    .symbol:         _ZN7rocprim17ROCPRIM_400000_NS6detail17trampoline_kernelINS0_14default_configENS1_22reduce_config_selectorIjEEZNS1_11reduce_implILb1ES3_N6thrust23THRUST_200600_302600_NS6detail15normal_iteratorINS8_10device_ptrIjEEEEPffNS8_4plusIfEEEE10hipError_tPvRmT1_T2_T3_mT4_P12ihipStream_tbEUlT_E1_NS1_11comp_targetILNS1_3genE9ELNS1_11target_archE1100ELNS1_3gpuE3ELNS1_3repE0EEENS1_30default_config_static_selectorELNS0_4arch9wavefront6targetE1EEEvSK_.kd
    .uniform_work_group_size: 1
    .uses_dynamic_stack: false
    .vgpr_count:     0
    .vgpr_spill_count: 0
    .wavefront_size: 64
  - .agpr_count:     0
    .args:
      - .offset:         0
        .size:           40
        .value_kind:     by_value
    .group_segment_fixed_size: 0
    .kernarg_segment_align: 8
    .kernarg_segment_size: 40
    .language:       OpenCL C
    .language_version:
      - 2
      - 0
    .max_flat_workgroup_size: 256
    .name:           _ZN7rocprim17ROCPRIM_400000_NS6detail17trampoline_kernelINS0_14default_configENS1_22reduce_config_selectorIjEEZNS1_11reduce_implILb1ES3_N6thrust23THRUST_200600_302600_NS6detail15normal_iteratorINS8_10device_ptrIjEEEEPffNS8_4plusIfEEEE10hipError_tPvRmT1_T2_T3_mT4_P12ihipStream_tbEUlT_E1_NS1_11comp_targetILNS1_3genE8ELNS1_11target_archE1030ELNS1_3gpuE2ELNS1_3repE0EEENS1_30default_config_static_selectorELNS0_4arch9wavefront6targetE1EEEvSK_
    .private_segment_fixed_size: 0
    .sgpr_count:     6
    .sgpr_spill_count: 0
    .symbol:         _ZN7rocprim17ROCPRIM_400000_NS6detail17trampoline_kernelINS0_14default_configENS1_22reduce_config_selectorIjEEZNS1_11reduce_implILb1ES3_N6thrust23THRUST_200600_302600_NS6detail15normal_iteratorINS8_10device_ptrIjEEEEPffNS8_4plusIfEEEE10hipError_tPvRmT1_T2_T3_mT4_P12ihipStream_tbEUlT_E1_NS1_11comp_targetILNS1_3genE8ELNS1_11target_archE1030ELNS1_3gpuE2ELNS1_3repE0EEENS1_30default_config_static_selectorELNS0_4arch9wavefront6targetE1EEEvSK_.kd
    .uniform_work_group_size: 1
    .uses_dynamic_stack: false
    .vgpr_count:     0
    .vgpr_spill_count: 0
    .wavefront_size: 64
  - .agpr_count:     0
    .args:
      - .offset:         0
        .size:           56
        .value_kind:     by_value
    .group_segment_fixed_size: 16
    .kernarg_segment_align: 8
    .kernarg_segment_size: 56
    .language:       OpenCL C
    .language_version:
      - 2
      - 0
    .max_flat_workgroup_size: 128
    .name:           _ZN7rocprim17ROCPRIM_400000_NS6detail17trampoline_kernelINS0_14default_configENS1_22reduce_config_selectorItEEZNS1_11reduce_implILb1ES3_N6thrust23THRUST_200600_302600_NS6detail15normal_iteratorINS8_10device_ptrItEEEEPiiNS8_4plusIiEEEE10hipError_tPvRmT1_T2_T3_mT4_P12ihipStream_tbEUlT_E0_NS1_11comp_targetILNS1_3genE0ELNS1_11target_archE4294967295ELNS1_3gpuE0ELNS1_3repE0EEENS1_30default_config_static_selectorELNS0_4arch9wavefront6targetE1EEEvSK_
    .private_segment_fixed_size: 0
    .sgpr_count:     34
    .sgpr_spill_count: 0
    .symbol:         _ZN7rocprim17ROCPRIM_400000_NS6detail17trampoline_kernelINS0_14default_configENS1_22reduce_config_selectorItEEZNS1_11reduce_implILb1ES3_N6thrust23THRUST_200600_302600_NS6detail15normal_iteratorINS8_10device_ptrItEEEEPiiNS8_4plusIiEEEE10hipError_tPvRmT1_T2_T3_mT4_P12ihipStream_tbEUlT_E0_NS1_11comp_targetILNS1_3genE0ELNS1_11target_archE4294967295ELNS1_3gpuE0ELNS1_3repE0EEENS1_30default_config_static_selectorELNS0_4arch9wavefront6targetE1EEEvSK_.kd
    .uniform_work_group_size: 1
    .uses_dynamic_stack: false
    .vgpr_count:     20
    .vgpr_spill_count: 0
    .wavefront_size: 64
  - .agpr_count:     0
    .args:
      - .offset:         0
        .size:           56
        .value_kind:     by_value
    .group_segment_fixed_size: 0
    .kernarg_segment_align: 8
    .kernarg_segment_size: 56
    .language:       OpenCL C
    .language_version:
      - 2
      - 0
    .max_flat_workgroup_size: 256
    .name:           _ZN7rocprim17ROCPRIM_400000_NS6detail17trampoline_kernelINS0_14default_configENS1_22reduce_config_selectorItEEZNS1_11reduce_implILb1ES3_N6thrust23THRUST_200600_302600_NS6detail15normal_iteratorINS8_10device_ptrItEEEEPiiNS8_4plusIiEEEE10hipError_tPvRmT1_T2_T3_mT4_P12ihipStream_tbEUlT_E0_NS1_11comp_targetILNS1_3genE5ELNS1_11target_archE942ELNS1_3gpuE9ELNS1_3repE0EEENS1_30default_config_static_selectorELNS0_4arch9wavefront6targetE1EEEvSK_
    .private_segment_fixed_size: 0
    .sgpr_count:     6
    .sgpr_spill_count: 0
    .symbol:         _ZN7rocprim17ROCPRIM_400000_NS6detail17trampoline_kernelINS0_14default_configENS1_22reduce_config_selectorItEEZNS1_11reduce_implILb1ES3_N6thrust23THRUST_200600_302600_NS6detail15normal_iteratorINS8_10device_ptrItEEEEPiiNS8_4plusIiEEEE10hipError_tPvRmT1_T2_T3_mT4_P12ihipStream_tbEUlT_E0_NS1_11comp_targetILNS1_3genE5ELNS1_11target_archE942ELNS1_3gpuE9ELNS1_3repE0EEENS1_30default_config_static_selectorELNS0_4arch9wavefront6targetE1EEEvSK_.kd
    .uniform_work_group_size: 1
    .uses_dynamic_stack: false
    .vgpr_count:     0
    .vgpr_spill_count: 0
    .wavefront_size: 64
  - .agpr_count:     0
    .args:
      - .offset:         0
        .size:           56
        .value_kind:     by_value
    .group_segment_fixed_size: 0
    .kernarg_segment_align: 8
    .kernarg_segment_size: 56
    .language:       OpenCL C
    .language_version:
      - 2
      - 0
    .max_flat_workgroup_size: 64
    .name:           _ZN7rocprim17ROCPRIM_400000_NS6detail17trampoline_kernelINS0_14default_configENS1_22reduce_config_selectorItEEZNS1_11reduce_implILb1ES3_N6thrust23THRUST_200600_302600_NS6detail15normal_iteratorINS8_10device_ptrItEEEEPiiNS8_4plusIiEEEE10hipError_tPvRmT1_T2_T3_mT4_P12ihipStream_tbEUlT_E0_NS1_11comp_targetILNS1_3genE4ELNS1_11target_archE910ELNS1_3gpuE8ELNS1_3repE0EEENS1_30default_config_static_selectorELNS0_4arch9wavefront6targetE1EEEvSK_
    .private_segment_fixed_size: 0
    .sgpr_count:     6
    .sgpr_spill_count: 0
    .symbol:         _ZN7rocprim17ROCPRIM_400000_NS6detail17trampoline_kernelINS0_14default_configENS1_22reduce_config_selectorItEEZNS1_11reduce_implILb1ES3_N6thrust23THRUST_200600_302600_NS6detail15normal_iteratorINS8_10device_ptrItEEEEPiiNS8_4plusIiEEEE10hipError_tPvRmT1_T2_T3_mT4_P12ihipStream_tbEUlT_E0_NS1_11comp_targetILNS1_3genE4ELNS1_11target_archE910ELNS1_3gpuE8ELNS1_3repE0EEENS1_30default_config_static_selectorELNS0_4arch9wavefront6targetE1EEEvSK_.kd
    .uniform_work_group_size: 1
    .uses_dynamic_stack: false
    .vgpr_count:     0
    .vgpr_spill_count: 0
    .wavefront_size: 64
  - .agpr_count:     0
    .args:
      - .offset:         0
        .size:           56
        .value_kind:     by_value
    .group_segment_fixed_size: 0
    .kernarg_segment_align: 8
    .kernarg_segment_size: 56
    .language:       OpenCL C
    .language_version:
      - 2
      - 0
    .max_flat_workgroup_size: 128
    .name:           _ZN7rocprim17ROCPRIM_400000_NS6detail17trampoline_kernelINS0_14default_configENS1_22reduce_config_selectorItEEZNS1_11reduce_implILb1ES3_N6thrust23THRUST_200600_302600_NS6detail15normal_iteratorINS8_10device_ptrItEEEEPiiNS8_4plusIiEEEE10hipError_tPvRmT1_T2_T3_mT4_P12ihipStream_tbEUlT_E0_NS1_11comp_targetILNS1_3genE3ELNS1_11target_archE908ELNS1_3gpuE7ELNS1_3repE0EEENS1_30default_config_static_selectorELNS0_4arch9wavefront6targetE1EEEvSK_
    .private_segment_fixed_size: 0
    .sgpr_count:     6
    .sgpr_spill_count: 0
    .symbol:         _ZN7rocprim17ROCPRIM_400000_NS6detail17trampoline_kernelINS0_14default_configENS1_22reduce_config_selectorItEEZNS1_11reduce_implILb1ES3_N6thrust23THRUST_200600_302600_NS6detail15normal_iteratorINS8_10device_ptrItEEEEPiiNS8_4plusIiEEEE10hipError_tPvRmT1_T2_T3_mT4_P12ihipStream_tbEUlT_E0_NS1_11comp_targetILNS1_3genE3ELNS1_11target_archE908ELNS1_3gpuE7ELNS1_3repE0EEENS1_30default_config_static_selectorELNS0_4arch9wavefront6targetE1EEEvSK_.kd
    .uniform_work_group_size: 1
    .uses_dynamic_stack: false
    .vgpr_count:     0
    .vgpr_spill_count: 0
    .wavefront_size: 64
  - .agpr_count:     0
    .args:
      - .offset:         0
        .size:           56
        .value_kind:     by_value
    .group_segment_fixed_size: 0
    .kernarg_segment_align: 8
    .kernarg_segment_size: 56
    .language:       OpenCL C
    .language_version:
      - 2
      - 0
    .max_flat_workgroup_size: 256
    .name:           _ZN7rocprim17ROCPRIM_400000_NS6detail17trampoline_kernelINS0_14default_configENS1_22reduce_config_selectorItEEZNS1_11reduce_implILb1ES3_N6thrust23THRUST_200600_302600_NS6detail15normal_iteratorINS8_10device_ptrItEEEEPiiNS8_4plusIiEEEE10hipError_tPvRmT1_T2_T3_mT4_P12ihipStream_tbEUlT_E0_NS1_11comp_targetILNS1_3genE2ELNS1_11target_archE906ELNS1_3gpuE6ELNS1_3repE0EEENS1_30default_config_static_selectorELNS0_4arch9wavefront6targetE1EEEvSK_
    .private_segment_fixed_size: 0
    .sgpr_count:     6
    .sgpr_spill_count: 0
    .symbol:         _ZN7rocprim17ROCPRIM_400000_NS6detail17trampoline_kernelINS0_14default_configENS1_22reduce_config_selectorItEEZNS1_11reduce_implILb1ES3_N6thrust23THRUST_200600_302600_NS6detail15normal_iteratorINS8_10device_ptrItEEEEPiiNS8_4plusIiEEEE10hipError_tPvRmT1_T2_T3_mT4_P12ihipStream_tbEUlT_E0_NS1_11comp_targetILNS1_3genE2ELNS1_11target_archE906ELNS1_3gpuE6ELNS1_3repE0EEENS1_30default_config_static_selectorELNS0_4arch9wavefront6targetE1EEEvSK_.kd
    .uniform_work_group_size: 1
    .uses_dynamic_stack: false
    .vgpr_count:     0
    .vgpr_spill_count: 0
    .wavefront_size: 64
  - .agpr_count:     0
    .args:
      - .offset:         0
        .size:           56
        .value_kind:     by_value
    .group_segment_fixed_size: 0
    .kernarg_segment_align: 8
    .kernarg_segment_size: 56
    .language:       OpenCL C
    .language_version:
      - 2
      - 0
    .max_flat_workgroup_size: 256
    .name:           _ZN7rocprim17ROCPRIM_400000_NS6detail17trampoline_kernelINS0_14default_configENS1_22reduce_config_selectorItEEZNS1_11reduce_implILb1ES3_N6thrust23THRUST_200600_302600_NS6detail15normal_iteratorINS8_10device_ptrItEEEEPiiNS8_4plusIiEEEE10hipError_tPvRmT1_T2_T3_mT4_P12ihipStream_tbEUlT_E0_NS1_11comp_targetILNS1_3genE10ELNS1_11target_archE1201ELNS1_3gpuE5ELNS1_3repE0EEENS1_30default_config_static_selectorELNS0_4arch9wavefront6targetE1EEEvSK_
    .private_segment_fixed_size: 0
    .sgpr_count:     6
    .sgpr_spill_count: 0
    .symbol:         _ZN7rocprim17ROCPRIM_400000_NS6detail17trampoline_kernelINS0_14default_configENS1_22reduce_config_selectorItEEZNS1_11reduce_implILb1ES3_N6thrust23THRUST_200600_302600_NS6detail15normal_iteratorINS8_10device_ptrItEEEEPiiNS8_4plusIiEEEE10hipError_tPvRmT1_T2_T3_mT4_P12ihipStream_tbEUlT_E0_NS1_11comp_targetILNS1_3genE10ELNS1_11target_archE1201ELNS1_3gpuE5ELNS1_3repE0EEENS1_30default_config_static_selectorELNS0_4arch9wavefront6targetE1EEEvSK_.kd
    .uniform_work_group_size: 1
    .uses_dynamic_stack: false
    .vgpr_count:     0
    .vgpr_spill_count: 0
    .wavefront_size: 64
  - .agpr_count:     0
    .args:
      - .offset:         0
        .size:           56
        .value_kind:     by_value
    .group_segment_fixed_size: 0
    .kernarg_segment_align: 8
    .kernarg_segment_size: 56
    .language:       OpenCL C
    .language_version:
      - 2
      - 0
    .max_flat_workgroup_size: 256
    .name:           _ZN7rocprim17ROCPRIM_400000_NS6detail17trampoline_kernelINS0_14default_configENS1_22reduce_config_selectorItEEZNS1_11reduce_implILb1ES3_N6thrust23THRUST_200600_302600_NS6detail15normal_iteratorINS8_10device_ptrItEEEEPiiNS8_4plusIiEEEE10hipError_tPvRmT1_T2_T3_mT4_P12ihipStream_tbEUlT_E0_NS1_11comp_targetILNS1_3genE10ELNS1_11target_archE1200ELNS1_3gpuE4ELNS1_3repE0EEENS1_30default_config_static_selectorELNS0_4arch9wavefront6targetE1EEEvSK_
    .private_segment_fixed_size: 0
    .sgpr_count:     6
    .sgpr_spill_count: 0
    .symbol:         _ZN7rocprim17ROCPRIM_400000_NS6detail17trampoline_kernelINS0_14default_configENS1_22reduce_config_selectorItEEZNS1_11reduce_implILb1ES3_N6thrust23THRUST_200600_302600_NS6detail15normal_iteratorINS8_10device_ptrItEEEEPiiNS8_4plusIiEEEE10hipError_tPvRmT1_T2_T3_mT4_P12ihipStream_tbEUlT_E0_NS1_11comp_targetILNS1_3genE10ELNS1_11target_archE1200ELNS1_3gpuE4ELNS1_3repE0EEENS1_30default_config_static_selectorELNS0_4arch9wavefront6targetE1EEEvSK_.kd
    .uniform_work_group_size: 1
    .uses_dynamic_stack: false
    .vgpr_count:     0
    .vgpr_spill_count: 0
    .wavefront_size: 64
  - .agpr_count:     0
    .args:
      - .offset:         0
        .size:           56
        .value_kind:     by_value
    .group_segment_fixed_size: 0
    .kernarg_segment_align: 8
    .kernarg_segment_size: 56
    .language:       OpenCL C
    .language_version:
      - 2
      - 0
    .max_flat_workgroup_size: 256
    .name:           _ZN7rocprim17ROCPRIM_400000_NS6detail17trampoline_kernelINS0_14default_configENS1_22reduce_config_selectorItEEZNS1_11reduce_implILb1ES3_N6thrust23THRUST_200600_302600_NS6detail15normal_iteratorINS8_10device_ptrItEEEEPiiNS8_4plusIiEEEE10hipError_tPvRmT1_T2_T3_mT4_P12ihipStream_tbEUlT_E0_NS1_11comp_targetILNS1_3genE9ELNS1_11target_archE1100ELNS1_3gpuE3ELNS1_3repE0EEENS1_30default_config_static_selectorELNS0_4arch9wavefront6targetE1EEEvSK_
    .private_segment_fixed_size: 0
    .sgpr_count:     6
    .sgpr_spill_count: 0
    .symbol:         _ZN7rocprim17ROCPRIM_400000_NS6detail17trampoline_kernelINS0_14default_configENS1_22reduce_config_selectorItEEZNS1_11reduce_implILb1ES3_N6thrust23THRUST_200600_302600_NS6detail15normal_iteratorINS8_10device_ptrItEEEEPiiNS8_4plusIiEEEE10hipError_tPvRmT1_T2_T3_mT4_P12ihipStream_tbEUlT_E0_NS1_11comp_targetILNS1_3genE9ELNS1_11target_archE1100ELNS1_3gpuE3ELNS1_3repE0EEENS1_30default_config_static_selectorELNS0_4arch9wavefront6targetE1EEEvSK_.kd
    .uniform_work_group_size: 1
    .uses_dynamic_stack: false
    .vgpr_count:     0
    .vgpr_spill_count: 0
    .wavefront_size: 64
  - .agpr_count:     0
    .args:
      - .offset:         0
        .size:           56
        .value_kind:     by_value
    .group_segment_fixed_size: 0
    .kernarg_segment_align: 8
    .kernarg_segment_size: 56
    .language:       OpenCL C
    .language_version:
      - 2
      - 0
    .max_flat_workgroup_size: 256
    .name:           _ZN7rocprim17ROCPRIM_400000_NS6detail17trampoline_kernelINS0_14default_configENS1_22reduce_config_selectorItEEZNS1_11reduce_implILb1ES3_N6thrust23THRUST_200600_302600_NS6detail15normal_iteratorINS8_10device_ptrItEEEEPiiNS8_4plusIiEEEE10hipError_tPvRmT1_T2_T3_mT4_P12ihipStream_tbEUlT_E0_NS1_11comp_targetILNS1_3genE8ELNS1_11target_archE1030ELNS1_3gpuE2ELNS1_3repE0EEENS1_30default_config_static_selectorELNS0_4arch9wavefront6targetE1EEEvSK_
    .private_segment_fixed_size: 0
    .sgpr_count:     6
    .sgpr_spill_count: 0
    .symbol:         _ZN7rocprim17ROCPRIM_400000_NS6detail17trampoline_kernelINS0_14default_configENS1_22reduce_config_selectorItEEZNS1_11reduce_implILb1ES3_N6thrust23THRUST_200600_302600_NS6detail15normal_iteratorINS8_10device_ptrItEEEEPiiNS8_4plusIiEEEE10hipError_tPvRmT1_T2_T3_mT4_P12ihipStream_tbEUlT_E0_NS1_11comp_targetILNS1_3genE8ELNS1_11target_archE1030ELNS1_3gpuE2ELNS1_3repE0EEENS1_30default_config_static_selectorELNS0_4arch9wavefront6targetE1EEEvSK_.kd
    .uniform_work_group_size: 1
    .uses_dynamic_stack: false
    .vgpr_count:     0
    .vgpr_spill_count: 0
    .wavefront_size: 64
  - .agpr_count:     0
    .args:
      - .offset:         0
        .size:           40
        .value_kind:     by_value
    .group_segment_fixed_size: 64
    .kernarg_segment_align: 8
    .kernarg_segment_size: 40
    .language:       OpenCL C
    .language_version:
      - 2
      - 0
    .max_flat_workgroup_size: 128
    .name:           _ZN7rocprim17ROCPRIM_400000_NS6detail17trampoline_kernelINS0_14default_configENS1_22reduce_config_selectorItEEZNS1_11reduce_implILb1ES3_N6thrust23THRUST_200600_302600_NS6detail15normal_iteratorINS8_10device_ptrItEEEEPiiNS8_4plusIiEEEE10hipError_tPvRmT1_T2_T3_mT4_P12ihipStream_tbEUlT_E1_NS1_11comp_targetILNS1_3genE0ELNS1_11target_archE4294967295ELNS1_3gpuE0ELNS1_3repE0EEENS1_30default_config_static_selectorELNS0_4arch9wavefront6targetE1EEEvSK_
    .private_segment_fixed_size: 0
    .sgpr_count:     81
    .sgpr_spill_count: 0
    .symbol:         _ZN7rocprim17ROCPRIM_400000_NS6detail17trampoline_kernelINS0_14default_configENS1_22reduce_config_selectorItEEZNS1_11reduce_implILb1ES3_N6thrust23THRUST_200600_302600_NS6detail15normal_iteratorINS8_10device_ptrItEEEEPiiNS8_4plusIiEEEE10hipError_tPvRmT1_T2_T3_mT4_P12ihipStream_tbEUlT_E1_NS1_11comp_targetILNS1_3genE0ELNS1_11target_archE4294967295ELNS1_3gpuE0ELNS1_3repE0EEENS1_30default_config_static_selectorELNS0_4arch9wavefront6targetE1EEEvSK_.kd
    .uniform_work_group_size: 1
    .uses_dynamic_stack: false
    .vgpr_count:     67
    .vgpr_spill_count: 0
    .wavefront_size: 64
  - .agpr_count:     0
    .args:
      - .offset:         0
        .size:           40
        .value_kind:     by_value
    .group_segment_fixed_size: 0
    .kernarg_segment_align: 8
    .kernarg_segment_size: 40
    .language:       OpenCL C
    .language_version:
      - 2
      - 0
    .max_flat_workgroup_size: 256
    .name:           _ZN7rocprim17ROCPRIM_400000_NS6detail17trampoline_kernelINS0_14default_configENS1_22reduce_config_selectorItEEZNS1_11reduce_implILb1ES3_N6thrust23THRUST_200600_302600_NS6detail15normal_iteratorINS8_10device_ptrItEEEEPiiNS8_4plusIiEEEE10hipError_tPvRmT1_T2_T3_mT4_P12ihipStream_tbEUlT_E1_NS1_11comp_targetILNS1_3genE5ELNS1_11target_archE942ELNS1_3gpuE9ELNS1_3repE0EEENS1_30default_config_static_selectorELNS0_4arch9wavefront6targetE1EEEvSK_
    .private_segment_fixed_size: 0
    .sgpr_count:     6
    .sgpr_spill_count: 0
    .symbol:         _ZN7rocprim17ROCPRIM_400000_NS6detail17trampoline_kernelINS0_14default_configENS1_22reduce_config_selectorItEEZNS1_11reduce_implILb1ES3_N6thrust23THRUST_200600_302600_NS6detail15normal_iteratorINS8_10device_ptrItEEEEPiiNS8_4plusIiEEEE10hipError_tPvRmT1_T2_T3_mT4_P12ihipStream_tbEUlT_E1_NS1_11comp_targetILNS1_3genE5ELNS1_11target_archE942ELNS1_3gpuE9ELNS1_3repE0EEENS1_30default_config_static_selectorELNS0_4arch9wavefront6targetE1EEEvSK_.kd
    .uniform_work_group_size: 1
    .uses_dynamic_stack: false
    .vgpr_count:     0
    .vgpr_spill_count: 0
    .wavefront_size: 64
  - .agpr_count:     0
    .args:
      - .offset:         0
        .size:           40
        .value_kind:     by_value
    .group_segment_fixed_size: 0
    .kernarg_segment_align: 8
    .kernarg_segment_size: 40
    .language:       OpenCL C
    .language_version:
      - 2
      - 0
    .max_flat_workgroup_size: 64
    .name:           _ZN7rocprim17ROCPRIM_400000_NS6detail17trampoline_kernelINS0_14default_configENS1_22reduce_config_selectorItEEZNS1_11reduce_implILb1ES3_N6thrust23THRUST_200600_302600_NS6detail15normal_iteratorINS8_10device_ptrItEEEEPiiNS8_4plusIiEEEE10hipError_tPvRmT1_T2_T3_mT4_P12ihipStream_tbEUlT_E1_NS1_11comp_targetILNS1_3genE4ELNS1_11target_archE910ELNS1_3gpuE8ELNS1_3repE0EEENS1_30default_config_static_selectorELNS0_4arch9wavefront6targetE1EEEvSK_
    .private_segment_fixed_size: 0
    .sgpr_count:     6
    .sgpr_spill_count: 0
    .symbol:         _ZN7rocprim17ROCPRIM_400000_NS6detail17trampoline_kernelINS0_14default_configENS1_22reduce_config_selectorItEEZNS1_11reduce_implILb1ES3_N6thrust23THRUST_200600_302600_NS6detail15normal_iteratorINS8_10device_ptrItEEEEPiiNS8_4plusIiEEEE10hipError_tPvRmT1_T2_T3_mT4_P12ihipStream_tbEUlT_E1_NS1_11comp_targetILNS1_3genE4ELNS1_11target_archE910ELNS1_3gpuE8ELNS1_3repE0EEENS1_30default_config_static_selectorELNS0_4arch9wavefront6targetE1EEEvSK_.kd
    .uniform_work_group_size: 1
    .uses_dynamic_stack: false
    .vgpr_count:     0
    .vgpr_spill_count: 0
    .wavefront_size: 64
  - .agpr_count:     0
    .args:
      - .offset:         0
        .size:           40
        .value_kind:     by_value
    .group_segment_fixed_size: 0
    .kernarg_segment_align: 8
    .kernarg_segment_size: 40
    .language:       OpenCL C
    .language_version:
      - 2
      - 0
    .max_flat_workgroup_size: 128
    .name:           _ZN7rocprim17ROCPRIM_400000_NS6detail17trampoline_kernelINS0_14default_configENS1_22reduce_config_selectorItEEZNS1_11reduce_implILb1ES3_N6thrust23THRUST_200600_302600_NS6detail15normal_iteratorINS8_10device_ptrItEEEEPiiNS8_4plusIiEEEE10hipError_tPvRmT1_T2_T3_mT4_P12ihipStream_tbEUlT_E1_NS1_11comp_targetILNS1_3genE3ELNS1_11target_archE908ELNS1_3gpuE7ELNS1_3repE0EEENS1_30default_config_static_selectorELNS0_4arch9wavefront6targetE1EEEvSK_
    .private_segment_fixed_size: 0
    .sgpr_count:     6
    .sgpr_spill_count: 0
    .symbol:         _ZN7rocprim17ROCPRIM_400000_NS6detail17trampoline_kernelINS0_14default_configENS1_22reduce_config_selectorItEEZNS1_11reduce_implILb1ES3_N6thrust23THRUST_200600_302600_NS6detail15normal_iteratorINS8_10device_ptrItEEEEPiiNS8_4plusIiEEEE10hipError_tPvRmT1_T2_T3_mT4_P12ihipStream_tbEUlT_E1_NS1_11comp_targetILNS1_3genE3ELNS1_11target_archE908ELNS1_3gpuE7ELNS1_3repE0EEENS1_30default_config_static_selectorELNS0_4arch9wavefront6targetE1EEEvSK_.kd
    .uniform_work_group_size: 1
    .uses_dynamic_stack: false
    .vgpr_count:     0
    .vgpr_spill_count: 0
    .wavefront_size: 64
  - .agpr_count:     0
    .args:
      - .offset:         0
        .size:           40
        .value_kind:     by_value
    .group_segment_fixed_size: 0
    .kernarg_segment_align: 8
    .kernarg_segment_size: 40
    .language:       OpenCL C
    .language_version:
      - 2
      - 0
    .max_flat_workgroup_size: 256
    .name:           _ZN7rocprim17ROCPRIM_400000_NS6detail17trampoline_kernelINS0_14default_configENS1_22reduce_config_selectorItEEZNS1_11reduce_implILb1ES3_N6thrust23THRUST_200600_302600_NS6detail15normal_iteratorINS8_10device_ptrItEEEEPiiNS8_4plusIiEEEE10hipError_tPvRmT1_T2_T3_mT4_P12ihipStream_tbEUlT_E1_NS1_11comp_targetILNS1_3genE2ELNS1_11target_archE906ELNS1_3gpuE6ELNS1_3repE0EEENS1_30default_config_static_selectorELNS0_4arch9wavefront6targetE1EEEvSK_
    .private_segment_fixed_size: 0
    .sgpr_count:     6
    .sgpr_spill_count: 0
    .symbol:         _ZN7rocprim17ROCPRIM_400000_NS6detail17trampoline_kernelINS0_14default_configENS1_22reduce_config_selectorItEEZNS1_11reduce_implILb1ES3_N6thrust23THRUST_200600_302600_NS6detail15normal_iteratorINS8_10device_ptrItEEEEPiiNS8_4plusIiEEEE10hipError_tPvRmT1_T2_T3_mT4_P12ihipStream_tbEUlT_E1_NS1_11comp_targetILNS1_3genE2ELNS1_11target_archE906ELNS1_3gpuE6ELNS1_3repE0EEENS1_30default_config_static_selectorELNS0_4arch9wavefront6targetE1EEEvSK_.kd
    .uniform_work_group_size: 1
    .uses_dynamic_stack: false
    .vgpr_count:     0
    .vgpr_spill_count: 0
    .wavefront_size: 64
  - .agpr_count:     0
    .args:
      - .offset:         0
        .size:           40
        .value_kind:     by_value
    .group_segment_fixed_size: 0
    .kernarg_segment_align: 8
    .kernarg_segment_size: 40
    .language:       OpenCL C
    .language_version:
      - 2
      - 0
    .max_flat_workgroup_size: 256
    .name:           _ZN7rocprim17ROCPRIM_400000_NS6detail17trampoline_kernelINS0_14default_configENS1_22reduce_config_selectorItEEZNS1_11reduce_implILb1ES3_N6thrust23THRUST_200600_302600_NS6detail15normal_iteratorINS8_10device_ptrItEEEEPiiNS8_4plusIiEEEE10hipError_tPvRmT1_T2_T3_mT4_P12ihipStream_tbEUlT_E1_NS1_11comp_targetILNS1_3genE10ELNS1_11target_archE1201ELNS1_3gpuE5ELNS1_3repE0EEENS1_30default_config_static_selectorELNS0_4arch9wavefront6targetE1EEEvSK_
    .private_segment_fixed_size: 0
    .sgpr_count:     6
    .sgpr_spill_count: 0
    .symbol:         _ZN7rocprim17ROCPRIM_400000_NS6detail17trampoline_kernelINS0_14default_configENS1_22reduce_config_selectorItEEZNS1_11reduce_implILb1ES3_N6thrust23THRUST_200600_302600_NS6detail15normal_iteratorINS8_10device_ptrItEEEEPiiNS8_4plusIiEEEE10hipError_tPvRmT1_T2_T3_mT4_P12ihipStream_tbEUlT_E1_NS1_11comp_targetILNS1_3genE10ELNS1_11target_archE1201ELNS1_3gpuE5ELNS1_3repE0EEENS1_30default_config_static_selectorELNS0_4arch9wavefront6targetE1EEEvSK_.kd
    .uniform_work_group_size: 1
    .uses_dynamic_stack: false
    .vgpr_count:     0
    .vgpr_spill_count: 0
    .wavefront_size: 64
  - .agpr_count:     0
    .args:
      - .offset:         0
        .size:           40
        .value_kind:     by_value
    .group_segment_fixed_size: 0
    .kernarg_segment_align: 8
    .kernarg_segment_size: 40
    .language:       OpenCL C
    .language_version:
      - 2
      - 0
    .max_flat_workgroup_size: 256
    .name:           _ZN7rocprim17ROCPRIM_400000_NS6detail17trampoline_kernelINS0_14default_configENS1_22reduce_config_selectorItEEZNS1_11reduce_implILb1ES3_N6thrust23THRUST_200600_302600_NS6detail15normal_iteratorINS8_10device_ptrItEEEEPiiNS8_4plusIiEEEE10hipError_tPvRmT1_T2_T3_mT4_P12ihipStream_tbEUlT_E1_NS1_11comp_targetILNS1_3genE10ELNS1_11target_archE1200ELNS1_3gpuE4ELNS1_3repE0EEENS1_30default_config_static_selectorELNS0_4arch9wavefront6targetE1EEEvSK_
    .private_segment_fixed_size: 0
    .sgpr_count:     6
    .sgpr_spill_count: 0
    .symbol:         _ZN7rocprim17ROCPRIM_400000_NS6detail17trampoline_kernelINS0_14default_configENS1_22reduce_config_selectorItEEZNS1_11reduce_implILb1ES3_N6thrust23THRUST_200600_302600_NS6detail15normal_iteratorINS8_10device_ptrItEEEEPiiNS8_4plusIiEEEE10hipError_tPvRmT1_T2_T3_mT4_P12ihipStream_tbEUlT_E1_NS1_11comp_targetILNS1_3genE10ELNS1_11target_archE1200ELNS1_3gpuE4ELNS1_3repE0EEENS1_30default_config_static_selectorELNS0_4arch9wavefront6targetE1EEEvSK_.kd
    .uniform_work_group_size: 1
    .uses_dynamic_stack: false
    .vgpr_count:     0
    .vgpr_spill_count: 0
    .wavefront_size: 64
  - .agpr_count:     0
    .args:
      - .offset:         0
        .size:           40
        .value_kind:     by_value
    .group_segment_fixed_size: 0
    .kernarg_segment_align: 8
    .kernarg_segment_size: 40
    .language:       OpenCL C
    .language_version:
      - 2
      - 0
    .max_flat_workgroup_size: 256
    .name:           _ZN7rocprim17ROCPRIM_400000_NS6detail17trampoline_kernelINS0_14default_configENS1_22reduce_config_selectorItEEZNS1_11reduce_implILb1ES3_N6thrust23THRUST_200600_302600_NS6detail15normal_iteratorINS8_10device_ptrItEEEEPiiNS8_4plusIiEEEE10hipError_tPvRmT1_T2_T3_mT4_P12ihipStream_tbEUlT_E1_NS1_11comp_targetILNS1_3genE9ELNS1_11target_archE1100ELNS1_3gpuE3ELNS1_3repE0EEENS1_30default_config_static_selectorELNS0_4arch9wavefront6targetE1EEEvSK_
    .private_segment_fixed_size: 0
    .sgpr_count:     6
    .sgpr_spill_count: 0
    .symbol:         _ZN7rocprim17ROCPRIM_400000_NS6detail17trampoline_kernelINS0_14default_configENS1_22reduce_config_selectorItEEZNS1_11reduce_implILb1ES3_N6thrust23THRUST_200600_302600_NS6detail15normal_iteratorINS8_10device_ptrItEEEEPiiNS8_4plusIiEEEE10hipError_tPvRmT1_T2_T3_mT4_P12ihipStream_tbEUlT_E1_NS1_11comp_targetILNS1_3genE9ELNS1_11target_archE1100ELNS1_3gpuE3ELNS1_3repE0EEENS1_30default_config_static_selectorELNS0_4arch9wavefront6targetE1EEEvSK_.kd
    .uniform_work_group_size: 1
    .uses_dynamic_stack: false
    .vgpr_count:     0
    .vgpr_spill_count: 0
    .wavefront_size: 64
  - .agpr_count:     0
    .args:
      - .offset:         0
        .size:           40
        .value_kind:     by_value
    .group_segment_fixed_size: 0
    .kernarg_segment_align: 8
    .kernarg_segment_size: 40
    .language:       OpenCL C
    .language_version:
      - 2
      - 0
    .max_flat_workgroup_size: 256
    .name:           _ZN7rocprim17ROCPRIM_400000_NS6detail17trampoline_kernelINS0_14default_configENS1_22reduce_config_selectorItEEZNS1_11reduce_implILb1ES3_N6thrust23THRUST_200600_302600_NS6detail15normal_iteratorINS8_10device_ptrItEEEEPiiNS8_4plusIiEEEE10hipError_tPvRmT1_T2_T3_mT4_P12ihipStream_tbEUlT_E1_NS1_11comp_targetILNS1_3genE8ELNS1_11target_archE1030ELNS1_3gpuE2ELNS1_3repE0EEENS1_30default_config_static_selectorELNS0_4arch9wavefront6targetE1EEEvSK_
    .private_segment_fixed_size: 0
    .sgpr_count:     6
    .sgpr_spill_count: 0
    .symbol:         _ZN7rocprim17ROCPRIM_400000_NS6detail17trampoline_kernelINS0_14default_configENS1_22reduce_config_selectorItEEZNS1_11reduce_implILb1ES3_N6thrust23THRUST_200600_302600_NS6detail15normal_iteratorINS8_10device_ptrItEEEEPiiNS8_4plusIiEEEE10hipError_tPvRmT1_T2_T3_mT4_P12ihipStream_tbEUlT_E1_NS1_11comp_targetILNS1_3genE8ELNS1_11target_archE1030ELNS1_3gpuE2ELNS1_3repE0EEENS1_30default_config_static_selectorELNS0_4arch9wavefront6targetE1EEEvSK_.kd
    .uniform_work_group_size: 1
    .uses_dynamic_stack: false
    .vgpr_count:     0
    .vgpr_spill_count: 0
    .wavefront_size: 64
  - .agpr_count:     0
    .args:
      - .offset:         0
        .size:           56
        .value_kind:     by_value
    .group_segment_fixed_size: 16
    .kernarg_segment_align: 8
    .kernarg_segment_size: 56
    .language:       OpenCL C
    .language_version:
      - 2
      - 0
    .max_flat_workgroup_size: 128
    .name:           _ZN7rocprim17ROCPRIM_400000_NS6detail17trampoline_kernelINS0_14default_configENS1_22reduce_config_selectorItEEZNS1_11reduce_implILb1ES3_N6thrust23THRUST_200600_302600_NS6detail15normal_iteratorINS8_10device_ptrItEEEEPffNS8_4plusIfEEEE10hipError_tPvRmT1_T2_T3_mT4_P12ihipStream_tbEUlT_E0_NS1_11comp_targetILNS1_3genE0ELNS1_11target_archE4294967295ELNS1_3gpuE0ELNS1_3repE0EEENS1_30default_config_static_selectorELNS0_4arch9wavefront6targetE1EEEvSK_
    .private_segment_fixed_size: 0
    .sgpr_count:     34
    .sgpr_spill_count: 0
    .symbol:         _ZN7rocprim17ROCPRIM_400000_NS6detail17trampoline_kernelINS0_14default_configENS1_22reduce_config_selectorItEEZNS1_11reduce_implILb1ES3_N6thrust23THRUST_200600_302600_NS6detail15normal_iteratorINS8_10device_ptrItEEEEPffNS8_4plusIfEEEE10hipError_tPvRmT1_T2_T3_mT4_P12ihipStream_tbEUlT_E0_NS1_11comp_targetILNS1_3genE0ELNS1_11target_archE4294967295ELNS1_3gpuE0ELNS1_3repE0EEENS1_30default_config_static_selectorELNS0_4arch9wavefront6targetE1EEEvSK_.kd
    .uniform_work_group_size: 1
    .uses_dynamic_stack: false
    .vgpr_count:     20
    .vgpr_spill_count: 0
    .wavefront_size: 64
  - .agpr_count:     0
    .args:
      - .offset:         0
        .size:           56
        .value_kind:     by_value
    .group_segment_fixed_size: 0
    .kernarg_segment_align: 8
    .kernarg_segment_size: 56
    .language:       OpenCL C
    .language_version:
      - 2
      - 0
    .max_flat_workgroup_size: 256
    .name:           _ZN7rocprim17ROCPRIM_400000_NS6detail17trampoline_kernelINS0_14default_configENS1_22reduce_config_selectorItEEZNS1_11reduce_implILb1ES3_N6thrust23THRUST_200600_302600_NS6detail15normal_iteratorINS8_10device_ptrItEEEEPffNS8_4plusIfEEEE10hipError_tPvRmT1_T2_T3_mT4_P12ihipStream_tbEUlT_E0_NS1_11comp_targetILNS1_3genE5ELNS1_11target_archE942ELNS1_3gpuE9ELNS1_3repE0EEENS1_30default_config_static_selectorELNS0_4arch9wavefront6targetE1EEEvSK_
    .private_segment_fixed_size: 0
    .sgpr_count:     6
    .sgpr_spill_count: 0
    .symbol:         _ZN7rocprim17ROCPRIM_400000_NS6detail17trampoline_kernelINS0_14default_configENS1_22reduce_config_selectorItEEZNS1_11reduce_implILb1ES3_N6thrust23THRUST_200600_302600_NS6detail15normal_iteratorINS8_10device_ptrItEEEEPffNS8_4plusIfEEEE10hipError_tPvRmT1_T2_T3_mT4_P12ihipStream_tbEUlT_E0_NS1_11comp_targetILNS1_3genE5ELNS1_11target_archE942ELNS1_3gpuE9ELNS1_3repE0EEENS1_30default_config_static_selectorELNS0_4arch9wavefront6targetE1EEEvSK_.kd
    .uniform_work_group_size: 1
    .uses_dynamic_stack: false
    .vgpr_count:     0
    .vgpr_spill_count: 0
    .wavefront_size: 64
  - .agpr_count:     0
    .args:
      - .offset:         0
        .size:           56
        .value_kind:     by_value
    .group_segment_fixed_size: 0
    .kernarg_segment_align: 8
    .kernarg_segment_size: 56
    .language:       OpenCL C
    .language_version:
      - 2
      - 0
    .max_flat_workgroup_size: 64
    .name:           _ZN7rocprim17ROCPRIM_400000_NS6detail17trampoline_kernelINS0_14default_configENS1_22reduce_config_selectorItEEZNS1_11reduce_implILb1ES3_N6thrust23THRUST_200600_302600_NS6detail15normal_iteratorINS8_10device_ptrItEEEEPffNS8_4plusIfEEEE10hipError_tPvRmT1_T2_T3_mT4_P12ihipStream_tbEUlT_E0_NS1_11comp_targetILNS1_3genE4ELNS1_11target_archE910ELNS1_3gpuE8ELNS1_3repE0EEENS1_30default_config_static_selectorELNS0_4arch9wavefront6targetE1EEEvSK_
    .private_segment_fixed_size: 0
    .sgpr_count:     6
    .sgpr_spill_count: 0
    .symbol:         _ZN7rocprim17ROCPRIM_400000_NS6detail17trampoline_kernelINS0_14default_configENS1_22reduce_config_selectorItEEZNS1_11reduce_implILb1ES3_N6thrust23THRUST_200600_302600_NS6detail15normal_iteratorINS8_10device_ptrItEEEEPffNS8_4plusIfEEEE10hipError_tPvRmT1_T2_T3_mT4_P12ihipStream_tbEUlT_E0_NS1_11comp_targetILNS1_3genE4ELNS1_11target_archE910ELNS1_3gpuE8ELNS1_3repE0EEENS1_30default_config_static_selectorELNS0_4arch9wavefront6targetE1EEEvSK_.kd
    .uniform_work_group_size: 1
    .uses_dynamic_stack: false
    .vgpr_count:     0
    .vgpr_spill_count: 0
    .wavefront_size: 64
  - .agpr_count:     0
    .args:
      - .offset:         0
        .size:           56
        .value_kind:     by_value
    .group_segment_fixed_size: 0
    .kernarg_segment_align: 8
    .kernarg_segment_size: 56
    .language:       OpenCL C
    .language_version:
      - 2
      - 0
    .max_flat_workgroup_size: 128
    .name:           _ZN7rocprim17ROCPRIM_400000_NS6detail17trampoline_kernelINS0_14default_configENS1_22reduce_config_selectorItEEZNS1_11reduce_implILb1ES3_N6thrust23THRUST_200600_302600_NS6detail15normal_iteratorINS8_10device_ptrItEEEEPffNS8_4plusIfEEEE10hipError_tPvRmT1_T2_T3_mT4_P12ihipStream_tbEUlT_E0_NS1_11comp_targetILNS1_3genE3ELNS1_11target_archE908ELNS1_3gpuE7ELNS1_3repE0EEENS1_30default_config_static_selectorELNS0_4arch9wavefront6targetE1EEEvSK_
    .private_segment_fixed_size: 0
    .sgpr_count:     6
    .sgpr_spill_count: 0
    .symbol:         _ZN7rocprim17ROCPRIM_400000_NS6detail17trampoline_kernelINS0_14default_configENS1_22reduce_config_selectorItEEZNS1_11reduce_implILb1ES3_N6thrust23THRUST_200600_302600_NS6detail15normal_iteratorINS8_10device_ptrItEEEEPffNS8_4plusIfEEEE10hipError_tPvRmT1_T2_T3_mT4_P12ihipStream_tbEUlT_E0_NS1_11comp_targetILNS1_3genE3ELNS1_11target_archE908ELNS1_3gpuE7ELNS1_3repE0EEENS1_30default_config_static_selectorELNS0_4arch9wavefront6targetE1EEEvSK_.kd
    .uniform_work_group_size: 1
    .uses_dynamic_stack: false
    .vgpr_count:     0
    .vgpr_spill_count: 0
    .wavefront_size: 64
  - .agpr_count:     0
    .args:
      - .offset:         0
        .size:           56
        .value_kind:     by_value
    .group_segment_fixed_size: 0
    .kernarg_segment_align: 8
    .kernarg_segment_size: 56
    .language:       OpenCL C
    .language_version:
      - 2
      - 0
    .max_flat_workgroup_size: 256
    .name:           _ZN7rocprim17ROCPRIM_400000_NS6detail17trampoline_kernelINS0_14default_configENS1_22reduce_config_selectorItEEZNS1_11reduce_implILb1ES3_N6thrust23THRUST_200600_302600_NS6detail15normal_iteratorINS8_10device_ptrItEEEEPffNS8_4plusIfEEEE10hipError_tPvRmT1_T2_T3_mT4_P12ihipStream_tbEUlT_E0_NS1_11comp_targetILNS1_3genE2ELNS1_11target_archE906ELNS1_3gpuE6ELNS1_3repE0EEENS1_30default_config_static_selectorELNS0_4arch9wavefront6targetE1EEEvSK_
    .private_segment_fixed_size: 0
    .sgpr_count:     6
    .sgpr_spill_count: 0
    .symbol:         _ZN7rocprim17ROCPRIM_400000_NS6detail17trampoline_kernelINS0_14default_configENS1_22reduce_config_selectorItEEZNS1_11reduce_implILb1ES3_N6thrust23THRUST_200600_302600_NS6detail15normal_iteratorINS8_10device_ptrItEEEEPffNS8_4plusIfEEEE10hipError_tPvRmT1_T2_T3_mT4_P12ihipStream_tbEUlT_E0_NS1_11comp_targetILNS1_3genE2ELNS1_11target_archE906ELNS1_3gpuE6ELNS1_3repE0EEENS1_30default_config_static_selectorELNS0_4arch9wavefront6targetE1EEEvSK_.kd
    .uniform_work_group_size: 1
    .uses_dynamic_stack: false
    .vgpr_count:     0
    .vgpr_spill_count: 0
    .wavefront_size: 64
  - .agpr_count:     0
    .args:
      - .offset:         0
        .size:           56
        .value_kind:     by_value
    .group_segment_fixed_size: 0
    .kernarg_segment_align: 8
    .kernarg_segment_size: 56
    .language:       OpenCL C
    .language_version:
      - 2
      - 0
    .max_flat_workgroup_size: 256
    .name:           _ZN7rocprim17ROCPRIM_400000_NS6detail17trampoline_kernelINS0_14default_configENS1_22reduce_config_selectorItEEZNS1_11reduce_implILb1ES3_N6thrust23THRUST_200600_302600_NS6detail15normal_iteratorINS8_10device_ptrItEEEEPffNS8_4plusIfEEEE10hipError_tPvRmT1_T2_T3_mT4_P12ihipStream_tbEUlT_E0_NS1_11comp_targetILNS1_3genE10ELNS1_11target_archE1201ELNS1_3gpuE5ELNS1_3repE0EEENS1_30default_config_static_selectorELNS0_4arch9wavefront6targetE1EEEvSK_
    .private_segment_fixed_size: 0
    .sgpr_count:     6
    .sgpr_spill_count: 0
    .symbol:         _ZN7rocprim17ROCPRIM_400000_NS6detail17trampoline_kernelINS0_14default_configENS1_22reduce_config_selectorItEEZNS1_11reduce_implILb1ES3_N6thrust23THRUST_200600_302600_NS6detail15normal_iteratorINS8_10device_ptrItEEEEPffNS8_4plusIfEEEE10hipError_tPvRmT1_T2_T3_mT4_P12ihipStream_tbEUlT_E0_NS1_11comp_targetILNS1_3genE10ELNS1_11target_archE1201ELNS1_3gpuE5ELNS1_3repE0EEENS1_30default_config_static_selectorELNS0_4arch9wavefront6targetE1EEEvSK_.kd
    .uniform_work_group_size: 1
    .uses_dynamic_stack: false
    .vgpr_count:     0
    .vgpr_spill_count: 0
    .wavefront_size: 64
  - .agpr_count:     0
    .args:
      - .offset:         0
        .size:           56
        .value_kind:     by_value
    .group_segment_fixed_size: 0
    .kernarg_segment_align: 8
    .kernarg_segment_size: 56
    .language:       OpenCL C
    .language_version:
      - 2
      - 0
    .max_flat_workgroup_size: 256
    .name:           _ZN7rocprim17ROCPRIM_400000_NS6detail17trampoline_kernelINS0_14default_configENS1_22reduce_config_selectorItEEZNS1_11reduce_implILb1ES3_N6thrust23THRUST_200600_302600_NS6detail15normal_iteratorINS8_10device_ptrItEEEEPffNS8_4plusIfEEEE10hipError_tPvRmT1_T2_T3_mT4_P12ihipStream_tbEUlT_E0_NS1_11comp_targetILNS1_3genE10ELNS1_11target_archE1200ELNS1_3gpuE4ELNS1_3repE0EEENS1_30default_config_static_selectorELNS0_4arch9wavefront6targetE1EEEvSK_
    .private_segment_fixed_size: 0
    .sgpr_count:     6
    .sgpr_spill_count: 0
    .symbol:         _ZN7rocprim17ROCPRIM_400000_NS6detail17trampoline_kernelINS0_14default_configENS1_22reduce_config_selectorItEEZNS1_11reduce_implILb1ES3_N6thrust23THRUST_200600_302600_NS6detail15normal_iteratorINS8_10device_ptrItEEEEPffNS8_4plusIfEEEE10hipError_tPvRmT1_T2_T3_mT4_P12ihipStream_tbEUlT_E0_NS1_11comp_targetILNS1_3genE10ELNS1_11target_archE1200ELNS1_3gpuE4ELNS1_3repE0EEENS1_30default_config_static_selectorELNS0_4arch9wavefront6targetE1EEEvSK_.kd
    .uniform_work_group_size: 1
    .uses_dynamic_stack: false
    .vgpr_count:     0
    .vgpr_spill_count: 0
    .wavefront_size: 64
  - .agpr_count:     0
    .args:
      - .offset:         0
        .size:           56
        .value_kind:     by_value
    .group_segment_fixed_size: 0
    .kernarg_segment_align: 8
    .kernarg_segment_size: 56
    .language:       OpenCL C
    .language_version:
      - 2
      - 0
    .max_flat_workgroup_size: 256
    .name:           _ZN7rocprim17ROCPRIM_400000_NS6detail17trampoline_kernelINS0_14default_configENS1_22reduce_config_selectorItEEZNS1_11reduce_implILb1ES3_N6thrust23THRUST_200600_302600_NS6detail15normal_iteratorINS8_10device_ptrItEEEEPffNS8_4plusIfEEEE10hipError_tPvRmT1_T2_T3_mT4_P12ihipStream_tbEUlT_E0_NS1_11comp_targetILNS1_3genE9ELNS1_11target_archE1100ELNS1_3gpuE3ELNS1_3repE0EEENS1_30default_config_static_selectorELNS0_4arch9wavefront6targetE1EEEvSK_
    .private_segment_fixed_size: 0
    .sgpr_count:     6
    .sgpr_spill_count: 0
    .symbol:         _ZN7rocprim17ROCPRIM_400000_NS6detail17trampoline_kernelINS0_14default_configENS1_22reduce_config_selectorItEEZNS1_11reduce_implILb1ES3_N6thrust23THRUST_200600_302600_NS6detail15normal_iteratorINS8_10device_ptrItEEEEPffNS8_4plusIfEEEE10hipError_tPvRmT1_T2_T3_mT4_P12ihipStream_tbEUlT_E0_NS1_11comp_targetILNS1_3genE9ELNS1_11target_archE1100ELNS1_3gpuE3ELNS1_3repE0EEENS1_30default_config_static_selectorELNS0_4arch9wavefront6targetE1EEEvSK_.kd
    .uniform_work_group_size: 1
    .uses_dynamic_stack: false
    .vgpr_count:     0
    .vgpr_spill_count: 0
    .wavefront_size: 64
  - .agpr_count:     0
    .args:
      - .offset:         0
        .size:           56
        .value_kind:     by_value
    .group_segment_fixed_size: 0
    .kernarg_segment_align: 8
    .kernarg_segment_size: 56
    .language:       OpenCL C
    .language_version:
      - 2
      - 0
    .max_flat_workgroup_size: 256
    .name:           _ZN7rocprim17ROCPRIM_400000_NS6detail17trampoline_kernelINS0_14default_configENS1_22reduce_config_selectorItEEZNS1_11reduce_implILb1ES3_N6thrust23THRUST_200600_302600_NS6detail15normal_iteratorINS8_10device_ptrItEEEEPffNS8_4plusIfEEEE10hipError_tPvRmT1_T2_T3_mT4_P12ihipStream_tbEUlT_E0_NS1_11comp_targetILNS1_3genE8ELNS1_11target_archE1030ELNS1_3gpuE2ELNS1_3repE0EEENS1_30default_config_static_selectorELNS0_4arch9wavefront6targetE1EEEvSK_
    .private_segment_fixed_size: 0
    .sgpr_count:     6
    .sgpr_spill_count: 0
    .symbol:         _ZN7rocprim17ROCPRIM_400000_NS6detail17trampoline_kernelINS0_14default_configENS1_22reduce_config_selectorItEEZNS1_11reduce_implILb1ES3_N6thrust23THRUST_200600_302600_NS6detail15normal_iteratorINS8_10device_ptrItEEEEPffNS8_4plusIfEEEE10hipError_tPvRmT1_T2_T3_mT4_P12ihipStream_tbEUlT_E0_NS1_11comp_targetILNS1_3genE8ELNS1_11target_archE1030ELNS1_3gpuE2ELNS1_3repE0EEENS1_30default_config_static_selectorELNS0_4arch9wavefront6targetE1EEEvSK_.kd
    .uniform_work_group_size: 1
    .uses_dynamic_stack: false
    .vgpr_count:     0
    .vgpr_spill_count: 0
    .wavefront_size: 64
  - .agpr_count:     0
    .args:
      - .offset:         0
        .size:           40
        .value_kind:     by_value
    .group_segment_fixed_size: 64
    .kernarg_segment_align: 8
    .kernarg_segment_size: 40
    .language:       OpenCL C
    .language_version:
      - 2
      - 0
    .max_flat_workgroup_size: 128
    .name:           _ZN7rocprim17ROCPRIM_400000_NS6detail17trampoline_kernelINS0_14default_configENS1_22reduce_config_selectorItEEZNS1_11reduce_implILb1ES3_N6thrust23THRUST_200600_302600_NS6detail15normal_iteratorINS8_10device_ptrItEEEEPffNS8_4plusIfEEEE10hipError_tPvRmT1_T2_T3_mT4_P12ihipStream_tbEUlT_E1_NS1_11comp_targetILNS1_3genE0ELNS1_11target_archE4294967295ELNS1_3gpuE0ELNS1_3repE0EEENS1_30default_config_static_selectorELNS0_4arch9wavefront6targetE1EEEvSK_
    .private_segment_fixed_size: 0
    .sgpr_count:     106
    .sgpr_spill_count: 44
    .symbol:         _ZN7rocprim17ROCPRIM_400000_NS6detail17trampoline_kernelINS0_14default_configENS1_22reduce_config_selectorItEEZNS1_11reduce_implILb1ES3_N6thrust23THRUST_200600_302600_NS6detail15normal_iteratorINS8_10device_ptrItEEEEPffNS8_4plusIfEEEE10hipError_tPvRmT1_T2_T3_mT4_P12ihipStream_tbEUlT_E1_NS1_11comp_targetILNS1_3genE0ELNS1_11target_archE4294967295ELNS1_3gpuE0ELNS1_3repE0EEENS1_30default_config_static_selectorELNS0_4arch9wavefront6targetE1EEEvSK_.kd
    .uniform_work_group_size: 1
    .uses_dynamic_stack: false
    .vgpr_count:     67
    .vgpr_spill_count: 0
    .wavefront_size: 64
  - .agpr_count:     0
    .args:
      - .offset:         0
        .size:           40
        .value_kind:     by_value
    .group_segment_fixed_size: 0
    .kernarg_segment_align: 8
    .kernarg_segment_size: 40
    .language:       OpenCL C
    .language_version:
      - 2
      - 0
    .max_flat_workgroup_size: 256
    .name:           _ZN7rocprim17ROCPRIM_400000_NS6detail17trampoline_kernelINS0_14default_configENS1_22reduce_config_selectorItEEZNS1_11reduce_implILb1ES3_N6thrust23THRUST_200600_302600_NS6detail15normal_iteratorINS8_10device_ptrItEEEEPffNS8_4plusIfEEEE10hipError_tPvRmT1_T2_T3_mT4_P12ihipStream_tbEUlT_E1_NS1_11comp_targetILNS1_3genE5ELNS1_11target_archE942ELNS1_3gpuE9ELNS1_3repE0EEENS1_30default_config_static_selectorELNS0_4arch9wavefront6targetE1EEEvSK_
    .private_segment_fixed_size: 0
    .sgpr_count:     6
    .sgpr_spill_count: 0
    .symbol:         _ZN7rocprim17ROCPRIM_400000_NS6detail17trampoline_kernelINS0_14default_configENS1_22reduce_config_selectorItEEZNS1_11reduce_implILb1ES3_N6thrust23THRUST_200600_302600_NS6detail15normal_iteratorINS8_10device_ptrItEEEEPffNS8_4plusIfEEEE10hipError_tPvRmT1_T2_T3_mT4_P12ihipStream_tbEUlT_E1_NS1_11comp_targetILNS1_3genE5ELNS1_11target_archE942ELNS1_3gpuE9ELNS1_3repE0EEENS1_30default_config_static_selectorELNS0_4arch9wavefront6targetE1EEEvSK_.kd
    .uniform_work_group_size: 1
    .uses_dynamic_stack: false
    .vgpr_count:     0
    .vgpr_spill_count: 0
    .wavefront_size: 64
  - .agpr_count:     0
    .args:
      - .offset:         0
        .size:           40
        .value_kind:     by_value
    .group_segment_fixed_size: 0
    .kernarg_segment_align: 8
    .kernarg_segment_size: 40
    .language:       OpenCL C
    .language_version:
      - 2
      - 0
    .max_flat_workgroup_size: 64
    .name:           _ZN7rocprim17ROCPRIM_400000_NS6detail17trampoline_kernelINS0_14default_configENS1_22reduce_config_selectorItEEZNS1_11reduce_implILb1ES3_N6thrust23THRUST_200600_302600_NS6detail15normal_iteratorINS8_10device_ptrItEEEEPffNS8_4plusIfEEEE10hipError_tPvRmT1_T2_T3_mT4_P12ihipStream_tbEUlT_E1_NS1_11comp_targetILNS1_3genE4ELNS1_11target_archE910ELNS1_3gpuE8ELNS1_3repE0EEENS1_30default_config_static_selectorELNS0_4arch9wavefront6targetE1EEEvSK_
    .private_segment_fixed_size: 0
    .sgpr_count:     6
    .sgpr_spill_count: 0
    .symbol:         _ZN7rocprim17ROCPRIM_400000_NS6detail17trampoline_kernelINS0_14default_configENS1_22reduce_config_selectorItEEZNS1_11reduce_implILb1ES3_N6thrust23THRUST_200600_302600_NS6detail15normal_iteratorINS8_10device_ptrItEEEEPffNS8_4plusIfEEEE10hipError_tPvRmT1_T2_T3_mT4_P12ihipStream_tbEUlT_E1_NS1_11comp_targetILNS1_3genE4ELNS1_11target_archE910ELNS1_3gpuE8ELNS1_3repE0EEENS1_30default_config_static_selectorELNS0_4arch9wavefront6targetE1EEEvSK_.kd
    .uniform_work_group_size: 1
    .uses_dynamic_stack: false
    .vgpr_count:     0
    .vgpr_spill_count: 0
    .wavefront_size: 64
  - .agpr_count:     0
    .args:
      - .offset:         0
        .size:           40
        .value_kind:     by_value
    .group_segment_fixed_size: 0
    .kernarg_segment_align: 8
    .kernarg_segment_size: 40
    .language:       OpenCL C
    .language_version:
      - 2
      - 0
    .max_flat_workgroup_size: 128
    .name:           _ZN7rocprim17ROCPRIM_400000_NS6detail17trampoline_kernelINS0_14default_configENS1_22reduce_config_selectorItEEZNS1_11reduce_implILb1ES3_N6thrust23THRUST_200600_302600_NS6detail15normal_iteratorINS8_10device_ptrItEEEEPffNS8_4plusIfEEEE10hipError_tPvRmT1_T2_T3_mT4_P12ihipStream_tbEUlT_E1_NS1_11comp_targetILNS1_3genE3ELNS1_11target_archE908ELNS1_3gpuE7ELNS1_3repE0EEENS1_30default_config_static_selectorELNS0_4arch9wavefront6targetE1EEEvSK_
    .private_segment_fixed_size: 0
    .sgpr_count:     6
    .sgpr_spill_count: 0
    .symbol:         _ZN7rocprim17ROCPRIM_400000_NS6detail17trampoline_kernelINS0_14default_configENS1_22reduce_config_selectorItEEZNS1_11reduce_implILb1ES3_N6thrust23THRUST_200600_302600_NS6detail15normal_iteratorINS8_10device_ptrItEEEEPffNS8_4plusIfEEEE10hipError_tPvRmT1_T2_T3_mT4_P12ihipStream_tbEUlT_E1_NS1_11comp_targetILNS1_3genE3ELNS1_11target_archE908ELNS1_3gpuE7ELNS1_3repE0EEENS1_30default_config_static_selectorELNS0_4arch9wavefront6targetE1EEEvSK_.kd
    .uniform_work_group_size: 1
    .uses_dynamic_stack: false
    .vgpr_count:     0
    .vgpr_spill_count: 0
    .wavefront_size: 64
  - .agpr_count:     0
    .args:
      - .offset:         0
        .size:           40
        .value_kind:     by_value
    .group_segment_fixed_size: 0
    .kernarg_segment_align: 8
    .kernarg_segment_size: 40
    .language:       OpenCL C
    .language_version:
      - 2
      - 0
    .max_flat_workgroup_size: 256
    .name:           _ZN7rocprim17ROCPRIM_400000_NS6detail17trampoline_kernelINS0_14default_configENS1_22reduce_config_selectorItEEZNS1_11reduce_implILb1ES3_N6thrust23THRUST_200600_302600_NS6detail15normal_iteratorINS8_10device_ptrItEEEEPffNS8_4plusIfEEEE10hipError_tPvRmT1_T2_T3_mT4_P12ihipStream_tbEUlT_E1_NS1_11comp_targetILNS1_3genE2ELNS1_11target_archE906ELNS1_3gpuE6ELNS1_3repE0EEENS1_30default_config_static_selectorELNS0_4arch9wavefront6targetE1EEEvSK_
    .private_segment_fixed_size: 0
    .sgpr_count:     6
    .sgpr_spill_count: 0
    .symbol:         _ZN7rocprim17ROCPRIM_400000_NS6detail17trampoline_kernelINS0_14default_configENS1_22reduce_config_selectorItEEZNS1_11reduce_implILb1ES3_N6thrust23THRUST_200600_302600_NS6detail15normal_iteratorINS8_10device_ptrItEEEEPffNS8_4plusIfEEEE10hipError_tPvRmT1_T2_T3_mT4_P12ihipStream_tbEUlT_E1_NS1_11comp_targetILNS1_3genE2ELNS1_11target_archE906ELNS1_3gpuE6ELNS1_3repE0EEENS1_30default_config_static_selectorELNS0_4arch9wavefront6targetE1EEEvSK_.kd
    .uniform_work_group_size: 1
    .uses_dynamic_stack: false
    .vgpr_count:     0
    .vgpr_spill_count: 0
    .wavefront_size: 64
  - .agpr_count:     0
    .args:
      - .offset:         0
        .size:           40
        .value_kind:     by_value
    .group_segment_fixed_size: 0
    .kernarg_segment_align: 8
    .kernarg_segment_size: 40
    .language:       OpenCL C
    .language_version:
      - 2
      - 0
    .max_flat_workgroup_size: 256
    .name:           _ZN7rocprim17ROCPRIM_400000_NS6detail17trampoline_kernelINS0_14default_configENS1_22reduce_config_selectorItEEZNS1_11reduce_implILb1ES3_N6thrust23THRUST_200600_302600_NS6detail15normal_iteratorINS8_10device_ptrItEEEEPffNS8_4plusIfEEEE10hipError_tPvRmT1_T2_T3_mT4_P12ihipStream_tbEUlT_E1_NS1_11comp_targetILNS1_3genE10ELNS1_11target_archE1201ELNS1_3gpuE5ELNS1_3repE0EEENS1_30default_config_static_selectorELNS0_4arch9wavefront6targetE1EEEvSK_
    .private_segment_fixed_size: 0
    .sgpr_count:     6
    .sgpr_spill_count: 0
    .symbol:         _ZN7rocprim17ROCPRIM_400000_NS6detail17trampoline_kernelINS0_14default_configENS1_22reduce_config_selectorItEEZNS1_11reduce_implILb1ES3_N6thrust23THRUST_200600_302600_NS6detail15normal_iteratorINS8_10device_ptrItEEEEPffNS8_4plusIfEEEE10hipError_tPvRmT1_T2_T3_mT4_P12ihipStream_tbEUlT_E1_NS1_11comp_targetILNS1_3genE10ELNS1_11target_archE1201ELNS1_3gpuE5ELNS1_3repE0EEENS1_30default_config_static_selectorELNS0_4arch9wavefront6targetE1EEEvSK_.kd
    .uniform_work_group_size: 1
    .uses_dynamic_stack: false
    .vgpr_count:     0
    .vgpr_spill_count: 0
    .wavefront_size: 64
  - .agpr_count:     0
    .args:
      - .offset:         0
        .size:           40
        .value_kind:     by_value
    .group_segment_fixed_size: 0
    .kernarg_segment_align: 8
    .kernarg_segment_size: 40
    .language:       OpenCL C
    .language_version:
      - 2
      - 0
    .max_flat_workgroup_size: 256
    .name:           _ZN7rocprim17ROCPRIM_400000_NS6detail17trampoline_kernelINS0_14default_configENS1_22reduce_config_selectorItEEZNS1_11reduce_implILb1ES3_N6thrust23THRUST_200600_302600_NS6detail15normal_iteratorINS8_10device_ptrItEEEEPffNS8_4plusIfEEEE10hipError_tPvRmT1_T2_T3_mT4_P12ihipStream_tbEUlT_E1_NS1_11comp_targetILNS1_3genE10ELNS1_11target_archE1200ELNS1_3gpuE4ELNS1_3repE0EEENS1_30default_config_static_selectorELNS0_4arch9wavefront6targetE1EEEvSK_
    .private_segment_fixed_size: 0
    .sgpr_count:     6
    .sgpr_spill_count: 0
    .symbol:         _ZN7rocprim17ROCPRIM_400000_NS6detail17trampoline_kernelINS0_14default_configENS1_22reduce_config_selectorItEEZNS1_11reduce_implILb1ES3_N6thrust23THRUST_200600_302600_NS6detail15normal_iteratorINS8_10device_ptrItEEEEPffNS8_4plusIfEEEE10hipError_tPvRmT1_T2_T3_mT4_P12ihipStream_tbEUlT_E1_NS1_11comp_targetILNS1_3genE10ELNS1_11target_archE1200ELNS1_3gpuE4ELNS1_3repE0EEENS1_30default_config_static_selectorELNS0_4arch9wavefront6targetE1EEEvSK_.kd
    .uniform_work_group_size: 1
    .uses_dynamic_stack: false
    .vgpr_count:     0
    .vgpr_spill_count: 0
    .wavefront_size: 64
  - .agpr_count:     0
    .args:
      - .offset:         0
        .size:           40
        .value_kind:     by_value
    .group_segment_fixed_size: 0
    .kernarg_segment_align: 8
    .kernarg_segment_size: 40
    .language:       OpenCL C
    .language_version:
      - 2
      - 0
    .max_flat_workgroup_size: 256
    .name:           _ZN7rocprim17ROCPRIM_400000_NS6detail17trampoline_kernelINS0_14default_configENS1_22reduce_config_selectorItEEZNS1_11reduce_implILb1ES3_N6thrust23THRUST_200600_302600_NS6detail15normal_iteratorINS8_10device_ptrItEEEEPffNS8_4plusIfEEEE10hipError_tPvRmT1_T2_T3_mT4_P12ihipStream_tbEUlT_E1_NS1_11comp_targetILNS1_3genE9ELNS1_11target_archE1100ELNS1_3gpuE3ELNS1_3repE0EEENS1_30default_config_static_selectorELNS0_4arch9wavefront6targetE1EEEvSK_
    .private_segment_fixed_size: 0
    .sgpr_count:     6
    .sgpr_spill_count: 0
    .symbol:         _ZN7rocprim17ROCPRIM_400000_NS6detail17trampoline_kernelINS0_14default_configENS1_22reduce_config_selectorItEEZNS1_11reduce_implILb1ES3_N6thrust23THRUST_200600_302600_NS6detail15normal_iteratorINS8_10device_ptrItEEEEPffNS8_4plusIfEEEE10hipError_tPvRmT1_T2_T3_mT4_P12ihipStream_tbEUlT_E1_NS1_11comp_targetILNS1_3genE9ELNS1_11target_archE1100ELNS1_3gpuE3ELNS1_3repE0EEENS1_30default_config_static_selectorELNS0_4arch9wavefront6targetE1EEEvSK_.kd
    .uniform_work_group_size: 1
    .uses_dynamic_stack: false
    .vgpr_count:     0
    .vgpr_spill_count: 0
    .wavefront_size: 64
  - .agpr_count:     0
    .args:
      - .offset:         0
        .size:           40
        .value_kind:     by_value
    .group_segment_fixed_size: 0
    .kernarg_segment_align: 8
    .kernarg_segment_size: 40
    .language:       OpenCL C
    .language_version:
      - 2
      - 0
    .max_flat_workgroup_size: 256
    .name:           _ZN7rocprim17ROCPRIM_400000_NS6detail17trampoline_kernelINS0_14default_configENS1_22reduce_config_selectorItEEZNS1_11reduce_implILb1ES3_N6thrust23THRUST_200600_302600_NS6detail15normal_iteratorINS8_10device_ptrItEEEEPffNS8_4plusIfEEEE10hipError_tPvRmT1_T2_T3_mT4_P12ihipStream_tbEUlT_E1_NS1_11comp_targetILNS1_3genE8ELNS1_11target_archE1030ELNS1_3gpuE2ELNS1_3repE0EEENS1_30default_config_static_selectorELNS0_4arch9wavefront6targetE1EEEvSK_
    .private_segment_fixed_size: 0
    .sgpr_count:     6
    .sgpr_spill_count: 0
    .symbol:         _ZN7rocprim17ROCPRIM_400000_NS6detail17trampoline_kernelINS0_14default_configENS1_22reduce_config_selectorItEEZNS1_11reduce_implILb1ES3_N6thrust23THRUST_200600_302600_NS6detail15normal_iteratorINS8_10device_ptrItEEEEPffNS8_4plusIfEEEE10hipError_tPvRmT1_T2_T3_mT4_P12ihipStream_tbEUlT_E1_NS1_11comp_targetILNS1_3genE8ELNS1_11target_archE1030ELNS1_3gpuE2ELNS1_3repE0EEENS1_30default_config_static_selectorELNS0_4arch9wavefront6targetE1EEEvSK_.kd
    .uniform_work_group_size: 1
    .uses_dynamic_stack: false
    .vgpr_count:     0
    .vgpr_spill_count: 0
    .wavefront_size: 64
  - .agpr_count:     0
    .args:
      - .offset:         0
        .size:           56
        .value_kind:     by_value
    .group_segment_fixed_size: 32
    .kernarg_segment_align: 8
    .kernarg_segment_size: 56
    .language:       OpenCL C
    .language_version:
      - 2
      - 0
    .max_flat_workgroup_size: 256
    .name:           _ZN7rocprim17ROCPRIM_400000_NS6detail17trampoline_kernelINS0_14default_configENS1_22reduce_config_selectorIxEEZNS1_11reduce_implILb1ES3_N6thrust23THRUST_200600_302600_NS6detail15normal_iteratorINS8_10device_ptrIxEEEEPiiNS8_4plusIiEEEE10hipError_tPvRmT1_T2_T3_mT4_P12ihipStream_tbEUlT_E0_NS1_11comp_targetILNS1_3genE0ELNS1_11target_archE4294967295ELNS1_3gpuE0ELNS1_3repE0EEENS1_30default_config_static_selectorELNS0_4arch9wavefront6targetE1EEEvSK_
    .private_segment_fixed_size: 0
    .sgpr_count:     54
    .sgpr_spill_count: 0
    .symbol:         _ZN7rocprim17ROCPRIM_400000_NS6detail17trampoline_kernelINS0_14default_configENS1_22reduce_config_selectorIxEEZNS1_11reduce_implILb1ES3_N6thrust23THRUST_200600_302600_NS6detail15normal_iteratorINS8_10device_ptrIxEEEEPiiNS8_4plusIiEEEE10hipError_tPvRmT1_T2_T3_mT4_P12ihipStream_tbEUlT_E0_NS1_11comp_targetILNS1_3genE0ELNS1_11target_archE4294967295ELNS1_3gpuE0ELNS1_3repE0EEENS1_30default_config_static_selectorELNS0_4arch9wavefront6targetE1EEEvSK_.kd
    .uniform_work_group_size: 1
    .uses_dynamic_stack: false
    .vgpr_count:     36
    .vgpr_spill_count: 0
    .wavefront_size: 64
  - .agpr_count:     0
    .args:
      - .offset:         0
        .size:           56
        .value_kind:     by_value
    .group_segment_fixed_size: 0
    .kernarg_segment_align: 8
    .kernarg_segment_size: 56
    .language:       OpenCL C
    .language_version:
      - 2
      - 0
    .max_flat_workgroup_size: 256
    .name:           _ZN7rocprim17ROCPRIM_400000_NS6detail17trampoline_kernelINS0_14default_configENS1_22reduce_config_selectorIxEEZNS1_11reduce_implILb1ES3_N6thrust23THRUST_200600_302600_NS6detail15normal_iteratorINS8_10device_ptrIxEEEEPiiNS8_4plusIiEEEE10hipError_tPvRmT1_T2_T3_mT4_P12ihipStream_tbEUlT_E0_NS1_11comp_targetILNS1_3genE5ELNS1_11target_archE942ELNS1_3gpuE9ELNS1_3repE0EEENS1_30default_config_static_selectorELNS0_4arch9wavefront6targetE1EEEvSK_
    .private_segment_fixed_size: 0
    .sgpr_count:     6
    .sgpr_spill_count: 0
    .symbol:         _ZN7rocprim17ROCPRIM_400000_NS6detail17trampoline_kernelINS0_14default_configENS1_22reduce_config_selectorIxEEZNS1_11reduce_implILb1ES3_N6thrust23THRUST_200600_302600_NS6detail15normal_iteratorINS8_10device_ptrIxEEEEPiiNS8_4plusIiEEEE10hipError_tPvRmT1_T2_T3_mT4_P12ihipStream_tbEUlT_E0_NS1_11comp_targetILNS1_3genE5ELNS1_11target_archE942ELNS1_3gpuE9ELNS1_3repE0EEENS1_30default_config_static_selectorELNS0_4arch9wavefront6targetE1EEEvSK_.kd
    .uniform_work_group_size: 1
    .uses_dynamic_stack: false
    .vgpr_count:     0
    .vgpr_spill_count: 0
    .wavefront_size: 64
  - .agpr_count:     0
    .args:
      - .offset:         0
        .size:           56
        .value_kind:     by_value
    .group_segment_fixed_size: 0
    .kernarg_segment_align: 8
    .kernarg_segment_size: 56
    .language:       OpenCL C
    .language_version:
      - 2
      - 0
    .max_flat_workgroup_size: 256
    .name:           _ZN7rocprim17ROCPRIM_400000_NS6detail17trampoline_kernelINS0_14default_configENS1_22reduce_config_selectorIxEEZNS1_11reduce_implILb1ES3_N6thrust23THRUST_200600_302600_NS6detail15normal_iteratorINS8_10device_ptrIxEEEEPiiNS8_4plusIiEEEE10hipError_tPvRmT1_T2_T3_mT4_P12ihipStream_tbEUlT_E0_NS1_11comp_targetILNS1_3genE4ELNS1_11target_archE910ELNS1_3gpuE8ELNS1_3repE0EEENS1_30default_config_static_selectorELNS0_4arch9wavefront6targetE1EEEvSK_
    .private_segment_fixed_size: 0
    .sgpr_count:     6
    .sgpr_spill_count: 0
    .symbol:         _ZN7rocprim17ROCPRIM_400000_NS6detail17trampoline_kernelINS0_14default_configENS1_22reduce_config_selectorIxEEZNS1_11reduce_implILb1ES3_N6thrust23THRUST_200600_302600_NS6detail15normal_iteratorINS8_10device_ptrIxEEEEPiiNS8_4plusIiEEEE10hipError_tPvRmT1_T2_T3_mT4_P12ihipStream_tbEUlT_E0_NS1_11comp_targetILNS1_3genE4ELNS1_11target_archE910ELNS1_3gpuE8ELNS1_3repE0EEENS1_30default_config_static_selectorELNS0_4arch9wavefront6targetE1EEEvSK_.kd
    .uniform_work_group_size: 1
    .uses_dynamic_stack: false
    .vgpr_count:     0
    .vgpr_spill_count: 0
    .wavefront_size: 64
  - .agpr_count:     0
    .args:
      - .offset:         0
        .size:           56
        .value_kind:     by_value
    .group_segment_fixed_size: 0
    .kernarg_segment_align: 8
    .kernarg_segment_size: 56
    .language:       OpenCL C
    .language_version:
      - 2
      - 0
    .max_flat_workgroup_size: 256
    .name:           _ZN7rocprim17ROCPRIM_400000_NS6detail17trampoline_kernelINS0_14default_configENS1_22reduce_config_selectorIxEEZNS1_11reduce_implILb1ES3_N6thrust23THRUST_200600_302600_NS6detail15normal_iteratorINS8_10device_ptrIxEEEEPiiNS8_4plusIiEEEE10hipError_tPvRmT1_T2_T3_mT4_P12ihipStream_tbEUlT_E0_NS1_11comp_targetILNS1_3genE3ELNS1_11target_archE908ELNS1_3gpuE7ELNS1_3repE0EEENS1_30default_config_static_selectorELNS0_4arch9wavefront6targetE1EEEvSK_
    .private_segment_fixed_size: 0
    .sgpr_count:     6
    .sgpr_spill_count: 0
    .symbol:         _ZN7rocprim17ROCPRIM_400000_NS6detail17trampoline_kernelINS0_14default_configENS1_22reduce_config_selectorIxEEZNS1_11reduce_implILb1ES3_N6thrust23THRUST_200600_302600_NS6detail15normal_iteratorINS8_10device_ptrIxEEEEPiiNS8_4plusIiEEEE10hipError_tPvRmT1_T2_T3_mT4_P12ihipStream_tbEUlT_E0_NS1_11comp_targetILNS1_3genE3ELNS1_11target_archE908ELNS1_3gpuE7ELNS1_3repE0EEENS1_30default_config_static_selectorELNS0_4arch9wavefront6targetE1EEEvSK_.kd
    .uniform_work_group_size: 1
    .uses_dynamic_stack: false
    .vgpr_count:     0
    .vgpr_spill_count: 0
    .wavefront_size: 64
  - .agpr_count:     0
    .args:
      - .offset:         0
        .size:           56
        .value_kind:     by_value
    .group_segment_fixed_size: 0
    .kernarg_segment_align: 8
    .kernarg_segment_size: 56
    .language:       OpenCL C
    .language_version:
      - 2
      - 0
    .max_flat_workgroup_size: 256
    .name:           _ZN7rocprim17ROCPRIM_400000_NS6detail17trampoline_kernelINS0_14default_configENS1_22reduce_config_selectorIxEEZNS1_11reduce_implILb1ES3_N6thrust23THRUST_200600_302600_NS6detail15normal_iteratorINS8_10device_ptrIxEEEEPiiNS8_4plusIiEEEE10hipError_tPvRmT1_T2_T3_mT4_P12ihipStream_tbEUlT_E0_NS1_11comp_targetILNS1_3genE2ELNS1_11target_archE906ELNS1_3gpuE6ELNS1_3repE0EEENS1_30default_config_static_selectorELNS0_4arch9wavefront6targetE1EEEvSK_
    .private_segment_fixed_size: 0
    .sgpr_count:     6
    .sgpr_spill_count: 0
    .symbol:         _ZN7rocprim17ROCPRIM_400000_NS6detail17trampoline_kernelINS0_14default_configENS1_22reduce_config_selectorIxEEZNS1_11reduce_implILb1ES3_N6thrust23THRUST_200600_302600_NS6detail15normal_iteratorINS8_10device_ptrIxEEEEPiiNS8_4plusIiEEEE10hipError_tPvRmT1_T2_T3_mT4_P12ihipStream_tbEUlT_E0_NS1_11comp_targetILNS1_3genE2ELNS1_11target_archE906ELNS1_3gpuE6ELNS1_3repE0EEENS1_30default_config_static_selectorELNS0_4arch9wavefront6targetE1EEEvSK_.kd
    .uniform_work_group_size: 1
    .uses_dynamic_stack: false
    .vgpr_count:     0
    .vgpr_spill_count: 0
    .wavefront_size: 64
  - .agpr_count:     0
    .args:
      - .offset:         0
        .size:           56
        .value_kind:     by_value
    .group_segment_fixed_size: 0
    .kernarg_segment_align: 8
    .kernarg_segment_size: 56
    .language:       OpenCL C
    .language_version:
      - 2
      - 0
    .max_flat_workgroup_size: 256
    .name:           _ZN7rocprim17ROCPRIM_400000_NS6detail17trampoline_kernelINS0_14default_configENS1_22reduce_config_selectorIxEEZNS1_11reduce_implILb1ES3_N6thrust23THRUST_200600_302600_NS6detail15normal_iteratorINS8_10device_ptrIxEEEEPiiNS8_4plusIiEEEE10hipError_tPvRmT1_T2_T3_mT4_P12ihipStream_tbEUlT_E0_NS1_11comp_targetILNS1_3genE10ELNS1_11target_archE1201ELNS1_3gpuE5ELNS1_3repE0EEENS1_30default_config_static_selectorELNS0_4arch9wavefront6targetE1EEEvSK_
    .private_segment_fixed_size: 0
    .sgpr_count:     6
    .sgpr_spill_count: 0
    .symbol:         _ZN7rocprim17ROCPRIM_400000_NS6detail17trampoline_kernelINS0_14default_configENS1_22reduce_config_selectorIxEEZNS1_11reduce_implILb1ES3_N6thrust23THRUST_200600_302600_NS6detail15normal_iteratorINS8_10device_ptrIxEEEEPiiNS8_4plusIiEEEE10hipError_tPvRmT1_T2_T3_mT4_P12ihipStream_tbEUlT_E0_NS1_11comp_targetILNS1_3genE10ELNS1_11target_archE1201ELNS1_3gpuE5ELNS1_3repE0EEENS1_30default_config_static_selectorELNS0_4arch9wavefront6targetE1EEEvSK_.kd
    .uniform_work_group_size: 1
    .uses_dynamic_stack: false
    .vgpr_count:     0
    .vgpr_spill_count: 0
    .wavefront_size: 64
  - .agpr_count:     0
    .args:
      - .offset:         0
        .size:           56
        .value_kind:     by_value
    .group_segment_fixed_size: 0
    .kernarg_segment_align: 8
    .kernarg_segment_size: 56
    .language:       OpenCL C
    .language_version:
      - 2
      - 0
    .max_flat_workgroup_size: 256
    .name:           _ZN7rocprim17ROCPRIM_400000_NS6detail17trampoline_kernelINS0_14default_configENS1_22reduce_config_selectorIxEEZNS1_11reduce_implILb1ES3_N6thrust23THRUST_200600_302600_NS6detail15normal_iteratorINS8_10device_ptrIxEEEEPiiNS8_4plusIiEEEE10hipError_tPvRmT1_T2_T3_mT4_P12ihipStream_tbEUlT_E0_NS1_11comp_targetILNS1_3genE10ELNS1_11target_archE1200ELNS1_3gpuE4ELNS1_3repE0EEENS1_30default_config_static_selectorELNS0_4arch9wavefront6targetE1EEEvSK_
    .private_segment_fixed_size: 0
    .sgpr_count:     6
    .sgpr_spill_count: 0
    .symbol:         _ZN7rocprim17ROCPRIM_400000_NS6detail17trampoline_kernelINS0_14default_configENS1_22reduce_config_selectorIxEEZNS1_11reduce_implILb1ES3_N6thrust23THRUST_200600_302600_NS6detail15normal_iteratorINS8_10device_ptrIxEEEEPiiNS8_4plusIiEEEE10hipError_tPvRmT1_T2_T3_mT4_P12ihipStream_tbEUlT_E0_NS1_11comp_targetILNS1_3genE10ELNS1_11target_archE1200ELNS1_3gpuE4ELNS1_3repE0EEENS1_30default_config_static_selectorELNS0_4arch9wavefront6targetE1EEEvSK_.kd
    .uniform_work_group_size: 1
    .uses_dynamic_stack: false
    .vgpr_count:     0
    .vgpr_spill_count: 0
    .wavefront_size: 64
  - .agpr_count:     0
    .args:
      - .offset:         0
        .size:           56
        .value_kind:     by_value
    .group_segment_fixed_size: 0
    .kernarg_segment_align: 8
    .kernarg_segment_size: 56
    .language:       OpenCL C
    .language_version:
      - 2
      - 0
    .max_flat_workgroup_size: 256
    .name:           _ZN7rocprim17ROCPRIM_400000_NS6detail17trampoline_kernelINS0_14default_configENS1_22reduce_config_selectorIxEEZNS1_11reduce_implILb1ES3_N6thrust23THRUST_200600_302600_NS6detail15normal_iteratorINS8_10device_ptrIxEEEEPiiNS8_4plusIiEEEE10hipError_tPvRmT1_T2_T3_mT4_P12ihipStream_tbEUlT_E0_NS1_11comp_targetILNS1_3genE9ELNS1_11target_archE1100ELNS1_3gpuE3ELNS1_3repE0EEENS1_30default_config_static_selectorELNS0_4arch9wavefront6targetE1EEEvSK_
    .private_segment_fixed_size: 0
    .sgpr_count:     6
    .sgpr_spill_count: 0
    .symbol:         _ZN7rocprim17ROCPRIM_400000_NS6detail17trampoline_kernelINS0_14default_configENS1_22reduce_config_selectorIxEEZNS1_11reduce_implILb1ES3_N6thrust23THRUST_200600_302600_NS6detail15normal_iteratorINS8_10device_ptrIxEEEEPiiNS8_4plusIiEEEE10hipError_tPvRmT1_T2_T3_mT4_P12ihipStream_tbEUlT_E0_NS1_11comp_targetILNS1_3genE9ELNS1_11target_archE1100ELNS1_3gpuE3ELNS1_3repE0EEENS1_30default_config_static_selectorELNS0_4arch9wavefront6targetE1EEEvSK_.kd
    .uniform_work_group_size: 1
    .uses_dynamic_stack: false
    .vgpr_count:     0
    .vgpr_spill_count: 0
    .wavefront_size: 64
  - .agpr_count:     0
    .args:
      - .offset:         0
        .size:           56
        .value_kind:     by_value
    .group_segment_fixed_size: 0
    .kernarg_segment_align: 8
    .kernarg_segment_size: 56
    .language:       OpenCL C
    .language_version:
      - 2
      - 0
    .max_flat_workgroup_size: 256
    .name:           _ZN7rocprim17ROCPRIM_400000_NS6detail17trampoline_kernelINS0_14default_configENS1_22reduce_config_selectorIxEEZNS1_11reduce_implILb1ES3_N6thrust23THRUST_200600_302600_NS6detail15normal_iteratorINS8_10device_ptrIxEEEEPiiNS8_4plusIiEEEE10hipError_tPvRmT1_T2_T3_mT4_P12ihipStream_tbEUlT_E0_NS1_11comp_targetILNS1_3genE8ELNS1_11target_archE1030ELNS1_3gpuE2ELNS1_3repE0EEENS1_30default_config_static_selectorELNS0_4arch9wavefront6targetE1EEEvSK_
    .private_segment_fixed_size: 0
    .sgpr_count:     6
    .sgpr_spill_count: 0
    .symbol:         _ZN7rocprim17ROCPRIM_400000_NS6detail17trampoline_kernelINS0_14default_configENS1_22reduce_config_selectorIxEEZNS1_11reduce_implILb1ES3_N6thrust23THRUST_200600_302600_NS6detail15normal_iteratorINS8_10device_ptrIxEEEEPiiNS8_4plusIiEEEE10hipError_tPvRmT1_T2_T3_mT4_P12ihipStream_tbEUlT_E0_NS1_11comp_targetILNS1_3genE8ELNS1_11target_archE1030ELNS1_3gpuE2ELNS1_3repE0EEENS1_30default_config_static_selectorELNS0_4arch9wavefront6targetE1EEEvSK_.kd
    .uniform_work_group_size: 1
    .uses_dynamic_stack: false
    .vgpr_count:     0
    .vgpr_spill_count: 0
    .wavefront_size: 64
  - .agpr_count:     0
    .args:
      - .offset:         0
        .size:           40
        .value_kind:     by_value
    .group_segment_fixed_size: 96
    .kernarg_segment_align: 8
    .kernarg_segment_size: 40
    .language:       OpenCL C
    .language_version:
      - 2
      - 0
    .max_flat_workgroup_size: 256
    .name:           _ZN7rocprim17ROCPRIM_400000_NS6detail17trampoline_kernelINS0_14default_configENS1_22reduce_config_selectorIxEEZNS1_11reduce_implILb1ES3_N6thrust23THRUST_200600_302600_NS6detail15normal_iteratorINS8_10device_ptrIxEEEEPiiNS8_4plusIiEEEE10hipError_tPvRmT1_T2_T3_mT4_P12ihipStream_tbEUlT_E1_NS1_11comp_targetILNS1_3genE0ELNS1_11target_archE4294967295ELNS1_3gpuE0ELNS1_3repE0EEENS1_30default_config_static_selectorELNS0_4arch9wavefront6targetE1EEEvSK_
    .private_segment_fixed_size: 0
    .sgpr_count:     51
    .sgpr_spill_count: 0
    .symbol:         _ZN7rocprim17ROCPRIM_400000_NS6detail17trampoline_kernelINS0_14default_configENS1_22reduce_config_selectorIxEEZNS1_11reduce_implILb1ES3_N6thrust23THRUST_200600_302600_NS6detail15normal_iteratorINS8_10device_ptrIxEEEEPiiNS8_4plusIiEEEE10hipError_tPvRmT1_T2_T3_mT4_P12ihipStream_tbEUlT_E1_NS1_11comp_targetILNS1_3genE0ELNS1_11target_archE4294967295ELNS1_3gpuE0ELNS1_3repE0EEENS1_30default_config_static_selectorELNS0_4arch9wavefront6targetE1EEEvSK_.kd
    .uniform_work_group_size: 1
    .uses_dynamic_stack: false
    .vgpr_count:     23
    .vgpr_spill_count: 0
    .wavefront_size: 64
  - .agpr_count:     0
    .args:
      - .offset:         0
        .size:           40
        .value_kind:     by_value
    .group_segment_fixed_size: 0
    .kernarg_segment_align: 8
    .kernarg_segment_size: 40
    .language:       OpenCL C
    .language_version:
      - 2
      - 0
    .max_flat_workgroup_size: 256
    .name:           _ZN7rocprim17ROCPRIM_400000_NS6detail17trampoline_kernelINS0_14default_configENS1_22reduce_config_selectorIxEEZNS1_11reduce_implILb1ES3_N6thrust23THRUST_200600_302600_NS6detail15normal_iteratorINS8_10device_ptrIxEEEEPiiNS8_4plusIiEEEE10hipError_tPvRmT1_T2_T3_mT4_P12ihipStream_tbEUlT_E1_NS1_11comp_targetILNS1_3genE5ELNS1_11target_archE942ELNS1_3gpuE9ELNS1_3repE0EEENS1_30default_config_static_selectorELNS0_4arch9wavefront6targetE1EEEvSK_
    .private_segment_fixed_size: 0
    .sgpr_count:     6
    .sgpr_spill_count: 0
    .symbol:         _ZN7rocprim17ROCPRIM_400000_NS6detail17trampoline_kernelINS0_14default_configENS1_22reduce_config_selectorIxEEZNS1_11reduce_implILb1ES3_N6thrust23THRUST_200600_302600_NS6detail15normal_iteratorINS8_10device_ptrIxEEEEPiiNS8_4plusIiEEEE10hipError_tPvRmT1_T2_T3_mT4_P12ihipStream_tbEUlT_E1_NS1_11comp_targetILNS1_3genE5ELNS1_11target_archE942ELNS1_3gpuE9ELNS1_3repE0EEENS1_30default_config_static_selectorELNS0_4arch9wavefront6targetE1EEEvSK_.kd
    .uniform_work_group_size: 1
    .uses_dynamic_stack: false
    .vgpr_count:     0
    .vgpr_spill_count: 0
    .wavefront_size: 64
  - .agpr_count:     0
    .args:
      - .offset:         0
        .size:           40
        .value_kind:     by_value
    .group_segment_fixed_size: 0
    .kernarg_segment_align: 8
    .kernarg_segment_size: 40
    .language:       OpenCL C
    .language_version:
      - 2
      - 0
    .max_flat_workgroup_size: 256
    .name:           _ZN7rocprim17ROCPRIM_400000_NS6detail17trampoline_kernelINS0_14default_configENS1_22reduce_config_selectorIxEEZNS1_11reduce_implILb1ES3_N6thrust23THRUST_200600_302600_NS6detail15normal_iteratorINS8_10device_ptrIxEEEEPiiNS8_4plusIiEEEE10hipError_tPvRmT1_T2_T3_mT4_P12ihipStream_tbEUlT_E1_NS1_11comp_targetILNS1_3genE4ELNS1_11target_archE910ELNS1_3gpuE8ELNS1_3repE0EEENS1_30default_config_static_selectorELNS0_4arch9wavefront6targetE1EEEvSK_
    .private_segment_fixed_size: 0
    .sgpr_count:     6
    .sgpr_spill_count: 0
    .symbol:         _ZN7rocprim17ROCPRIM_400000_NS6detail17trampoline_kernelINS0_14default_configENS1_22reduce_config_selectorIxEEZNS1_11reduce_implILb1ES3_N6thrust23THRUST_200600_302600_NS6detail15normal_iteratorINS8_10device_ptrIxEEEEPiiNS8_4plusIiEEEE10hipError_tPvRmT1_T2_T3_mT4_P12ihipStream_tbEUlT_E1_NS1_11comp_targetILNS1_3genE4ELNS1_11target_archE910ELNS1_3gpuE8ELNS1_3repE0EEENS1_30default_config_static_selectorELNS0_4arch9wavefront6targetE1EEEvSK_.kd
    .uniform_work_group_size: 1
    .uses_dynamic_stack: false
    .vgpr_count:     0
    .vgpr_spill_count: 0
    .wavefront_size: 64
  - .agpr_count:     0
    .args:
      - .offset:         0
        .size:           40
        .value_kind:     by_value
    .group_segment_fixed_size: 0
    .kernarg_segment_align: 8
    .kernarg_segment_size: 40
    .language:       OpenCL C
    .language_version:
      - 2
      - 0
    .max_flat_workgroup_size: 256
    .name:           _ZN7rocprim17ROCPRIM_400000_NS6detail17trampoline_kernelINS0_14default_configENS1_22reduce_config_selectorIxEEZNS1_11reduce_implILb1ES3_N6thrust23THRUST_200600_302600_NS6detail15normal_iteratorINS8_10device_ptrIxEEEEPiiNS8_4plusIiEEEE10hipError_tPvRmT1_T2_T3_mT4_P12ihipStream_tbEUlT_E1_NS1_11comp_targetILNS1_3genE3ELNS1_11target_archE908ELNS1_3gpuE7ELNS1_3repE0EEENS1_30default_config_static_selectorELNS0_4arch9wavefront6targetE1EEEvSK_
    .private_segment_fixed_size: 0
    .sgpr_count:     6
    .sgpr_spill_count: 0
    .symbol:         _ZN7rocprim17ROCPRIM_400000_NS6detail17trampoline_kernelINS0_14default_configENS1_22reduce_config_selectorIxEEZNS1_11reduce_implILb1ES3_N6thrust23THRUST_200600_302600_NS6detail15normal_iteratorINS8_10device_ptrIxEEEEPiiNS8_4plusIiEEEE10hipError_tPvRmT1_T2_T3_mT4_P12ihipStream_tbEUlT_E1_NS1_11comp_targetILNS1_3genE3ELNS1_11target_archE908ELNS1_3gpuE7ELNS1_3repE0EEENS1_30default_config_static_selectorELNS0_4arch9wavefront6targetE1EEEvSK_.kd
    .uniform_work_group_size: 1
    .uses_dynamic_stack: false
    .vgpr_count:     0
    .vgpr_spill_count: 0
    .wavefront_size: 64
  - .agpr_count:     0
    .args:
      - .offset:         0
        .size:           40
        .value_kind:     by_value
    .group_segment_fixed_size: 0
    .kernarg_segment_align: 8
    .kernarg_segment_size: 40
    .language:       OpenCL C
    .language_version:
      - 2
      - 0
    .max_flat_workgroup_size: 256
    .name:           _ZN7rocprim17ROCPRIM_400000_NS6detail17trampoline_kernelINS0_14default_configENS1_22reduce_config_selectorIxEEZNS1_11reduce_implILb1ES3_N6thrust23THRUST_200600_302600_NS6detail15normal_iteratorINS8_10device_ptrIxEEEEPiiNS8_4plusIiEEEE10hipError_tPvRmT1_T2_T3_mT4_P12ihipStream_tbEUlT_E1_NS1_11comp_targetILNS1_3genE2ELNS1_11target_archE906ELNS1_3gpuE6ELNS1_3repE0EEENS1_30default_config_static_selectorELNS0_4arch9wavefront6targetE1EEEvSK_
    .private_segment_fixed_size: 0
    .sgpr_count:     6
    .sgpr_spill_count: 0
    .symbol:         _ZN7rocprim17ROCPRIM_400000_NS6detail17trampoline_kernelINS0_14default_configENS1_22reduce_config_selectorIxEEZNS1_11reduce_implILb1ES3_N6thrust23THRUST_200600_302600_NS6detail15normal_iteratorINS8_10device_ptrIxEEEEPiiNS8_4plusIiEEEE10hipError_tPvRmT1_T2_T3_mT4_P12ihipStream_tbEUlT_E1_NS1_11comp_targetILNS1_3genE2ELNS1_11target_archE906ELNS1_3gpuE6ELNS1_3repE0EEENS1_30default_config_static_selectorELNS0_4arch9wavefront6targetE1EEEvSK_.kd
    .uniform_work_group_size: 1
    .uses_dynamic_stack: false
    .vgpr_count:     0
    .vgpr_spill_count: 0
    .wavefront_size: 64
  - .agpr_count:     0
    .args:
      - .offset:         0
        .size:           40
        .value_kind:     by_value
    .group_segment_fixed_size: 0
    .kernarg_segment_align: 8
    .kernarg_segment_size: 40
    .language:       OpenCL C
    .language_version:
      - 2
      - 0
    .max_flat_workgroup_size: 256
    .name:           _ZN7rocprim17ROCPRIM_400000_NS6detail17trampoline_kernelINS0_14default_configENS1_22reduce_config_selectorIxEEZNS1_11reduce_implILb1ES3_N6thrust23THRUST_200600_302600_NS6detail15normal_iteratorINS8_10device_ptrIxEEEEPiiNS8_4plusIiEEEE10hipError_tPvRmT1_T2_T3_mT4_P12ihipStream_tbEUlT_E1_NS1_11comp_targetILNS1_3genE10ELNS1_11target_archE1201ELNS1_3gpuE5ELNS1_3repE0EEENS1_30default_config_static_selectorELNS0_4arch9wavefront6targetE1EEEvSK_
    .private_segment_fixed_size: 0
    .sgpr_count:     6
    .sgpr_spill_count: 0
    .symbol:         _ZN7rocprim17ROCPRIM_400000_NS6detail17trampoline_kernelINS0_14default_configENS1_22reduce_config_selectorIxEEZNS1_11reduce_implILb1ES3_N6thrust23THRUST_200600_302600_NS6detail15normal_iteratorINS8_10device_ptrIxEEEEPiiNS8_4plusIiEEEE10hipError_tPvRmT1_T2_T3_mT4_P12ihipStream_tbEUlT_E1_NS1_11comp_targetILNS1_3genE10ELNS1_11target_archE1201ELNS1_3gpuE5ELNS1_3repE0EEENS1_30default_config_static_selectorELNS0_4arch9wavefront6targetE1EEEvSK_.kd
    .uniform_work_group_size: 1
    .uses_dynamic_stack: false
    .vgpr_count:     0
    .vgpr_spill_count: 0
    .wavefront_size: 64
  - .agpr_count:     0
    .args:
      - .offset:         0
        .size:           40
        .value_kind:     by_value
    .group_segment_fixed_size: 0
    .kernarg_segment_align: 8
    .kernarg_segment_size: 40
    .language:       OpenCL C
    .language_version:
      - 2
      - 0
    .max_flat_workgroup_size: 256
    .name:           _ZN7rocprim17ROCPRIM_400000_NS6detail17trampoline_kernelINS0_14default_configENS1_22reduce_config_selectorIxEEZNS1_11reduce_implILb1ES3_N6thrust23THRUST_200600_302600_NS6detail15normal_iteratorINS8_10device_ptrIxEEEEPiiNS8_4plusIiEEEE10hipError_tPvRmT1_T2_T3_mT4_P12ihipStream_tbEUlT_E1_NS1_11comp_targetILNS1_3genE10ELNS1_11target_archE1200ELNS1_3gpuE4ELNS1_3repE0EEENS1_30default_config_static_selectorELNS0_4arch9wavefront6targetE1EEEvSK_
    .private_segment_fixed_size: 0
    .sgpr_count:     6
    .sgpr_spill_count: 0
    .symbol:         _ZN7rocprim17ROCPRIM_400000_NS6detail17trampoline_kernelINS0_14default_configENS1_22reduce_config_selectorIxEEZNS1_11reduce_implILb1ES3_N6thrust23THRUST_200600_302600_NS6detail15normal_iteratorINS8_10device_ptrIxEEEEPiiNS8_4plusIiEEEE10hipError_tPvRmT1_T2_T3_mT4_P12ihipStream_tbEUlT_E1_NS1_11comp_targetILNS1_3genE10ELNS1_11target_archE1200ELNS1_3gpuE4ELNS1_3repE0EEENS1_30default_config_static_selectorELNS0_4arch9wavefront6targetE1EEEvSK_.kd
    .uniform_work_group_size: 1
    .uses_dynamic_stack: false
    .vgpr_count:     0
    .vgpr_spill_count: 0
    .wavefront_size: 64
  - .agpr_count:     0
    .args:
      - .offset:         0
        .size:           40
        .value_kind:     by_value
    .group_segment_fixed_size: 0
    .kernarg_segment_align: 8
    .kernarg_segment_size: 40
    .language:       OpenCL C
    .language_version:
      - 2
      - 0
    .max_flat_workgroup_size: 256
    .name:           _ZN7rocprim17ROCPRIM_400000_NS6detail17trampoline_kernelINS0_14default_configENS1_22reduce_config_selectorIxEEZNS1_11reduce_implILb1ES3_N6thrust23THRUST_200600_302600_NS6detail15normal_iteratorINS8_10device_ptrIxEEEEPiiNS8_4plusIiEEEE10hipError_tPvRmT1_T2_T3_mT4_P12ihipStream_tbEUlT_E1_NS1_11comp_targetILNS1_3genE9ELNS1_11target_archE1100ELNS1_3gpuE3ELNS1_3repE0EEENS1_30default_config_static_selectorELNS0_4arch9wavefront6targetE1EEEvSK_
    .private_segment_fixed_size: 0
    .sgpr_count:     6
    .sgpr_spill_count: 0
    .symbol:         _ZN7rocprim17ROCPRIM_400000_NS6detail17trampoline_kernelINS0_14default_configENS1_22reduce_config_selectorIxEEZNS1_11reduce_implILb1ES3_N6thrust23THRUST_200600_302600_NS6detail15normal_iteratorINS8_10device_ptrIxEEEEPiiNS8_4plusIiEEEE10hipError_tPvRmT1_T2_T3_mT4_P12ihipStream_tbEUlT_E1_NS1_11comp_targetILNS1_3genE9ELNS1_11target_archE1100ELNS1_3gpuE3ELNS1_3repE0EEENS1_30default_config_static_selectorELNS0_4arch9wavefront6targetE1EEEvSK_.kd
    .uniform_work_group_size: 1
    .uses_dynamic_stack: false
    .vgpr_count:     0
    .vgpr_spill_count: 0
    .wavefront_size: 64
  - .agpr_count:     0
    .args:
      - .offset:         0
        .size:           40
        .value_kind:     by_value
    .group_segment_fixed_size: 0
    .kernarg_segment_align: 8
    .kernarg_segment_size: 40
    .language:       OpenCL C
    .language_version:
      - 2
      - 0
    .max_flat_workgroup_size: 256
    .name:           _ZN7rocprim17ROCPRIM_400000_NS6detail17trampoline_kernelINS0_14default_configENS1_22reduce_config_selectorIxEEZNS1_11reduce_implILb1ES3_N6thrust23THRUST_200600_302600_NS6detail15normal_iteratorINS8_10device_ptrIxEEEEPiiNS8_4plusIiEEEE10hipError_tPvRmT1_T2_T3_mT4_P12ihipStream_tbEUlT_E1_NS1_11comp_targetILNS1_3genE8ELNS1_11target_archE1030ELNS1_3gpuE2ELNS1_3repE0EEENS1_30default_config_static_selectorELNS0_4arch9wavefront6targetE1EEEvSK_
    .private_segment_fixed_size: 0
    .sgpr_count:     6
    .sgpr_spill_count: 0
    .symbol:         _ZN7rocprim17ROCPRIM_400000_NS6detail17trampoline_kernelINS0_14default_configENS1_22reduce_config_selectorIxEEZNS1_11reduce_implILb1ES3_N6thrust23THRUST_200600_302600_NS6detail15normal_iteratorINS8_10device_ptrIxEEEEPiiNS8_4plusIiEEEE10hipError_tPvRmT1_T2_T3_mT4_P12ihipStream_tbEUlT_E1_NS1_11comp_targetILNS1_3genE8ELNS1_11target_archE1030ELNS1_3gpuE2ELNS1_3repE0EEENS1_30default_config_static_selectorELNS0_4arch9wavefront6targetE1EEEvSK_.kd
    .uniform_work_group_size: 1
    .uses_dynamic_stack: false
    .vgpr_count:     0
    .vgpr_spill_count: 0
    .wavefront_size: 64
  - .agpr_count:     0
    .args:
      - .offset:         0
        .size:           56
        .value_kind:     by_value
    .group_segment_fixed_size: 32
    .kernarg_segment_align: 8
    .kernarg_segment_size: 56
    .language:       OpenCL C
    .language_version:
      - 2
      - 0
    .max_flat_workgroup_size: 256
    .name:           _ZN7rocprim17ROCPRIM_400000_NS6detail17trampoline_kernelINS0_14default_configENS1_22reduce_config_selectorIxEEZNS1_11reduce_implILb1ES3_N6thrust23THRUST_200600_302600_NS6detail15normal_iteratorINS8_10device_ptrIxEEEEPffNS8_4plusIfEEEE10hipError_tPvRmT1_T2_T3_mT4_P12ihipStream_tbEUlT_E0_NS1_11comp_targetILNS1_3genE0ELNS1_11target_archE4294967295ELNS1_3gpuE0ELNS1_3repE0EEENS1_30default_config_static_selectorELNS0_4arch9wavefront6targetE1EEEvSK_
    .private_segment_fixed_size: 0
    .sgpr_count:     54
    .sgpr_spill_count: 0
    .symbol:         _ZN7rocprim17ROCPRIM_400000_NS6detail17trampoline_kernelINS0_14default_configENS1_22reduce_config_selectorIxEEZNS1_11reduce_implILb1ES3_N6thrust23THRUST_200600_302600_NS6detail15normal_iteratorINS8_10device_ptrIxEEEEPffNS8_4plusIfEEEE10hipError_tPvRmT1_T2_T3_mT4_P12ihipStream_tbEUlT_E0_NS1_11comp_targetILNS1_3genE0ELNS1_11target_archE4294967295ELNS1_3gpuE0ELNS1_3repE0EEENS1_30default_config_static_selectorELNS0_4arch9wavefront6targetE1EEEvSK_.kd
    .uniform_work_group_size: 1
    .uses_dynamic_stack: false
    .vgpr_count:     39
    .vgpr_spill_count: 0
    .wavefront_size: 64
  - .agpr_count:     0
    .args:
      - .offset:         0
        .size:           56
        .value_kind:     by_value
    .group_segment_fixed_size: 0
    .kernarg_segment_align: 8
    .kernarg_segment_size: 56
    .language:       OpenCL C
    .language_version:
      - 2
      - 0
    .max_flat_workgroup_size: 256
    .name:           _ZN7rocprim17ROCPRIM_400000_NS6detail17trampoline_kernelINS0_14default_configENS1_22reduce_config_selectorIxEEZNS1_11reduce_implILb1ES3_N6thrust23THRUST_200600_302600_NS6detail15normal_iteratorINS8_10device_ptrIxEEEEPffNS8_4plusIfEEEE10hipError_tPvRmT1_T2_T3_mT4_P12ihipStream_tbEUlT_E0_NS1_11comp_targetILNS1_3genE5ELNS1_11target_archE942ELNS1_3gpuE9ELNS1_3repE0EEENS1_30default_config_static_selectorELNS0_4arch9wavefront6targetE1EEEvSK_
    .private_segment_fixed_size: 0
    .sgpr_count:     6
    .sgpr_spill_count: 0
    .symbol:         _ZN7rocprim17ROCPRIM_400000_NS6detail17trampoline_kernelINS0_14default_configENS1_22reduce_config_selectorIxEEZNS1_11reduce_implILb1ES3_N6thrust23THRUST_200600_302600_NS6detail15normal_iteratorINS8_10device_ptrIxEEEEPffNS8_4plusIfEEEE10hipError_tPvRmT1_T2_T3_mT4_P12ihipStream_tbEUlT_E0_NS1_11comp_targetILNS1_3genE5ELNS1_11target_archE942ELNS1_3gpuE9ELNS1_3repE0EEENS1_30default_config_static_selectorELNS0_4arch9wavefront6targetE1EEEvSK_.kd
    .uniform_work_group_size: 1
    .uses_dynamic_stack: false
    .vgpr_count:     0
    .vgpr_spill_count: 0
    .wavefront_size: 64
  - .agpr_count:     0
    .args:
      - .offset:         0
        .size:           56
        .value_kind:     by_value
    .group_segment_fixed_size: 0
    .kernarg_segment_align: 8
    .kernarg_segment_size: 56
    .language:       OpenCL C
    .language_version:
      - 2
      - 0
    .max_flat_workgroup_size: 256
    .name:           _ZN7rocprim17ROCPRIM_400000_NS6detail17trampoline_kernelINS0_14default_configENS1_22reduce_config_selectorIxEEZNS1_11reduce_implILb1ES3_N6thrust23THRUST_200600_302600_NS6detail15normal_iteratorINS8_10device_ptrIxEEEEPffNS8_4plusIfEEEE10hipError_tPvRmT1_T2_T3_mT4_P12ihipStream_tbEUlT_E0_NS1_11comp_targetILNS1_3genE4ELNS1_11target_archE910ELNS1_3gpuE8ELNS1_3repE0EEENS1_30default_config_static_selectorELNS0_4arch9wavefront6targetE1EEEvSK_
    .private_segment_fixed_size: 0
    .sgpr_count:     6
    .sgpr_spill_count: 0
    .symbol:         _ZN7rocprim17ROCPRIM_400000_NS6detail17trampoline_kernelINS0_14default_configENS1_22reduce_config_selectorIxEEZNS1_11reduce_implILb1ES3_N6thrust23THRUST_200600_302600_NS6detail15normal_iteratorINS8_10device_ptrIxEEEEPffNS8_4plusIfEEEE10hipError_tPvRmT1_T2_T3_mT4_P12ihipStream_tbEUlT_E0_NS1_11comp_targetILNS1_3genE4ELNS1_11target_archE910ELNS1_3gpuE8ELNS1_3repE0EEENS1_30default_config_static_selectorELNS0_4arch9wavefront6targetE1EEEvSK_.kd
    .uniform_work_group_size: 1
    .uses_dynamic_stack: false
    .vgpr_count:     0
    .vgpr_spill_count: 0
    .wavefront_size: 64
  - .agpr_count:     0
    .args:
      - .offset:         0
        .size:           56
        .value_kind:     by_value
    .group_segment_fixed_size: 0
    .kernarg_segment_align: 8
    .kernarg_segment_size: 56
    .language:       OpenCL C
    .language_version:
      - 2
      - 0
    .max_flat_workgroup_size: 256
    .name:           _ZN7rocprim17ROCPRIM_400000_NS6detail17trampoline_kernelINS0_14default_configENS1_22reduce_config_selectorIxEEZNS1_11reduce_implILb1ES3_N6thrust23THRUST_200600_302600_NS6detail15normal_iteratorINS8_10device_ptrIxEEEEPffNS8_4plusIfEEEE10hipError_tPvRmT1_T2_T3_mT4_P12ihipStream_tbEUlT_E0_NS1_11comp_targetILNS1_3genE3ELNS1_11target_archE908ELNS1_3gpuE7ELNS1_3repE0EEENS1_30default_config_static_selectorELNS0_4arch9wavefront6targetE1EEEvSK_
    .private_segment_fixed_size: 0
    .sgpr_count:     6
    .sgpr_spill_count: 0
    .symbol:         _ZN7rocprim17ROCPRIM_400000_NS6detail17trampoline_kernelINS0_14default_configENS1_22reduce_config_selectorIxEEZNS1_11reduce_implILb1ES3_N6thrust23THRUST_200600_302600_NS6detail15normal_iteratorINS8_10device_ptrIxEEEEPffNS8_4plusIfEEEE10hipError_tPvRmT1_T2_T3_mT4_P12ihipStream_tbEUlT_E0_NS1_11comp_targetILNS1_3genE3ELNS1_11target_archE908ELNS1_3gpuE7ELNS1_3repE0EEENS1_30default_config_static_selectorELNS0_4arch9wavefront6targetE1EEEvSK_.kd
    .uniform_work_group_size: 1
    .uses_dynamic_stack: false
    .vgpr_count:     0
    .vgpr_spill_count: 0
    .wavefront_size: 64
  - .agpr_count:     0
    .args:
      - .offset:         0
        .size:           56
        .value_kind:     by_value
    .group_segment_fixed_size: 0
    .kernarg_segment_align: 8
    .kernarg_segment_size: 56
    .language:       OpenCL C
    .language_version:
      - 2
      - 0
    .max_flat_workgroup_size: 256
    .name:           _ZN7rocprim17ROCPRIM_400000_NS6detail17trampoline_kernelINS0_14default_configENS1_22reduce_config_selectorIxEEZNS1_11reduce_implILb1ES3_N6thrust23THRUST_200600_302600_NS6detail15normal_iteratorINS8_10device_ptrIxEEEEPffNS8_4plusIfEEEE10hipError_tPvRmT1_T2_T3_mT4_P12ihipStream_tbEUlT_E0_NS1_11comp_targetILNS1_3genE2ELNS1_11target_archE906ELNS1_3gpuE6ELNS1_3repE0EEENS1_30default_config_static_selectorELNS0_4arch9wavefront6targetE1EEEvSK_
    .private_segment_fixed_size: 0
    .sgpr_count:     6
    .sgpr_spill_count: 0
    .symbol:         _ZN7rocprim17ROCPRIM_400000_NS6detail17trampoline_kernelINS0_14default_configENS1_22reduce_config_selectorIxEEZNS1_11reduce_implILb1ES3_N6thrust23THRUST_200600_302600_NS6detail15normal_iteratorINS8_10device_ptrIxEEEEPffNS8_4plusIfEEEE10hipError_tPvRmT1_T2_T3_mT4_P12ihipStream_tbEUlT_E0_NS1_11comp_targetILNS1_3genE2ELNS1_11target_archE906ELNS1_3gpuE6ELNS1_3repE0EEENS1_30default_config_static_selectorELNS0_4arch9wavefront6targetE1EEEvSK_.kd
    .uniform_work_group_size: 1
    .uses_dynamic_stack: false
    .vgpr_count:     0
    .vgpr_spill_count: 0
    .wavefront_size: 64
  - .agpr_count:     0
    .args:
      - .offset:         0
        .size:           56
        .value_kind:     by_value
    .group_segment_fixed_size: 0
    .kernarg_segment_align: 8
    .kernarg_segment_size: 56
    .language:       OpenCL C
    .language_version:
      - 2
      - 0
    .max_flat_workgroup_size: 256
    .name:           _ZN7rocprim17ROCPRIM_400000_NS6detail17trampoline_kernelINS0_14default_configENS1_22reduce_config_selectorIxEEZNS1_11reduce_implILb1ES3_N6thrust23THRUST_200600_302600_NS6detail15normal_iteratorINS8_10device_ptrIxEEEEPffNS8_4plusIfEEEE10hipError_tPvRmT1_T2_T3_mT4_P12ihipStream_tbEUlT_E0_NS1_11comp_targetILNS1_3genE10ELNS1_11target_archE1201ELNS1_3gpuE5ELNS1_3repE0EEENS1_30default_config_static_selectorELNS0_4arch9wavefront6targetE1EEEvSK_
    .private_segment_fixed_size: 0
    .sgpr_count:     6
    .sgpr_spill_count: 0
    .symbol:         _ZN7rocprim17ROCPRIM_400000_NS6detail17trampoline_kernelINS0_14default_configENS1_22reduce_config_selectorIxEEZNS1_11reduce_implILb1ES3_N6thrust23THRUST_200600_302600_NS6detail15normal_iteratorINS8_10device_ptrIxEEEEPffNS8_4plusIfEEEE10hipError_tPvRmT1_T2_T3_mT4_P12ihipStream_tbEUlT_E0_NS1_11comp_targetILNS1_3genE10ELNS1_11target_archE1201ELNS1_3gpuE5ELNS1_3repE0EEENS1_30default_config_static_selectorELNS0_4arch9wavefront6targetE1EEEvSK_.kd
    .uniform_work_group_size: 1
    .uses_dynamic_stack: false
    .vgpr_count:     0
    .vgpr_spill_count: 0
    .wavefront_size: 64
  - .agpr_count:     0
    .args:
      - .offset:         0
        .size:           56
        .value_kind:     by_value
    .group_segment_fixed_size: 0
    .kernarg_segment_align: 8
    .kernarg_segment_size: 56
    .language:       OpenCL C
    .language_version:
      - 2
      - 0
    .max_flat_workgroup_size: 256
    .name:           _ZN7rocprim17ROCPRIM_400000_NS6detail17trampoline_kernelINS0_14default_configENS1_22reduce_config_selectorIxEEZNS1_11reduce_implILb1ES3_N6thrust23THRUST_200600_302600_NS6detail15normal_iteratorINS8_10device_ptrIxEEEEPffNS8_4plusIfEEEE10hipError_tPvRmT1_T2_T3_mT4_P12ihipStream_tbEUlT_E0_NS1_11comp_targetILNS1_3genE10ELNS1_11target_archE1200ELNS1_3gpuE4ELNS1_3repE0EEENS1_30default_config_static_selectorELNS0_4arch9wavefront6targetE1EEEvSK_
    .private_segment_fixed_size: 0
    .sgpr_count:     6
    .sgpr_spill_count: 0
    .symbol:         _ZN7rocprim17ROCPRIM_400000_NS6detail17trampoline_kernelINS0_14default_configENS1_22reduce_config_selectorIxEEZNS1_11reduce_implILb1ES3_N6thrust23THRUST_200600_302600_NS6detail15normal_iteratorINS8_10device_ptrIxEEEEPffNS8_4plusIfEEEE10hipError_tPvRmT1_T2_T3_mT4_P12ihipStream_tbEUlT_E0_NS1_11comp_targetILNS1_3genE10ELNS1_11target_archE1200ELNS1_3gpuE4ELNS1_3repE0EEENS1_30default_config_static_selectorELNS0_4arch9wavefront6targetE1EEEvSK_.kd
    .uniform_work_group_size: 1
    .uses_dynamic_stack: false
    .vgpr_count:     0
    .vgpr_spill_count: 0
    .wavefront_size: 64
  - .agpr_count:     0
    .args:
      - .offset:         0
        .size:           56
        .value_kind:     by_value
    .group_segment_fixed_size: 0
    .kernarg_segment_align: 8
    .kernarg_segment_size: 56
    .language:       OpenCL C
    .language_version:
      - 2
      - 0
    .max_flat_workgroup_size: 256
    .name:           _ZN7rocprim17ROCPRIM_400000_NS6detail17trampoline_kernelINS0_14default_configENS1_22reduce_config_selectorIxEEZNS1_11reduce_implILb1ES3_N6thrust23THRUST_200600_302600_NS6detail15normal_iteratorINS8_10device_ptrIxEEEEPffNS8_4plusIfEEEE10hipError_tPvRmT1_T2_T3_mT4_P12ihipStream_tbEUlT_E0_NS1_11comp_targetILNS1_3genE9ELNS1_11target_archE1100ELNS1_3gpuE3ELNS1_3repE0EEENS1_30default_config_static_selectorELNS0_4arch9wavefront6targetE1EEEvSK_
    .private_segment_fixed_size: 0
    .sgpr_count:     6
    .sgpr_spill_count: 0
    .symbol:         _ZN7rocprim17ROCPRIM_400000_NS6detail17trampoline_kernelINS0_14default_configENS1_22reduce_config_selectorIxEEZNS1_11reduce_implILb1ES3_N6thrust23THRUST_200600_302600_NS6detail15normal_iteratorINS8_10device_ptrIxEEEEPffNS8_4plusIfEEEE10hipError_tPvRmT1_T2_T3_mT4_P12ihipStream_tbEUlT_E0_NS1_11comp_targetILNS1_3genE9ELNS1_11target_archE1100ELNS1_3gpuE3ELNS1_3repE0EEENS1_30default_config_static_selectorELNS0_4arch9wavefront6targetE1EEEvSK_.kd
    .uniform_work_group_size: 1
    .uses_dynamic_stack: false
    .vgpr_count:     0
    .vgpr_spill_count: 0
    .wavefront_size: 64
  - .agpr_count:     0
    .args:
      - .offset:         0
        .size:           56
        .value_kind:     by_value
    .group_segment_fixed_size: 0
    .kernarg_segment_align: 8
    .kernarg_segment_size: 56
    .language:       OpenCL C
    .language_version:
      - 2
      - 0
    .max_flat_workgroup_size: 256
    .name:           _ZN7rocprim17ROCPRIM_400000_NS6detail17trampoline_kernelINS0_14default_configENS1_22reduce_config_selectorIxEEZNS1_11reduce_implILb1ES3_N6thrust23THRUST_200600_302600_NS6detail15normal_iteratorINS8_10device_ptrIxEEEEPffNS8_4plusIfEEEE10hipError_tPvRmT1_T2_T3_mT4_P12ihipStream_tbEUlT_E0_NS1_11comp_targetILNS1_3genE8ELNS1_11target_archE1030ELNS1_3gpuE2ELNS1_3repE0EEENS1_30default_config_static_selectorELNS0_4arch9wavefront6targetE1EEEvSK_
    .private_segment_fixed_size: 0
    .sgpr_count:     6
    .sgpr_spill_count: 0
    .symbol:         _ZN7rocprim17ROCPRIM_400000_NS6detail17trampoline_kernelINS0_14default_configENS1_22reduce_config_selectorIxEEZNS1_11reduce_implILb1ES3_N6thrust23THRUST_200600_302600_NS6detail15normal_iteratorINS8_10device_ptrIxEEEEPffNS8_4plusIfEEEE10hipError_tPvRmT1_T2_T3_mT4_P12ihipStream_tbEUlT_E0_NS1_11comp_targetILNS1_3genE8ELNS1_11target_archE1030ELNS1_3gpuE2ELNS1_3repE0EEENS1_30default_config_static_selectorELNS0_4arch9wavefront6targetE1EEEvSK_.kd
    .uniform_work_group_size: 1
    .uses_dynamic_stack: false
    .vgpr_count:     0
    .vgpr_spill_count: 0
    .wavefront_size: 64
  - .agpr_count:     0
    .args:
      - .offset:         0
        .size:           40
        .value_kind:     by_value
    .group_segment_fixed_size: 96
    .kernarg_segment_align: 8
    .kernarg_segment_size: 40
    .language:       OpenCL C
    .language_version:
      - 2
      - 0
    .max_flat_workgroup_size: 256
    .name:           _ZN7rocprim17ROCPRIM_400000_NS6detail17trampoline_kernelINS0_14default_configENS1_22reduce_config_selectorIxEEZNS1_11reduce_implILb1ES3_N6thrust23THRUST_200600_302600_NS6detail15normal_iteratorINS8_10device_ptrIxEEEEPffNS8_4plusIfEEEE10hipError_tPvRmT1_T2_T3_mT4_P12ihipStream_tbEUlT_E1_NS1_11comp_targetILNS1_3genE0ELNS1_11target_archE4294967295ELNS1_3gpuE0ELNS1_3repE0EEENS1_30default_config_static_selectorELNS0_4arch9wavefront6targetE1EEEvSK_
    .private_segment_fixed_size: 0
    .sgpr_count:     51
    .sgpr_spill_count: 0
    .symbol:         _ZN7rocprim17ROCPRIM_400000_NS6detail17trampoline_kernelINS0_14default_configENS1_22reduce_config_selectorIxEEZNS1_11reduce_implILb1ES3_N6thrust23THRUST_200600_302600_NS6detail15normal_iteratorINS8_10device_ptrIxEEEEPffNS8_4plusIfEEEE10hipError_tPvRmT1_T2_T3_mT4_P12ihipStream_tbEUlT_E1_NS1_11comp_targetILNS1_3genE0ELNS1_11target_archE4294967295ELNS1_3gpuE0ELNS1_3repE0EEENS1_30default_config_static_selectorELNS0_4arch9wavefront6targetE1EEEvSK_.kd
    .uniform_work_group_size: 1
    .uses_dynamic_stack: false
    .vgpr_count:     38
    .vgpr_spill_count: 0
    .wavefront_size: 64
  - .agpr_count:     0
    .args:
      - .offset:         0
        .size:           40
        .value_kind:     by_value
    .group_segment_fixed_size: 0
    .kernarg_segment_align: 8
    .kernarg_segment_size: 40
    .language:       OpenCL C
    .language_version:
      - 2
      - 0
    .max_flat_workgroup_size: 256
    .name:           _ZN7rocprim17ROCPRIM_400000_NS6detail17trampoline_kernelINS0_14default_configENS1_22reduce_config_selectorIxEEZNS1_11reduce_implILb1ES3_N6thrust23THRUST_200600_302600_NS6detail15normal_iteratorINS8_10device_ptrIxEEEEPffNS8_4plusIfEEEE10hipError_tPvRmT1_T2_T3_mT4_P12ihipStream_tbEUlT_E1_NS1_11comp_targetILNS1_3genE5ELNS1_11target_archE942ELNS1_3gpuE9ELNS1_3repE0EEENS1_30default_config_static_selectorELNS0_4arch9wavefront6targetE1EEEvSK_
    .private_segment_fixed_size: 0
    .sgpr_count:     6
    .sgpr_spill_count: 0
    .symbol:         _ZN7rocprim17ROCPRIM_400000_NS6detail17trampoline_kernelINS0_14default_configENS1_22reduce_config_selectorIxEEZNS1_11reduce_implILb1ES3_N6thrust23THRUST_200600_302600_NS6detail15normal_iteratorINS8_10device_ptrIxEEEEPffNS8_4plusIfEEEE10hipError_tPvRmT1_T2_T3_mT4_P12ihipStream_tbEUlT_E1_NS1_11comp_targetILNS1_3genE5ELNS1_11target_archE942ELNS1_3gpuE9ELNS1_3repE0EEENS1_30default_config_static_selectorELNS0_4arch9wavefront6targetE1EEEvSK_.kd
    .uniform_work_group_size: 1
    .uses_dynamic_stack: false
    .vgpr_count:     0
    .vgpr_spill_count: 0
    .wavefront_size: 64
  - .agpr_count:     0
    .args:
      - .offset:         0
        .size:           40
        .value_kind:     by_value
    .group_segment_fixed_size: 0
    .kernarg_segment_align: 8
    .kernarg_segment_size: 40
    .language:       OpenCL C
    .language_version:
      - 2
      - 0
    .max_flat_workgroup_size: 256
    .name:           _ZN7rocprim17ROCPRIM_400000_NS6detail17trampoline_kernelINS0_14default_configENS1_22reduce_config_selectorIxEEZNS1_11reduce_implILb1ES3_N6thrust23THRUST_200600_302600_NS6detail15normal_iteratorINS8_10device_ptrIxEEEEPffNS8_4plusIfEEEE10hipError_tPvRmT1_T2_T3_mT4_P12ihipStream_tbEUlT_E1_NS1_11comp_targetILNS1_3genE4ELNS1_11target_archE910ELNS1_3gpuE8ELNS1_3repE0EEENS1_30default_config_static_selectorELNS0_4arch9wavefront6targetE1EEEvSK_
    .private_segment_fixed_size: 0
    .sgpr_count:     6
    .sgpr_spill_count: 0
    .symbol:         _ZN7rocprim17ROCPRIM_400000_NS6detail17trampoline_kernelINS0_14default_configENS1_22reduce_config_selectorIxEEZNS1_11reduce_implILb1ES3_N6thrust23THRUST_200600_302600_NS6detail15normal_iteratorINS8_10device_ptrIxEEEEPffNS8_4plusIfEEEE10hipError_tPvRmT1_T2_T3_mT4_P12ihipStream_tbEUlT_E1_NS1_11comp_targetILNS1_3genE4ELNS1_11target_archE910ELNS1_3gpuE8ELNS1_3repE0EEENS1_30default_config_static_selectorELNS0_4arch9wavefront6targetE1EEEvSK_.kd
    .uniform_work_group_size: 1
    .uses_dynamic_stack: false
    .vgpr_count:     0
    .vgpr_spill_count: 0
    .wavefront_size: 64
  - .agpr_count:     0
    .args:
      - .offset:         0
        .size:           40
        .value_kind:     by_value
    .group_segment_fixed_size: 0
    .kernarg_segment_align: 8
    .kernarg_segment_size: 40
    .language:       OpenCL C
    .language_version:
      - 2
      - 0
    .max_flat_workgroup_size: 256
    .name:           _ZN7rocprim17ROCPRIM_400000_NS6detail17trampoline_kernelINS0_14default_configENS1_22reduce_config_selectorIxEEZNS1_11reduce_implILb1ES3_N6thrust23THRUST_200600_302600_NS6detail15normal_iteratorINS8_10device_ptrIxEEEEPffNS8_4plusIfEEEE10hipError_tPvRmT1_T2_T3_mT4_P12ihipStream_tbEUlT_E1_NS1_11comp_targetILNS1_3genE3ELNS1_11target_archE908ELNS1_3gpuE7ELNS1_3repE0EEENS1_30default_config_static_selectorELNS0_4arch9wavefront6targetE1EEEvSK_
    .private_segment_fixed_size: 0
    .sgpr_count:     6
    .sgpr_spill_count: 0
    .symbol:         _ZN7rocprim17ROCPRIM_400000_NS6detail17trampoline_kernelINS0_14default_configENS1_22reduce_config_selectorIxEEZNS1_11reduce_implILb1ES3_N6thrust23THRUST_200600_302600_NS6detail15normal_iteratorINS8_10device_ptrIxEEEEPffNS8_4plusIfEEEE10hipError_tPvRmT1_T2_T3_mT4_P12ihipStream_tbEUlT_E1_NS1_11comp_targetILNS1_3genE3ELNS1_11target_archE908ELNS1_3gpuE7ELNS1_3repE0EEENS1_30default_config_static_selectorELNS0_4arch9wavefront6targetE1EEEvSK_.kd
    .uniform_work_group_size: 1
    .uses_dynamic_stack: false
    .vgpr_count:     0
    .vgpr_spill_count: 0
    .wavefront_size: 64
  - .agpr_count:     0
    .args:
      - .offset:         0
        .size:           40
        .value_kind:     by_value
    .group_segment_fixed_size: 0
    .kernarg_segment_align: 8
    .kernarg_segment_size: 40
    .language:       OpenCL C
    .language_version:
      - 2
      - 0
    .max_flat_workgroup_size: 256
    .name:           _ZN7rocprim17ROCPRIM_400000_NS6detail17trampoline_kernelINS0_14default_configENS1_22reduce_config_selectorIxEEZNS1_11reduce_implILb1ES3_N6thrust23THRUST_200600_302600_NS6detail15normal_iteratorINS8_10device_ptrIxEEEEPffNS8_4plusIfEEEE10hipError_tPvRmT1_T2_T3_mT4_P12ihipStream_tbEUlT_E1_NS1_11comp_targetILNS1_3genE2ELNS1_11target_archE906ELNS1_3gpuE6ELNS1_3repE0EEENS1_30default_config_static_selectorELNS0_4arch9wavefront6targetE1EEEvSK_
    .private_segment_fixed_size: 0
    .sgpr_count:     6
    .sgpr_spill_count: 0
    .symbol:         _ZN7rocprim17ROCPRIM_400000_NS6detail17trampoline_kernelINS0_14default_configENS1_22reduce_config_selectorIxEEZNS1_11reduce_implILb1ES3_N6thrust23THRUST_200600_302600_NS6detail15normal_iteratorINS8_10device_ptrIxEEEEPffNS8_4plusIfEEEE10hipError_tPvRmT1_T2_T3_mT4_P12ihipStream_tbEUlT_E1_NS1_11comp_targetILNS1_3genE2ELNS1_11target_archE906ELNS1_3gpuE6ELNS1_3repE0EEENS1_30default_config_static_selectorELNS0_4arch9wavefront6targetE1EEEvSK_.kd
    .uniform_work_group_size: 1
    .uses_dynamic_stack: false
    .vgpr_count:     0
    .vgpr_spill_count: 0
    .wavefront_size: 64
  - .agpr_count:     0
    .args:
      - .offset:         0
        .size:           40
        .value_kind:     by_value
    .group_segment_fixed_size: 0
    .kernarg_segment_align: 8
    .kernarg_segment_size: 40
    .language:       OpenCL C
    .language_version:
      - 2
      - 0
    .max_flat_workgroup_size: 256
    .name:           _ZN7rocprim17ROCPRIM_400000_NS6detail17trampoline_kernelINS0_14default_configENS1_22reduce_config_selectorIxEEZNS1_11reduce_implILb1ES3_N6thrust23THRUST_200600_302600_NS6detail15normal_iteratorINS8_10device_ptrIxEEEEPffNS8_4plusIfEEEE10hipError_tPvRmT1_T2_T3_mT4_P12ihipStream_tbEUlT_E1_NS1_11comp_targetILNS1_3genE10ELNS1_11target_archE1201ELNS1_3gpuE5ELNS1_3repE0EEENS1_30default_config_static_selectorELNS0_4arch9wavefront6targetE1EEEvSK_
    .private_segment_fixed_size: 0
    .sgpr_count:     6
    .sgpr_spill_count: 0
    .symbol:         _ZN7rocprim17ROCPRIM_400000_NS6detail17trampoline_kernelINS0_14default_configENS1_22reduce_config_selectorIxEEZNS1_11reduce_implILb1ES3_N6thrust23THRUST_200600_302600_NS6detail15normal_iteratorINS8_10device_ptrIxEEEEPffNS8_4plusIfEEEE10hipError_tPvRmT1_T2_T3_mT4_P12ihipStream_tbEUlT_E1_NS1_11comp_targetILNS1_3genE10ELNS1_11target_archE1201ELNS1_3gpuE5ELNS1_3repE0EEENS1_30default_config_static_selectorELNS0_4arch9wavefront6targetE1EEEvSK_.kd
    .uniform_work_group_size: 1
    .uses_dynamic_stack: false
    .vgpr_count:     0
    .vgpr_spill_count: 0
    .wavefront_size: 64
  - .agpr_count:     0
    .args:
      - .offset:         0
        .size:           40
        .value_kind:     by_value
    .group_segment_fixed_size: 0
    .kernarg_segment_align: 8
    .kernarg_segment_size: 40
    .language:       OpenCL C
    .language_version:
      - 2
      - 0
    .max_flat_workgroup_size: 256
    .name:           _ZN7rocprim17ROCPRIM_400000_NS6detail17trampoline_kernelINS0_14default_configENS1_22reduce_config_selectorIxEEZNS1_11reduce_implILb1ES3_N6thrust23THRUST_200600_302600_NS6detail15normal_iteratorINS8_10device_ptrIxEEEEPffNS8_4plusIfEEEE10hipError_tPvRmT1_T2_T3_mT4_P12ihipStream_tbEUlT_E1_NS1_11comp_targetILNS1_3genE10ELNS1_11target_archE1200ELNS1_3gpuE4ELNS1_3repE0EEENS1_30default_config_static_selectorELNS0_4arch9wavefront6targetE1EEEvSK_
    .private_segment_fixed_size: 0
    .sgpr_count:     6
    .sgpr_spill_count: 0
    .symbol:         _ZN7rocprim17ROCPRIM_400000_NS6detail17trampoline_kernelINS0_14default_configENS1_22reduce_config_selectorIxEEZNS1_11reduce_implILb1ES3_N6thrust23THRUST_200600_302600_NS6detail15normal_iteratorINS8_10device_ptrIxEEEEPffNS8_4plusIfEEEE10hipError_tPvRmT1_T2_T3_mT4_P12ihipStream_tbEUlT_E1_NS1_11comp_targetILNS1_3genE10ELNS1_11target_archE1200ELNS1_3gpuE4ELNS1_3repE0EEENS1_30default_config_static_selectorELNS0_4arch9wavefront6targetE1EEEvSK_.kd
    .uniform_work_group_size: 1
    .uses_dynamic_stack: false
    .vgpr_count:     0
    .vgpr_spill_count: 0
    .wavefront_size: 64
  - .agpr_count:     0
    .args:
      - .offset:         0
        .size:           40
        .value_kind:     by_value
    .group_segment_fixed_size: 0
    .kernarg_segment_align: 8
    .kernarg_segment_size: 40
    .language:       OpenCL C
    .language_version:
      - 2
      - 0
    .max_flat_workgroup_size: 256
    .name:           _ZN7rocprim17ROCPRIM_400000_NS6detail17trampoline_kernelINS0_14default_configENS1_22reduce_config_selectorIxEEZNS1_11reduce_implILb1ES3_N6thrust23THRUST_200600_302600_NS6detail15normal_iteratorINS8_10device_ptrIxEEEEPffNS8_4plusIfEEEE10hipError_tPvRmT1_T2_T3_mT4_P12ihipStream_tbEUlT_E1_NS1_11comp_targetILNS1_3genE9ELNS1_11target_archE1100ELNS1_3gpuE3ELNS1_3repE0EEENS1_30default_config_static_selectorELNS0_4arch9wavefront6targetE1EEEvSK_
    .private_segment_fixed_size: 0
    .sgpr_count:     6
    .sgpr_spill_count: 0
    .symbol:         _ZN7rocprim17ROCPRIM_400000_NS6detail17trampoline_kernelINS0_14default_configENS1_22reduce_config_selectorIxEEZNS1_11reduce_implILb1ES3_N6thrust23THRUST_200600_302600_NS6detail15normal_iteratorINS8_10device_ptrIxEEEEPffNS8_4plusIfEEEE10hipError_tPvRmT1_T2_T3_mT4_P12ihipStream_tbEUlT_E1_NS1_11comp_targetILNS1_3genE9ELNS1_11target_archE1100ELNS1_3gpuE3ELNS1_3repE0EEENS1_30default_config_static_selectorELNS0_4arch9wavefront6targetE1EEEvSK_.kd
    .uniform_work_group_size: 1
    .uses_dynamic_stack: false
    .vgpr_count:     0
    .vgpr_spill_count: 0
    .wavefront_size: 64
  - .agpr_count:     0
    .args:
      - .offset:         0
        .size:           40
        .value_kind:     by_value
    .group_segment_fixed_size: 0
    .kernarg_segment_align: 8
    .kernarg_segment_size: 40
    .language:       OpenCL C
    .language_version:
      - 2
      - 0
    .max_flat_workgroup_size: 256
    .name:           _ZN7rocprim17ROCPRIM_400000_NS6detail17trampoline_kernelINS0_14default_configENS1_22reduce_config_selectorIxEEZNS1_11reduce_implILb1ES3_N6thrust23THRUST_200600_302600_NS6detail15normal_iteratorINS8_10device_ptrIxEEEEPffNS8_4plusIfEEEE10hipError_tPvRmT1_T2_T3_mT4_P12ihipStream_tbEUlT_E1_NS1_11comp_targetILNS1_3genE8ELNS1_11target_archE1030ELNS1_3gpuE2ELNS1_3repE0EEENS1_30default_config_static_selectorELNS0_4arch9wavefront6targetE1EEEvSK_
    .private_segment_fixed_size: 0
    .sgpr_count:     6
    .sgpr_spill_count: 0
    .symbol:         _ZN7rocprim17ROCPRIM_400000_NS6detail17trampoline_kernelINS0_14default_configENS1_22reduce_config_selectorIxEEZNS1_11reduce_implILb1ES3_N6thrust23THRUST_200600_302600_NS6detail15normal_iteratorINS8_10device_ptrIxEEEEPffNS8_4plusIfEEEE10hipError_tPvRmT1_T2_T3_mT4_P12ihipStream_tbEUlT_E1_NS1_11comp_targetILNS1_3genE8ELNS1_11target_archE1030ELNS1_3gpuE2ELNS1_3repE0EEENS1_30default_config_static_selectorELNS0_4arch9wavefront6targetE1EEEvSK_.kd
    .uniform_work_group_size: 1
    .uses_dynamic_stack: false
    .vgpr_count:     0
    .vgpr_spill_count: 0
    .wavefront_size: 64
  - .agpr_count:     0
    .args:
      - .offset:         0
        .size:           56
        .value_kind:     by_value
    .group_segment_fixed_size: 32
    .kernarg_segment_align: 8
    .kernarg_segment_size: 56
    .language:       OpenCL C
    .language_version:
      - 2
      - 0
    .max_flat_workgroup_size: 256
    .name:           _ZN7rocprim17ROCPRIM_400000_NS6detail17trampoline_kernelINS0_14default_configENS1_22reduce_config_selectorIiEEZNS1_11reduce_implILb1ES3_N6thrust23THRUST_200600_302600_NS6detail15normal_iteratorINS8_10device_ptrIiEEEEPffNS8_4plusIfEEEE10hipError_tPvRmT1_T2_T3_mT4_P12ihipStream_tbEUlT_E0_NS1_11comp_targetILNS1_3genE0ELNS1_11target_archE4294967295ELNS1_3gpuE0ELNS1_3repE0EEENS1_30default_config_static_selectorELNS0_4arch9wavefront6targetE1EEEvSK_
    .private_segment_fixed_size: 0
    .sgpr_count:     26
    .sgpr_spill_count: 0
    .symbol:         _ZN7rocprim17ROCPRIM_400000_NS6detail17trampoline_kernelINS0_14default_configENS1_22reduce_config_selectorIiEEZNS1_11reduce_implILb1ES3_N6thrust23THRUST_200600_302600_NS6detail15normal_iteratorINS8_10device_ptrIiEEEEPffNS8_4plusIfEEEE10hipError_tPvRmT1_T2_T3_mT4_P12ihipStream_tbEUlT_E0_NS1_11comp_targetILNS1_3genE0ELNS1_11target_archE4294967295ELNS1_3gpuE0ELNS1_3repE0EEENS1_30default_config_static_selectorELNS0_4arch9wavefront6targetE1EEEvSK_.kd
    .uniform_work_group_size: 1
    .uses_dynamic_stack: false
    .vgpr_count:     12
    .vgpr_spill_count: 0
    .wavefront_size: 64
  - .agpr_count:     0
    .args:
      - .offset:         0
        .size:           56
        .value_kind:     by_value
    .group_segment_fixed_size: 0
    .kernarg_segment_align: 8
    .kernarg_segment_size: 56
    .language:       OpenCL C
    .language_version:
      - 2
      - 0
    .max_flat_workgroup_size: 256
    .name:           _ZN7rocprim17ROCPRIM_400000_NS6detail17trampoline_kernelINS0_14default_configENS1_22reduce_config_selectorIiEEZNS1_11reduce_implILb1ES3_N6thrust23THRUST_200600_302600_NS6detail15normal_iteratorINS8_10device_ptrIiEEEEPffNS8_4plusIfEEEE10hipError_tPvRmT1_T2_T3_mT4_P12ihipStream_tbEUlT_E0_NS1_11comp_targetILNS1_3genE5ELNS1_11target_archE942ELNS1_3gpuE9ELNS1_3repE0EEENS1_30default_config_static_selectorELNS0_4arch9wavefront6targetE1EEEvSK_
    .private_segment_fixed_size: 0
    .sgpr_count:     6
    .sgpr_spill_count: 0
    .symbol:         _ZN7rocprim17ROCPRIM_400000_NS6detail17trampoline_kernelINS0_14default_configENS1_22reduce_config_selectorIiEEZNS1_11reduce_implILb1ES3_N6thrust23THRUST_200600_302600_NS6detail15normal_iteratorINS8_10device_ptrIiEEEEPffNS8_4plusIfEEEE10hipError_tPvRmT1_T2_T3_mT4_P12ihipStream_tbEUlT_E0_NS1_11comp_targetILNS1_3genE5ELNS1_11target_archE942ELNS1_3gpuE9ELNS1_3repE0EEENS1_30default_config_static_selectorELNS0_4arch9wavefront6targetE1EEEvSK_.kd
    .uniform_work_group_size: 1
    .uses_dynamic_stack: false
    .vgpr_count:     0
    .vgpr_spill_count: 0
    .wavefront_size: 64
  - .agpr_count:     0
    .args:
      - .offset:         0
        .size:           56
        .value_kind:     by_value
    .group_segment_fixed_size: 0
    .kernarg_segment_align: 8
    .kernarg_segment_size: 56
    .language:       OpenCL C
    .language_version:
      - 2
      - 0
    .max_flat_workgroup_size: 128
    .name:           _ZN7rocprim17ROCPRIM_400000_NS6detail17trampoline_kernelINS0_14default_configENS1_22reduce_config_selectorIiEEZNS1_11reduce_implILb1ES3_N6thrust23THRUST_200600_302600_NS6detail15normal_iteratorINS8_10device_ptrIiEEEEPffNS8_4plusIfEEEE10hipError_tPvRmT1_T2_T3_mT4_P12ihipStream_tbEUlT_E0_NS1_11comp_targetILNS1_3genE4ELNS1_11target_archE910ELNS1_3gpuE8ELNS1_3repE0EEENS1_30default_config_static_selectorELNS0_4arch9wavefront6targetE1EEEvSK_
    .private_segment_fixed_size: 0
    .sgpr_count:     6
    .sgpr_spill_count: 0
    .symbol:         _ZN7rocprim17ROCPRIM_400000_NS6detail17trampoline_kernelINS0_14default_configENS1_22reduce_config_selectorIiEEZNS1_11reduce_implILb1ES3_N6thrust23THRUST_200600_302600_NS6detail15normal_iteratorINS8_10device_ptrIiEEEEPffNS8_4plusIfEEEE10hipError_tPvRmT1_T2_T3_mT4_P12ihipStream_tbEUlT_E0_NS1_11comp_targetILNS1_3genE4ELNS1_11target_archE910ELNS1_3gpuE8ELNS1_3repE0EEENS1_30default_config_static_selectorELNS0_4arch9wavefront6targetE1EEEvSK_.kd
    .uniform_work_group_size: 1
    .uses_dynamic_stack: false
    .vgpr_count:     0
    .vgpr_spill_count: 0
    .wavefront_size: 64
  - .agpr_count:     0
    .args:
      - .offset:         0
        .size:           56
        .value_kind:     by_value
    .group_segment_fixed_size: 0
    .kernarg_segment_align: 8
    .kernarg_segment_size: 56
    .language:       OpenCL C
    .language_version:
      - 2
      - 0
    .max_flat_workgroup_size: 256
    .name:           _ZN7rocprim17ROCPRIM_400000_NS6detail17trampoline_kernelINS0_14default_configENS1_22reduce_config_selectorIiEEZNS1_11reduce_implILb1ES3_N6thrust23THRUST_200600_302600_NS6detail15normal_iteratorINS8_10device_ptrIiEEEEPffNS8_4plusIfEEEE10hipError_tPvRmT1_T2_T3_mT4_P12ihipStream_tbEUlT_E0_NS1_11comp_targetILNS1_3genE3ELNS1_11target_archE908ELNS1_3gpuE7ELNS1_3repE0EEENS1_30default_config_static_selectorELNS0_4arch9wavefront6targetE1EEEvSK_
    .private_segment_fixed_size: 0
    .sgpr_count:     6
    .sgpr_spill_count: 0
    .symbol:         _ZN7rocprim17ROCPRIM_400000_NS6detail17trampoline_kernelINS0_14default_configENS1_22reduce_config_selectorIiEEZNS1_11reduce_implILb1ES3_N6thrust23THRUST_200600_302600_NS6detail15normal_iteratorINS8_10device_ptrIiEEEEPffNS8_4plusIfEEEE10hipError_tPvRmT1_T2_T3_mT4_P12ihipStream_tbEUlT_E0_NS1_11comp_targetILNS1_3genE3ELNS1_11target_archE908ELNS1_3gpuE7ELNS1_3repE0EEENS1_30default_config_static_selectorELNS0_4arch9wavefront6targetE1EEEvSK_.kd
    .uniform_work_group_size: 1
    .uses_dynamic_stack: false
    .vgpr_count:     0
    .vgpr_spill_count: 0
    .wavefront_size: 64
  - .agpr_count:     0
    .args:
      - .offset:         0
        .size:           56
        .value_kind:     by_value
    .group_segment_fixed_size: 0
    .kernarg_segment_align: 8
    .kernarg_segment_size: 56
    .language:       OpenCL C
    .language_version:
      - 2
      - 0
    .max_flat_workgroup_size: 256
    .name:           _ZN7rocprim17ROCPRIM_400000_NS6detail17trampoline_kernelINS0_14default_configENS1_22reduce_config_selectorIiEEZNS1_11reduce_implILb1ES3_N6thrust23THRUST_200600_302600_NS6detail15normal_iteratorINS8_10device_ptrIiEEEEPffNS8_4plusIfEEEE10hipError_tPvRmT1_T2_T3_mT4_P12ihipStream_tbEUlT_E0_NS1_11comp_targetILNS1_3genE2ELNS1_11target_archE906ELNS1_3gpuE6ELNS1_3repE0EEENS1_30default_config_static_selectorELNS0_4arch9wavefront6targetE1EEEvSK_
    .private_segment_fixed_size: 0
    .sgpr_count:     6
    .sgpr_spill_count: 0
    .symbol:         _ZN7rocprim17ROCPRIM_400000_NS6detail17trampoline_kernelINS0_14default_configENS1_22reduce_config_selectorIiEEZNS1_11reduce_implILb1ES3_N6thrust23THRUST_200600_302600_NS6detail15normal_iteratorINS8_10device_ptrIiEEEEPffNS8_4plusIfEEEE10hipError_tPvRmT1_T2_T3_mT4_P12ihipStream_tbEUlT_E0_NS1_11comp_targetILNS1_3genE2ELNS1_11target_archE906ELNS1_3gpuE6ELNS1_3repE0EEENS1_30default_config_static_selectorELNS0_4arch9wavefront6targetE1EEEvSK_.kd
    .uniform_work_group_size: 1
    .uses_dynamic_stack: false
    .vgpr_count:     0
    .vgpr_spill_count: 0
    .wavefront_size: 64
  - .agpr_count:     0
    .args:
      - .offset:         0
        .size:           56
        .value_kind:     by_value
    .group_segment_fixed_size: 0
    .kernarg_segment_align: 8
    .kernarg_segment_size: 56
    .language:       OpenCL C
    .language_version:
      - 2
      - 0
    .max_flat_workgroup_size: 256
    .name:           _ZN7rocprim17ROCPRIM_400000_NS6detail17trampoline_kernelINS0_14default_configENS1_22reduce_config_selectorIiEEZNS1_11reduce_implILb1ES3_N6thrust23THRUST_200600_302600_NS6detail15normal_iteratorINS8_10device_ptrIiEEEEPffNS8_4plusIfEEEE10hipError_tPvRmT1_T2_T3_mT4_P12ihipStream_tbEUlT_E0_NS1_11comp_targetILNS1_3genE10ELNS1_11target_archE1201ELNS1_3gpuE5ELNS1_3repE0EEENS1_30default_config_static_selectorELNS0_4arch9wavefront6targetE1EEEvSK_
    .private_segment_fixed_size: 0
    .sgpr_count:     6
    .sgpr_spill_count: 0
    .symbol:         _ZN7rocprim17ROCPRIM_400000_NS6detail17trampoline_kernelINS0_14default_configENS1_22reduce_config_selectorIiEEZNS1_11reduce_implILb1ES3_N6thrust23THRUST_200600_302600_NS6detail15normal_iteratorINS8_10device_ptrIiEEEEPffNS8_4plusIfEEEE10hipError_tPvRmT1_T2_T3_mT4_P12ihipStream_tbEUlT_E0_NS1_11comp_targetILNS1_3genE10ELNS1_11target_archE1201ELNS1_3gpuE5ELNS1_3repE0EEENS1_30default_config_static_selectorELNS0_4arch9wavefront6targetE1EEEvSK_.kd
    .uniform_work_group_size: 1
    .uses_dynamic_stack: false
    .vgpr_count:     0
    .vgpr_spill_count: 0
    .wavefront_size: 64
  - .agpr_count:     0
    .args:
      - .offset:         0
        .size:           56
        .value_kind:     by_value
    .group_segment_fixed_size: 0
    .kernarg_segment_align: 8
    .kernarg_segment_size: 56
    .language:       OpenCL C
    .language_version:
      - 2
      - 0
    .max_flat_workgroup_size: 256
    .name:           _ZN7rocprim17ROCPRIM_400000_NS6detail17trampoline_kernelINS0_14default_configENS1_22reduce_config_selectorIiEEZNS1_11reduce_implILb1ES3_N6thrust23THRUST_200600_302600_NS6detail15normal_iteratorINS8_10device_ptrIiEEEEPffNS8_4plusIfEEEE10hipError_tPvRmT1_T2_T3_mT4_P12ihipStream_tbEUlT_E0_NS1_11comp_targetILNS1_3genE10ELNS1_11target_archE1200ELNS1_3gpuE4ELNS1_3repE0EEENS1_30default_config_static_selectorELNS0_4arch9wavefront6targetE1EEEvSK_
    .private_segment_fixed_size: 0
    .sgpr_count:     6
    .sgpr_spill_count: 0
    .symbol:         _ZN7rocprim17ROCPRIM_400000_NS6detail17trampoline_kernelINS0_14default_configENS1_22reduce_config_selectorIiEEZNS1_11reduce_implILb1ES3_N6thrust23THRUST_200600_302600_NS6detail15normal_iteratorINS8_10device_ptrIiEEEEPffNS8_4plusIfEEEE10hipError_tPvRmT1_T2_T3_mT4_P12ihipStream_tbEUlT_E0_NS1_11comp_targetILNS1_3genE10ELNS1_11target_archE1200ELNS1_3gpuE4ELNS1_3repE0EEENS1_30default_config_static_selectorELNS0_4arch9wavefront6targetE1EEEvSK_.kd
    .uniform_work_group_size: 1
    .uses_dynamic_stack: false
    .vgpr_count:     0
    .vgpr_spill_count: 0
    .wavefront_size: 64
  - .agpr_count:     0
    .args:
      - .offset:         0
        .size:           56
        .value_kind:     by_value
    .group_segment_fixed_size: 0
    .kernarg_segment_align: 8
    .kernarg_segment_size: 56
    .language:       OpenCL C
    .language_version:
      - 2
      - 0
    .max_flat_workgroup_size: 256
    .name:           _ZN7rocprim17ROCPRIM_400000_NS6detail17trampoline_kernelINS0_14default_configENS1_22reduce_config_selectorIiEEZNS1_11reduce_implILb1ES3_N6thrust23THRUST_200600_302600_NS6detail15normal_iteratorINS8_10device_ptrIiEEEEPffNS8_4plusIfEEEE10hipError_tPvRmT1_T2_T3_mT4_P12ihipStream_tbEUlT_E0_NS1_11comp_targetILNS1_3genE9ELNS1_11target_archE1100ELNS1_3gpuE3ELNS1_3repE0EEENS1_30default_config_static_selectorELNS0_4arch9wavefront6targetE1EEEvSK_
    .private_segment_fixed_size: 0
    .sgpr_count:     6
    .sgpr_spill_count: 0
    .symbol:         _ZN7rocprim17ROCPRIM_400000_NS6detail17trampoline_kernelINS0_14default_configENS1_22reduce_config_selectorIiEEZNS1_11reduce_implILb1ES3_N6thrust23THRUST_200600_302600_NS6detail15normal_iteratorINS8_10device_ptrIiEEEEPffNS8_4plusIfEEEE10hipError_tPvRmT1_T2_T3_mT4_P12ihipStream_tbEUlT_E0_NS1_11comp_targetILNS1_3genE9ELNS1_11target_archE1100ELNS1_3gpuE3ELNS1_3repE0EEENS1_30default_config_static_selectorELNS0_4arch9wavefront6targetE1EEEvSK_.kd
    .uniform_work_group_size: 1
    .uses_dynamic_stack: false
    .vgpr_count:     0
    .vgpr_spill_count: 0
    .wavefront_size: 64
  - .agpr_count:     0
    .args:
      - .offset:         0
        .size:           56
        .value_kind:     by_value
    .group_segment_fixed_size: 0
    .kernarg_segment_align: 8
    .kernarg_segment_size: 56
    .language:       OpenCL C
    .language_version:
      - 2
      - 0
    .max_flat_workgroup_size: 256
    .name:           _ZN7rocprim17ROCPRIM_400000_NS6detail17trampoline_kernelINS0_14default_configENS1_22reduce_config_selectorIiEEZNS1_11reduce_implILb1ES3_N6thrust23THRUST_200600_302600_NS6detail15normal_iteratorINS8_10device_ptrIiEEEEPffNS8_4plusIfEEEE10hipError_tPvRmT1_T2_T3_mT4_P12ihipStream_tbEUlT_E0_NS1_11comp_targetILNS1_3genE8ELNS1_11target_archE1030ELNS1_3gpuE2ELNS1_3repE0EEENS1_30default_config_static_selectorELNS0_4arch9wavefront6targetE1EEEvSK_
    .private_segment_fixed_size: 0
    .sgpr_count:     6
    .sgpr_spill_count: 0
    .symbol:         _ZN7rocprim17ROCPRIM_400000_NS6detail17trampoline_kernelINS0_14default_configENS1_22reduce_config_selectorIiEEZNS1_11reduce_implILb1ES3_N6thrust23THRUST_200600_302600_NS6detail15normal_iteratorINS8_10device_ptrIiEEEEPffNS8_4plusIfEEEE10hipError_tPvRmT1_T2_T3_mT4_P12ihipStream_tbEUlT_E0_NS1_11comp_targetILNS1_3genE8ELNS1_11target_archE1030ELNS1_3gpuE2ELNS1_3repE0EEENS1_30default_config_static_selectorELNS0_4arch9wavefront6targetE1EEEvSK_.kd
    .uniform_work_group_size: 1
    .uses_dynamic_stack: false
    .vgpr_count:     0
    .vgpr_spill_count: 0
    .wavefront_size: 64
  - .agpr_count:     0
    .args:
      - .offset:         0
        .size:           40
        .value_kind:     by_value
    .group_segment_fixed_size: 112
    .kernarg_segment_align: 8
    .kernarg_segment_size: 40
    .language:       OpenCL C
    .language_version:
      - 2
      - 0
    .max_flat_workgroup_size: 256
    .name:           _ZN7rocprim17ROCPRIM_400000_NS6detail17trampoline_kernelINS0_14default_configENS1_22reduce_config_selectorIiEEZNS1_11reduce_implILb1ES3_N6thrust23THRUST_200600_302600_NS6detail15normal_iteratorINS8_10device_ptrIiEEEEPffNS8_4plusIfEEEE10hipError_tPvRmT1_T2_T3_mT4_P12ihipStream_tbEUlT_E1_NS1_11comp_targetILNS1_3genE0ELNS1_11target_archE4294967295ELNS1_3gpuE0ELNS1_3repE0EEENS1_30default_config_static_selectorELNS0_4arch9wavefront6targetE1EEEvSK_
    .private_segment_fixed_size: 0
    .sgpr_count:     83
    .sgpr_spill_count: 0
    .symbol:         _ZN7rocprim17ROCPRIM_400000_NS6detail17trampoline_kernelINS0_14default_configENS1_22reduce_config_selectorIiEEZNS1_11reduce_implILb1ES3_N6thrust23THRUST_200600_302600_NS6detail15normal_iteratorINS8_10device_ptrIiEEEEPffNS8_4plusIfEEEE10hipError_tPvRmT1_T2_T3_mT4_P12ihipStream_tbEUlT_E1_NS1_11comp_targetILNS1_3genE0ELNS1_11target_archE4294967295ELNS1_3gpuE0ELNS1_3repE0EEENS1_30default_config_static_selectorELNS0_4arch9wavefront6targetE1EEEvSK_.kd
    .uniform_work_group_size: 1
    .uses_dynamic_stack: false
    .vgpr_count:     36
    .vgpr_spill_count: 0
    .wavefront_size: 64
  - .agpr_count:     0
    .args:
      - .offset:         0
        .size:           40
        .value_kind:     by_value
    .group_segment_fixed_size: 0
    .kernarg_segment_align: 8
    .kernarg_segment_size: 40
    .language:       OpenCL C
    .language_version:
      - 2
      - 0
    .max_flat_workgroup_size: 256
    .name:           _ZN7rocprim17ROCPRIM_400000_NS6detail17trampoline_kernelINS0_14default_configENS1_22reduce_config_selectorIiEEZNS1_11reduce_implILb1ES3_N6thrust23THRUST_200600_302600_NS6detail15normal_iteratorINS8_10device_ptrIiEEEEPffNS8_4plusIfEEEE10hipError_tPvRmT1_T2_T3_mT4_P12ihipStream_tbEUlT_E1_NS1_11comp_targetILNS1_3genE5ELNS1_11target_archE942ELNS1_3gpuE9ELNS1_3repE0EEENS1_30default_config_static_selectorELNS0_4arch9wavefront6targetE1EEEvSK_
    .private_segment_fixed_size: 0
    .sgpr_count:     6
    .sgpr_spill_count: 0
    .symbol:         _ZN7rocprim17ROCPRIM_400000_NS6detail17trampoline_kernelINS0_14default_configENS1_22reduce_config_selectorIiEEZNS1_11reduce_implILb1ES3_N6thrust23THRUST_200600_302600_NS6detail15normal_iteratorINS8_10device_ptrIiEEEEPffNS8_4plusIfEEEE10hipError_tPvRmT1_T2_T3_mT4_P12ihipStream_tbEUlT_E1_NS1_11comp_targetILNS1_3genE5ELNS1_11target_archE942ELNS1_3gpuE9ELNS1_3repE0EEENS1_30default_config_static_selectorELNS0_4arch9wavefront6targetE1EEEvSK_.kd
    .uniform_work_group_size: 1
    .uses_dynamic_stack: false
    .vgpr_count:     0
    .vgpr_spill_count: 0
    .wavefront_size: 64
  - .agpr_count:     0
    .args:
      - .offset:         0
        .size:           40
        .value_kind:     by_value
    .group_segment_fixed_size: 0
    .kernarg_segment_align: 8
    .kernarg_segment_size: 40
    .language:       OpenCL C
    .language_version:
      - 2
      - 0
    .max_flat_workgroup_size: 128
    .name:           _ZN7rocprim17ROCPRIM_400000_NS6detail17trampoline_kernelINS0_14default_configENS1_22reduce_config_selectorIiEEZNS1_11reduce_implILb1ES3_N6thrust23THRUST_200600_302600_NS6detail15normal_iteratorINS8_10device_ptrIiEEEEPffNS8_4plusIfEEEE10hipError_tPvRmT1_T2_T3_mT4_P12ihipStream_tbEUlT_E1_NS1_11comp_targetILNS1_3genE4ELNS1_11target_archE910ELNS1_3gpuE8ELNS1_3repE0EEENS1_30default_config_static_selectorELNS0_4arch9wavefront6targetE1EEEvSK_
    .private_segment_fixed_size: 0
    .sgpr_count:     6
    .sgpr_spill_count: 0
    .symbol:         _ZN7rocprim17ROCPRIM_400000_NS6detail17trampoline_kernelINS0_14default_configENS1_22reduce_config_selectorIiEEZNS1_11reduce_implILb1ES3_N6thrust23THRUST_200600_302600_NS6detail15normal_iteratorINS8_10device_ptrIiEEEEPffNS8_4plusIfEEEE10hipError_tPvRmT1_T2_T3_mT4_P12ihipStream_tbEUlT_E1_NS1_11comp_targetILNS1_3genE4ELNS1_11target_archE910ELNS1_3gpuE8ELNS1_3repE0EEENS1_30default_config_static_selectorELNS0_4arch9wavefront6targetE1EEEvSK_.kd
    .uniform_work_group_size: 1
    .uses_dynamic_stack: false
    .vgpr_count:     0
    .vgpr_spill_count: 0
    .wavefront_size: 64
  - .agpr_count:     0
    .args:
      - .offset:         0
        .size:           40
        .value_kind:     by_value
    .group_segment_fixed_size: 0
    .kernarg_segment_align: 8
    .kernarg_segment_size: 40
    .language:       OpenCL C
    .language_version:
      - 2
      - 0
    .max_flat_workgroup_size: 256
    .name:           _ZN7rocprim17ROCPRIM_400000_NS6detail17trampoline_kernelINS0_14default_configENS1_22reduce_config_selectorIiEEZNS1_11reduce_implILb1ES3_N6thrust23THRUST_200600_302600_NS6detail15normal_iteratorINS8_10device_ptrIiEEEEPffNS8_4plusIfEEEE10hipError_tPvRmT1_T2_T3_mT4_P12ihipStream_tbEUlT_E1_NS1_11comp_targetILNS1_3genE3ELNS1_11target_archE908ELNS1_3gpuE7ELNS1_3repE0EEENS1_30default_config_static_selectorELNS0_4arch9wavefront6targetE1EEEvSK_
    .private_segment_fixed_size: 0
    .sgpr_count:     6
    .sgpr_spill_count: 0
    .symbol:         _ZN7rocprim17ROCPRIM_400000_NS6detail17trampoline_kernelINS0_14default_configENS1_22reduce_config_selectorIiEEZNS1_11reduce_implILb1ES3_N6thrust23THRUST_200600_302600_NS6detail15normal_iteratorINS8_10device_ptrIiEEEEPffNS8_4plusIfEEEE10hipError_tPvRmT1_T2_T3_mT4_P12ihipStream_tbEUlT_E1_NS1_11comp_targetILNS1_3genE3ELNS1_11target_archE908ELNS1_3gpuE7ELNS1_3repE0EEENS1_30default_config_static_selectorELNS0_4arch9wavefront6targetE1EEEvSK_.kd
    .uniform_work_group_size: 1
    .uses_dynamic_stack: false
    .vgpr_count:     0
    .vgpr_spill_count: 0
    .wavefront_size: 64
  - .agpr_count:     0
    .args:
      - .offset:         0
        .size:           40
        .value_kind:     by_value
    .group_segment_fixed_size: 0
    .kernarg_segment_align: 8
    .kernarg_segment_size: 40
    .language:       OpenCL C
    .language_version:
      - 2
      - 0
    .max_flat_workgroup_size: 256
    .name:           _ZN7rocprim17ROCPRIM_400000_NS6detail17trampoline_kernelINS0_14default_configENS1_22reduce_config_selectorIiEEZNS1_11reduce_implILb1ES3_N6thrust23THRUST_200600_302600_NS6detail15normal_iteratorINS8_10device_ptrIiEEEEPffNS8_4plusIfEEEE10hipError_tPvRmT1_T2_T3_mT4_P12ihipStream_tbEUlT_E1_NS1_11comp_targetILNS1_3genE2ELNS1_11target_archE906ELNS1_3gpuE6ELNS1_3repE0EEENS1_30default_config_static_selectorELNS0_4arch9wavefront6targetE1EEEvSK_
    .private_segment_fixed_size: 0
    .sgpr_count:     6
    .sgpr_spill_count: 0
    .symbol:         _ZN7rocprim17ROCPRIM_400000_NS6detail17trampoline_kernelINS0_14default_configENS1_22reduce_config_selectorIiEEZNS1_11reduce_implILb1ES3_N6thrust23THRUST_200600_302600_NS6detail15normal_iteratorINS8_10device_ptrIiEEEEPffNS8_4plusIfEEEE10hipError_tPvRmT1_T2_T3_mT4_P12ihipStream_tbEUlT_E1_NS1_11comp_targetILNS1_3genE2ELNS1_11target_archE906ELNS1_3gpuE6ELNS1_3repE0EEENS1_30default_config_static_selectorELNS0_4arch9wavefront6targetE1EEEvSK_.kd
    .uniform_work_group_size: 1
    .uses_dynamic_stack: false
    .vgpr_count:     0
    .vgpr_spill_count: 0
    .wavefront_size: 64
  - .agpr_count:     0
    .args:
      - .offset:         0
        .size:           40
        .value_kind:     by_value
    .group_segment_fixed_size: 0
    .kernarg_segment_align: 8
    .kernarg_segment_size: 40
    .language:       OpenCL C
    .language_version:
      - 2
      - 0
    .max_flat_workgroup_size: 256
    .name:           _ZN7rocprim17ROCPRIM_400000_NS6detail17trampoline_kernelINS0_14default_configENS1_22reduce_config_selectorIiEEZNS1_11reduce_implILb1ES3_N6thrust23THRUST_200600_302600_NS6detail15normal_iteratorINS8_10device_ptrIiEEEEPffNS8_4plusIfEEEE10hipError_tPvRmT1_T2_T3_mT4_P12ihipStream_tbEUlT_E1_NS1_11comp_targetILNS1_3genE10ELNS1_11target_archE1201ELNS1_3gpuE5ELNS1_3repE0EEENS1_30default_config_static_selectorELNS0_4arch9wavefront6targetE1EEEvSK_
    .private_segment_fixed_size: 0
    .sgpr_count:     6
    .sgpr_spill_count: 0
    .symbol:         _ZN7rocprim17ROCPRIM_400000_NS6detail17trampoline_kernelINS0_14default_configENS1_22reduce_config_selectorIiEEZNS1_11reduce_implILb1ES3_N6thrust23THRUST_200600_302600_NS6detail15normal_iteratorINS8_10device_ptrIiEEEEPffNS8_4plusIfEEEE10hipError_tPvRmT1_T2_T3_mT4_P12ihipStream_tbEUlT_E1_NS1_11comp_targetILNS1_3genE10ELNS1_11target_archE1201ELNS1_3gpuE5ELNS1_3repE0EEENS1_30default_config_static_selectorELNS0_4arch9wavefront6targetE1EEEvSK_.kd
    .uniform_work_group_size: 1
    .uses_dynamic_stack: false
    .vgpr_count:     0
    .vgpr_spill_count: 0
    .wavefront_size: 64
  - .agpr_count:     0
    .args:
      - .offset:         0
        .size:           40
        .value_kind:     by_value
    .group_segment_fixed_size: 0
    .kernarg_segment_align: 8
    .kernarg_segment_size: 40
    .language:       OpenCL C
    .language_version:
      - 2
      - 0
    .max_flat_workgroup_size: 256
    .name:           _ZN7rocprim17ROCPRIM_400000_NS6detail17trampoline_kernelINS0_14default_configENS1_22reduce_config_selectorIiEEZNS1_11reduce_implILb1ES3_N6thrust23THRUST_200600_302600_NS6detail15normal_iteratorINS8_10device_ptrIiEEEEPffNS8_4plusIfEEEE10hipError_tPvRmT1_T2_T3_mT4_P12ihipStream_tbEUlT_E1_NS1_11comp_targetILNS1_3genE10ELNS1_11target_archE1200ELNS1_3gpuE4ELNS1_3repE0EEENS1_30default_config_static_selectorELNS0_4arch9wavefront6targetE1EEEvSK_
    .private_segment_fixed_size: 0
    .sgpr_count:     6
    .sgpr_spill_count: 0
    .symbol:         _ZN7rocprim17ROCPRIM_400000_NS6detail17trampoline_kernelINS0_14default_configENS1_22reduce_config_selectorIiEEZNS1_11reduce_implILb1ES3_N6thrust23THRUST_200600_302600_NS6detail15normal_iteratorINS8_10device_ptrIiEEEEPffNS8_4plusIfEEEE10hipError_tPvRmT1_T2_T3_mT4_P12ihipStream_tbEUlT_E1_NS1_11comp_targetILNS1_3genE10ELNS1_11target_archE1200ELNS1_3gpuE4ELNS1_3repE0EEENS1_30default_config_static_selectorELNS0_4arch9wavefront6targetE1EEEvSK_.kd
    .uniform_work_group_size: 1
    .uses_dynamic_stack: false
    .vgpr_count:     0
    .vgpr_spill_count: 0
    .wavefront_size: 64
  - .agpr_count:     0
    .args:
      - .offset:         0
        .size:           40
        .value_kind:     by_value
    .group_segment_fixed_size: 0
    .kernarg_segment_align: 8
    .kernarg_segment_size: 40
    .language:       OpenCL C
    .language_version:
      - 2
      - 0
    .max_flat_workgroup_size: 256
    .name:           _ZN7rocprim17ROCPRIM_400000_NS6detail17trampoline_kernelINS0_14default_configENS1_22reduce_config_selectorIiEEZNS1_11reduce_implILb1ES3_N6thrust23THRUST_200600_302600_NS6detail15normal_iteratorINS8_10device_ptrIiEEEEPffNS8_4plusIfEEEE10hipError_tPvRmT1_T2_T3_mT4_P12ihipStream_tbEUlT_E1_NS1_11comp_targetILNS1_3genE9ELNS1_11target_archE1100ELNS1_3gpuE3ELNS1_3repE0EEENS1_30default_config_static_selectorELNS0_4arch9wavefront6targetE1EEEvSK_
    .private_segment_fixed_size: 0
    .sgpr_count:     6
    .sgpr_spill_count: 0
    .symbol:         _ZN7rocprim17ROCPRIM_400000_NS6detail17trampoline_kernelINS0_14default_configENS1_22reduce_config_selectorIiEEZNS1_11reduce_implILb1ES3_N6thrust23THRUST_200600_302600_NS6detail15normal_iteratorINS8_10device_ptrIiEEEEPffNS8_4plusIfEEEE10hipError_tPvRmT1_T2_T3_mT4_P12ihipStream_tbEUlT_E1_NS1_11comp_targetILNS1_3genE9ELNS1_11target_archE1100ELNS1_3gpuE3ELNS1_3repE0EEENS1_30default_config_static_selectorELNS0_4arch9wavefront6targetE1EEEvSK_.kd
    .uniform_work_group_size: 1
    .uses_dynamic_stack: false
    .vgpr_count:     0
    .vgpr_spill_count: 0
    .wavefront_size: 64
  - .agpr_count:     0
    .args:
      - .offset:         0
        .size:           40
        .value_kind:     by_value
    .group_segment_fixed_size: 0
    .kernarg_segment_align: 8
    .kernarg_segment_size: 40
    .language:       OpenCL C
    .language_version:
      - 2
      - 0
    .max_flat_workgroup_size: 256
    .name:           _ZN7rocprim17ROCPRIM_400000_NS6detail17trampoline_kernelINS0_14default_configENS1_22reduce_config_selectorIiEEZNS1_11reduce_implILb1ES3_N6thrust23THRUST_200600_302600_NS6detail15normal_iteratorINS8_10device_ptrIiEEEEPffNS8_4plusIfEEEE10hipError_tPvRmT1_T2_T3_mT4_P12ihipStream_tbEUlT_E1_NS1_11comp_targetILNS1_3genE8ELNS1_11target_archE1030ELNS1_3gpuE2ELNS1_3repE0EEENS1_30default_config_static_selectorELNS0_4arch9wavefront6targetE1EEEvSK_
    .private_segment_fixed_size: 0
    .sgpr_count:     6
    .sgpr_spill_count: 0
    .symbol:         _ZN7rocprim17ROCPRIM_400000_NS6detail17trampoline_kernelINS0_14default_configENS1_22reduce_config_selectorIiEEZNS1_11reduce_implILb1ES3_N6thrust23THRUST_200600_302600_NS6detail15normal_iteratorINS8_10device_ptrIiEEEEPffNS8_4plusIfEEEE10hipError_tPvRmT1_T2_T3_mT4_P12ihipStream_tbEUlT_E1_NS1_11comp_targetILNS1_3genE8ELNS1_11target_archE1030ELNS1_3gpuE2ELNS1_3repE0EEENS1_30default_config_static_selectorELNS0_4arch9wavefront6targetE1EEEvSK_.kd
    .uniform_work_group_size: 1
    .uses_dynamic_stack: false
    .vgpr_count:     0
    .vgpr_spill_count: 0
    .wavefront_size: 64
  - .agpr_count:     0
    .args:
      - .offset:         0
        .size:           56
        .value_kind:     by_value
    .group_segment_fixed_size: 16
    .kernarg_segment_align: 8
    .kernarg_segment_size: 56
    .language:       OpenCL C
    .language_version:
      - 2
      - 0
    .max_flat_workgroup_size: 128
    .name:           _ZN7rocprim17ROCPRIM_400000_NS6detail17trampoline_kernelINS0_14default_configENS1_22reduce_config_selectorIsEEZNS1_11reduce_implILb1ES3_N6thrust23THRUST_200600_302600_NS6detail15normal_iteratorINS8_10device_ptrIsEEEEPiiNS8_4plusIiEEEE10hipError_tPvRmT1_T2_T3_mT4_P12ihipStream_tbEUlT_E0_NS1_11comp_targetILNS1_3genE0ELNS1_11target_archE4294967295ELNS1_3gpuE0ELNS1_3repE0EEENS1_30default_config_static_selectorELNS0_4arch9wavefront6targetE1EEEvSK_
    .private_segment_fixed_size: 0
    .sgpr_count:     34
    .sgpr_spill_count: 0
    .symbol:         _ZN7rocprim17ROCPRIM_400000_NS6detail17trampoline_kernelINS0_14default_configENS1_22reduce_config_selectorIsEEZNS1_11reduce_implILb1ES3_N6thrust23THRUST_200600_302600_NS6detail15normal_iteratorINS8_10device_ptrIsEEEEPiiNS8_4plusIiEEEE10hipError_tPvRmT1_T2_T3_mT4_P12ihipStream_tbEUlT_E0_NS1_11comp_targetILNS1_3genE0ELNS1_11target_archE4294967295ELNS1_3gpuE0ELNS1_3repE0EEENS1_30default_config_static_selectorELNS0_4arch9wavefront6targetE1EEEvSK_.kd
    .uniform_work_group_size: 1
    .uses_dynamic_stack: false
    .vgpr_count:     20
    .vgpr_spill_count: 0
    .wavefront_size: 64
  - .agpr_count:     0
    .args:
      - .offset:         0
        .size:           56
        .value_kind:     by_value
    .group_segment_fixed_size: 0
    .kernarg_segment_align: 8
    .kernarg_segment_size: 56
    .language:       OpenCL C
    .language_version:
      - 2
      - 0
    .max_flat_workgroup_size: 256
    .name:           _ZN7rocprim17ROCPRIM_400000_NS6detail17trampoline_kernelINS0_14default_configENS1_22reduce_config_selectorIsEEZNS1_11reduce_implILb1ES3_N6thrust23THRUST_200600_302600_NS6detail15normal_iteratorINS8_10device_ptrIsEEEEPiiNS8_4plusIiEEEE10hipError_tPvRmT1_T2_T3_mT4_P12ihipStream_tbEUlT_E0_NS1_11comp_targetILNS1_3genE5ELNS1_11target_archE942ELNS1_3gpuE9ELNS1_3repE0EEENS1_30default_config_static_selectorELNS0_4arch9wavefront6targetE1EEEvSK_
    .private_segment_fixed_size: 0
    .sgpr_count:     6
    .sgpr_spill_count: 0
    .symbol:         _ZN7rocprim17ROCPRIM_400000_NS6detail17trampoline_kernelINS0_14default_configENS1_22reduce_config_selectorIsEEZNS1_11reduce_implILb1ES3_N6thrust23THRUST_200600_302600_NS6detail15normal_iteratorINS8_10device_ptrIsEEEEPiiNS8_4plusIiEEEE10hipError_tPvRmT1_T2_T3_mT4_P12ihipStream_tbEUlT_E0_NS1_11comp_targetILNS1_3genE5ELNS1_11target_archE942ELNS1_3gpuE9ELNS1_3repE0EEENS1_30default_config_static_selectorELNS0_4arch9wavefront6targetE1EEEvSK_.kd
    .uniform_work_group_size: 1
    .uses_dynamic_stack: false
    .vgpr_count:     0
    .vgpr_spill_count: 0
    .wavefront_size: 64
  - .agpr_count:     0
    .args:
      - .offset:         0
        .size:           56
        .value_kind:     by_value
    .group_segment_fixed_size: 0
    .kernarg_segment_align: 8
    .kernarg_segment_size: 56
    .language:       OpenCL C
    .language_version:
      - 2
      - 0
    .max_flat_workgroup_size: 64
    .name:           _ZN7rocprim17ROCPRIM_400000_NS6detail17trampoline_kernelINS0_14default_configENS1_22reduce_config_selectorIsEEZNS1_11reduce_implILb1ES3_N6thrust23THRUST_200600_302600_NS6detail15normal_iteratorINS8_10device_ptrIsEEEEPiiNS8_4plusIiEEEE10hipError_tPvRmT1_T2_T3_mT4_P12ihipStream_tbEUlT_E0_NS1_11comp_targetILNS1_3genE4ELNS1_11target_archE910ELNS1_3gpuE8ELNS1_3repE0EEENS1_30default_config_static_selectorELNS0_4arch9wavefront6targetE1EEEvSK_
    .private_segment_fixed_size: 0
    .sgpr_count:     6
    .sgpr_spill_count: 0
    .symbol:         _ZN7rocprim17ROCPRIM_400000_NS6detail17trampoline_kernelINS0_14default_configENS1_22reduce_config_selectorIsEEZNS1_11reduce_implILb1ES3_N6thrust23THRUST_200600_302600_NS6detail15normal_iteratorINS8_10device_ptrIsEEEEPiiNS8_4plusIiEEEE10hipError_tPvRmT1_T2_T3_mT4_P12ihipStream_tbEUlT_E0_NS1_11comp_targetILNS1_3genE4ELNS1_11target_archE910ELNS1_3gpuE8ELNS1_3repE0EEENS1_30default_config_static_selectorELNS0_4arch9wavefront6targetE1EEEvSK_.kd
    .uniform_work_group_size: 1
    .uses_dynamic_stack: false
    .vgpr_count:     0
    .vgpr_spill_count: 0
    .wavefront_size: 64
  - .agpr_count:     0
    .args:
      - .offset:         0
        .size:           56
        .value_kind:     by_value
    .group_segment_fixed_size: 0
    .kernarg_segment_align: 8
    .kernarg_segment_size: 56
    .language:       OpenCL C
    .language_version:
      - 2
      - 0
    .max_flat_workgroup_size: 128
    .name:           _ZN7rocprim17ROCPRIM_400000_NS6detail17trampoline_kernelINS0_14default_configENS1_22reduce_config_selectorIsEEZNS1_11reduce_implILb1ES3_N6thrust23THRUST_200600_302600_NS6detail15normal_iteratorINS8_10device_ptrIsEEEEPiiNS8_4plusIiEEEE10hipError_tPvRmT1_T2_T3_mT4_P12ihipStream_tbEUlT_E0_NS1_11comp_targetILNS1_3genE3ELNS1_11target_archE908ELNS1_3gpuE7ELNS1_3repE0EEENS1_30default_config_static_selectorELNS0_4arch9wavefront6targetE1EEEvSK_
    .private_segment_fixed_size: 0
    .sgpr_count:     6
    .sgpr_spill_count: 0
    .symbol:         _ZN7rocprim17ROCPRIM_400000_NS6detail17trampoline_kernelINS0_14default_configENS1_22reduce_config_selectorIsEEZNS1_11reduce_implILb1ES3_N6thrust23THRUST_200600_302600_NS6detail15normal_iteratorINS8_10device_ptrIsEEEEPiiNS8_4plusIiEEEE10hipError_tPvRmT1_T2_T3_mT4_P12ihipStream_tbEUlT_E0_NS1_11comp_targetILNS1_3genE3ELNS1_11target_archE908ELNS1_3gpuE7ELNS1_3repE0EEENS1_30default_config_static_selectorELNS0_4arch9wavefront6targetE1EEEvSK_.kd
    .uniform_work_group_size: 1
    .uses_dynamic_stack: false
    .vgpr_count:     0
    .vgpr_spill_count: 0
    .wavefront_size: 64
  - .agpr_count:     0
    .args:
      - .offset:         0
        .size:           56
        .value_kind:     by_value
    .group_segment_fixed_size: 0
    .kernarg_segment_align: 8
    .kernarg_segment_size: 56
    .language:       OpenCL C
    .language_version:
      - 2
      - 0
    .max_flat_workgroup_size: 256
    .name:           _ZN7rocprim17ROCPRIM_400000_NS6detail17trampoline_kernelINS0_14default_configENS1_22reduce_config_selectorIsEEZNS1_11reduce_implILb1ES3_N6thrust23THRUST_200600_302600_NS6detail15normal_iteratorINS8_10device_ptrIsEEEEPiiNS8_4plusIiEEEE10hipError_tPvRmT1_T2_T3_mT4_P12ihipStream_tbEUlT_E0_NS1_11comp_targetILNS1_3genE2ELNS1_11target_archE906ELNS1_3gpuE6ELNS1_3repE0EEENS1_30default_config_static_selectorELNS0_4arch9wavefront6targetE1EEEvSK_
    .private_segment_fixed_size: 0
    .sgpr_count:     6
    .sgpr_spill_count: 0
    .symbol:         _ZN7rocprim17ROCPRIM_400000_NS6detail17trampoline_kernelINS0_14default_configENS1_22reduce_config_selectorIsEEZNS1_11reduce_implILb1ES3_N6thrust23THRUST_200600_302600_NS6detail15normal_iteratorINS8_10device_ptrIsEEEEPiiNS8_4plusIiEEEE10hipError_tPvRmT1_T2_T3_mT4_P12ihipStream_tbEUlT_E0_NS1_11comp_targetILNS1_3genE2ELNS1_11target_archE906ELNS1_3gpuE6ELNS1_3repE0EEENS1_30default_config_static_selectorELNS0_4arch9wavefront6targetE1EEEvSK_.kd
    .uniform_work_group_size: 1
    .uses_dynamic_stack: false
    .vgpr_count:     0
    .vgpr_spill_count: 0
    .wavefront_size: 64
  - .agpr_count:     0
    .args:
      - .offset:         0
        .size:           56
        .value_kind:     by_value
    .group_segment_fixed_size: 0
    .kernarg_segment_align: 8
    .kernarg_segment_size: 56
    .language:       OpenCL C
    .language_version:
      - 2
      - 0
    .max_flat_workgroup_size: 256
    .name:           _ZN7rocprim17ROCPRIM_400000_NS6detail17trampoline_kernelINS0_14default_configENS1_22reduce_config_selectorIsEEZNS1_11reduce_implILb1ES3_N6thrust23THRUST_200600_302600_NS6detail15normal_iteratorINS8_10device_ptrIsEEEEPiiNS8_4plusIiEEEE10hipError_tPvRmT1_T2_T3_mT4_P12ihipStream_tbEUlT_E0_NS1_11comp_targetILNS1_3genE10ELNS1_11target_archE1201ELNS1_3gpuE5ELNS1_3repE0EEENS1_30default_config_static_selectorELNS0_4arch9wavefront6targetE1EEEvSK_
    .private_segment_fixed_size: 0
    .sgpr_count:     6
    .sgpr_spill_count: 0
    .symbol:         _ZN7rocprim17ROCPRIM_400000_NS6detail17trampoline_kernelINS0_14default_configENS1_22reduce_config_selectorIsEEZNS1_11reduce_implILb1ES3_N6thrust23THRUST_200600_302600_NS6detail15normal_iteratorINS8_10device_ptrIsEEEEPiiNS8_4plusIiEEEE10hipError_tPvRmT1_T2_T3_mT4_P12ihipStream_tbEUlT_E0_NS1_11comp_targetILNS1_3genE10ELNS1_11target_archE1201ELNS1_3gpuE5ELNS1_3repE0EEENS1_30default_config_static_selectorELNS0_4arch9wavefront6targetE1EEEvSK_.kd
    .uniform_work_group_size: 1
    .uses_dynamic_stack: false
    .vgpr_count:     0
    .vgpr_spill_count: 0
    .wavefront_size: 64
  - .agpr_count:     0
    .args:
      - .offset:         0
        .size:           56
        .value_kind:     by_value
    .group_segment_fixed_size: 0
    .kernarg_segment_align: 8
    .kernarg_segment_size: 56
    .language:       OpenCL C
    .language_version:
      - 2
      - 0
    .max_flat_workgroup_size: 256
    .name:           _ZN7rocprim17ROCPRIM_400000_NS6detail17trampoline_kernelINS0_14default_configENS1_22reduce_config_selectorIsEEZNS1_11reduce_implILb1ES3_N6thrust23THRUST_200600_302600_NS6detail15normal_iteratorINS8_10device_ptrIsEEEEPiiNS8_4plusIiEEEE10hipError_tPvRmT1_T2_T3_mT4_P12ihipStream_tbEUlT_E0_NS1_11comp_targetILNS1_3genE10ELNS1_11target_archE1200ELNS1_3gpuE4ELNS1_3repE0EEENS1_30default_config_static_selectorELNS0_4arch9wavefront6targetE1EEEvSK_
    .private_segment_fixed_size: 0
    .sgpr_count:     6
    .sgpr_spill_count: 0
    .symbol:         _ZN7rocprim17ROCPRIM_400000_NS6detail17trampoline_kernelINS0_14default_configENS1_22reduce_config_selectorIsEEZNS1_11reduce_implILb1ES3_N6thrust23THRUST_200600_302600_NS6detail15normal_iteratorINS8_10device_ptrIsEEEEPiiNS8_4plusIiEEEE10hipError_tPvRmT1_T2_T3_mT4_P12ihipStream_tbEUlT_E0_NS1_11comp_targetILNS1_3genE10ELNS1_11target_archE1200ELNS1_3gpuE4ELNS1_3repE0EEENS1_30default_config_static_selectorELNS0_4arch9wavefront6targetE1EEEvSK_.kd
    .uniform_work_group_size: 1
    .uses_dynamic_stack: false
    .vgpr_count:     0
    .vgpr_spill_count: 0
    .wavefront_size: 64
  - .agpr_count:     0
    .args:
      - .offset:         0
        .size:           56
        .value_kind:     by_value
    .group_segment_fixed_size: 0
    .kernarg_segment_align: 8
    .kernarg_segment_size: 56
    .language:       OpenCL C
    .language_version:
      - 2
      - 0
    .max_flat_workgroup_size: 256
    .name:           _ZN7rocprim17ROCPRIM_400000_NS6detail17trampoline_kernelINS0_14default_configENS1_22reduce_config_selectorIsEEZNS1_11reduce_implILb1ES3_N6thrust23THRUST_200600_302600_NS6detail15normal_iteratorINS8_10device_ptrIsEEEEPiiNS8_4plusIiEEEE10hipError_tPvRmT1_T2_T3_mT4_P12ihipStream_tbEUlT_E0_NS1_11comp_targetILNS1_3genE9ELNS1_11target_archE1100ELNS1_3gpuE3ELNS1_3repE0EEENS1_30default_config_static_selectorELNS0_4arch9wavefront6targetE1EEEvSK_
    .private_segment_fixed_size: 0
    .sgpr_count:     6
    .sgpr_spill_count: 0
    .symbol:         _ZN7rocprim17ROCPRIM_400000_NS6detail17trampoline_kernelINS0_14default_configENS1_22reduce_config_selectorIsEEZNS1_11reduce_implILb1ES3_N6thrust23THRUST_200600_302600_NS6detail15normal_iteratorINS8_10device_ptrIsEEEEPiiNS8_4plusIiEEEE10hipError_tPvRmT1_T2_T3_mT4_P12ihipStream_tbEUlT_E0_NS1_11comp_targetILNS1_3genE9ELNS1_11target_archE1100ELNS1_3gpuE3ELNS1_3repE0EEENS1_30default_config_static_selectorELNS0_4arch9wavefront6targetE1EEEvSK_.kd
    .uniform_work_group_size: 1
    .uses_dynamic_stack: false
    .vgpr_count:     0
    .vgpr_spill_count: 0
    .wavefront_size: 64
  - .agpr_count:     0
    .args:
      - .offset:         0
        .size:           56
        .value_kind:     by_value
    .group_segment_fixed_size: 0
    .kernarg_segment_align: 8
    .kernarg_segment_size: 56
    .language:       OpenCL C
    .language_version:
      - 2
      - 0
    .max_flat_workgroup_size: 256
    .name:           _ZN7rocprim17ROCPRIM_400000_NS6detail17trampoline_kernelINS0_14default_configENS1_22reduce_config_selectorIsEEZNS1_11reduce_implILb1ES3_N6thrust23THRUST_200600_302600_NS6detail15normal_iteratorINS8_10device_ptrIsEEEEPiiNS8_4plusIiEEEE10hipError_tPvRmT1_T2_T3_mT4_P12ihipStream_tbEUlT_E0_NS1_11comp_targetILNS1_3genE8ELNS1_11target_archE1030ELNS1_3gpuE2ELNS1_3repE0EEENS1_30default_config_static_selectorELNS0_4arch9wavefront6targetE1EEEvSK_
    .private_segment_fixed_size: 0
    .sgpr_count:     6
    .sgpr_spill_count: 0
    .symbol:         _ZN7rocprim17ROCPRIM_400000_NS6detail17trampoline_kernelINS0_14default_configENS1_22reduce_config_selectorIsEEZNS1_11reduce_implILb1ES3_N6thrust23THRUST_200600_302600_NS6detail15normal_iteratorINS8_10device_ptrIsEEEEPiiNS8_4plusIiEEEE10hipError_tPvRmT1_T2_T3_mT4_P12ihipStream_tbEUlT_E0_NS1_11comp_targetILNS1_3genE8ELNS1_11target_archE1030ELNS1_3gpuE2ELNS1_3repE0EEENS1_30default_config_static_selectorELNS0_4arch9wavefront6targetE1EEEvSK_.kd
    .uniform_work_group_size: 1
    .uses_dynamic_stack: false
    .vgpr_count:     0
    .vgpr_spill_count: 0
    .wavefront_size: 64
  - .agpr_count:     0
    .args:
      - .offset:         0
        .size:           40
        .value_kind:     by_value
    .group_segment_fixed_size: 64
    .kernarg_segment_align: 8
    .kernarg_segment_size: 40
    .language:       OpenCL C
    .language_version:
      - 2
      - 0
    .max_flat_workgroup_size: 128
    .name:           _ZN7rocprim17ROCPRIM_400000_NS6detail17trampoline_kernelINS0_14default_configENS1_22reduce_config_selectorIsEEZNS1_11reduce_implILb1ES3_N6thrust23THRUST_200600_302600_NS6detail15normal_iteratorINS8_10device_ptrIsEEEEPiiNS8_4plusIiEEEE10hipError_tPvRmT1_T2_T3_mT4_P12ihipStream_tbEUlT_E1_NS1_11comp_targetILNS1_3genE0ELNS1_11target_archE4294967295ELNS1_3gpuE0ELNS1_3repE0EEENS1_30default_config_static_selectorELNS0_4arch9wavefront6targetE1EEEvSK_
    .private_segment_fixed_size: 0
    .sgpr_count:     81
    .sgpr_spill_count: 0
    .symbol:         _ZN7rocprim17ROCPRIM_400000_NS6detail17trampoline_kernelINS0_14default_configENS1_22reduce_config_selectorIsEEZNS1_11reduce_implILb1ES3_N6thrust23THRUST_200600_302600_NS6detail15normal_iteratorINS8_10device_ptrIsEEEEPiiNS8_4plusIiEEEE10hipError_tPvRmT1_T2_T3_mT4_P12ihipStream_tbEUlT_E1_NS1_11comp_targetILNS1_3genE0ELNS1_11target_archE4294967295ELNS1_3gpuE0ELNS1_3repE0EEENS1_30default_config_static_selectorELNS0_4arch9wavefront6targetE1EEEvSK_.kd
    .uniform_work_group_size: 1
    .uses_dynamic_stack: false
    .vgpr_count:     67
    .vgpr_spill_count: 0
    .wavefront_size: 64
  - .agpr_count:     0
    .args:
      - .offset:         0
        .size:           40
        .value_kind:     by_value
    .group_segment_fixed_size: 0
    .kernarg_segment_align: 8
    .kernarg_segment_size: 40
    .language:       OpenCL C
    .language_version:
      - 2
      - 0
    .max_flat_workgroup_size: 256
    .name:           _ZN7rocprim17ROCPRIM_400000_NS6detail17trampoline_kernelINS0_14default_configENS1_22reduce_config_selectorIsEEZNS1_11reduce_implILb1ES3_N6thrust23THRUST_200600_302600_NS6detail15normal_iteratorINS8_10device_ptrIsEEEEPiiNS8_4plusIiEEEE10hipError_tPvRmT1_T2_T3_mT4_P12ihipStream_tbEUlT_E1_NS1_11comp_targetILNS1_3genE5ELNS1_11target_archE942ELNS1_3gpuE9ELNS1_3repE0EEENS1_30default_config_static_selectorELNS0_4arch9wavefront6targetE1EEEvSK_
    .private_segment_fixed_size: 0
    .sgpr_count:     6
    .sgpr_spill_count: 0
    .symbol:         _ZN7rocprim17ROCPRIM_400000_NS6detail17trampoline_kernelINS0_14default_configENS1_22reduce_config_selectorIsEEZNS1_11reduce_implILb1ES3_N6thrust23THRUST_200600_302600_NS6detail15normal_iteratorINS8_10device_ptrIsEEEEPiiNS8_4plusIiEEEE10hipError_tPvRmT1_T2_T3_mT4_P12ihipStream_tbEUlT_E1_NS1_11comp_targetILNS1_3genE5ELNS1_11target_archE942ELNS1_3gpuE9ELNS1_3repE0EEENS1_30default_config_static_selectorELNS0_4arch9wavefront6targetE1EEEvSK_.kd
    .uniform_work_group_size: 1
    .uses_dynamic_stack: false
    .vgpr_count:     0
    .vgpr_spill_count: 0
    .wavefront_size: 64
  - .agpr_count:     0
    .args:
      - .offset:         0
        .size:           40
        .value_kind:     by_value
    .group_segment_fixed_size: 0
    .kernarg_segment_align: 8
    .kernarg_segment_size: 40
    .language:       OpenCL C
    .language_version:
      - 2
      - 0
    .max_flat_workgroup_size: 64
    .name:           _ZN7rocprim17ROCPRIM_400000_NS6detail17trampoline_kernelINS0_14default_configENS1_22reduce_config_selectorIsEEZNS1_11reduce_implILb1ES3_N6thrust23THRUST_200600_302600_NS6detail15normal_iteratorINS8_10device_ptrIsEEEEPiiNS8_4plusIiEEEE10hipError_tPvRmT1_T2_T3_mT4_P12ihipStream_tbEUlT_E1_NS1_11comp_targetILNS1_3genE4ELNS1_11target_archE910ELNS1_3gpuE8ELNS1_3repE0EEENS1_30default_config_static_selectorELNS0_4arch9wavefront6targetE1EEEvSK_
    .private_segment_fixed_size: 0
    .sgpr_count:     6
    .sgpr_spill_count: 0
    .symbol:         _ZN7rocprim17ROCPRIM_400000_NS6detail17trampoline_kernelINS0_14default_configENS1_22reduce_config_selectorIsEEZNS1_11reduce_implILb1ES3_N6thrust23THRUST_200600_302600_NS6detail15normal_iteratorINS8_10device_ptrIsEEEEPiiNS8_4plusIiEEEE10hipError_tPvRmT1_T2_T3_mT4_P12ihipStream_tbEUlT_E1_NS1_11comp_targetILNS1_3genE4ELNS1_11target_archE910ELNS1_3gpuE8ELNS1_3repE0EEENS1_30default_config_static_selectorELNS0_4arch9wavefront6targetE1EEEvSK_.kd
    .uniform_work_group_size: 1
    .uses_dynamic_stack: false
    .vgpr_count:     0
    .vgpr_spill_count: 0
    .wavefront_size: 64
  - .agpr_count:     0
    .args:
      - .offset:         0
        .size:           40
        .value_kind:     by_value
    .group_segment_fixed_size: 0
    .kernarg_segment_align: 8
    .kernarg_segment_size: 40
    .language:       OpenCL C
    .language_version:
      - 2
      - 0
    .max_flat_workgroup_size: 128
    .name:           _ZN7rocprim17ROCPRIM_400000_NS6detail17trampoline_kernelINS0_14default_configENS1_22reduce_config_selectorIsEEZNS1_11reduce_implILb1ES3_N6thrust23THRUST_200600_302600_NS6detail15normal_iteratorINS8_10device_ptrIsEEEEPiiNS8_4plusIiEEEE10hipError_tPvRmT1_T2_T3_mT4_P12ihipStream_tbEUlT_E1_NS1_11comp_targetILNS1_3genE3ELNS1_11target_archE908ELNS1_3gpuE7ELNS1_3repE0EEENS1_30default_config_static_selectorELNS0_4arch9wavefront6targetE1EEEvSK_
    .private_segment_fixed_size: 0
    .sgpr_count:     6
    .sgpr_spill_count: 0
    .symbol:         _ZN7rocprim17ROCPRIM_400000_NS6detail17trampoline_kernelINS0_14default_configENS1_22reduce_config_selectorIsEEZNS1_11reduce_implILb1ES3_N6thrust23THRUST_200600_302600_NS6detail15normal_iteratorINS8_10device_ptrIsEEEEPiiNS8_4plusIiEEEE10hipError_tPvRmT1_T2_T3_mT4_P12ihipStream_tbEUlT_E1_NS1_11comp_targetILNS1_3genE3ELNS1_11target_archE908ELNS1_3gpuE7ELNS1_3repE0EEENS1_30default_config_static_selectorELNS0_4arch9wavefront6targetE1EEEvSK_.kd
    .uniform_work_group_size: 1
    .uses_dynamic_stack: false
    .vgpr_count:     0
    .vgpr_spill_count: 0
    .wavefront_size: 64
  - .agpr_count:     0
    .args:
      - .offset:         0
        .size:           40
        .value_kind:     by_value
    .group_segment_fixed_size: 0
    .kernarg_segment_align: 8
    .kernarg_segment_size: 40
    .language:       OpenCL C
    .language_version:
      - 2
      - 0
    .max_flat_workgroup_size: 256
    .name:           _ZN7rocprim17ROCPRIM_400000_NS6detail17trampoline_kernelINS0_14default_configENS1_22reduce_config_selectorIsEEZNS1_11reduce_implILb1ES3_N6thrust23THRUST_200600_302600_NS6detail15normal_iteratorINS8_10device_ptrIsEEEEPiiNS8_4plusIiEEEE10hipError_tPvRmT1_T2_T3_mT4_P12ihipStream_tbEUlT_E1_NS1_11comp_targetILNS1_3genE2ELNS1_11target_archE906ELNS1_3gpuE6ELNS1_3repE0EEENS1_30default_config_static_selectorELNS0_4arch9wavefront6targetE1EEEvSK_
    .private_segment_fixed_size: 0
    .sgpr_count:     6
    .sgpr_spill_count: 0
    .symbol:         _ZN7rocprim17ROCPRIM_400000_NS6detail17trampoline_kernelINS0_14default_configENS1_22reduce_config_selectorIsEEZNS1_11reduce_implILb1ES3_N6thrust23THRUST_200600_302600_NS6detail15normal_iteratorINS8_10device_ptrIsEEEEPiiNS8_4plusIiEEEE10hipError_tPvRmT1_T2_T3_mT4_P12ihipStream_tbEUlT_E1_NS1_11comp_targetILNS1_3genE2ELNS1_11target_archE906ELNS1_3gpuE6ELNS1_3repE0EEENS1_30default_config_static_selectorELNS0_4arch9wavefront6targetE1EEEvSK_.kd
    .uniform_work_group_size: 1
    .uses_dynamic_stack: false
    .vgpr_count:     0
    .vgpr_spill_count: 0
    .wavefront_size: 64
  - .agpr_count:     0
    .args:
      - .offset:         0
        .size:           40
        .value_kind:     by_value
    .group_segment_fixed_size: 0
    .kernarg_segment_align: 8
    .kernarg_segment_size: 40
    .language:       OpenCL C
    .language_version:
      - 2
      - 0
    .max_flat_workgroup_size: 256
    .name:           _ZN7rocprim17ROCPRIM_400000_NS6detail17trampoline_kernelINS0_14default_configENS1_22reduce_config_selectorIsEEZNS1_11reduce_implILb1ES3_N6thrust23THRUST_200600_302600_NS6detail15normal_iteratorINS8_10device_ptrIsEEEEPiiNS8_4plusIiEEEE10hipError_tPvRmT1_T2_T3_mT4_P12ihipStream_tbEUlT_E1_NS1_11comp_targetILNS1_3genE10ELNS1_11target_archE1201ELNS1_3gpuE5ELNS1_3repE0EEENS1_30default_config_static_selectorELNS0_4arch9wavefront6targetE1EEEvSK_
    .private_segment_fixed_size: 0
    .sgpr_count:     6
    .sgpr_spill_count: 0
    .symbol:         _ZN7rocprim17ROCPRIM_400000_NS6detail17trampoline_kernelINS0_14default_configENS1_22reduce_config_selectorIsEEZNS1_11reduce_implILb1ES3_N6thrust23THRUST_200600_302600_NS6detail15normal_iteratorINS8_10device_ptrIsEEEEPiiNS8_4plusIiEEEE10hipError_tPvRmT1_T2_T3_mT4_P12ihipStream_tbEUlT_E1_NS1_11comp_targetILNS1_3genE10ELNS1_11target_archE1201ELNS1_3gpuE5ELNS1_3repE0EEENS1_30default_config_static_selectorELNS0_4arch9wavefront6targetE1EEEvSK_.kd
    .uniform_work_group_size: 1
    .uses_dynamic_stack: false
    .vgpr_count:     0
    .vgpr_spill_count: 0
    .wavefront_size: 64
  - .agpr_count:     0
    .args:
      - .offset:         0
        .size:           40
        .value_kind:     by_value
    .group_segment_fixed_size: 0
    .kernarg_segment_align: 8
    .kernarg_segment_size: 40
    .language:       OpenCL C
    .language_version:
      - 2
      - 0
    .max_flat_workgroup_size: 256
    .name:           _ZN7rocprim17ROCPRIM_400000_NS6detail17trampoline_kernelINS0_14default_configENS1_22reduce_config_selectorIsEEZNS1_11reduce_implILb1ES3_N6thrust23THRUST_200600_302600_NS6detail15normal_iteratorINS8_10device_ptrIsEEEEPiiNS8_4plusIiEEEE10hipError_tPvRmT1_T2_T3_mT4_P12ihipStream_tbEUlT_E1_NS1_11comp_targetILNS1_3genE10ELNS1_11target_archE1200ELNS1_3gpuE4ELNS1_3repE0EEENS1_30default_config_static_selectorELNS0_4arch9wavefront6targetE1EEEvSK_
    .private_segment_fixed_size: 0
    .sgpr_count:     6
    .sgpr_spill_count: 0
    .symbol:         _ZN7rocprim17ROCPRIM_400000_NS6detail17trampoline_kernelINS0_14default_configENS1_22reduce_config_selectorIsEEZNS1_11reduce_implILb1ES3_N6thrust23THRUST_200600_302600_NS6detail15normal_iteratorINS8_10device_ptrIsEEEEPiiNS8_4plusIiEEEE10hipError_tPvRmT1_T2_T3_mT4_P12ihipStream_tbEUlT_E1_NS1_11comp_targetILNS1_3genE10ELNS1_11target_archE1200ELNS1_3gpuE4ELNS1_3repE0EEENS1_30default_config_static_selectorELNS0_4arch9wavefront6targetE1EEEvSK_.kd
    .uniform_work_group_size: 1
    .uses_dynamic_stack: false
    .vgpr_count:     0
    .vgpr_spill_count: 0
    .wavefront_size: 64
  - .agpr_count:     0
    .args:
      - .offset:         0
        .size:           40
        .value_kind:     by_value
    .group_segment_fixed_size: 0
    .kernarg_segment_align: 8
    .kernarg_segment_size: 40
    .language:       OpenCL C
    .language_version:
      - 2
      - 0
    .max_flat_workgroup_size: 256
    .name:           _ZN7rocprim17ROCPRIM_400000_NS6detail17trampoline_kernelINS0_14default_configENS1_22reduce_config_selectorIsEEZNS1_11reduce_implILb1ES3_N6thrust23THRUST_200600_302600_NS6detail15normal_iteratorINS8_10device_ptrIsEEEEPiiNS8_4plusIiEEEE10hipError_tPvRmT1_T2_T3_mT4_P12ihipStream_tbEUlT_E1_NS1_11comp_targetILNS1_3genE9ELNS1_11target_archE1100ELNS1_3gpuE3ELNS1_3repE0EEENS1_30default_config_static_selectorELNS0_4arch9wavefront6targetE1EEEvSK_
    .private_segment_fixed_size: 0
    .sgpr_count:     6
    .sgpr_spill_count: 0
    .symbol:         _ZN7rocprim17ROCPRIM_400000_NS6detail17trampoline_kernelINS0_14default_configENS1_22reduce_config_selectorIsEEZNS1_11reduce_implILb1ES3_N6thrust23THRUST_200600_302600_NS6detail15normal_iteratorINS8_10device_ptrIsEEEEPiiNS8_4plusIiEEEE10hipError_tPvRmT1_T2_T3_mT4_P12ihipStream_tbEUlT_E1_NS1_11comp_targetILNS1_3genE9ELNS1_11target_archE1100ELNS1_3gpuE3ELNS1_3repE0EEENS1_30default_config_static_selectorELNS0_4arch9wavefront6targetE1EEEvSK_.kd
    .uniform_work_group_size: 1
    .uses_dynamic_stack: false
    .vgpr_count:     0
    .vgpr_spill_count: 0
    .wavefront_size: 64
  - .agpr_count:     0
    .args:
      - .offset:         0
        .size:           40
        .value_kind:     by_value
    .group_segment_fixed_size: 0
    .kernarg_segment_align: 8
    .kernarg_segment_size: 40
    .language:       OpenCL C
    .language_version:
      - 2
      - 0
    .max_flat_workgroup_size: 256
    .name:           _ZN7rocprim17ROCPRIM_400000_NS6detail17trampoline_kernelINS0_14default_configENS1_22reduce_config_selectorIsEEZNS1_11reduce_implILb1ES3_N6thrust23THRUST_200600_302600_NS6detail15normal_iteratorINS8_10device_ptrIsEEEEPiiNS8_4plusIiEEEE10hipError_tPvRmT1_T2_T3_mT4_P12ihipStream_tbEUlT_E1_NS1_11comp_targetILNS1_3genE8ELNS1_11target_archE1030ELNS1_3gpuE2ELNS1_3repE0EEENS1_30default_config_static_selectorELNS0_4arch9wavefront6targetE1EEEvSK_
    .private_segment_fixed_size: 0
    .sgpr_count:     6
    .sgpr_spill_count: 0
    .symbol:         _ZN7rocprim17ROCPRIM_400000_NS6detail17trampoline_kernelINS0_14default_configENS1_22reduce_config_selectorIsEEZNS1_11reduce_implILb1ES3_N6thrust23THRUST_200600_302600_NS6detail15normal_iteratorINS8_10device_ptrIsEEEEPiiNS8_4plusIiEEEE10hipError_tPvRmT1_T2_T3_mT4_P12ihipStream_tbEUlT_E1_NS1_11comp_targetILNS1_3genE8ELNS1_11target_archE1030ELNS1_3gpuE2ELNS1_3repE0EEENS1_30default_config_static_selectorELNS0_4arch9wavefront6targetE1EEEvSK_.kd
    .uniform_work_group_size: 1
    .uses_dynamic_stack: false
    .vgpr_count:     0
    .vgpr_spill_count: 0
    .wavefront_size: 64
  - .agpr_count:     0
    .args:
      - .offset:         0
        .size:           56
        .value_kind:     by_value
    .group_segment_fixed_size: 16
    .kernarg_segment_align: 8
    .kernarg_segment_size: 56
    .language:       OpenCL C
    .language_version:
      - 2
      - 0
    .max_flat_workgroup_size: 128
    .name:           _ZN7rocprim17ROCPRIM_400000_NS6detail17trampoline_kernelINS0_14default_configENS1_22reduce_config_selectorIsEEZNS1_11reduce_implILb1ES3_N6thrust23THRUST_200600_302600_NS6detail15normal_iteratorINS8_10device_ptrIsEEEEPffNS8_4plusIfEEEE10hipError_tPvRmT1_T2_T3_mT4_P12ihipStream_tbEUlT_E0_NS1_11comp_targetILNS1_3genE0ELNS1_11target_archE4294967295ELNS1_3gpuE0ELNS1_3repE0EEENS1_30default_config_static_selectorELNS0_4arch9wavefront6targetE1EEEvSK_
    .private_segment_fixed_size: 0
    .sgpr_count:     34
    .sgpr_spill_count: 0
    .symbol:         _ZN7rocprim17ROCPRIM_400000_NS6detail17trampoline_kernelINS0_14default_configENS1_22reduce_config_selectorIsEEZNS1_11reduce_implILb1ES3_N6thrust23THRUST_200600_302600_NS6detail15normal_iteratorINS8_10device_ptrIsEEEEPffNS8_4plusIfEEEE10hipError_tPvRmT1_T2_T3_mT4_P12ihipStream_tbEUlT_E0_NS1_11comp_targetILNS1_3genE0ELNS1_11target_archE4294967295ELNS1_3gpuE0ELNS1_3repE0EEENS1_30default_config_static_selectorELNS0_4arch9wavefront6targetE1EEEvSK_.kd
    .uniform_work_group_size: 1
    .uses_dynamic_stack: false
    .vgpr_count:     20
    .vgpr_spill_count: 0
    .wavefront_size: 64
  - .agpr_count:     0
    .args:
      - .offset:         0
        .size:           56
        .value_kind:     by_value
    .group_segment_fixed_size: 0
    .kernarg_segment_align: 8
    .kernarg_segment_size: 56
    .language:       OpenCL C
    .language_version:
      - 2
      - 0
    .max_flat_workgroup_size: 256
    .name:           _ZN7rocprim17ROCPRIM_400000_NS6detail17trampoline_kernelINS0_14default_configENS1_22reduce_config_selectorIsEEZNS1_11reduce_implILb1ES3_N6thrust23THRUST_200600_302600_NS6detail15normal_iteratorINS8_10device_ptrIsEEEEPffNS8_4plusIfEEEE10hipError_tPvRmT1_T2_T3_mT4_P12ihipStream_tbEUlT_E0_NS1_11comp_targetILNS1_3genE5ELNS1_11target_archE942ELNS1_3gpuE9ELNS1_3repE0EEENS1_30default_config_static_selectorELNS0_4arch9wavefront6targetE1EEEvSK_
    .private_segment_fixed_size: 0
    .sgpr_count:     6
    .sgpr_spill_count: 0
    .symbol:         _ZN7rocprim17ROCPRIM_400000_NS6detail17trampoline_kernelINS0_14default_configENS1_22reduce_config_selectorIsEEZNS1_11reduce_implILb1ES3_N6thrust23THRUST_200600_302600_NS6detail15normal_iteratorINS8_10device_ptrIsEEEEPffNS8_4plusIfEEEE10hipError_tPvRmT1_T2_T3_mT4_P12ihipStream_tbEUlT_E0_NS1_11comp_targetILNS1_3genE5ELNS1_11target_archE942ELNS1_3gpuE9ELNS1_3repE0EEENS1_30default_config_static_selectorELNS0_4arch9wavefront6targetE1EEEvSK_.kd
    .uniform_work_group_size: 1
    .uses_dynamic_stack: false
    .vgpr_count:     0
    .vgpr_spill_count: 0
    .wavefront_size: 64
  - .agpr_count:     0
    .args:
      - .offset:         0
        .size:           56
        .value_kind:     by_value
    .group_segment_fixed_size: 0
    .kernarg_segment_align: 8
    .kernarg_segment_size: 56
    .language:       OpenCL C
    .language_version:
      - 2
      - 0
    .max_flat_workgroup_size: 64
    .name:           _ZN7rocprim17ROCPRIM_400000_NS6detail17trampoline_kernelINS0_14default_configENS1_22reduce_config_selectorIsEEZNS1_11reduce_implILb1ES3_N6thrust23THRUST_200600_302600_NS6detail15normal_iteratorINS8_10device_ptrIsEEEEPffNS8_4plusIfEEEE10hipError_tPvRmT1_T2_T3_mT4_P12ihipStream_tbEUlT_E0_NS1_11comp_targetILNS1_3genE4ELNS1_11target_archE910ELNS1_3gpuE8ELNS1_3repE0EEENS1_30default_config_static_selectorELNS0_4arch9wavefront6targetE1EEEvSK_
    .private_segment_fixed_size: 0
    .sgpr_count:     6
    .sgpr_spill_count: 0
    .symbol:         _ZN7rocprim17ROCPRIM_400000_NS6detail17trampoline_kernelINS0_14default_configENS1_22reduce_config_selectorIsEEZNS1_11reduce_implILb1ES3_N6thrust23THRUST_200600_302600_NS6detail15normal_iteratorINS8_10device_ptrIsEEEEPffNS8_4plusIfEEEE10hipError_tPvRmT1_T2_T3_mT4_P12ihipStream_tbEUlT_E0_NS1_11comp_targetILNS1_3genE4ELNS1_11target_archE910ELNS1_3gpuE8ELNS1_3repE0EEENS1_30default_config_static_selectorELNS0_4arch9wavefront6targetE1EEEvSK_.kd
    .uniform_work_group_size: 1
    .uses_dynamic_stack: false
    .vgpr_count:     0
    .vgpr_spill_count: 0
    .wavefront_size: 64
  - .agpr_count:     0
    .args:
      - .offset:         0
        .size:           56
        .value_kind:     by_value
    .group_segment_fixed_size: 0
    .kernarg_segment_align: 8
    .kernarg_segment_size: 56
    .language:       OpenCL C
    .language_version:
      - 2
      - 0
    .max_flat_workgroup_size: 128
    .name:           _ZN7rocprim17ROCPRIM_400000_NS6detail17trampoline_kernelINS0_14default_configENS1_22reduce_config_selectorIsEEZNS1_11reduce_implILb1ES3_N6thrust23THRUST_200600_302600_NS6detail15normal_iteratorINS8_10device_ptrIsEEEEPffNS8_4plusIfEEEE10hipError_tPvRmT1_T2_T3_mT4_P12ihipStream_tbEUlT_E0_NS1_11comp_targetILNS1_3genE3ELNS1_11target_archE908ELNS1_3gpuE7ELNS1_3repE0EEENS1_30default_config_static_selectorELNS0_4arch9wavefront6targetE1EEEvSK_
    .private_segment_fixed_size: 0
    .sgpr_count:     6
    .sgpr_spill_count: 0
    .symbol:         _ZN7rocprim17ROCPRIM_400000_NS6detail17trampoline_kernelINS0_14default_configENS1_22reduce_config_selectorIsEEZNS1_11reduce_implILb1ES3_N6thrust23THRUST_200600_302600_NS6detail15normal_iteratorINS8_10device_ptrIsEEEEPffNS8_4plusIfEEEE10hipError_tPvRmT1_T2_T3_mT4_P12ihipStream_tbEUlT_E0_NS1_11comp_targetILNS1_3genE3ELNS1_11target_archE908ELNS1_3gpuE7ELNS1_3repE0EEENS1_30default_config_static_selectorELNS0_4arch9wavefront6targetE1EEEvSK_.kd
    .uniform_work_group_size: 1
    .uses_dynamic_stack: false
    .vgpr_count:     0
    .vgpr_spill_count: 0
    .wavefront_size: 64
  - .agpr_count:     0
    .args:
      - .offset:         0
        .size:           56
        .value_kind:     by_value
    .group_segment_fixed_size: 0
    .kernarg_segment_align: 8
    .kernarg_segment_size: 56
    .language:       OpenCL C
    .language_version:
      - 2
      - 0
    .max_flat_workgroup_size: 256
    .name:           _ZN7rocprim17ROCPRIM_400000_NS6detail17trampoline_kernelINS0_14default_configENS1_22reduce_config_selectorIsEEZNS1_11reduce_implILb1ES3_N6thrust23THRUST_200600_302600_NS6detail15normal_iteratorINS8_10device_ptrIsEEEEPffNS8_4plusIfEEEE10hipError_tPvRmT1_T2_T3_mT4_P12ihipStream_tbEUlT_E0_NS1_11comp_targetILNS1_3genE2ELNS1_11target_archE906ELNS1_3gpuE6ELNS1_3repE0EEENS1_30default_config_static_selectorELNS0_4arch9wavefront6targetE1EEEvSK_
    .private_segment_fixed_size: 0
    .sgpr_count:     6
    .sgpr_spill_count: 0
    .symbol:         _ZN7rocprim17ROCPRIM_400000_NS6detail17trampoline_kernelINS0_14default_configENS1_22reduce_config_selectorIsEEZNS1_11reduce_implILb1ES3_N6thrust23THRUST_200600_302600_NS6detail15normal_iteratorINS8_10device_ptrIsEEEEPffNS8_4plusIfEEEE10hipError_tPvRmT1_T2_T3_mT4_P12ihipStream_tbEUlT_E0_NS1_11comp_targetILNS1_3genE2ELNS1_11target_archE906ELNS1_3gpuE6ELNS1_3repE0EEENS1_30default_config_static_selectorELNS0_4arch9wavefront6targetE1EEEvSK_.kd
    .uniform_work_group_size: 1
    .uses_dynamic_stack: false
    .vgpr_count:     0
    .vgpr_spill_count: 0
    .wavefront_size: 64
  - .agpr_count:     0
    .args:
      - .offset:         0
        .size:           56
        .value_kind:     by_value
    .group_segment_fixed_size: 0
    .kernarg_segment_align: 8
    .kernarg_segment_size: 56
    .language:       OpenCL C
    .language_version:
      - 2
      - 0
    .max_flat_workgroup_size: 256
    .name:           _ZN7rocprim17ROCPRIM_400000_NS6detail17trampoline_kernelINS0_14default_configENS1_22reduce_config_selectorIsEEZNS1_11reduce_implILb1ES3_N6thrust23THRUST_200600_302600_NS6detail15normal_iteratorINS8_10device_ptrIsEEEEPffNS8_4plusIfEEEE10hipError_tPvRmT1_T2_T3_mT4_P12ihipStream_tbEUlT_E0_NS1_11comp_targetILNS1_3genE10ELNS1_11target_archE1201ELNS1_3gpuE5ELNS1_3repE0EEENS1_30default_config_static_selectorELNS0_4arch9wavefront6targetE1EEEvSK_
    .private_segment_fixed_size: 0
    .sgpr_count:     6
    .sgpr_spill_count: 0
    .symbol:         _ZN7rocprim17ROCPRIM_400000_NS6detail17trampoline_kernelINS0_14default_configENS1_22reduce_config_selectorIsEEZNS1_11reduce_implILb1ES3_N6thrust23THRUST_200600_302600_NS6detail15normal_iteratorINS8_10device_ptrIsEEEEPffNS8_4plusIfEEEE10hipError_tPvRmT1_T2_T3_mT4_P12ihipStream_tbEUlT_E0_NS1_11comp_targetILNS1_3genE10ELNS1_11target_archE1201ELNS1_3gpuE5ELNS1_3repE0EEENS1_30default_config_static_selectorELNS0_4arch9wavefront6targetE1EEEvSK_.kd
    .uniform_work_group_size: 1
    .uses_dynamic_stack: false
    .vgpr_count:     0
    .vgpr_spill_count: 0
    .wavefront_size: 64
  - .agpr_count:     0
    .args:
      - .offset:         0
        .size:           56
        .value_kind:     by_value
    .group_segment_fixed_size: 0
    .kernarg_segment_align: 8
    .kernarg_segment_size: 56
    .language:       OpenCL C
    .language_version:
      - 2
      - 0
    .max_flat_workgroup_size: 256
    .name:           _ZN7rocprim17ROCPRIM_400000_NS6detail17trampoline_kernelINS0_14default_configENS1_22reduce_config_selectorIsEEZNS1_11reduce_implILb1ES3_N6thrust23THRUST_200600_302600_NS6detail15normal_iteratorINS8_10device_ptrIsEEEEPffNS8_4plusIfEEEE10hipError_tPvRmT1_T2_T3_mT4_P12ihipStream_tbEUlT_E0_NS1_11comp_targetILNS1_3genE10ELNS1_11target_archE1200ELNS1_3gpuE4ELNS1_3repE0EEENS1_30default_config_static_selectorELNS0_4arch9wavefront6targetE1EEEvSK_
    .private_segment_fixed_size: 0
    .sgpr_count:     6
    .sgpr_spill_count: 0
    .symbol:         _ZN7rocprim17ROCPRIM_400000_NS6detail17trampoline_kernelINS0_14default_configENS1_22reduce_config_selectorIsEEZNS1_11reduce_implILb1ES3_N6thrust23THRUST_200600_302600_NS6detail15normal_iteratorINS8_10device_ptrIsEEEEPffNS8_4plusIfEEEE10hipError_tPvRmT1_T2_T3_mT4_P12ihipStream_tbEUlT_E0_NS1_11comp_targetILNS1_3genE10ELNS1_11target_archE1200ELNS1_3gpuE4ELNS1_3repE0EEENS1_30default_config_static_selectorELNS0_4arch9wavefront6targetE1EEEvSK_.kd
    .uniform_work_group_size: 1
    .uses_dynamic_stack: false
    .vgpr_count:     0
    .vgpr_spill_count: 0
    .wavefront_size: 64
  - .agpr_count:     0
    .args:
      - .offset:         0
        .size:           56
        .value_kind:     by_value
    .group_segment_fixed_size: 0
    .kernarg_segment_align: 8
    .kernarg_segment_size: 56
    .language:       OpenCL C
    .language_version:
      - 2
      - 0
    .max_flat_workgroup_size: 256
    .name:           _ZN7rocprim17ROCPRIM_400000_NS6detail17trampoline_kernelINS0_14default_configENS1_22reduce_config_selectorIsEEZNS1_11reduce_implILb1ES3_N6thrust23THRUST_200600_302600_NS6detail15normal_iteratorINS8_10device_ptrIsEEEEPffNS8_4plusIfEEEE10hipError_tPvRmT1_T2_T3_mT4_P12ihipStream_tbEUlT_E0_NS1_11comp_targetILNS1_3genE9ELNS1_11target_archE1100ELNS1_3gpuE3ELNS1_3repE0EEENS1_30default_config_static_selectorELNS0_4arch9wavefront6targetE1EEEvSK_
    .private_segment_fixed_size: 0
    .sgpr_count:     6
    .sgpr_spill_count: 0
    .symbol:         _ZN7rocprim17ROCPRIM_400000_NS6detail17trampoline_kernelINS0_14default_configENS1_22reduce_config_selectorIsEEZNS1_11reduce_implILb1ES3_N6thrust23THRUST_200600_302600_NS6detail15normal_iteratorINS8_10device_ptrIsEEEEPffNS8_4plusIfEEEE10hipError_tPvRmT1_T2_T3_mT4_P12ihipStream_tbEUlT_E0_NS1_11comp_targetILNS1_3genE9ELNS1_11target_archE1100ELNS1_3gpuE3ELNS1_3repE0EEENS1_30default_config_static_selectorELNS0_4arch9wavefront6targetE1EEEvSK_.kd
    .uniform_work_group_size: 1
    .uses_dynamic_stack: false
    .vgpr_count:     0
    .vgpr_spill_count: 0
    .wavefront_size: 64
  - .agpr_count:     0
    .args:
      - .offset:         0
        .size:           56
        .value_kind:     by_value
    .group_segment_fixed_size: 0
    .kernarg_segment_align: 8
    .kernarg_segment_size: 56
    .language:       OpenCL C
    .language_version:
      - 2
      - 0
    .max_flat_workgroup_size: 256
    .name:           _ZN7rocprim17ROCPRIM_400000_NS6detail17trampoline_kernelINS0_14default_configENS1_22reduce_config_selectorIsEEZNS1_11reduce_implILb1ES3_N6thrust23THRUST_200600_302600_NS6detail15normal_iteratorINS8_10device_ptrIsEEEEPffNS8_4plusIfEEEE10hipError_tPvRmT1_T2_T3_mT4_P12ihipStream_tbEUlT_E0_NS1_11comp_targetILNS1_3genE8ELNS1_11target_archE1030ELNS1_3gpuE2ELNS1_3repE0EEENS1_30default_config_static_selectorELNS0_4arch9wavefront6targetE1EEEvSK_
    .private_segment_fixed_size: 0
    .sgpr_count:     6
    .sgpr_spill_count: 0
    .symbol:         _ZN7rocprim17ROCPRIM_400000_NS6detail17trampoline_kernelINS0_14default_configENS1_22reduce_config_selectorIsEEZNS1_11reduce_implILb1ES3_N6thrust23THRUST_200600_302600_NS6detail15normal_iteratorINS8_10device_ptrIsEEEEPffNS8_4plusIfEEEE10hipError_tPvRmT1_T2_T3_mT4_P12ihipStream_tbEUlT_E0_NS1_11comp_targetILNS1_3genE8ELNS1_11target_archE1030ELNS1_3gpuE2ELNS1_3repE0EEENS1_30default_config_static_selectorELNS0_4arch9wavefront6targetE1EEEvSK_.kd
    .uniform_work_group_size: 1
    .uses_dynamic_stack: false
    .vgpr_count:     0
    .vgpr_spill_count: 0
    .wavefront_size: 64
  - .agpr_count:     0
    .args:
      - .offset:         0
        .size:           40
        .value_kind:     by_value
    .group_segment_fixed_size: 64
    .kernarg_segment_align: 8
    .kernarg_segment_size: 40
    .language:       OpenCL C
    .language_version:
      - 2
      - 0
    .max_flat_workgroup_size: 128
    .name:           _ZN7rocprim17ROCPRIM_400000_NS6detail17trampoline_kernelINS0_14default_configENS1_22reduce_config_selectorIsEEZNS1_11reduce_implILb1ES3_N6thrust23THRUST_200600_302600_NS6detail15normal_iteratorINS8_10device_ptrIsEEEEPffNS8_4plusIfEEEE10hipError_tPvRmT1_T2_T3_mT4_P12ihipStream_tbEUlT_E1_NS1_11comp_targetILNS1_3genE0ELNS1_11target_archE4294967295ELNS1_3gpuE0ELNS1_3repE0EEENS1_30default_config_static_selectorELNS0_4arch9wavefront6targetE1EEEvSK_
    .private_segment_fixed_size: 0
    .sgpr_count:     106
    .sgpr_spill_count: 44
    .symbol:         _ZN7rocprim17ROCPRIM_400000_NS6detail17trampoline_kernelINS0_14default_configENS1_22reduce_config_selectorIsEEZNS1_11reduce_implILb1ES3_N6thrust23THRUST_200600_302600_NS6detail15normal_iteratorINS8_10device_ptrIsEEEEPffNS8_4plusIfEEEE10hipError_tPvRmT1_T2_T3_mT4_P12ihipStream_tbEUlT_E1_NS1_11comp_targetILNS1_3genE0ELNS1_11target_archE4294967295ELNS1_3gpuE0ELNS1_3repE0EEENS1_30default_config_static_selectorELNS0_4arch9wavefront6targetE1EEEvSK_.kd
    .uniform_work_group_size: 1
    .uses_dynamic_stack: false
    .vgpr_count:     67
    .vgpr_spill_count: 0
    .wavefront_size: 64
  - .agpr_count:     0
    .args:
      - .offset:         0
        .size:           40
        .value_kind:     by_value
    .group_segment_fixed_size: 0
    .kernarg_segment_align: 8
    .kernarg_segment_size: 40
    .language:       OpenCL C
    .language_version:
      - 2
      - 0
    .max_flat_workgroup_size: 256
    .name:           _ZN7rocprim17ROCPRIM_400000_NS6detail17trampoline_kernelINS0_14default_configENS1_22reduce_config_selectorIsEEZNS1_11reduce_implILb1ES3_N6thrust23THRUST_200600_302600_NS6detail15normal_iteratorINS8_10device_ptrIsEEEEPffNS8_4plusIfEEEE10hipError_tPvRmT1_T2_T3_mT4_P12ihipStream_tbEUlT_E1_NS1_11comp_targetILNS1_3genE5ELNS1_11target_archE942ELNS1_3gpuE9ELNS1_3repE0EEENS1_30default_config_static_selectorELNS0_4arch9wavefront6targetE1EEEvSK_
    .private_segment_fixed_size: 0
    .sgpr_count:     6
    .sgpr_spill_count: 0
    .symbol:         _ZN7rocprim17ROCPRIM_400000_NS6detail17trampoline_kernelINS0_14default_configENS1_22reduce_config_selectorIsEEZNS1_11reduce_implILb1ES3_N6thrust23THRUST_200600_302600_NS6detail15normal_iteratorINS8_10device_ptrIsEEEEPffNS8_4plusIfEEEE10hipError_tPvRmT1_T2_T3_mT4_P12ihipStream_tbEUlT_E1_NS1_11comp_targetILNS1_3genE5ELNS1_11target_archE942ELNS1_3gpuE9ELNS1_3repE0EEENS1_30default_config_static_selectorELNS0_4arch9wavefront6targetE1EEEvSK_.kd
    .uniform_work_group_size: 1
    .uses_dynamic_stack: false
    .vgpr_count:     0
    .vgpr_spill_count: 0
    .wavefront_size: 64
  - .agpr_count:     0
    .args:
      - .offset:         0
        .size:           40
        .value_kind:     by_value
    .group_segment_fixed_size: 0
    .kernarg_segment_align: 8
    .kernarg_segment_size: 40
    .language:       OpenCL C
    .language_version:
      - 2
      - 0
    .max_flat_workgroup_size: 64
    .name:           _ZN7rocprim17ROCPRIM_400000_NS6detail17trampoline_kernelINS0_14default_configENS1_22reduce_config_selectorIsEEZNS1_11reduce_implILb1ES3_N6thrust23THRUST_200600_302600_NS6detail15normal_iteratorINS8_10device_ptrIsEEEEPffNS8_4plusIfEEEE10hipError_tPvRmT1_T2_T3_mT4_P12ihipStream_tbEUlT_E1_NS1_11comp_targetILNS1_3genE4ELNS1_11target_archE910ELNS1_3gpuE8ELNS1_3repE0EEENS1_30default_config_static_selectorELNS0_4arch9wavefront6targetE1EEEvSK_
    .private_segment_fixed_size: 0
    .sgpr_count:     6
    .sgpr_spill_count: 0
    .symbol:         _ZN7rocprim17ROCPRIM_400000_NS6detail17trampoline_kernelINS0_14default_configENS1_22reduce_config_selectorIsEEZNS1_11reduce_implILb1ES3_N6thrust23THRUST_200600_302600_NS6detail15normal_iteratorINS8_10device_ptrIsEEEEPffNS8_4plusIfEEEE10hipError_tPvRmT1_T2_T3_mT4_P12ihipStream_tbEUlT_E1_NS1_11comp_targetILNS1_3genE4ELNS1_11target_archE910ELNS1_3gpuE8ELNS1_3repE0EEENS1_30default_config_static_selectorELNS0_4arch9wavefront6targetE1EEEvSK_.kd
    .uniform_work_group_size: 1
    .uses_dynamic_stack: false
    .vgpr_count:     0
    .vgpr_spill_count: 0
    .wavefront_size: 64
  - .agpr_count:     0
    .args:
      - .offset:         0
        .size:           40
        .value_kind:     by_value
    .group_segment_fixed_size: 0
    .kernarg_segment_align: 8
    .kernarg_segment_size: 40
    .language:       OpenCL C
    .language_version:
      - 2
      - 0
    .max_flat_workgroup_size: 128
    .name:           _ZN7rocprim17ROCPRIM_400000_NS6detail17trampoline_kernelINS0_14default_configENS1_22reduce_config_selectorIsEEZNS1_11reduce_implILb1ES3_N6thrust23THRUST_200600_302600_NS6detail15normal_iteratorINS8_10device_ptrIsEEEEPffNS8_4plusIfEEEE10hipError_tPvRmT1_T2_T3_mT4_P12ihipStream_tbEUlT_E1_NS1_11comp_targetILNS1_3genE3ELNS1_11target_archE908ELNS1_3gpuE7ELNS1_3repE0EEENS1_30default_config_static_selectorELNS0_4arch9wavefront6targetE1EEEvSK_
    .private_segment_fixed_size: 0
    .sgpr_count:     6
    .sgpr_spill_count: 0
    .symbol:         _ZN7rocprim17ROCPRIM_400000_NS6detail17trampoline_kernelINS0_14default_configENS1_22reduce_config_selectorIsEEZNS1_11reduce_implILb1ES3_N6thrust23THRUST_200600_302600_NS6detail15normal_iteratorINS8_10device_ptrIsEEEEPffNS8_4plusIfEEEE10hipError_tPvRmT1_T2_T3_mT4_P12ihipStream_tbEUlT_E1_NS1_11comp_targetILNS1_3genE3ELNS1_11target_archE908ELNS1_3gpuE7ELNS1_3repE0EEENS1_30default_config_static_selectorELNS0_4arch9wavefront6targetE1EEEvSK_.kd
    .uniform_work_group_size: 1
    .uses_dynamic_stack: false
    .vgpr_count:     0
    .vgpr_spill_count: 0
    .wavefront_size: 64
  - .agpr_count:     0
    .args:
      - .offset:         0
        .size:           40
        .value_kind:     by_value
    .group_segment_fixed_size: 0
    .kernarg_segment_align: 8
    .kernarg_segment_size: 40
    .language:       OpenCL C
    .language_version:
      - 2
      - 0
    .max_flat_workgroup_size: 256
    .name:           _ZN7rocprim17ROCPRIM_400000_NS6detail17trampoline_kernelINS0_14default_configENS1_22reduce_config_selectorIsEEZNS1_11reduce_implILb1ES3_N6thrust23THRUST_200600_302600_NS6detail15normal_iteratorINS8_10device_ptrIsEEEEPffNS8_4plusIfEEEE10hipError_tPvRmT1_T2_T3_mT4_P12ihipStream_tbEUlT_E1_NS1_11comp_targetILNS1_3genE2ELNS1_11target_archE906ELNS1_3gpuE6ELNS1_3repE0EEENS1_30default_config_static_selectorELNS0_4arch9wavefront6targetE1EEEvSK_
    .private_segment_fixed_size: 0
    .sgpr_count:     6
    .sgpr_spill_count: 0
    .symbol:         _ZN7rocprim17ROCPRIM_400000_NS6detail17trampoline_kernelINS0_14default_configENS1_22reduce_config_selectorIsEEZNS1_11reduce_implILb1ES3_N6thrust23THRUST_200600_302600_NS6detail15normal_iteratorINS8_10device_ptrIsEEEEPffNS8_4plusIfEEEE10hipError_tPvRmT1_T2_T3_mT4_P12ihipStream_tbEUlT_E1_NS1_11comp_targetILNS1_3genE2ELNS1_11target_archE906ELNS1_3gpuE6ELNS1_3repE0EEENS1_30default_config_static_selectorELNS0_4arch9wavefront6targetE1EEEvSK_.kd
    .uniform_work_group_size: 1
    .uses_dynamic_stack: false
    .vgpr_count:     0
    .vgpr_spill_count: 0
    .wavefront_size: 64
  - .agpr_count:     0
    .args:
      - .offset:         0
        .size:           40
        .value_kind:     by_value
    .group_segment_fixed_size: 0
    .kernarg_segment_align: 8
    .kernarg_segment_size: 40
    .language:       OpenCL C
    .language_version:
      - 2
      - 0
    .max_flat_workgroup_size: 256
    .name:           _ZN7rocprim17ROCPRIM_400000_NS6detail17trampoline_kernelINS0_14default_configENS1_22reduce_config_selectorIsEEZNS1_11reduce_implILb1ES3_N6thrust23THRUST_200600_302600_NS6detail15normal_iteratorINS8_10device_ptrIsEEEEPffNS8_4plusIfEEEE10hipError_tPvRmT1_T2_T3_mT4_P12ihipStream_tbEUlT_E1_NS1_11comp_targetILNS1_3genE10ELNS1_11target_archE1201ELNS1_3gpuE5ELNS1_3repE0EEENS1_30default_config_static_selectorELNS0_4arch9wavefront6targetE1EEEvSK_
    .private_segment_fixed_size: 0
    .sgpr_count:     6
    .sgpr_spill_count: 0
    .symbol:         _ZN7rocprim17ROCPRIM_400000_NS6detail17trampoline_kernelINS0_14default_configENS1_22reduce_config_selectorIsEEZNS1_11reduce_implILb1ES3_N6thrust23THRUST_200600_302600_NS6detail15normal_iteratorINS8_10device_ptrIsEEEEPffNS8_4plusIfEEEE10hipError_tPvRmT1_T2_T3_mT4_P12ihipStream_tbEUlT_E1_NS1_11comp_targetILNS1_3genE10ELNS1_11target_archE1201ELNS1_3gpuE5ELNS1_3repE0EEENS1_30default_config_static_selectorELNS0_4arch9wavefront6targetE1EEEvSK_.kd
    .uniform_work_group_size: 1
    .uses_dynamic_stack: false
    .vgpr_count:     0
    .vgpr_spill_count: 0
    .wavefront_size: 64
  - .agpr_count:     0
    .args:
      - .offset:         0
        .size:           40
        .value_kind:     by_value
    .group_segment_fixed_size: 0
    .kernarg_segment_align: 8
    .kernarg_segment_size: 40
    .language:       OpenCL C
    .language_version:
      - 2
      - 0
    .max_flat_workgroup_size: 256
    .name:           _ZN7rocprim17ROCPRIM_400000_NS6detail17trampoline_kernelINS0_14default_configENS1_22reduce_config_selectorIsEEZNS1_11reduce_implILb1ES3_N6thrust23THRUST_200600_302600_NS6detail15normal_iteratorINS8_10device_ptrIsEEEEPffNS8_4plusIfEEEE10hipError_tPvRmT1_T2_T3_mT4_P12ihipStream_tbEUlT_E1_NS1_11comp_targetILNS1_3genE10ELNS1_11target_archE1200ELNS1_3gpuE4ELNS1_3repE0EEENS1_30default_config_static_selectorELNS0_4arch9wavefront6targetE1EEEvSK_
    .private_segment_fixed_size: 0
    .sgpr_count:     6
    .sgpr_spill_count: 0
    .symbol:         _ZN7rocprim17ROCPRIM_400000_NS6detail17trampoline_kernelINS0_14default_configENS1_22reduce_config_selectorIsEEZNS1_11reduce_implILb1ES3_N6thrust23THRUST_200600_302600_NS6detail15normal_iteratorINS8_10device_ptrIsEEEEPffNS8_4plusIfEEEE10hipError_tPvRmT1_T2_T3_mT4_P12ihipStream_tbEUlT_E1_NS1_11comp_targetILNS1_3genE10ELNS1_11target_archE1200ELNS1_3gpuE4ELNS1_3repE0EEENS1_30default_config_static_selectorELNS0_4arch9wavefront6targetE1EEEvSK_.kd
    .uniform_work_group_size: 1
    .uses_dynamic_stack: false
    .vgpr_count:     0
    .vgpr_spill_count: 0
    .wavefront_size: 64
  - .agpr_count:     0
    .args:
      - .offset:         0
        .size:           40
        .value_kind:     by_value
    .group_segment_fixed_size: 0
    .kernarg_segment_align: 8
    .kernarg_segment_size: 40
    .language:       OpenCL C
    .language_version:
      - 2
      - 0
    .max_flat_workgroup_size: 256
    .name:           _ZN7rocprim17ROCPRIM_400000_NS6detail17trampoline_kernelINS0_14default_configENS1_22reduce_config_selectorIsEEZNS1_11reduce_implILb1ES3_N6thrust23THRUST_200600_302600_NS6detail15normal_iteratorINS8_10device_ptrIsEEEEPffNS8_4plusIfEEEE10hipError_tPvRmT1_T2_T3_mT4_P12ihipStream_tbEUlT_E1_NS1_11comp_targetILNS1_3genE9ELNS1_11target_archE1100ELNS1_3gpuE3ELNS1_3repE0EEENS1_30default_config_static_selectorELNS0_4arch9wavefront6targetE1EEEvSK_
    .private_segment_fixed_size: 0
    .sgpr_count:     6
    .sgpr_spill_count: 0
    .symbol:         _ZN7rocprim17ROCPRIM_400000_NS6detail17trampoline_kernelINS0_14default_configENS1_22reduce_config_selectorIsEEZNS1_11reduce_implILb1ES3_N6thrust23THRUST_200600_302600_NS6detail15normal_iteratorINS8_10device_ptrIsEEEEPffNS8_4plusIfEEEE10hipError_tPvRmT1_T2_T3_mT4_P12ihipStream_tbEUlT_E1_NS1_11comp_targetILNS1_3genE9ELNS1_11target_archE1100ELNS1_3gpuE3ELNS1_3repE0EEENS1_30default_config_static_selectorELNS0_4arch9wavefront6targetE1EEEvSK_.kd
    .uniform_work_group_size: 1
    .uses_dynamic_stack: false
    .vgpr_count:     0
    .vgpr_spill_count: 0
    .wavefront_size: 64
  - .agpr_count:     0
    .args:
      - .offset:         0
        .size:           40
        .value_kind:     by_value
    .group_segment_fixed_size: 0
    .kernarg_segment_align: 8
    .kernarg_segment_size: 40
    .language:       OpenCL C
    .language_version:
      - 2
      - 0
    .max_flat_workgroup_size: 256
    .name:           _ZN7rocprim17ROCPRIM_400000_NS6detail17trampoline_kernelINS0_14default_configENS1_22reduce_config_selectorIsEEZNS1_11reduce_implILb1ES3_N6thrust23THRUST_200600_302600_NS6detail15normal_iteratorINS8_10device_ptrIsEEEEPffNS8_4plusIfEEEE10hipError_tPvRmT1_T2_T3_mT4_P12ihipStream_tbEUlT_E1_NS1_11comp_targetILNS1_3genE8ELNS1_11target_archE1030ELNS1_3gpuE2ELNS1_3repE0EEENS1_30default_config_static_selectorELNS0_4arch9wavefront6targetE1EEEvSK_
    .private_segment_fixed_size: 0
    .sgpr_count:     6
    .sgpr_spill_count: 0
    .symbol:         _ZN7rocprim17ROCPRIM_400000_NS6detail17trampoline_kernelINS0_14default_configENS1_22reduce_config_selectorIsEEZNS1_11reduce_implILb1ES3_N6thrust23THRUST_200600_302600_NS6detail15normal_iteratorINS8_10device_ptrIsEEEEPffNS8_4plusIfEEEE10hipError_tPvRmT1_T2_T3_mT4_P12ihipStream_tbEUlT_E1_NS1_11comp_targetILNS1_3genE8ELNS1_11target_archE1030ELNS1_3gpuE2ELNS1_3repE0EEENS1_30default_config_static_selectorELNS0_4arch9wavefront6targetE1EEEvSK_.kd
    .uniform_work_group_size: 1
    .uses_dynamic_stack: false
    .vgpr_count:     0
    .vgpr_spill_count: 0
    .wavefront_size: 64
  - .agpr_count:     0
    .args:
      - .offset:         0
        .size:           64
        .value_kind:     by_value
    .group_segment_fixed_size: 64
    .kernarg_segment_align: 8
    .kernarg_segment_size: 64
    .language:       OpenCL C
    .language_version:
      - 2
      - 0
    .max_flat_workgroup_size: 256
    .name:           _ZN7rocprim17ROCPRIM_400000_NS6detail17trampoline_kernelINS0_14default_configENS1_22reduce_config_selectorImEEZNS1_11reduce_implILb1ES3_PmS7_m11plus_mod_10ImEEE10hipError_tPvRmT1_T2_T3_mT4_P12ihipStream_tbEUlT_E0_NS1_11comp_targetILNS1_3genE0ELNS1_11target_archE4294967295ELNS1_3gpuE0ELNS1_3repE0EEENS1_30default_config_static_selectorELNS0_4arch9wavefront6targetE1EEEvSD_
    .private_segment_fixed_size: 0
    .sgpr_count:     54
    .sgpr_spill_count: 0
    .symbol:         _ZN7rocprim17ROCPRIM_400000_NS6detail17trampoline_kernelINS0_14default_configENS1_22reduce_config_selectorImEEZNS1_11reduce_implILb1ES3_PmS7_m11plus_mod_10ImEEE10hipError_tPvRmT1_T2_T3_mT4_P12ihipStream_tbEUlT_E0_NS1_11comp_targetILNS1_3genE0ELNS1_11target_archE4294967295ELNS1_3gpuE0ELNS1_3repE0EEENS1_30default_config_static_selectorELNS0_4arch9wavefront6targetE1EEEvSD_.kd
    .uniform_work_group_size: 1
    .uses_dynamic_stack: false
    .vgpr_count:     68
    .vgpr_spill_count: 0
    .wavefront_size: 64
  - .agpr_count:     0
    .args:
      - .offset:         0
        .size:           64
        .value_kind:     by_value
    .group_segment_fixed_size: 0
    .kernarg_segment_align: 8
    .kernarg_segment_size: 64
    .language:       OpenCL C
    .language_version:
      - 2
      - 0
    .max_flat_workgroup_size: 256
    .name:           _ZN7rocprim17ROCPRIM_400000_NS6detail17trampoline_kernelINS0_14default_configENS1_22reduce_config_selectorImEEZNS1_11reduce_implILb1ES3_PmS7_m11plus_mod_10ImEEE10hipError_tPvRmT1_T2_T3_mT4_P12ihipStream_tbEUlT_E0_NS1_11comp_targetILNS1_3genE5ELNS1_11target_archE942ELNS1_3gpuE9ELNS1_3repE0EEENS1_30default_config_static_selectorELNS0_4arch9wavefront6targetE1EEEvSD_
    .private_segment_fixed_size: 0
    .sgpr_count:     6
    .sgpr_spill_count: 0
    .symbol:         _ZN7rocprim17ROCPRIM_400000_NS6detail17trampoline_kernelINS0_14default_configENS1_22reduce_config_selectorImEEZNS1_11reduce_implILb1ES3_PmS7_m11plus_mod_10ImEEE10hipError_tPvRmT1_T2_T3_mT4_P12ihipStream_tbEUlT_E0_NS1_11comp_targetILNS1_3genE5ELNS1_11target_archE942ELNS1_3gpuE9ELNS1_3repE0EEENS1_30default_config_static_selectorELNS0_4arch9wavefront6targetE1EEEvSD_.kd
    .uniform_work_group_size: 1
    .uses_dynamic_stack: false
    .vgpr_count:     0
    .vgpr_spill_count: 0
    .wavefront_size: 64
  - .agpr_count:     0
    .args:
      - .offset:         0
        .size:           64
        .value_kind:     by_value
    .group_segment_fixed_size: 0
    .kernarg_segment_align: 8
    .kernarg_segment_size: 64
    .language:       OpenCL C
    .language_version:
      - 2
      - 0
    .max_flat_workgroup_size: 256
    .name:           _ZN7rocprim17ROCPRIM_400000_NS6detail17trampoline_kernelINS0_14default_configENS1_22reduce_config_selectorImEEZNS1_11reduce_implILb1ES3_PmS7_m11plus_mod_10ImEEE10hipError_tPvRmT1_T2_T3_mT4_P12ihipStream_tbEUlT_E0_NS1_11comp_targetILNS1_3genE4ELNS1_11target_archE910ELNS1_3gpuE8ELNS1_3repE0EEENS1_30default_config_static_selectorELNS0_4arch9wavefront6targetE1EEEvSD_
    .private_segment_fixed_size: 0
    .sgpr_count:     6
    .sgpr_spill_count: 0
    .symbol:         _ZN7rocprim17ROCPRIM_400000_NS6detail17trampoline_kernelINS0_14default_configENS1_22reduce_config_selectorImEEZNS1_11reduce_implILb1ES3_PmS7_m11plus_mod_10ImEEE10hipError_tPvRmT1_T2_T3_mT4_P12ihipStream_tbEUlT_E0_NS1_11comp_targetILNS1_3genE4ELNS1_11target_archE910ELNS1_3gpuE8ELNS1_3repE0EEENS1_30default_config_static_selectorELNS0_4arch9wavefront6targetE1EEEvSD_.kd
    .uniform_work_group_size: 1
    .uses_dynamic_stack: false
    .vgpr_count:     0
    .vgpr_spill_count: 0
    .wavefront_size: 64
  - .agpr_count:     0
    .args:
      - .offset:         0
        .size:           64
        .value_kind:     by_value
    .group_segment_fixed_size: 0
    .kernarg_segment_align: 8
    .kernarg_segment_size: 64
    .language:       OpenCL C
    .language_version:
      - 2
      - 0
    .max_flat_workgroup_size: 256
    .name:           _ZN7rocprim17ROCPRIM_400000_NS6detail17trampoline_kernelINS0_14default_configENS1_22reduce_config_selectorImEEZNS1_11reduce_implILb1ES3_PmS7_m11plus_mod_10ImEEE10hipError_tPvRmT1_T2_T3_mT4_P12ihipStream_tbEUlT_E0_NS1_11comp_targetILNS1_3genE3ELNS1_11target_archE908ELNS1_3gpuE7ELNS1_3repE0EEENS1_30default_config_static_selectorELNS0_4arch9wavefront6targetE1EEEvSD_
    .private_segment_fixed_size: 0
    .sgpr_count:     6
    .sgpr_spill_count: 0
    .symbol:         _ZN7rocprim17ROCPRIM_400000_NS6detail17trampoline_kernelINS0_14default_configENS1_22reduce_config_selectorImEEZNS1_11reduce_implILb1ES3_PmS7_m11plus_mod_10ImEEE10hipError_tPvRmT1_T2_T3_mT4_P12ihipStream_tbEUlT_E0_NS1_11comp_targetILNS1_3genE3ELNS1_11target_archE908ELNS1_3gpuE7ELNS1_3repE0EEENS1_30default_config_static_selectorELNS0_4arch9wavefront6targetE1EEEvSD_.kd
    .uniform_work_group_size: 1
    .uses_dynamic_stack: false
    .vgpr_count:     0
    .vgpr_spill_count: 0
    .wavefront_size: 64
  - .agpr_count:     0
    .args:
      - .offset:         0
        .size:           64
        .value_kind:     by_value
    .group_segment_fixed_size: 0
    .kernarg_segment_align: 8
    .kernarg_segment_size: 64
    .language:       OpenCL C
    .language_version:
      - 2
      - 0
    .max_flat_workgroup_size: 256
    .name:           _ZN7rocprim17ROCPRIM_400000_NS6detail17trampoline_kernelINS0_14default_configENS1_22reduce_config_selectorImEEZNS1_11reduce_implILb1ES3_PmS7_m11plus_mod_10ImEEE10hipError_tPvRmT1_T2_T3_mT4_P12ihipStream_tbEUlT_E0_NS1_11comp_targetILNS1_3genE2ELNS1_11target_archE906ELNS1_3gpuE6ELNS1_3repE0EEENS1_30default_config_static_selectorELNS0_4arch9wavefront6targetE1EEEvSD_
    .private_segment_fixed_size: 0
    .sgpr_count:     6
    .sgpr_spill_count: 0
    .symbol:         _ZN7rocprim17ROCPRIM_400000_NS6detail17trampoline_kernelINS0_14default_configENS1_22reduce_config_selectorImEEZNS1_11reduce_implILb1ES3_PmS7_m11plus_mod_10ImEEE10hipError_tPvRmT1_T2_T3_mT4_P12ihipStream_tbEUlT_E0_NS1_11comp_targetILNS1_3genE2ELNS1_11target_archE906ELNS1_3gpuE6ELNS1_3repE0EEENS1_30default_config_static_selectorELNS0_4arch9wavefront6targetE1EEEvSD_.kd
    .uniform_work_group_size: 1
    .uses_dynamic_stack: false
    .vgpr_count:     0
    .vgpr_spill_count: 0
    .wavefront_size: 64
  - .agpr_count:     0
    .args:
      - .offset:         0
        .size:           64
        .value_kind:     by_value
    .group_segment_fixed_size: 0
    .kernarg_segment_align: 8
    .kernarg_segment_size: 64
    .language:       OpenCL C
    .language_version:
      - 2
      - 0
    .max_flat_workgroup_size: 256
    .name:           _ZN7rocprim17ROCPRIM_400000_NS6detail17trampoline_kernelINS0_14default_configENS1_22reduce_config_selectorImEEZNS1_11reduce_implILb1ES3_PmS7_m11plus_mod_10ImEEE10hipError_tPvRmT1_T2_T3_mT4_P12ihipStream_tbEUlT_E0_NS1_11comp_targetILNS1_3genE10ELNS1_11target_archE1201ELNS1_3gpuE5ELNS1_3repE0EEENS1_30default_config_static_selectorELNS0_4arch9wavefront6targetE1EEEvSD_
    .private_segment_fixed_size: 0
    .sgpr_count:     6
    .sgpr_spill_count: 0
    .symbol:         _ZN7rocprim17ROCPRIM_400000_NS6detail17trampoline_kernelINS0_14default_configENS1_22reduce_config_selectorImEEZNS1_11reduce_implILb1ES3_PmS7_m11plus_mod_10ImEEE10hipError_tPvRmT1_T2_T3_mT4_P12ihipStream_tbEUlT_E0_NS1_11comp_targetILNS1_3genE10ELNS1_11target_archE1201ELNS1_3gpuE5ELNS1_3repE0EEENS1_30default_config_static_selectorELNS0_4arch9wavefront6targetE1EEEvSD_.kd
    .uniform_work_group_size: 1
    .uses_dynamic_stack: false
    .vgpr_count:     0
    .vgpr_spill_count: 0
    .wavefront_size: 64
  - .agpr_count:     0
    .args:
      - .offset:         0
        .size:           64
        .value_kind:     by_value
    .group_segment_fixed_size: 0
    .kernarg_segment_align: 8
    .kernarg_segment_size: 64
    .language:       OpenCL C
    .language_version:
      - 2
      - 0
    .max_flat_workgroup_size: 256
    .name:           _ZN7rocprim17ROCPRIM_400000_NS6detail17trampoline_kernelINS0_14default_configENS1_22reduce_config_selectorImEEZNS1_11reduce_implILb1ES3_PmS7_m11plus_mod_10ImEEE10hipError_tPvRmT1_T2_T3_mT4_P12ihipStream_tbEUlT_E0_NS1_11comp_targetILNS1_3genE10ELNS1_11target_archE1200ELNS1_3gpuE4ELNS1_3repE0EEENS1_30default_config_static_selectorELNS0_4arch9wavefront6targetE1EEEvSD_
    .private_segment_fixed_size: 0
    .sgpr_count:     6
    .sgpr_spill_count: 0
    .symbol:         _ZN7rocprim17ROCPRIM_400000_NS6detail17trampoline_kernelINS0_14default_configENS1_22reduce_config_selectorImEEZNS1_11reduce_implILb1ES3_PmS7_m11plus_mod_10ImEEE10hipError_tPvRmT1_T2_T3_mT4_P12ihipStream_tbEUlT_E0_NS1_11comp_targetILNS1_3genE10ELNS1_11target_archE1200ELNS1_3gpuE4ELNS1_3repE0EEENS1_30default_config_static_selectorELNS0_4arch9wavefront6targetE1EEEvSD_.kd
    .uniform_work_group_size: 1
    .uses_dynamic_stack: false
    .vgpr_count:     0
    .vgpr_spill_count: 0
    .wavefront_size: 64
  - .agpr_count:     0
    .args:
      - .offset:         0
        .size:           64
        .value_kind:     by_value
    .group_segment_fixed_size: 0
    .kernarg_segment_align: 8
    .kernarg_segment_size: 64
    .language:       OpenCL C
    .language_version:
      - 2
      - 0
    .max_flat_workgroup_size: 256
    .name:           _ZN7rocprim17ROCPRIM_400000_NS6detail17trampoline_kernelINS0_14default_configENS1_22reduce_config_selectorImEEZNS1_11reduce_implILb1ES3_PmS7_m11plus_mod_10ImEEE10hipError_tPvRmT1_T2_T3_mT4_P12ihipStream_tbEUlT_E0_NS1_11comp_targetILNS1_3genE9ELNS1_11target_archE1100ELNS1_3gpuE3ELNS1_3repE0EEENS1_30default_config_static_selectorELNS0_4arch9wavefront6targetE1EEEvSD_
    .private_segment_fixed_size: 0
    .sgpr_count:     6
    .sgpr_spill_count: 0
    .symbol:         _ZN7rocprim17ROCPRIM_400000_NS6detail17trampoline_kernelINS0_14default_configENS1_22reduce_config_selectorImEEZNS1_11reduce_implILb1ES3_PmS7_m11plus_mod_10ImEEE10hipError_tPvRmT1_T2_T3_mT4_P12ihipStream_tbEUlT_E0_NS1_11comp_targetILNS1_3genE9ELNS1_11target_archE1100ELNS1_3gpuE3ELNS1_3repE0EEENS1_30default_config_static_selectorELNS0_4arch9wavefront6targetE1EEEvSD_.kd
    .uniform_work_group_size: 1
    .uses_dynamic_stack: false
    .vgpr_count:     0
    .vgpr_spill_count: 0
    .wavefront_size: 64
  - .agpr_count:     0
    .args:
      - .offset:         0
        .size:           64
        .value_kind:     by_value
    .group_segment_fixed_size: 0
    .kernarg_segment_align: 8
    .kernarg_segment_size: 64
    .language:       OpenCL C
    .language_version:
      - 2
      - 0
    .max_flat_workgroup_size: 256
    .name:           _ZN7rocprim17ROCPRIM_400000_NS6detail17trampoline_kernelINS0_14default_configENS1_22reduce_config_selectorImEEZNS1_11reduce_implILb1ES3_PmS7_m11plus_mod_10ImEEE10hipError_tPvRmT1_T2_T3_mT4_P12ihipStream_tbEUlT_E0_NS1_11comp_targetILNS1_3genE8ELNS1_11target_archE1030ELNS1_3gpuE2ELNS1_3repE0EEENS1_30default_config_static_selectorELNS0_4arch9wavefront6targetE1EEEvSD_
    .private_segment_fixed_size: 0
    .sgpr_count:     6
    .sgpr_spill_count: 0
    .symbol:         _ZN7rocprim17ROCPRIM_400000_NS6detail17trampoline_kernelINS0_14default_configENS1_22reduce_config_selectorImEEZNS1_11reduce_implILb1ES3_PmS7_m11plus_mod_10ImEEE10hipError_tPvRmT1_T2_T3_mT4_P12ihipStream_tbEUlT_E0_NS1_11comp_targetILNS1_3genE8ELNS1_11target_archE1030ELNS1_3gpuE2ELNS1_3repE0EEENS1_30default_config_static_selectorELNS0_4arch9wavefront6targetE1EEEvSD_.kd
    .uniform_work_group_size: 1
    .uses_dynamic_stack: false
    .vgpr_count:     0
    .vgpr_spill_count: 0
    .wavefront_size: 64
  - .agpr_count:     0
    .args:
      - .offset:         0
        .size:           48
        .value_kind:     by_value
    .group_segment_fixed_size: 192
    .kernarg_segment_align: 8
    .kernarg_segment_size: 48
    .language:       OpenCL C
    .language_version:
      - 2
      - 0
    .max_flat_workgroup_size: 256
    .name:           _ZN7rocprim17ROCPRIM_400000_NS6detail17trampoline_kernelINS0_14default_configENS1_22reduce_config_selectorImEEZNS1_11reduce_implILb1ES3_PmS7_m11plus_mod_10ImEEE10hipError_tPvRmT1_T2_T3_mT4_P12ihipStream_tbEUlT_E1_NS1_11comp_targetILNS1_3genE0ELNS1_11target_archE4294967295ELNS1_3gpuE0ELNS1_3repE0EEENS1_30default_config_static_selectorELNS0_4arch9wavefront6targetE1EEEvSD_
    .private_segment_fixed_size: 0
    .sgpr_count:     53
    .sgpr_spill_count: 0
    .symbol:         _ZN7rocprim17ROCPRIM_400000_NS6detail17trampoline_kernelINS0_14default_configENS1_22reduce_config_selectorImEEZNS1_11reduce_implILb1ES3_PmS7_m11plus_mod_10ImEEE10hipError_tPvRmT1_T2_T3_mT4_P12ihipStream_tbEUlT_E1_NS1_11comp_targetILNS1_3genE0ELNS1_11target_archE4294967295ELNS1_3gpuE0ELNS1_3repE0EEENS1_30default_config_static_selectorELNS0_4arch9wavefront6targetE1EEEvSD_.kd
    .uniform_work_group_size: 1
    .uses_dynamic_stack: false
    .vgpr_count:     46
    .vgpr_spill_count: 0
    .wavefront_size: 64
  - .agpr_count:     0
    .args:
      - .offset:         0
        .size:           48
        .value_kind:     by_value
    .group_segment_fixed_size: 0
    .kernarg_segment_align: 8
    .kernarg_segment_size: 48
    .language:       OpenCL C
    .language_version:
      - 2
      - 0
    .max_flat_workgroup_size: 256
    .name:           _ZN7rocprim17ROCPRIM_400000_NS6detail17trampoline_kernelINS0_14default_configENS1_22reduce_config_selectorImEEZNS1_11reduce_implILb1ES3_PmS7_m11plus_mod_10ImEEE10hipError_tPvRmT1_T2_T3_mT4_P12ihipStream_tbEUlT_E1_NS1_11comp_targetILNS1_3genE5ELNS1_11target_archE942ELNS1_3gpuE9ELNS1_3repE0EEENS1_30default_config_static_selectorELNS0_4arch9wavefront6targetE1EEEvSD_
    .private_segment_fixed_size: 0
    .sgpr_count:     6
    .sgpr_spill_count: 0
    .symbol:         _ZN7rocprim17ROCPRIM_400000_NS6detail17trampoline_kernelINS0_14default_configENS1_22reduce_config_selectorImEEZNS1_11reduce_implILb1ES3_PmS7_m11plus_mod_10ImEEE10hipError_tPvRmT1_T2_T3_mT4_P12ihipStream_tbEUlT_E1_NS1_11comp_targetILNS1_3genE5ELNS1_11target_archE942ELNS1_3gpuE9ELNS1_3repE0EEENS1_30default_config_static_selectorELNS0_4arch9wavefront6targetE1EEEvSD_.kd
    .uniform_work_group_size: 1
    .uses_dynamic_stack: false
    .vgpr_count:     0
    .vgpr_spill_count: 0
    .wavefront_size: 64
  - .agpr_count:     0
    .args:
      - .offset:         0
        .size:           48
        .value_kind:     by_value
    .group_segment_fixed_size: 0
    .kernarg_segment_align: 8
    .kernarg_segment_size: 48
    .language:       OpenCL C
    .language_version:
      - 2
      - 0
    .max_flat_workgroup_size: 256
    .name:           _ZN7rocprim17ROCPRIM_400000_NS6detail17trampoline_kernelINS0_14default_configENS1_22reduce_config_selectorImEEZNS1_11reduce_implILb1ES3_PmS7_m11plus_mod_10ImEEE10hipError_tPvRmT1_T2_T3_mT4_P12ihipStream_tbEUlT_E1_NS1_11comp_targetILNS1_3genE4ELNS1_11target_archE910ELNS1_3gpuE8ELNS1_3repE0EEENS1_30default_config_static_selectorELNS0_4arch9wavefront6targetE1EEEvSD_
    .private_segment_fixed_size: 0
    .sgpr_count:     6
    .sgpr_spill_count: 0
    .symbol:         _ZN7rocprim17ROCPRIM_400000_NS6detail17trampoline_kernelINS0_14default_configENS1_22reduce_config_selectorImEEZNS1_11reduce_implILb1ES3_PmS7_m11plus_mod_10ImEEE10hipError_tPvRmT1_T2_T3_mT4_P12ihipStream_tbEUlT_E1_NS1_11comp_targetILNS1_3genE4ELNS1_11target_archE910ELNS1_3gpuE8ELNS1_3repE0EEENS1_30default_config_static_selectorELNS0_4arch9wavefront6targetE1EEEvSD_.kd
    .uniform_work_group_size: 1
    .uses_dynamic_stack: false
    .vgpr_count:     0
    .vgpr_spill_count: 0
    .wavefront_size: 64
  - .agpr_count:     0
    .args:
      - .offset:         0
        .size:           48
        .value_kind:     by_value
    .group_segment_fixed_size: 0
    .kernarg_segment_align: 8
    .kernarg_segment_size: 48
    .language:       OpenCL C
    .language_version:
      - 2
      - 0
    .max_flat_workgroup_size: 256
    .name:           _ZN7rocprim17ROCPRIM_400000_NS6detail17trampoline_kernelINS0_14default_configENS1_22reduce_config_selectorImEEZNS1_11reduce_implILb1ES3_PmS7_m11plus_mod_10ImEEE10hipError_tPvRmT1_T2_T3_mT4_P12ihipStream_tbEUlT_E1_NS1_11comp_targetILNS1_3genE3ELNS1_11target_archE908ELNS1_3gpuE7ELNS1_3repE0EEENS1_30default_config_static_selectorELNS0_4arch9wavefront6targetE1EEEvSD_
    .private_segment_fixed_size: 0
    .sgpr_count:     6
    .sgpr_spill_count: 0
    .symbol:         _ZN7rocprim17ROCPRIM_400000_NS6detail17trampoline_kernelINS0_14default_configENS1_22reduce_config_selectorImEEZNS1_11reduce_implILb1ES3_PmS7_m11plus_mod_10ImEEE10hipError_tPvRmT1_T2_T3_mT4_P12ihipStream_tbEUlT_E1_NS1_11comp_targetILNS1_3genE3ELNS1_11target_archE908ELNS1_3gpuE7ELNS1_3repE0EEENS1_30default_config_static_selectorELNS0_4arch9wavefront6targetE1EEEvSD_.kd
    .uniform_work_group_size: 1
    .uses_dynamic_stack: false
    .vgpr_count:     0
    .vgpr_spill_count: 0
    .wavefront_size: 64
  - .agpr_count:     0
    .args:
      - .offset:         0
        .size:           48
        .value_kind:     by_value
    .group_segment_fixed_size: 0
    .kernarg_segment_align: 8
    .kernarg_segment_size: 48
    .language:       OpenCL C
    .language_version:
      - 2
      - 0
    .max_flat_workgroup_size: 256
    .name:           _ZN7rocprim17ROCPRIM_400000_NS6detail17trampoline_kernelINS0_14default_configENS1_22reduce_config_selectorImEEZNS1_11reduce_implILb1ES3_PmS7_m11plus_mod_10ImEEE10hipError_tPvRmT1_T2_T3_mT4_P12ihipStream_tbEUlT_E1_NS1_11comp_targetILNS1_3genE2ELNS1_11target_archE906ELNS1_3gpuE6ELNS1_3repE0EEENS1_30default_config_static_selectorELNS0_4arch9wavefront6targetE1EEEvSD_
    .private_segment_fixed_size: 0
    .sgpr_count:     6
    .sgpr_spill_count: 0
    .symbol:         _ZN7rocprim17ROCPRIM_400000_NS6detail17trampoline_kernelINS0_14default_configENS1_22reduce_config_selectorImEEZNS1_11reduce_implILb1ES3_PmS7_m11plus_mod_10ImEEE10hipError_tPvRmT1_T2_T3_mT4_P12ihipStream_tbEUlT_E1_NS1_11comp_targetILNS1_3genE2ELNS1_11target_archE906ELNS1_3gpuE6ELNS1_3repE0EEENS1_30default_config_static_selectorELNS0_4arch9wavefront6targetE1EEEvSD_.kd
    .uniform_work_group_size: 1
    .uses_dynamic_stack: false
    .vgpr_count:     0
    .vgpr_spill_count: 0
    .wavefront_size: 64
  - .agpr_count:     0
    .args:
      - .offset:         0
        .size:           48
        .value_kind:     by_value
    .group_segment_fixed_size: 0
    .kernarg_segment_align: 8
    .kernarg_segment_size: 48
    .language:       OpenCL C
    .language_version:
      - 2
      - 0
    .max_flat_workgroup_size: 256
    .name:           _ZN7rocprim17ROCPRIM_400000_NS6detail17trampoline_kernelINS0_14default_configENS1_22reduce_config_selectorImEEZNS1_11reduce_implILb1ES3_PmS7_m11plus_mod_10ImEEE10hipError_tPvRmT1_T2_T3_mT4_P12ihipStream_tbEUlT_E1_NS1_11comp_targetILNS1_3genE10ELNS1_11target_archE1201ELNS1_3gpuE5ELNS1_3repE0EEENS1_30default_config_static_selectorELNS0_4arch9wavefront6targetE1EEEvSD_
    .private_segment_fixed_size: 0
    .sgpr_count:     6
    .sgpr_spill_count: 0
    .symbol:         _ZN7rocprim17ROCPRIM_400000_NS6detail17trampoline_kernelINS0_14default_configENS1_22reduce_config_selectorImEEZNS1_11reduce_implILb1ES3_PmS7_m11plus_mod_10ImEEE10hipError_tPvRmT1_T2_T3_mT4_P12ihipStream_tbEUlT_E1_NS1_11comp_targetILNS1_3genE10ELNS1_11target_archE1201ELNS1_3gpuE5ELNS1_3repE0EEENS1_30default_config_static_selectorELNS0_4arch9wavefront6targetE1EEEvSD_.kd
    .uniform_work_group_size: 1
    .uses_dynamic_stack: false
    .vgpr_count:     0
    .vgpr_spill_count: 0
    .wavefront_size: 64
  - .agpr_count:     0
    .args:
      - .offset:         0
        .size:           48
        .value_kind:     by_value
    .group_segment_fixed_size: 0
    .kernarg_segment_align: 8
    .kernarg_segment_size: 48
    .language:       OpenCL C
    .language_version:
      - 2
      - 0
    .max_flat_workgroup_size: 256
    .name:           _ZN7rocprim17ROCPRIM_400000_NS6detail17trampoline_kernelINS0_14default_configENS1_22reduce_config_selectorImEEZNS1_11reduce_implILb1ES3_PmS7_m11plus_mod_10ImEEE10hipError_tPvRmT1_T2_T3_mT4_P12ihipStream_tbEUlT_E1_NS1_11comp_targetILNS1_3genE10ELNS1_11target_archE1200ELNS1_3gpuE4ELNS1_3repE0EEENS1_30default_config_static_selectorELNS0_4arch9wavefront6targetE1EEEvSD_
    .private_segment_fixed_size: 0
    .sgpr_count:     6
    .sgpr_spill_count: 0
    .symbol:         _ZN7rocprim17ROCPRIM_400000_NS6detail17trampoline_kernelINS0_14default_configENS1_22reduce_config_selectorImEEZNS1_11reduce_implILb1ES3_PmS7_m11plus_mod_10ImEEE10hipError_tPvRmT1_T2_T3_mT4_P12ihipStream_tbEUlT_E1_NS1_11comp_targetILNS1_3genE10ELNS1_11target_archE1200ELNS1_3gpuE4ELNS1_3repE0EEENS1_30default_config_static_selectorELNS0_4arch9wavefront6targetE1EEEvSD_.kd
    .uniform_work_group_size: 1
    .uses_dynamic_stack: false
    .vgpr_count:     0
    .vgpr_spill_count: 0
    .wavefront_size: 64
  - .agpr_count:     0
    .args:
      - .offset:         0
        .size:           48
        .value_kind:     by_value
    .group_segment_fixed_size: 0
    .kernarg_segment_align: 8
    .kernarg_segment_size: 48
    .language:       OpenCL C
    .language_version:
      - 2
      - 0
    .max_flat_workgroup_size: 256
    .name:           _ZN7rocprim17ROCPRIM_400000_NS6detail17trampoline_kernelINS0_14default_configENS1_22reduce_config_selectorImEEZNS1_11reduce_implILb1ES3_PmS7_m11plus_mod_10ImEEE10hipError_tPvRmT1_T2_T3_mT4_P12ihipStream_tbEUlT_E1_NS1_11comp_targetILNS1_3genE9ELNS1_11target_archE1100ELNS1_3gpuE3ELNS1_3repE0EEENS1_30default_config_static_selectorELNS0_4arch9wavefront6targetE1EEEvSD_
    .private_segment_fixed_size: 0
    .sgpr_count:     6
    .sgpr_spill_count: 0
    .symbol:         _ZN7rocprim17ROCPRIM_400000_NS6detail17trampoline_kernelINS0_14default_configENS1_22reduce_config_selectorImEEZNS1_11reduce_implILb1ES3_PmS7_m11plus_mod_10ImEEE10hipError_tPvRmT1_T2_T3_mT4_P12ihipStream_tbEUlT_E1_NS1_11comp_targetILNS1_3genE9ELNS1_11target_archE1100ELNS1_3gpuE3ELNS1_3repE0EEENS1_30default_config_static_selectorELNS0_4arch9wavefront6targetE1EEEvSD_.kd
    .uniform_work_group_size: 1
    .uses_dynamic_stack: false
    .vgpr_count:     0
    .vgpr_spill_count: 0
    .wavefront_size: 64
  - .agpr_count:     0
    .args:
      - .offset:         0
        .size:           48
        .value_kind:     by_value
    .group_segment_fixed_size: 0
    .kernarg_segment_align: 8
    .kernarg_segment_size: 48
    .language:       OpenCL C
    .language_version:
      - 2
      - 0
    .max_flat_workgroup_size: 256
    .name:           _ZN7rocprim17ROCPRIM_400000_NS6detail17trampoline_kernelINS0_14default_configENS1_22reduce_config_selectorImEEZNS1_11reduce_implILb1ES3_PmS7_m11plus_mod_10ImEEE10hipError_tPvRmT1_T2_T3_mT4_P12ihipStream_tbEUlT_E1_NS1_11comp_targetILNS1_3genE8ELNS1_11target_archE1030ELNS1_3gpuE2ELNS1_3repE0EEENS1_30default_config_static_selectorELNS0_4arch9wavefront6targetE1EEEvSD_
    .private_segment_fixed_size: 0
    .sgpr_count:     6
    .sgpr_spill_count: 0
    .symbol:         _ZN7rocprim17ROCPRIM_400000_NS6detail17trampoline_kernelINS0_14default_configENS1_22reduce_config_selectorImEEZNS1_11reduce_implILb1ES3_PmS7_m11plus_mod_10ImEEE10hipError_tPvRmT1_T2_T3_mT4_P12ihipStream_tbEUlT_E1_NS1_11comp_targetILNS1_3genE8ELNS1_11target_archE1030ELNS1_3gpuE2ELNS1_3repE0EEENS1_30default_config_static_selectorELNS0_4arch9wavefront6targetE1EEEvSD_.kd
    .uniform_work_group_size: 1
    .uses_dynamic_stack: false
    .vgpr_count:     0
    .vgpr_spill_count: 0
    .wavefront_size: 64
  - .agpr_count:     0
    .args:
      - .offset:         0
        .size:           64
        .value_kind:     by_value
    .group_segment_fixed_size: 64
    .kernarg_segment_align: 8
    .kernarg_segment_size: 64
    .language:       OpenCL C
    .language_version:
      - 2
      - 0
    .max_flat_workgroup_size: 256
    .name:           _ZN7rocprim17ROCPRIM_400000_NS6detail17trampoline_kernelINS0_14default_configENS1_22reduce_config_selectorImEEZNS1_11reduce_implILb1ES3_N6thrust23THRUST_200600_302600_NS6detail15normal_iteratorINS8_10device_ptrImEEEEPmm11plus_mod_10ImEEE10hipError_tPvRmT1_T2_T3_mT4_P12ihipStream_tbEUlT_E0_NS1_11comp_targetILNS1_3genE0ELNS1_11target_archE4294967295ELNS1_3gpuE0ELNS1_3repE0EEENS1_30default_config_static_selectorELNS0_4arch9wavefront6targetE1EEEvSK_
    .private_segment_fixed_size: 0
    .sgpr_count:     54
    .sgpr_spill_count: 0
    .symbol:         _ZN7rocprim17ROCPRIM_400000_NS6detail17trampoline_kernelINS0_14default_configENS1_22reduce_config_selectorImEEZNS1_11reduce_implILb1ES3_N6thrust23THRUST_200600_302600_NS6detail15normal_iteratorINS8_10device_ptrImEEEEPmm11plus_mod_10ImEEE10hipError_tPvRmT1_T2_T3_mT4_P12ihipStream_tbEUlT_E0_NS1_11comp_targetILNS1_3genE0ELNS1_11target_archE4294967295ELNS1_3gpuE0ELNS1_3repE0EEENS1_30default_config_static_selectorELNS0_4arch9wavefront6targetE1EEEvSK_.kd
    .uniform_work_group_size: 1
    .uses_dynamic_stack: false
    .vgpr_count:     68
    .vgpr_spill_count: 0
    .wavefront_size: 64
  - .agpr_count:     0
    .args:
      - .offset:         0
        .size:           64
        .value_kind:     by_value
    .group_segment_fixed_size: 0
    .kernarg_segment_align: 8
    .kernarg_segment_size: 64
    .language:       OpenCL C
    .language_version:
      - 2
      - 0
    .max_flat_workgroup_size: 256
    .name:           _ZN7rocprim17ROCPRIM_400000_NS6detail17trampoline_kernelINS0_14default_configENS1_22reduce_config_selectorImEEZNS1_11reduce_implILb1ES3_N6thrust23THRUST_200600_302600_NS6detail15normal_iteratorINS8_10device_ptrImEEEEPmm11plus_mod_10ImEEE10hipError_tPvRmT1_T2_T3_mT4_P12ihipStream_tbEUlT_E0_NS1_11comp_targetILNS1_3genE5ELNS1_11target_archE942ELNS1_3gpuE9ELNS1_3repE0EEENS1_30default_config_static_selectorELNS0_4arch9wavefront6targetE1EEEvSK_
    .private_segment_fixed_size: 0
    .sgpr_count:     6
    .sgpr_spill_count: 0
    .symbol:         _ZN7rocprim17ROCPRIM_400000_NS6detail17trampoline_kernelINS0_14default_configENS1_22reduce_config_selectorImEEZNS1_11reduce_implILb1ES3_N6thrust23THRUST_200600_302600_NS6detail15normal_iteratorINS8_10device_ptrImEEEEPmm11plus_mod_10ImEEE10hipError_tPvRmT1_T2_T3_mT4_P12ihipStream_tbEUlT_E0_NS1_11comp_targetILNS1_3genE5ELNS1_11target_archE942ELNS1_3gpuE9ELNS1_3repE0EEENS1_30default_config_static_selectorELNS0_4arch9wavefront6targetE1EEEvSK_.kd
    .uniform_work_group_size: 1
    .uses_dynamic_stack: false
    .vgpr_count:     0
    .vgpr_spill_count: 0
    .wavefront_size: 64
  - .agpr_count:     0
    .args:
      - .offset:         0
        .size:           64
        .value_kind:     by_value
    .group_segment_fixed_size: 0
    .kernarg_segment_align: 8
    .kernarg_segment_size: 64
    .language:       OpenCL C
    .language_version:
      - 2
      - 0
    .max_flat_workgroup_size: 256
    .name:           _ZN7rocprim17ROCPRIM_400000_NS6detail17trampoline_kernelINS0_14default_configENS1_22reduce_config_selectorImEEZNS1_11reduce_implILb1ES3_N6thrust23THRUST_200600_302600_NS6detail15normal_iteratorINS8_10device_ptrImEEEEPmm11plus_mod_10ImEEE10hipError_tPvRmT1_T2_T3_mT4_P12ihipStream_tbEUlT_E0_NS1_11comp_targetILNS1_3genE4ELNS1_11target_archE910ELNS1_3gpuE8ELNS1_3repE0EEENS1_30default_config_static_selectorELNS0_4arch9wavefront6targetE1EEEvSK_
    .private_segment_fixed_size: 0
    .sgpr_count:     6
    .sgpr_spill_count: 0
    .symbol:         _ZN7rocprim17ROCPRIM_400000_NS6detail17trampoline_kernelINS0_14default_configENS1_22reduce_config_selectorImEEZNS1_11reduce_implILb1ES3_N6thrust23THRUST_200600_302600_NS6detail15normal_iteratorINS8_10device_ptrImEEEEPmm11plus_mod_10ImEEE10hipError_tPvRmT1_T2_T3_mT4_P12ihipStream_tbEUlT_E0_NS1_11comp_targetILNS1_3genE4ELNS1_11target_archE910ELNS1_3gpuE8ELNS1_3repE0EEENS1_30default_config_static_selectorELNS0_4arch9wavefront6targetE1EEEvSK_.kd
    .uniform_work_group_size: 1
    .uses_dynamic_stack: false
    .vgpr_count:     0
    .vgpr_spill_count: 0
    .wavefront_size: 64
  - .agpr_count:     0
    .args:
      - .offset:         0
        .size:           64
        .value_kind:     by_value
    .group_segment_fixed_size: 0
    .kernarg_segment_align: 8
    .kernarg_segment_size: 64
    .language:       OpenCL C
    .language_version:
      - 2
      - 0
    .max_flat_workgroup_size: 256
    .name:           _ZN7rocprim17ROCPRIM_400000_NS6detail17trampoline_kernelINS0_14default_configENS1_22reduce_config_selectorImEEZNS1_11reduce_implILb1ES3_N6thrust23THRUST_200600_302600_NS6detail15normal_iteratorINS8_10device_ptrImEEEEPmm11plus_mod_10ImEEE10hipError_tPvRmT1_T2_T3_mT4_P12ihipStream_tbEUlT_E0_NS1_11comp_targetILNS1_3genE3ELNS1_11target_archE908ELNS1_3gpuE7ELNS1_3repE0EEENS1_30default_config_static_selectorELNS0_4arch9wavefront6targetE1EEEvSK_
    .private_segment_fixed_size: 0
    .sgpr_count:     6
    .sgpr_spill_count: 0
    .symbol:         _ZN7rocprim17ROCPRIM_400000_NS6detail17trampoline_kernelINS0_14default_configENS1_22reduce_config_selectorImEEZNS1_11reduce_implILb1ES3_N6thrust23THRUST_200600_302600_NS6detail15normal_iteratorINS8_10device_ptrImEEEEPmm11plus_mod_10ImEEE10hipError_tPvRmT1_T2_T3_mT4_P12ihipStream_tbEUlT_E0_NS1_11comp_targetILNS1_3genE3ELNS1_11target_archE908ELNS1_3gpuE7ELNS1_3repE0EEENS1_30default_config_static_selectorELNS0_4arch9wavefront6targetE1EEEvSK_.kd
    .uniform_work_group_size: 1
    .uses_dynamic_stack: false
    .vgpr_count:     0
    .vgpr_spill_count: 0
    .wavefront_size: 64
  - .agpr_count:     0
    .args:
      - .offset:         0
        .size:           64
        .value_kind:     by_value
    .group_segment_fixed_size: 0
    .kernarg_segment_align: 8
    .kernarg_segment_size: 64
    .language:       OpenCL C
    .language_version:
      - 2
      - 0
    .max_flat_workgroup_size: 256
    .name:           _ZN7rocprim17ROCPRIM_400000_NS6detail17trampoline_kernelINS0_14default_configENS1_22reduce_config_selectorImEEZNS1_11reduce_implILb1ES3_N6thrust23THRUST_200600_302600_NS6detail15normal_iteratorINS8_10device_ptrImEEEEPmm11plus_mod_10ImEEE10hipError_tPvRmT1_T2_T3_mT4_P12ihipStream_tbEUlT_E0_NS1_11comp_targetILNS1_3genE2ELNS1_11target_archE906ELNS1_3gpuE6ELNS1_3repE0EEENS1_30default_config_static_selectorELNS0_4arch9wavefront6targetE1EEEvSK_
    .private_segment_fixed_size: 0
    .sgpr_count:     6
    .sgpr_spill_count: 0
    .symbol:         _ZN7rocprim17ROCPRIM_400000_NS6detail17trampoline_kernelINS0_14default_configENS1_22reduce_config_selectorImEEZNS1_11reduce_implILb1ES3_N6thrust23THRUST_200600_302600_NS6detail15normal_iteratorINS8_10device_ptrImEEEEPmm11plus_mod_10ImEEE10hipError_tPvRmT1_T2_T3_mT4_P12ihipStream_tbEUlT_E0_NS1_11comp_targetILNS1_3genE2ELNS1_11target_archE906ELNS1_3gpuE6ELNS1_3repE0EEENS1_30default_config_static_selectorELNS0_4arch9wavefront6targetE1EEEvSK_.kd
    .uniform_work_group_size: 1
    .uses_dynamic_stack: false
    .vgpr_count:     0
    .vgpr_spill_count: 0
    .wavefront_size: 64
  - .agpr_count:     0
    .args:
      - .offset:         0
        .size:           64
        .value_kind:     by_value
    .group_segment_fixed_size: 0
    .kernarg_segment_align: 8
    .kernarg_segment_size: 64
    .language:       OpenCL C
    .language_version:
      - 2
      - 0
    .max_flat_workgroup_size: 256
    .name:           _ZN7rocprim17ROCPRIM_400000_NS6detail17trampoline_kernelINS0_14default_configENS1_22reduce_config_selectorImEEZNS1_11reduce_implILb1ES3_N6thrust23THRUST_200600_302600_NS6detail15normal_iteratorINS8_10device_ptrImEEEEPmm11plus_mod_10ImEEE10hipError_tPvRmT1_T2_T3_mT4_P12ihipStream_tbEUlT_E0_NS1_11comp_targetILNS1_3genE10ELNS1_11target_archE1201ELNS1_3gpuE5ELNS1_3repE0EEENS1_30default_config_static_selectorELNS0_4arch9wavefront6targetE1EEEvSK_
    .private_segment_fixed_size: 0
    .sgpr_count:     6
    .sgpr_spill_count: 0
    .symbol:         _ZN7rocprim17ROCPRIM_400000_NS6detail17trampoline_kernelINS0_14default_configENS1_22reduce_config_selectorImEEZNS1_11reduce_implILb1ES3_N6thrust23THRUST_200600_302600_NS6detail15normal_iteratorINS8_10device_ptrImEEEEPmm11plus_mod_10ImEEE10hipError_tPvRmT1_T2_T3_mT4_P12ihipStream_tbEUlT_E0_NS1_11comp_targetILNS1_3genE10ELNS1_11target_archE1201ELNS1_3gpuE5ELNS1_3repE0EEENS1_30default_config_static_selectorELNS0_4arch9wavefront6targetE1EEEvSK_.kd
    .uniform_work_group_size: 1
    .uses_dynamic_stack: false
    .vgpr_count:     0
    .vgpr_spill_count: 0
    .wavefront_size: 64
  - .agpr_count:     0
    .args:
      - .offset:         0
        .size:           64
        .value_kind:     by_value
    .group_segment_fixed_size: 0
    .kernarg_segment_align: 8
    .kernarg_segment_size: 64
    .language:       OpenCL C
    .language_version:
      - 2
      - 0
    .max_flat_workgroup_size: 256
    .name:           _ZN7rocprim17ROCPRIM_400000_NS6detail17trampoline_kernelINS0_14default_configENS1_22reduce_config_selectorImEEZNS1_11reduce_implILb1ES3_N6thrust23THRUST_200600_302600_NS6detail15normal_iteratorINS8_10device_ptrImEEEEPmm11plus_mod_10ImEEE10hipError_tPvRmT1_T2_T3_mT4_P12ihipStream_tbEUlT_E0_NS1_11comp_targetILNS1_3genE10ELNS1_11target_archE1200ELNS1_3gpuE4ELNS1_3repE0EEENS1_30default_config_static_selectorELNS0_4arch9wavefront6targetE1EEEvSK_
    .private_segment_fixed_size: 0
    .sgpr_count:     6
    .sgpr_spill_count: 0
    .symbol:         _ZN7rocprim17ROCPRIM_400000_NS6detail17trampoline_kernelINS0_14default_configENS1_22reduce_config_selectorImEEZNS1_11reduce_implILb1ES3_N6thrust23THRUST_200600_302600_NS6detail15normal_iteratorINS8_10device_ptrImEEEEPmm11plus_mod_10ImEEE10hipError_tPvRmT1_T2_T3_mT4_P12ihipStream_tbEUlT_E0_NS1_11comp_targetILNS1_3genE10ELNS1_11target_archE1200ELNS1_3gpuE4ELNS1_3repE0EEENS1_30default_config_static_selectorELNS0_4arch9wavefront6targetE1EEEvSK_.kd
    .uniform_work_group_size: 1
    .uses_dynamic_stack: false
    .vgpr_count:     0
    .vgpr_spill_count: 0
    .wavefront_size: 64
  - .agpr_count:     0
    .args:
      - .offset:         0
        .size:           64
        .value_kind:     by_value
    .group_segment_fixed_size: 0
    .kernarg_segment_align: 8
    .kernarg_segment_size: 64
    .language:       OpenCL C
    .language_version:
      - 2
      - 0
    .max_flat_workgroup_size: 256
    .name:           _ZN7rocprim17ROCPRIM_400000_NS6detail17trampoline_kernelINS0_14default_configENS1_22reduce_config_selectorImEEZNS1_11reduce_implILb1ES3_N6thrust23THRUST_200600_302600_NS6detail15normal_iteratorINS8_10device_ptrImEEEEPmm11plus_mod_10ImEEE10hipError_tPvRmT1_T2_T3_mT4_P12ihipStream_tbEUlT_E0_NS1_11comp_targetILNS1_3genE9ELNS1_11target_archE1100ELNS1_3gpuE3ELNS1_3repE0EEENS1_30default_config_static_selectorELNS0_4arch9wavefront6targetE1EEEvSK_
    .private_segment_fixed_size: 0
    .sgpr_count:     6
    .sgpr_spill_count: 0
    .symbol:         _ZN7rocprim17ROCPRIM_400000_NS6detail17trampoline_kernelINS0_14default_configENS1_22reduce_config_selectorImEEZNS1_11reduce_implILb1ES3_N6thrust23THRUST_200600_302600_NS6detail15normal_iteratorINS8_10device_ptrImEEEEPmm11plus_mod_10ImEEE10hipError_tPvRmT1_T2_T3_mT4_P12ihipStream_tbEUlT_E0_NS1_11comp_targetILNS1_3genE9ELNS1_11target_archE1100ELNS1_3gpuE3ELNS1_3repE0EEENS1_30default_config_static_selectorELNS0_4arch9wavefront6targetE1EEEvSK_.kd
    .uniform_work_group_size: 1
    .uses_dynamic_stack: false
    .vgpr_count:     0
    .vgpr_spill_count: 0
    .wavefront_size: 64
  - .agpr_count:     0
    .args:
      - .offset:         0
        .size:           64
        .value_kind:     by_value
    .group_segment_fixed_size: 0
    .kernarg_segment_align: 8
    .kernarg_segment_size: 64
    .language:       OpenCL C
    .language_version:
      - 2
      - 0
    .max_flat_workgroup_size: 256
    .name:           _ZN7rocprim17ROCPRIM_400000_NS6detail17trampoline_kernelINS0_14default_configENS1_22reduce_config_selectorImEEZNS1_11reduce_implILb1ES3_N6thrust23THRUST_200600_302600_NS6detail15normal_iteratorINS8_10device_ptrImEEEEPmm11plus_mod_10ImEEE10hipError_tPvRmT1_T2_T3_mT4_P12ihipStream_tbEUlT_E0_NS1_11comp_targetILNS1_3genE8ELNS1_11target_archE1030ELNS1_3gpuE2ELNS1_3repE0EEENS1_30default_config_static_selectorELNS0_4arch9wavefront6targetE1EEEvSK_
    .private_segment_fixed_size: 0
    .sgpr_count:     6
    .sgpr_spill_count: 0
    .symbol:         _ZN7rocprim17ROCPRIM_400000_NS6detail17trampoline_kernelINS0_14default_configENS1_22reduce_config_selectorImEEZNS1_11reduce_implILb1ES3_N6thrust23THRUST_200600_302600_NS6detail15normal_iteratorINS8_10device_ptrImEEEEPmm11plus_mod_10ImEEE10hipError_tPvRmT1_T2_T3_mT4_P12ihipStream_tbEUlT_E0_NS1_11comp_targetILNS1_3genE8ELNS1_11target_archE1030ELNS1_3gpuE2ELNS1_3repE0EEENS1_30default_config_static_selectorELNS0_4arch9wavefront6targetE1EEEvSK_.kd
    .uniform_work_group_size: 1
    .uses_dynamic_stack: false
    .vgpr_count:     0
    .vgpr_spill_count: 0
    .wavefront_size: 64
  - .agpr_count:     0
    .args:
      - .offset:         0
        .size:           48
        .value_kind:     by_value
    .group_segment_fixed_size: 192
    .kernarg_segment_align: 8
    .kernarg_segment_size: 48
    .language:       OpenCL C
    .language_version:
      - 2
      - 0
    .max_flat_workgroup_size: 256
    .name:           _ZN7rocprim17ROCPRIM_400000_NS6detail17trampoline_kernelINS0_14default_configENS1_22reduce_config_selectorImEEZNS1_11reduce_implILb1ES3_N6thrust23THRUST_200600_302600_NS6detail15normal_iteratorINS8_10device_ptrImEEEEPmm11plus_mod_10ImEEE10hipError_tPvRmT1_T2_T3_mT4_P12ihipStream_tbEUlT_E1_NS1_11comp_targetILNS1_3genE0ELNS1_11target_archE4294967295ELNS1_3gpuE0ELNS1_3repE0EEENS1_30default_config_static_selectorELNS0_4arch9wavefront6targetE1EEEvSK_
    .private_segment_fixed_size: 0
    .sgpr_count:     53
    .sgpr_spill_count: 0
    .symbol:         _ZN7rocprim17ROCPRIM_400000_NS6detail17trampoline_kernelINS0_14default_configENS1_22reduce_config_selectorImEEZNS1_11reduce_implILb1ES3_N6thrust23THRUST_200600_302600_NS6detail15normal_iteratorINS8_10device_ptrImEEEEPmm11plus_mod_10ImEEE10hipError_tPvRmT1_T2_T3_mT4_P12ihipStream_tbEUlT_E1_NS1_11comp_targetILNS1_3genE0ELNS1_11target_archE4294967295ELNS1_3gpuE0ELNS1_3repE0EEENS1_30default_config_static_selectorELNS0_4arch9wavefront6targetE1EEEvSK_.kd
    .uniform_work_group_size: 1
    .uses_dynamic_stack: false
    .vgpr_count:     46
    .vgpr_spill_count: 0
    .wavefront_size: 64
  - .agpr_count:     0
    .args:
      - .offset:         0
        .size:           48
        .value_kind:     by_value
    .group_segment_fixed_size: 0
    .kernarg_segment_align: 8
    .kernarg_segment_size: 48
    .language:       OpenCL C
    .language_version:
      - 2
      - 0
    .max_flat_workgroup_size: 256
    .name:           _ZN7rocprim17ROCPRIM_400000_NS6detail17trampoline_kernelINS0_14default_configENS1_22reduce_config_selectorImEEZNS1_11reduce_implILb1ES3_N6thrust23THRUST_200600_302600_NS6detail15normal_iteratorINS8_10device_ptrImEEEEPmm11plus_mod_10ImEEE10hipError_tPvRmT1_T2_T3_mT4_P12ihipStream_tbEUlT_E1_NS1_11comp_targetILNS1_3genE5ELNS1_11target_archE942ELNS1_3gpuE9ELNS1_3repE0EEENS1_30default_config_static_selectorELNS0_4arch9wavefront6targetE1EEEvSK_
    .private_segment_fixed_size: 0
    .sgpr_count:     6
    .sgpr_spill_count: 0
    .symbol:         _ZN7rocprim17ROCPRIM_400000_NS6detail17trampoline_kernelINS0_14default_configENS1_22reduce_config_selectorImEEZNS1_11reduce_implILb1ES3_N6thrust23THRUST_200600_302600_NS6detail15normal_iteratorINS8_10device_ptrImEEEEPmm11plus_mod_10ImEEE10hipError_tPvRmT1_T2_T3_mT4_P12ihipStream_tbEUlT_E1_NS1_11comp_targetILNS1_3genE5ELNS1_11target_archE942ELNS1_3gpuE9ELNS1_3repE0EEENS1_30default_config_static_selectorELNS0_4arch9wavefront6targetE1EEEvSK_.kd
    .uniform_work_group_size: 1
    .uses_dynamic_stack: false
    .vgpr_count:     0
    .vgpr_spill_count: 0
    .wavefront_size: 64
  - .agpr_count:     0
    .args:
      - .offset:         0
        .size:           48
        .value_kind:     by_value
    .group_segment_fixed_size: 0
    .kernarg_segment_align: 8
    .kernarg_segment_size: 48
    .language:       OpenCL C
    .language_version:
      - 2
      - 0
    .max_flat_workgroup_size: 256
    .name:           _ZN7rocprim17ROCPRIM_400000_NS6detail17trampoline_kernelINS0_14default_configENS1_22reduce_config_selectorImEEZNS1_11reduce_implILb1ES3_N6thrust23THRUST_200600_302600_NS6detail15normal_iteratorINS8_10device_ptrImEEEEPmm11plus_mod_10ImEEE10hipError_tPvRmT1_T2_T3_mT4_P12ihipStream_tbEUlT_E1_NS1_11comp_targetILNS1_3genE4ELNS1_11target_archE910ELNS1_3gpuE8ELNS1_3repE0EEENS1_30default_config_static_selectorELNS0_4arch9wavefront6targetE1EEEvSK_
    .private_segment_fixed_size: 0
    .sgpr_count:     6
    .sgpr_spill_count: 0
    .symbol:         _ZN7rocprim17ROCPRIM_400000_NS6detail17trampoline_kernelINS0_14default_configENS1_22reduce_config_selectorImEEZNS1_11reduce_implILb1ES3_N6thrust23THRUST_200600_302600_NS6detail15normal_iteratorINS8_10device_ptrImEEEEPmm11plus_mod_10ImEEE10hipError_tPvRmT1_T2_T3_mT4_P12ihipStream_tbEUlT_E1_NS1_11comp_targetILNS1_3genE4ELNS1_11target_archE910ELNS1_3gpuE8ELNS1_3repE0EEENS1_30default_config_static_selectorELNS0_4arch9wavefront6targetE1EEEvSK_.kd
    .uniform_work_group_size: 1
    .uses_dynamic_stack: false
    .vgpr_count:     0
    .vgpr_spill_count: 0
    .wavefront_size: 64
  - .agpr_count:     0
    .args:
      - .offset:         0
        .size:           48
        .value_kind:     by_value
    .group_segment_fixed_size: 0
    .kernarg_segment_align: 8
    .kernarg_segment_size: 48
    .language:       OpenCL C
    .language_version:
      - 2
      - 0
    .max_flat_workgroup_size: 256
    .name:           _ZN7rocprim17ROCPRIM_400000_NS6detail17trampoline_kernelINS0_14default_configENS1_22reduce_config_selectorImEEZNS1_11reduce_implILb1ES3_N6thrust23THRUST_200600_302600_NS6detail15normal_iteratorINS8_10device_ptrImEEEEPmm11plus_mod_10ImEEE10hipError_tPvRmT1_T2_T3_mT4_P12ihipStream_tbEUlT_E1_NS1_11comp_targetILNS1_3genE3ELNS1_11target_archE908ELNS1_3gpuE7ELNS1_3repE0EEENS1_30default_config_static_selectorELNS0_4arch9wavefront6targetE1EEEvSK_
    .private_segment_fixed_size: 0
    .sgpr_count:     6
    .sgpr_spill_count: 0
    .symbol:         _ZN7rocprim17ROCPRIM_400000_NS6detail17trampoline_kernelINS0_14default_configENS1_22reduce_config_selectorImEEZNS1_11reduce_implILb1ES3_N6thrust23THRUST_200600_302600_NS6detail15normal_iteratorINS8_10device_ptrImEEEEPmm11plus_mod_10ImEEE10hipError_tPvRmT1_T2_T3_mT4_P12ihipStream_tbEUlT_E1_NS1_11comp_targetILNS1_3genE3ELNS1_11target_archE908ELNS1_3gpuE7ELNS1_3repE0EEENS1_30default_config_static_selectorELNS0_4arch9wavefront6targetE1EEEvSK_.kd
    .uniform_work_group_size: 1
    .uses_dynamic_stack: false
    .vgpr_count:     0
    .vgpr_spill_count: 0
    .wavefront_size: 64
  - .agpr_count:     0
    .args:
      - .offset:         0
        .size:           48
        .value_kind:     by_value
    .group_segment_fixed_size: 0
    .kernarg_segment_align: 8
    .kernarg_segment_size: 48
    .language:       OpenCL C
    .language_version:
      - 2
      - 0
    .max_flat_workgroup_size: 256
    .name:           _ZN7rocprim17ROCPRIM_400000_NS6detail17trampoline_kernelINS0_14default_configENS1_22reduce_config_selectorImEEZNS1_11reduce_implILb1ES3_N6thrust23THRUST_200600_302600_NS6detail15normal_iteratorINS8_10device_ptrImEEEEPmm11plus_mod_10ImEEE10hipError_tPvRmT1_T2_T3_mT4_P12ihipStream_tbEUlT_E1_NS1_11comp_targetILNS1_3genE2ELNS1_11target_archE906ELNS1_3gpuE6ELNS1_3repE0EEENS1_30default_config_static_selectorELNS0_4arch9wavefront6targetE1EEEvSK_
    .private_segment_fixed_size: 0
    .sgpr_count:     6
    .sgpr_spill_count: 0
    .symbol:         _ZN7rocprim17ROCPRIM_400000_NS6detail17trampoline_kernelINS0_14default_configENS1_22reduce_config_selectorImEEZNS1_11reduce_implILb1ES3_N6thrust23THRUST_200600_302600_NS6detail15normal_iteratorINS8_10device_ptrImEEEEPmm11plus_mod_10ImEEE10hipError_tPvRmT1_T2_T3_mT4_P12ihipStream_tbEUlT_E1_NS1_11comp_targetILNS1_3genE2ELNS1_11target_archE906ELNS1_3gpuE6ELNS1_3repE0EEENS1_30default_config_static_selectorELNS0_4arch9wavefront6targetE1EEEvSK_.kd
    .uniform_work_group_size: 1
    .uses_dynamic_stack: false
    .vgpr_count:     0
    .vgpr_spill_count: 0
    .wavefront_size: 64
  - .agpr_count:     0
    .args:
      - .offset:         0
        .size:           48
        .value_kind:     by_value
    .group_segment_fixed_size: 0
    .kernarg_segment_align: 8
    .kernarg_segment_size: 48
    .language:       OpenCL C
    .language_version:
      - 2
      - 0
    .max_flat_workgroup_size: 256
    .name:           _ZN7rocprim17ROCPRIM_400000_NS6detail17trampoline_kernelINS0_14default_configENS1_22reduce_config_selectorImEEZNS1_11reduce_implILb1ES3_N6thrust23THRUST_200600_302600_NS6detail15normal_iteratorINS8_10device_ptrImEEEEPmm11plus_mod_10ImEEE10hipError_tPvRmT1_T2_T3_mT4_P12ihipStream_tbEUlT_E1_NS1_11comp_targetILNS1_3genE10ELNS1_11target_archE1201ELNS1_3gpuE5ELNS1_3repE0EEENS1_30default_config_static_selectorELNS0_4arch9wavefront6targetE1EEEvSK_
    .private_segment_fixed_size: 0
    .sgpr_count:     6
    .sgpr_spill_count: 0
    .symbol:         _ZN7rocprim17ROCPRIM_400000_NS6detail17trampoline_kernelINS0_14default_configENS1_22reduce_config_selectorImEEZNS1_11reduce_implILb1ES3_N6thrust23THRUST_200600_302600_NS6detail15normal_iteratorINS8_10device_ptrImEEEEPmm11plus_mod_10ImEEE10hipError_tPvRmT1_T2_T3_mT4_P12ihipStream_tbEUlT_E1_NS1_11comp_targetILNS1_3genE10ELNS1_11target_archE1201ELNS1_3gpuE5ELNS1_3repE0EEENS1_30default_config_static_selectorELNS0_4arch9wavefront6targetE1EEEvSK_.kd
    .uniform_work_group_size: 1
    .uses_dynamic_stack: false
    .vgpr_count:     0
    .vgpr_spill_count: 0
    .wavefront_size: 64
  - .agpr_count:     0
    .args:
      - .offset:         0
        .size:           48
        .value_kind:     by_value
    .group_segment_fixed_size: 0
    .kernarg_segment_align: 8
    .kernarg_segment_size: 48
    .language:       OpenCL C
    .language_version:
      - 2
      - 0
    .max_flat_workgroup_size: 256
    .name:           _ZN7rocprim17ROCPRIM_400000_NS6detail17trampoline_kernelINS0_14default_configENS1_22reduce_config_selectorImEEZNS1_11reduce_implILb1ES3_N6thrust23THRUST_200600_302600_NS6detail15normal_iteratorINS8_10device_ptrImEEEEPmm11plus_mod_10ImEEE10hipError_tPvRmT1_T2_T3_mT4_P12ihipStream_tbEUlT_E1_NS1_11comp_targetILNS1_3genE10ELNS1_11target_archE1200ELNS1_3gpuE4ELNS1_3repE0EEENS1_30default_config_static_selectorELNS0_4arch9wavefront6targetE1EEEvSK_
    .private_segment_fixed_size: 0
    .sgpr_count:     6
    .sgpr_spill_count: 0
    .symbol:         _ZN7rocprim17ROCPRIM_400000_NS6detail17trampoline_kernelINS0_14default_configENS1_22reduce_config_selectorImEEZNS1_11reduce_implILb1ES3_N6thrust23THRUST_200600_302600_NS6detail15normal_iteratorINS8_10device_ptrImEEEEPmm11plus_mod_10ImEEE10hipError_tPvRmT1_T2_T3_mT4_P12ihipStream_tbEUlT_E1_NS1_11comp_targetILNS1_3genE10ELNS1_11target_archE1200ELNS1_3gpuE4ELNS1_3repE0EEENS1_30default_config_static_selectorELNS0_4arch9wavefront6targetE1EEEvSK_.kd
    .uniform_work_group_size: 1
    .uses_dynamic_stack: false
    .vgpr_count:     0
    .vgpr_spill_count: 0
    .wavefront_size: 64
  - .agpr_count:     0
    .args:
      - .offset:         0
        .size:           48
        .value_kind:     by_value
    .group_segment_fixed_size: 0
    .kernarg_segment_align: 8
    .kernarg_segment_size: 48
    .language:       OpenCL C
    .language_version:
      - 2
      - 0
    .max_flat_workgroup_size: 256
    .name:           _ZN7rocprim17ROCPRIM_400000_NS6detail17trampoline_kernelINS0_14default_configENS1_22reduce_config_selectorImEEZNS1_11reduce_implILb1ES3_N6thrust23THRUST_200600_302600_NS6detail15normal_iteratorINS8_10device_ptrImEEEEPmm11plus_mod_10ImEEE10hipError_tPvRmT1_T2_T3_mT4_P12ihipStream_tbEUlT_E1_NS1_11comp_targetILNS1_3genE9ELNS1_11target_archE1100ELNS1_3gpuE3ELNS1_3repE0EEENS1_30default_config_static_selectorELNS0_4arch9wavefront6targetE1EEEvSK_
    .private_segment_fixed_size: 0
    .sgpr_count:     6
    .sgpr_spill_count: 0
    .symbol:         _ZN7rocprim17ROCPRIM_400000_NS6detail17trampoline_kernelINS0_14default_configENS1_22reduce_config_selectorImEEZNS1_11reduce_implILb1ES3_N6thrust23THRUST_200600_302600_NS6detail15normal_iteratorINS8_10device_ptrImEEEEPmm11plus_mod_10ImEEE10hipError_tPvRmT1_T2_T3_mT4_P12ihipStream_tbEUlT_E1_NS1_11comp_targetILNS1_3genE9ELNS1_11target_archE1100ELNS1_3gpuE3ELNS1_3repE0EEENS1_30default_config_static_selectorELNS0_4arch9wavefront6targetE1EEEvSK_.kd
    .uniform_work_group_size: 1
    .uses_dynamic_stack: false
    .vgpr_count:     0
    .vgpr_spill_count: 0
    .wavefront_size: 64
  - .agpr_count:     0
    .args:
      - .offset:         0
        .size:           48
        .value_kind:     by_value
    .group_segment_fixed_size: 0
    .kernarg_segment_align: 8
    .kernarg_segment_size: 48
    .language:       OpenCL C
    .language_version:
      - 2
      - 0
    .max_flat_workgroup_size: 256
    .name:           _ZN7rocprim17ROCPRIM_400000_NS6detail17trampoline_kernelINS0_14default_configENS1_22reduce_config_selectorImEEZNS1_11reduce_implILb1ES3_N6thrust23THRUST_200600_302600_NS6detail15normal_iteratorINS8_10device_ptrImEEEEPmm11plus_mod_10ImEEE10hipError_tPvRmT1_T2_T3_mT4_P12ihipStream_tbEUlT_E1_NS1_11comp_targetILNS1_3genE8ELNS1_11target_archE1030ELNS1_3gpuE2ELNS1_3repE0EEENS1_30default_config_static_selectorELNS0_4arch9wavefront6targetE1EEEvSK_
    .private_segment_fixed_size: 0
    .sgpr_count:     6
    .sgpr_spill_count: 0
    .symbol:         _ZN7rocprim17ROCPRIM_400000_NS6detail17trampoline_kernelINS0_14default_configENS1_22reduce_config_selectorImEEZNS1_11reduce_implILb1ES3_N6thrust23THRUST_200600_302600_NS6detail15normal_iteratorINS8_10device_ptrImEEEEPmm11plus_mod_10ImEEE10hipError_tPvRmT1_T2_T3_mT4_P12ihipStream_tbEUlT_E1_NS1_11comp_targetILNS1_3genE8ELNS1_11target_archE1030ELNS1_3gpuE2ELNS1_3repE0EEENS1_30default_config_static_selectorELNS0_4arch9wavefront6targetE1EEEvSK_.kd
    .uniform_work_group_size: 1
    .uses_dynamic_stack: false
    .vgpr_count:     0
    .vgpr_spill_count: 0
    .wavefront_size: 64
  - .agpr_count:     0
    .args:
      - .offset:         0
        .size:           56
        .value_kind:     by_value
    .group_segment_fixed_size: 32
    .kernarg_segment_align: 8
    .kernarg_segment_size: 56
    .language:       OpenCL C
    .language_version:
      - 2
      - 0
    .max_flat_workgroup_size: 256
    .name:           _ZN7rocprim17ROCPRIM_400000_NS6detail17trampoline_kernelINS0_14default_configENS1_22reduce_config_selectorIjEEZNS1_11reduce_implILb1ES3_PjS7_j11plus_mod_10IjEEE10hipError_tPvRmT1_T2_T3_mT4_P12ihipStream_tbEUlT_E0_NS1_11comp_targetILNS1_3genE0ELNS1_11target_archE4294967295ELNS1_3gpuE0ELNS1_3repE0EEENS1_30default_config_static_selectorELNS0_4arch9wavefront6targetE1EEEvSD_
    .private_segment_fixed_size: 0
    .sgpr_count:     26
    .sgpr_spill_count: 0
    .symbol:         _ZN7rocprim17ROCPRIM_400000_NS6detail17trampoline_kernelINS0_14default_configENS1_22reduce_config_selectorIjEEZNS1_11reduce_implILb1ES3_PjS7_j11plus_mod_10IjEEE10hipError_tPvRmT1_T2_T3_mT4_P12ihipStream_tbEUlT_E0_NS1_11comp_targetILNS1_3genE0ELNS1_11target_archE4294967295ELNS1_3gpuE0ELNS1_3repE0EEENS1_30default_config_static_selectorELNS0_4arch9wavefront6targetE1EEEvSD_.kd
    .uniform_work_group_size: 1
    .uses_dynamic_stack: false
    .vgpr_count:     13
    .vgpr_spill_count: 0
    .wavefront_size: 64
  - .agpr_count:     0
    .args:
      - .offset:         0
        .size:           56
        .value_kind:     by_value
    .group_segment_fixed_size: 0
    .kernarg_segment_align: 8
    .kernarg_segment_size: 56
    .language:       OpenCL C
    .language_version:
      - 2
      - 0
    .max_flat_workgroup_size: 256
    .name:           _ZN7rocprim17ROCPRIM_400000_NS6detail17trampoline_kernelINS0_14default_configENS1_22reduce_config_selectorIjEEZNS1_11reduce_implILb1ES3_PjS7_j11plus_mod_10IjEEE10hipError_tPvRmT1_T2_T3_mT4_P12ihipStream_tbEUlT_E0_NS1_11comp_targetILNS1_3genE5ELNS1_11target_archE942ELNS1_3gpuE9ELNS1_3repE0EEENS1_30default_config_static_selectorELNS0_4arch9wavefront6targetE1EEEvSD_
    .private_segment_fixed_size: 0
    .sgpr_count:     6
    .sgpr_spill_count: 0
    .symbol:         _ZN7rocprim17ROCPRIM_400000_NS6detail17trampoline_kernelINS0_14default_configENS1_22reduce_config_selectorIjEEZNS1_11reduce_implILb1ES3_PjS7_j11plus_mod_10IjEEE10hipError_tPvRmT1_T2_T3_mT4_P12ihipStream_tbEUlT_E0_NS1_11comp_targetILNS1_3genE5ELNS1_11target_archE942ELNS1_3gpuE9ELNS1_3repE0EEENS1_30default_config_static_selectorELNS0_4arch9wavefront6targetE1EEEvSD_.kd
    .uniform_work_group_size: 1
    .uses_dynamic_stack: false
    .vgpr_count:     0
    .vgpr_spill_count: 0
    .wavefront_size: 64
  - .agpr_count:     0
    .args:
      - .offset:         0
        .size:           56
        .value_kind:     by_value
    .group_segment_fixed_size: 0
    .kernarg_segment_align: 8
    .kernarg_segment_size: 56
    .language:       OpenCL C
    .language_version:
      - 2
      - 0
    .max_flat_workgroup_size: 128
    .name:           _ZN7rocprim17ROCPRIM_400000_NS6detail17trampoline_kernelINS0_14default_configENS1_22reduce_config_selectorIjEEZNS1_11reduce_implILb1ES3_PjS7_j11plus_mod_10IjEEE10hipError_tPvRmT1_T2_T3_mT4_P12ihipStream_tbEUlT_E0_NS1_11comp_targetILNS1_3genE4ELNS1_11target_archE910ELNS1_3gpuE8ELNS1_3repE0EEENS1_30default_config_static_selectorELNS0_4arch9wavefront6targetE1EEEvSD_
    .private_segment_fixed_size: 0
    .sgpr_count:     6
    .sgpr_spill_count: 0
    .symbol:         _ZN7rocprim17ROCPRIM_400000_NS6detail17trampoline_kernelINS0_14default_configENS1_22reduce_config_selectorIjEEZNS1_11reduce_implILb1ES3_PjS7_j11plus_mod_10IjEEE10hipError_tPvRmT1_T2_T3_mT4_P12ihipStream_tbEUlT_E0_NS1_11comp_targetILNS1_3genE4ELNS1_11target_archE910ELNS1_3gpuE8ELNS1_3repE0EEENS1_30default_config_static_selectorELNS0_4arch9wavefront6targetE1EEEvSD_.kd
    .uniform_work_group_size: 1
    .uses_dynamic_stack: false
    .vgpr_count:     0
    .vgpr_spill_count: 0
    .wavefront_size: 64
  - .agpr_count:     0
    .args:
      - .offset:         0
        .size:           56
        .value_kind:     by_value
    .group_segment_fixed_size: 0
    .kernarg_segment_align: 8
    .kernarg_segment_size: 56
    .language:       OpenCL C
    .language_version:
      - 2
      - 0
    .max_flat_workgroup_size: 256
    .name:           _ZN7rocprim17ROCPRIM_400000_NS6detail17trampoline_kernelINS0_14default_configENS1_22reduce_config_selectorIjEEZNS1_11reduce_implILb1ES3_PjS7_j11plus_mod_10IjEEE10hipError_tPvRmT1_T2_T3_mT4_P12ihipStream_tbEUlT_E0_NS1_11comp_targetILNS1_3genE3ELNS1_11target_archE908ELNS1_3gpuE7ELNS1_3repE0EEENS1_30default_config_static_selectorELNS0_4arch9wavefront6targetE1EEEvSD_
    .private_segment_fixed_size: 0
    .sgpr_count:     6
    .sgpr_spill_count: 0
    .symbol:         _ZN7rocprim17ROCPRIM_400000_NS6detail17trampoline_kernelINS0_14default_configENS1_22reduce_config_selectorIjEEZNS1_11reduce_implILb1ES3_PjS7_j11plus_mod_10IjEEE10hipError_tPvRmT1_T2_T3_mT4_P12ihipStream_tbEUlT_E0_NS1_11comp_targetILNS1_3genE3ELNS1_11target_archE908ELNS1_3gpuE7ELNS1_3repE0EEENS1_30default_config_static_selectorELNS0_4arch9wavefront6targetE1EEEvSD_.kd
    .uniform_work_group_size: 1
    .uses_dynamic_stack: false
    .vgpr_count:     0
    .vgpr_spill_count: 0
    .wavefront_size: 64
  - .agpr_count:     0
    .args:
      - .offset:         0
        .size:           56
        .value_kind:     by_value
    .group_segment_fixed_size: 0
    .kernarg_segment_align: 8
    .kernarg_segment_size: 56
    .language:       OpenCL C
    .language_version:
      - 2
      - 0
    .max_flat_workgroup_size: 256
    .name:           _ZN7rocprim17ROCPRIM_400000_NS6detail17trampoline_kernelINS0_14default_configENS1_22reduce_config_selectorIjEEZNS1_11reduce_implILb1ES3_PjS7_j11plus_mod_10IjEEE10hipError_tPvRmT1_T2_T3_mT4_P12ihipStream_tbEUlT_E0_NS1_11comp_targetILNS1_3genE2ELNS1_11target_archE906ELNS1_3gpuE6ELNS1_3repE0EEENS1_30default_config_static_selectorELNS0_4arch9wavefront6targetE1EEEvSD_
    .private_segment_fixed_size: 0
    .sgpr_count:     6
    .sgpr_spill_count: 0
    .symbol:         _ZN7rocprim17ROCPRIM_400000_NS6detail17trampoline_kernelINS0_14default_configENS1_22reduce_config_selectorIjEEZNS1_11reduce_implILb1ES3_PjS7_j11plus_mod_10IjEEE10hipError_tPvRmT1_T2_T3_mT4_P12ihipStream_tbEUlT_E0_NS1_11comp_targetILNS1_3genE2ELNS1_11target_archE906ELNS1_3gpuE6ELNS1_3repE0EEENS1_30default_config_static_selectorELNS0_4arch9wavefront6targetE1EEEvSD_.kd
    .uniform_work_group_size: 1
    .uses_dynamic_stack: false
    .vgpr_count:     0
    .vgpr_spill_count: 0
    .wavefront_size: 64
  - .agpr_count:     0
    .args:
      - .offset:         0
        .size:           56
        .value_kind:     by_value
    .group_segment_fixed_size: 0
    .kernarg_segment_align: 8
    .kernarg_segment_size: 56
    .language:       OpenCL C
    .language_version:
      - 2
      - 0
    .max_flat_workgroup_size: 256
    .name:           _ZN7rocprim17ROCPRIM_400000_NS6detail17trampoline_kernelINS0_14default_configENS1_22reduce_config_selectorIjEEZNS1_11reduce_implILb1ES3_PjS7_j11plus_mod_10IjEEE10hipError_tPvRmT1_T2_T3_mT4_P12ihipStream_tbEUlT_E0_NS1_11comp_targetILNS1_3genE10ELNS1_11target_archE1201ELNS1_3gpuE5ELNS1_3repE0EEENS1_30default_config_static_selectorELNS0_4arch9wavefront6targetE1EEEvSD_
    .private_segment_fixed_size: 0
    .sgpr_count:     6
    .sgpr_spill_count: 0
    .symbol:         _ZN7rocprim17ROCPRIM_400000_NS6detail17trampoline_kernelINS0_14default_configENS1_22reduce_config_selectorIjEEZNS1_11reduce_implILb1ES3_PjS7_j11plus_mod_10IjEEE10hipError_tPvRmT1_T2_T3_mT4_P12ihipStream_tbEUlT_E0_NS1_11comp_targetILNS1_3genE10ELNS1_11target_archE1201ELNS1_3gpuE5ELNS1_3repE0EEENS1_30default_config_static_selectorELNS0_4arch9wavefront6targetE1EEEvSD_.kd
    .uniform_work_group_size: 1
    .uses_dynamic_stack: false
    .vgpr_count:     0
    .vgpr_spill_count: 0
    .wavefront_size: 64
  - .agpr_count:     0
    .args:
      - .offset:         0
        .size:           56
        .value_kind:     by_value
    .group_segment_fixed_size: 0
    .kernarg_segment_align: 8
    .kernarg_segment_size: 56
    .language:       OpenCL C
    .language_version:
      - 2
      - 0
    .max_flat_workgroup_size: 256
    .name:           _ZN7rocprim17ROCPRIM_400000_NS6detail17trampoline_kernelINS0_14default_configENS1_22reduce_config_selectorIjEEZNS1_11reduce_implILb1ES3_PjS7_j11plus_mod_10IjEEE10hipError_tPvRmT1_T2_T3_mT4_P12ihipStream_tbEUlT_E0_NS1_11comp_targetILNS1_3genE10ELNS1_11target_archE1200ELNS1_3gpuE4ELNS1_3repE0EEENS1_30default_config_static_selectorELNS0_4arch9wavefront6targetE1EEEvSD_
    .private_segment_fixed_size: 0
    .sgpr_count:     6
    .sgpr_spill_count: 0
    .symbol:         _ZN7rocprim17ROCPRIM_400000_NS6detail17trampoline_kernelINS0_14default_configENS1_22reduce_config_selectorIjEEZNS1_11reduce_implILb1ES3_PjS7_j11plus_mod_10IjEEE10hipError_tPvRmT1_T2_T3_mT4_P12ihipStream_tbEUlT_E0_NS1_11comp_targetILNS1_3genE10ELNS1_11target_archE1200ELNS1_3gpuE4ELNS1_3repE0EEENS1_30default_config_static_selectorELNS0_4arch9wavefront6targetE1EEEvSD_.kd
    .uniform_work_group_size: 1
    .uses_dynamic_stack: false
    .vgpr_count:     0
    .vgpr_spill_count: 0
    .wavefront_size: 64
  - .agpr_count:     0
    .args:
      - .offset:         0
        .size:           56
        .value_kind:     by_value
    .group_segment_fixed_size: 0
    .kernarg_segment_align: 8
    .kernarg_segment_size: 56
    .language:       OpenCL C
    .language_version:
      - 2
      - 0
    .max_flat_workgroup_size: 256
    .name:           _ZN7rocprim17ROCPRIM_400000_NS6detail17trampoline_kernelINS0_14default_configENS1_22reduce_config_selectorIjEEZNS1_11reduce_implILb1ES3_PjS7_j11plus_mod_10IjEEE10hipError_tPvRmT1_T2_T3_mT4_P12ihipStream_tbEUlT_E0_NS1_11comp_targetILNS1_3genE9ELNS1_11target_archE1100ELNS1_3gpuE3ELNS1_3repE0EEENS1_30default_config_static_selectorELNS0_4arch9wavefront6targetE1EEEvSD_
    .private_segment_fixed_size: 0
    .sgpr_count:     6
    .sgpr_spill_count: 0
    .symbol:         _ZN7rocprim17ROCPRIM_400000_NS6detail17trampoline_kernelINS0_14default_configENS1_22reduce_config_selectorIjEEZNS1_11reduce_implILb1ES3_PjS7_j11plus_mod_10IjEEE10hipError_tPvRmT1_T2_T3_mT4_P12ihipStream_tbEUlT_E0_NS1_11comp_targetILNS1_3genE9ELNS1_11target_archE1100ELNS1_3gpuE3ELNS1_3repE0EEENS1_30default_config_static_selectorELNS0_4arch9wavefront6targetE1EEEvSD_.kd
    .uniform_work_group_size: 1
    .uses_dynamic_stack: false
    .vgpr_count:     0
    .vgpr_spill_count: 0
    .wavefront_size: 64
  - .agpr_count:     0
    .args:
      - .offset:         0
        .size:           56
        .value_kind:     by_value
    .group_segment_fixed_size: 0
    .kernarg_segment_align: 8
    .kernarg_segment_size: 56
    .language:       OpenCL C
    .language_version:
      - 2
      - 0
    .max_flat_workgroup_size: 256
    .name:           _ZN7rocprim17ROCPRIM_400000_NS6detail17trampoline_kernelINS0_14default_configENS1_22reduce_config_selectorIjEEZNS1_11reduce_implILb1ES3_PjS7_j11plus_mod_10IjEEE10hipError_tPvRmT1_T2_T3_mT4_P12ihipStream_tbEUlT_E0_NS1_11comp_targetILNS1_3genE8ELNS1_11target_archE1030ELNS1_3gpuE2ELNS1_3repE0EEENS1_30default_config_static_selectorELNS0_4arch9wavefront6targetE1EEEvSD_
    .private_segment_fixed_size: 0
    .sgpr_count:     6
    .sgpr_spill_count: 0
    .symbol:         _ZN7rocprim17ROCPRIM_400000_NS6detail17trampoline_kernelINS0_14default_configENS1_22reduce_config_selectorIjEEZNS1_11reduce_implILb1ES3_PjS7_j11plus_mod_10IjEEE10hipError_tPvRmT1_T2_T3_mT4_P12ihipStream_tbEUlT_E0_NS1_11comp_targetILNS1_3genE8ELNS1_11target_archE1030ELNS1_3gpuE2ELNS1_3repE0EEENS1_30default_config_static_selectorELNS0_4arch9wavefront6targetE1EEEvSD_.kd
    .uniform_work_group_size: 1
    .uses_dynamic_stack: false
    .vgpr_count:     0
    .vgpr_spill_count: 0
    .wavefront_size: 64
  - .agpr_count:     0
    .args:
      - .offset:         0
        .size:           40
        .value_kind:     by_value
    .group_segment_fixed_size: 112
    .kernarg_segment_align: 8
    .kernarg_segment_size: 40
    .language:       OpenCL C
    .language_version:
      - 2
      - 0
    .max_flat_workgroup_size: 256
    .name:           _ZN7rocprim17ROCPRIM_400000_NS6detail17trampoline_kernelINS0_14default_configENS1_22reduce_config_selectorIjEEZNS1_11reduce_implILb1ES3_PjS7_j11plus_mod_10IjEEE10hipError_tPvRmT1_T2_T3_mT4_P12ihipStream_tbEUlT_E1_NS1_11comp_targetILNS1_3genE0ELNS1_11target_archE4294967295ELNS1_3gpuE0ELNS1_3repE0EEENS1_30default_config_static_selectorELNS0_4arch9wavefront6targetE1EEEvSD_
    .private_segment_fixed_size: 0
    .sgpr_count:     84
    .sgpr_spill_count: 0
    .symbol:         _ZN7rocprim17ROCPRIM_400000_NS6detail17trampoline_kernelINS0_14default_configENS1_22reduce_config_selectorIjEEZNS1_11reduce_implILb1ES3_PjS7_j11plus_mod_10IjEEE10hipError_tPvRmT1_T2_T3_mT4_P12ihipStream_tbEUlT_E1_NS1_11comp_targetILNS1_3genE0ELNS1_11target_archE4294967295ELNS1_3gpuE0ELNS1_3repE0EEENS1_30default_config_static_selectorELNS0_4arch9wavefront6targetE1EEEvSD_.kd
    .uniform_work_group_size: 1
    .uses_dynamic_stack: false
    .vgpr_count:     36
    .vgpr_spill_count: 0
    .wavefront_size: 64
  - .agpr_count:     0
    .args:
      - .offset:         0
        .size:           40
        .value_kind:     by_value
    .group_segment_fixed_size: 0
    .kernarg_segment_align: 8
    .kernarg_segment_size: 40
    .language:       OpenCL C
    .language_version:
      - 2
      - 0
    .max_flat_workgroup_size: 256
    .name:           _ZN7rocprim17ROCPRIM_400000_NS6detail17trampoline_kernelINS0_14default_configENS1_22reduce_config_selectorIjEEZNS1_11reduce_implILb1ES3_PjS7_j11plus_mod_10IjEEE10hipError_tPvRmT1_T2_T3_mT4_P12ihipStream_tbEUlT_E1_NS1_11comp_targetILNS1_3genE5ELNS1_11target_archE942ELNS1_3gpuE9ELNS1_3repE0EEENS1_30default_config_static_selectorELNS0_4arch9wavefront6targetE1EEEvSD_
    .private_segment_fixed_size: 0
    .sgpr_count:     6
    .sgpr_spill_count: 0
    .symbol:         _ZN7rocprim17ROCPRIM_400000_NS6detail17trampoline_kernelINS0_14default_configENS1_22reduce_config_selectorIjEEZNS1_11reduce_implILb1ES3_PjS7_j11plus_mod_10IjEEE10hipError_tPvRmT1_T2_T3_mT4_P12ihipStream_tbEUlT_E1_NS1_11comp_targetILNS1_3genE5ELNS1_11target_archE942ELNS1_3gpuE9ELNS1_3repE0EEENS1_30default_config_static_selectorELNS0_4arch9wavefront6targetE1EEEvSD_.kd
    .uniform_work_group_size: 1
    .uses_dynamic_stack: false
    .vgpr_count:     0
    .vgpr_spill_count: 0
    .wavefront_size: 64
  - .agpr_count:     0
    .args:
      - .offset:         0
        .size:           40
        .value_kind:     by_value
    .group_segment_fixed_size: 0
    .kernarg_segment_align: 8
    .kernarg_segment_size: 40
    .language:       OpenCL C
    .language_version:
      - 2
      - 0
    .max_flat_workgroup_size: 128
    .name:           _ZN7rocprim17ROCPRIM_400000_NS6detail17trampoline_kernelINS0_14default_configENS1_22reduce_config_selectorIjEEZNS1_11reduce_implILb1ES3_PjS7_j11plus_mod_10IjEEE10hipError_tPvRmT1_T2_T3_mT4_P12ihipStream_tbEUlT_E1_NS1_11comp_targetILNS1_3genE4ELNS1_11target_archE910ELNS1_3gpuE8ELNS1_3repE0EEENS1_30default_config_static_selectorELNS0_4arch9wavefront6targetE1EEEvSD_
    .private_segment_fixed_size: 0
    .sgpr_count:     6
    .sgpr_spill_count: 0
    .symbol:         _ZN7rocprim17ROCPRIM_400000_NS6detail17trampoline_kernelINS0_14default_configENS1_22reduce_config_selectorIjEEZNS1_11reduce_implILb1ES3_PjS7_j11plus_mod_10IjEEE10hipError_tPvRmT1_T2_T3_mT4_P12ihipStream_tbEUlT_E1_NS1_11comp_targetILNS1_3genE4ELNS1_11target_archE910ELNS1_3gpuE8ELNS1_3repE0EEENS1_30default_config_static_selectorELNS0_4arch9wavefront6targetE1EEEvSD_.kd
    .uniform_work_group_size: 1
    .uses_dynamic_stack: false
    .vgpr_count:     0
    .vgpr_spill_count: 0
    .wavefront_size: 64
  - .agpr_count:     0
    .args:
      - .offset:         0
        .size:           40
        .value_kind:     by_value
    .group_segment_fixed_size: 0
    .kernarg_segment_align: 8
    .kernarg_segment_size: 40
    .language:       OpenCL C
    .language_version:
      - 2
      - 0
    .max_flat_workgroup_size: 256
    .name:           _ZN7rocprim17ROCPRIM_400000_NS6detail17trampoline_kernelINS0_14default_configENS1_22reduce_config_selectorIjEEZNS1_11reduce_implILb1ES3_PjS7_j11plus_mod_10IjEEE10hipError_tPvRmT1_T2_T3_mT4_P12ihipStream_tbEUlT_E1_NS1_11comp_targetILNS1_3genE3ELNS1_11target_archE908ELNS1_3gpuE7ELNS1_3repE0EEENS1_30default_config_static_selectorELNS0_4arch9wavefront6targetE1EEEvSD_
    .private_segment_fixed_size: 0
    .sgpr_count:     6
    .sgpr_spill_count: 0
    .symbol:         _ZN7rocprim17ROCPRIM_400000_NS6detail17trampoline_kernelINS0_14default_configENS1_22reduce_config_selectorIjEEZNS1_11reduce_implILb1ES3_PjS7_j11plus_mod_10IjEEE10hipError_tPvRmT1_T2_T3_mT4_P12ihipStream_tbEUlT_E1_NS1_11comp_targetILNS1_3genE3ELNS1_11target_archE908ELNS1_3gpuE7ELNS1_3repE0EEENS1_30default_config_static_selectorELNS0_4arch9wavefront6targetE1EEEvSD_.kd
    .uniform_work_group_size: 1
    .uses_dynamic_stack: false
    .vgpr_count:     0
    .vgpr_spill_count: 0
    .wavefront_size: 64
  - .agpr_count:     0
    .args:
      - .offset:         0
        .size:           40
        .value_kind:     by_value
    .group_segment_fixed_size: 0
    .kernarg_segment_align: 8
    .kernarg_segment_size: 40
    .language:       OpenCL C
    .language_version:
      - 2
      - 0
    .max_flat_workgroup_size: 256
    .name:           _ZN7rocprim17ROCPRIM_400000_NS6detail17trampoline_kernelINS0_14default_configENS1_22reduce_config_selectorIjEEZNS1_11reduce_implILb1ES3_PjS7_j11plus_mod_10IjEEE10hipError_tPvRmT1_T2_T3_mT4_P12ihipStream_tbEUlT_E1_NS1_11comp_targetILNS1_3genE2ELNS1_11target_archE906ELNS1_3gpuE6ELNS1_3repE0EEENS1_30default_config_static_selectorELNS0_4arch9wavefront6targetE1EEEvSD_
    .private_segment_fixed_size: 0
    .sgpr_count:     6
    .sgpr_spill_count: 0
    .symbol:         _ZN7rocprim17ROCPRIM_400000_NS6detail17trampoline_kernelINS0_14default_configENS1_22reduce_config_selectorIjEEZNS1_11reduce_implILb1ES3_PjS7_j11plus_mod_10IjEEE10hipError_tPvRmT1_T2_T3_mT4_P12ihipStream_tbEUlT_E1_NS1_11comp_targetILNS1_3genE2ELNS1_11target_archE906ELNS1_3gpuE6ELNS1_3repE0EEENS1_30default_config_static_selectorELNS0_4arch9wavefront6targetE1EEEvSD_.kd
    .uniform_work_group_size: 1
    .uses_dynamic_stack: false
    .vgpr_count:     0
    .vgpr_spill_count: 0
    .wavefront_size: 64
  - .agpr_count:     0
    .args:
      - .offset:         0
        .size:           40
        .value_kind:     by_value
    .group_segment_fixed_size: 0
    .kernarg_segment_align: 8
    .kernarg_segment_size: 40
    .language:       OpenCL C
    .language_version:
      - 2
      - 0
    .max_flat_workgroup_size: 256
    .name:           _ZN7rocprim17ROCPRIM_400000_NS6detail17trampoline_kernelINS0_14default_configENS1_22reduce_config_selectorIjEEZNS1_11reduce_implILb1ES3_PjS7_j11plus_mod_10IjEEE10hipError_tPvRmT1_T2_T3_mT4_P12ihipStream_tbEUlT_E1_NS1_11comp_targetILNS1_3genE10ELNS1_11target_archE1201ELNS1_3gpuE5ELNS1_3repE0EEENS1_30default_config_static_selectorELNS0_4arch9wavefront6targetE1EEEvSD_
    .private_segment_fixed_size: 0
    .sgpr_count:     6
    .sgpr_spill_count: 0
    .symbol:         _ZN7rocprim17ROCPRIM_400000_NS6detail17trampoline_kernelINS0_14default_configENS1_22reduce_config_selectorIjEEZNS1_11reduce_implILb1ES3_PjS7_j11plus_mod_10IjEEE10hipError_tPvRmT1_T2_T3_mT4_P12ihipStream_tbEUlT_E1_NS1_11comp_targetILNS1_3genE10ELNS1_11target_archE1201ELNS1_3gpuE5ELNS1_3repE0EEENS1_30default_config_static_selectorELNS0_4arch9wavefront6targetE1EEEvSD_.kd
    .uniform_work_group_size: 1
    .uses_dynamic_stack: false
    .vgpr_count:     0
    .vgpr_spill_count: 0
    .wavefront_size: 64
  - .agpr_count:     0
    .args:
      - .offset:         0
        .size:           40
        .value_kind:     by_value
    .group_segment_fixed_size: 0
    .kernarg_segment_align: 8
    .kernarg_segment_size: 40
    .language:       OpenCL C
    .language_version:
      - 2
      - 0
    .max_flat_workgroup_size: 256
    .name:           _ZN7rocprim17ROCPRIM_400000_NS6detail17trampoline_kernelINS0_14default_configENS1_22reduce_config_selectorIjEEZNS1_11reduce_implILb1ES3_PjS7_j11plus_mod_10IjEEE10hipError_tPvRmT1_T2_T3_mT4_P12ihipStream_tbEUlT_E1_NS1_11comp_targetILNS1_3genE10ELNS1_11target_archE1200ELNS1_3gpuE4ELNS1_3repE0EEENS1_30default_config_static_selectorELNS0_4arch9wavefront6targetE1EEEvSD_
    .private_segment_fixed_size: 0
    .sgpr_count:     6
    .sgpr_spill_count: 0
    .symbol:         _ZN7rocprim17ROCPRIM_400000_NS6detail17trampoline_kernelINS0_14default_configENS1_22reduce_config_selectorIjEEZNS1_11reduce_implILb1ES3_PjS7_j11plus_mod_10IjEEE10hipError_tPvRmT1_T2_T3_mT4_P12ihipStream_tbEUlT_E1_NS1_11comp_targetILNS1_3genE10ELNS1_11target_archE1200ELNS1_3gpuE4ELNS1_3repE0EEENS1_30default_config_static_selectorELNS0_4arch9wavefront6targetE1EEEvSD_.kd
    .uniform_work_group_size: 1
    .uses_dynamic_stack: false
    .vgpr_count:     0
    .vgpr_spill_count: 0
    .wavefront_size: 64
  - .agpr_count:     0
    .args:
      - .offset:         0
        .size:           40
        .value_kind:     by_value
    .group_segment_fixed_size: 0
    .kernarg_segment_align: 8
    .kernarg_segment_size: 40
    .language:       OpenCL C
    .language_version:
      - 2
      - 0
    .max_flat_workgroup_size: 256
    .name:           _ZN7rocprim17ROCPRIM_400000_NS6detail17trampoline_kernelINS0_14default_configENS1_22reduce_config_selectorIjEEZNS1_11reduce_implILb1ES3_PjS7_j11plus_mod_10IjEEE10hipError_tPvRmT1_T2_T3_mT4_P12ihipStream_tbEUlT_E1_NS1_11comp_targetILNS1_3genE9ELNS1_11target_archE1100ELNS1_3gpuE3ELNS1_3repE0EEENS1_30default_config_static_selectorELNS0_4arch9wavefront6targetE1EEEvSD_
    .private_segment_fixed_size: 0
    .sgpr_count:     6
    .sgpr_spill_count: 0
    .symbol:         _ZN7rocprim17ROCPRIM_400000_NS6detail17trampoline_kernelINS0_14default_configENS1_22reduce_config_selectorIjEEZNS1_11reduce_implILb1ES3_PjS7_j11plus_mod_10IjEEE10hipError_tPvRmT1_T2_T3_mT4_P12ihipStream_tbEUlT_E1_NS1_11comp_targetILNS1_3genE9ELNS1_11target_archE1100ELNS1_3gpuE3ELNS1_3repE0EEENS1_30default_config_static_selectorELNS0_4arch9wavefront6targetE1EEEvSD_.kd
    .uniform_work_group_size: 1
    .uses_dynamic_stack: false
    .vgpr_count:     0
    .vgpr_spill_count: 0
    .wavefront_size: 64
  - .agpr_count:     0
    .args:
      - .offset:         0
        .size:           40
        .value_kind:     by_value
    .group_segment_fixed_size: 0
    .kernarg_segment_align: 8
    .kernarg_segment_size: 40
    .language:       OpenCL C
    .language_version:
      - 2
      - 0
    .max_flat_workgroup_size: 256
    .name:           _ZN7rocprim17ROCPRIM_400000_NS6detail17trampoline_kernelINS0_14default_configENS1_22reduce_config_selectorIjEEZNS1_11reduce_implILb1ES3_PjS7_j11plus_mod_10IjEEE10hipError_tPvRmT1_T2_T3_mT4_P12ihipStream_tbEUlT_E1_NS1_11comp_targetILNS1_3genE8ELNS1_11target_archE1030ELNS1_3gpuE2ELNS1_3repE0EEENS1_30default_config_static_selectorELNS0_4arch9wavefront6targetE1EEEvSD_
    .private_segment_fixed_size: 0
    .sgpr_count:     6
    .sgpr_spill_count: 0
    .symbol:         _ZN7rocprim17ROCPRIM_400000_NS6detail17trampoline_kernelINS0_14default_configENS1_22reduce_config_selectorIjEEZNS1_11reduce_implILb1ES3_PjS7_j11plus_mod_10IjEEE10hipError_tPvRmT1_T2_T3_mT4_P12ihipStream_tbEUlT_E1_NS1_11comp_targetILNS1_3genE8ELNS1_11target_archE1030ELNS1_3gpuE2ELNS1_3repE0EEENS1_30default_config_static_selectorELNS0_4arch9wavefront6targetE1EEEvSD_.kd
    .uniform_work_group_size: 1
    .uses_dynamic_stack: false
    .vgpr_count:     0
    .vgpr_spill_count: 0
    .wavefront_size: 64
  - .agpr_count:     0
    .args:
      - .offset:         0
        .size:           56
        .value_kind:     by_value
    .group_segment_fixed_size: 32
    .kernarg_segment_align: 8
    .kernarg_segment_size: 56
    .language:       OpenCL C
    .language_version:
      - 2
      - 0
    .max_flat_workgroup_size: 256
    .name:           _ZN7rocprim17ROCPRIM_400000_NS6detail17trampoline_kernelINS0_14default_configENS1_22reduce_config_selectorIjEEZNS1_11reduce_implILb1ES3_N6thrust23THRUST_200600_302600_NS6detail15normal_iteratorINS8_10device_ptrIjEEEEPjj11plus_mod_10IjEEE10hipError_tPvRmT1_T2_T3_mT4_P12ihipStream_tbEUlT_E0_NS1_11comp_targetILNS1_3genE0ELNS1_11target_archE4294967295ELNS1_3gpuE0ELNS1_3repE0EEENS1_30default_config_static_selectorELNS0_4arch9wavefront6targetE1EEEvSK_
    .private_segment_fixed_size: 0
    .sgpr_count:     26
    .sgpr_spill_count: 0
    .symbol:         _ZN7rocprim17ROCPRIM_400000_NS6detail17trampoline_kernelINS0_14default_configENS1_22reduce_config_selectorIjEEZNS1_11reduce_implILb1ES3_N6thrust23THRUST_200600_302600_NS6detail15normal_iteratorINS8_10device_ptrIjEEEEPjj11plus_mod_10IjEEE10hipError_tPvRmT1_T2_T3_mT4_P12ihipStream_tbEUlT_E0_NS1_11comp_targetILNS1_3genE0ELNS1_11target_archE4294967295ELNS1_3gpuE0ELNS1_3repE0EEENS1_30default_config_static_selectorELNS0_4arch9wavefront6targetE1EEEvSK_.kd
    .uniform_work_group_size: 1
    .uses_dynamic_stack: false
    .vgpr_count:     13
    .vgpr_spill_count: 0
    .wavefront_size: 64
  - .agpr_count:     0
    .args:
      - .offset:         0
        .size:           56
        .value_kind:     by_value
    .group_segment_fixed_size: 0
    .kernarg_segment_align: 8
    .kernarg_segment_size: 56
    .language:       OpenCL C
    .language_version:
      - 2
      - 0
    .max_flat_workgroup_size: 256
    .name:           _ZN7rocprim17ROCPRIM_400000_NS6detail17trampoline_kernelINS0_14default_configENS1_22reduce_config_selectorIjEEZNS1_11reduce_implILb1ES3_N6thrust23THRUST_200600_302600_NS6detail15normal_iteratorINS8_10device_ptrIjEEEEPjj11plus_mod_10IjEEE10hipError_tPvRmT1_T2_T3_mT4_P12ihipStream_tbEUlT_E0_NS1_11comp_targetILNS1_3genE5ELNS1_11target_archE942ELNS1_3gpuE9ELNS1_3repE0EEENS1_30default_config_static_selectorELNS0_4arch9wavefront6targetE1EEEvSK_
    .private_segment_fixed_size: 0
    .sgpr_count:     6
    .sgpr_spill_count: 0
    .symbol:         _ZN7rocprim17ROCPRIM_400000_NS6detail17trampoline_kernelINS0_14default_configENS1_22reduce_config_selectorIjEEZNS1_11reduce_implILb1ES3_N6thrust23THRUST_200600_302600_NS6detail15normal_iteratorINS8_10device_ptrIjEEEEPjj11plus_mod_10IjEEE10hipError_tPvRmT1_T2_T3_mT4_P12ihipStream_tbEUlT_E0_NS1_11comp_targetILNS1_3genE5ELNS1_11target_archE942ELNS1_3gpuE9ELNS1_3repE0EEENS1_30default_config_static_selectorELNS0_4arch9wavefront6targetE1EEEvSK_.kd
    .uniform_work_group_size: 1
    .uses_dynamic_stack: false
    .vgpr_count:     0
    .vgpr_spill_count: 0
    .wavefront_size: 64
  - .agpr_count:     0
    .args:
      - .offset:         0
        .size:           56
        .value_kind:     by_value
    .group_segment_fixed_size: 0
    .kernarg_segment_align: 8
    .kernarg_segment_size: 56
    .language:       OpenCL C
    .language_version:
      - 2
      - 0
    .max_flat_workgroup_size: 128
    .name:           _ZN7rocprim17ROCPRIM_400000_NS6detail17trampoline_kernelINS0_14default_configENS1_22reduce_config_selectorIjEEZNS1_11reduce_implILb1ES3_N6thrust23THRUST_200600_302600_NS6detail15normal_iteratorINS8_10device_ptrIjEEEEPjj11plus_mod_10IjEEE10hipError_tPvRmT1_T2_T3_mT4_P12ihipStream_tbEUlT_E0_NS1_11comp_targetILNS1_3genE4ELNS1_11target_archE910ELNS1_3gpuE8ELNS1_3repE0EEENS1_30default_config_static_selectorELNS0_4arch9wavefront6targetE1EEEvSK_
    .private_segment_fixed_size: 0
    .sgpr_count:     6
    .sgpr_spill_count: 0
    .symbol:         _ZN7rocprim17ROCPRIM_400000_NS6detail17trampoline_kernelINS0_14default_configENS1_22reduce_config_selectorIjEEZNS1_11reduce_implILb1ES3_N6thrust23THRUST_200600_302600_NS6detail15normal_iteratorINS8_10device_ptrIjEEEEPjj11plus_mod_10IjEEE10hipError_tPvRmT1_T2_T3_mT4_P12ihipStream_tbEUlT_E0_NS1_11comp_targetILNS1_3genE4ELNS1_11target_archE910ELNS1_3gpuE8ELNS1_3repE0EEENS1_30default_config_static_selectorELNS0_4arch9wavefront6targetE1EEEvSK_.kd
    .uniform_work_group_size: 1
    .uses_dynamic_stack: false
    .vgpr_count:     0
    .vgpr_spill_count: 0
    .wavefront_size: 64
  - .agpr_count:     0
    .args:
      - .offset:         0
        .size:           56
        .value_kind:     by_value
    .group_segment_fixed_size: 0
    .kernarg_segment_align: 8
    .kernarg_segment_size: 56
    .language:       OpenCL C
    .language_version:
      - 2
      - 0
    .max_flat_workgroup_size: 256
    .name:           _ZN7rocprim17ROCPRIM_400000_NS6detail17trampoline_kernelINS0_14default_configENS1_22reduce_config_selectorIjEEZNS1_11reduce_implILb1ES3_N6thrust23THRUST_200600_302600_NS6detail15normal_iteratorINS8_10device_ptrIjEEEEPjj11plus_mod_10IjEEE10hipError_tPvRmT1_T2_T3_mT4_P12ihipStream_tbEUlT_E0_NS1_11comp_targetILNS1_3genE3ELNS1_11target_archE908ELNS1_3gpuE7ELNS1_3repE0EEENS1_30default_config_static_selectorELNS0_4arch9wavefront6targetE1EEEvSK_
    .private_segment_fixed_size: 0
    .sgpr_count:     6
    .sgpr_spill_count: 0
    .symbol:         _ZN7rocprim17ROCPRIM_400000_NS6detail17trampoline_kernelINS0_14default_configENS1_22reduce_config_selectorIjEEZNS1_11reduce_implILb1ES3_N6thrust23THRUST_200600_302600_NS6detail15normal_iteratorINS8_10device_ptrIjEEEEPjj11plus_mod_10IjEEE10hipError_tPvRmT1_T2_T3_mT4_P12ihipStream_tbEUlT_E0_NS1_11comp_targetILNS1_3genE3ELNS1_11target_archE908ELNS1_3gpuE7ELNS1_3repE0EEENS1_30default_config_static_selectorELNS0_4arch9wavefront6targetE1EEEvSK_.kd
    .uniform_work_group_size: 1
    .uses_dynamic_stack: false
    .vgpr_count:     0
    .vgpr_spill_count: 0
    .wavefront_size: 64
  - .agpr_count:     0
    .args:
      - .offset:         0
        .size:           56
        .value_kind:     by_value
    .group_segment_fixed_size: 0
    .kernarg_segment_align: 8
    .kernarg_segment_size: 56
    .language:       OpenCL C
    .language_version:
      - 2
      - 0
    .max_flat_workgroup_size: 256
    .name:           _ZN7rocprim17ROCPRIM_400000_NS6detail17trampoline_kernelINS0_14default_configENS1_22reduce_config_selectorIjEEZNS1_11reduce_implILb1ES3_N6thrust23THRUST_200600_302600_NS6detail15normal_iteratorINS8_10device_ptrIjEEEEPjj11plus_mod_10IjEEE10hipError_tPvRmT1_T2_T3_mT4_P12ihipStream_tbEUlT_E0_NS1_11comp_targetILNS1_3genE2ELNS1_11target_archE906ELNS1_3gpuE6ELNS1_3repE0EEENS1_30default_config_static_selectorELNS0_4arch9wavefront6targetE1EEEvSK_
    .private_segment_fixed_size: 0
    .sgpr_count:     6
    .sgpr_spill_count: 0
    .symbol:         _ZN7rocprim17ROCPRIM_400000_NS6detail17trampoline_kernelINS0_14default_configENS1_22reduce_config_selectorIjEEZNS1_11reduce_implILb1ES3_N6thrust23THRUST_200600_302600_NS6detail15normal_iteratorINS8_10device_ptrIjEEEEPjj11plus_mod_10IjEEE10hipError_tPvRmT1_T2_T3_mT4_P12ihipStream_tbEUlT_E0_NS1_11comp_targetILNS1_3genE2ELNS1_11target_archE906ELNS1_3gpuE6ELNS1_3repE0EEENS1_30default_config_static_selectorELNS0_4arch9wavefront6targetE1EEEvSK_.kd
    .uniform_work_group_size: 1
    .uses_dynamic_stack: false
    .vgpr_count:     0
    .vgpr_spill_count: 0
    .wavefront_size: 64
  - .agpr_count:     0
    .args:
      - .offset:         0
        .size:           56
        .value_kind:     by_value
    .group_segment_fixed_size: 0
    .kernarg_segment_align: 8
    .kernarg_segment_size: 56
    .language:       OpenCL C
    .language_version:
      - 2
      - 0
    .max_flat_workgroup_size: 256
    .name:           _ZN7rocprim17ROCPRIM_400000_NS6detail17trampoline_kernelINS0_14default_configENS1_22reduce_config_selectorIjEEZNS1_11reduce_implILb1ES3_N6thrust23THRUST_200600_302600_NS6detail15normal_iteratorINS8_10device_ptrIjEEEEPjj11plus_mod_10IjEEE10hipError_tPvRmT1_T2_T3_mT4_P12ihipStream_tbEUlT_E0_NS1_11comp_targetILNS1_3genE10ELNS1_11target_archE1201ELNS1_3gpuE5ELNS1_3repE0EEENS1_30default_config_static_selectorELNS0_4arch9wavefront6targetE1EEEvSK_
    .private_segment_fixed_size: 0
    .sgpr_count:     6
    .sgpr_spill_count: 0
    .symbol:         _ZN7rocprim17ROCPRIM_400000_NS6detail17trampoline_kernelINS0_14default_configENS1_22reduce_config_selectorIjEEZNS1_11reduce_implILb1ES3_N6thrust23THRUST_200600_302600_NS6detail15normal_iteratorINS8_10device_ptrIjEEEEPjj11plus_mod_10IjEEE10hipError_tPvRmT1_T2_T3_mT4_P12ihipStream_tbEUlT_E0_NS1_11comp_targetILNS1_3genE10ELNS1_11target_archE1201ELNS1_3gpuE5ELNS1_3repE0EEENS1_30default_config_static_selectorELNS0_4arch9wavefront6targetE1EEEvSK_.kd
    .uniform_work_group_size: 1
    .uses_dynamic_stack: false
    .vgpr_count:     0
    .vgpr_spill_count: 0
    .wavefront_size: 64
  - .agpr_count:     0
    .args:
      - .offset:         0
        .size:           56
        .value_kind:     by_value
    .group_segment_fixed_size: 0
    .kernarg_segment_align: 8
    .kernarg_segment_size: 56
    .language:       OpenCL C
    .language_version:
      - 2
      - 0
    .max_flat_workgroup_size: 256
    .name:           _ZN7rocprim17ROCPRIM_400000_NS6detail17trampoline_kernelINS0_14default_configENS1_22reduce_config_selectorIjEEZNS1_11reduce_implILb1ES3_N6thrust23THRUST_200600_302600_NS6detail15normal_iteratorINS8_10device_ptrIjEEEEPjj11plus_mod_10IjEEE10hipError_tPvRmT1_T2_T3_mT4_P12ihipStream_tbEUlT_E0_NS1_11comp_targetILNS1_3genE10ELNS1_11target_archE1200ELNS1_3gpuE4ELNS1_3repE0EEENS1_30default_config_static_selectorELNS0_4arch9wavefront6targetE1EEEvSK_
    .private_segment_fixed_size: 0
    .sgpr_count:     6
    .sgpr_spill_count: 0
    .symbol:         _ZN7rocprim17ROCPRIM_400000_NS6detail17trampoline_kernelINS0_14default_configENS1_22reduce_config_selectorIjEEZNS1_11reduce_implILb1ES3_N6thrust23THRUST_200600_302600_NS6detail15normal_iteratorINS8_10device_ptrIjEEEEPjj11plus_mod_10IjEEE10hipError_tPvRmT1_T2_T3_mT4_P12ihipStream_tbEUlT_E0_NS1_11comp_targetILNS1_3genE10ELNS1_11target_archE1200ELNS1_3gpuE4ELNS1_3repE0EEENS1_30default_config_static_selectorELNS0_4arch9wavefront6targetE1EEEvSK_.kd
    .uniform_work_group_size: 1
    .uses_dynamic_stack: false
    .vgpr_count:     0
    .vgpr_spill_count: 0
    .wavefront_size: 64
  - .agpr_count:     0
    .args:
      - .offset:         0
        .size:           56
        .value_kind:     by_value
    .group_segment_fixed_size: 0
    .kernarg_segment_align: 8
    .kernarg_segment_size: 56
    .language:       OpenCL C
    .language_version:
      - 2
      - 0
    .max_flat_workgroup_size: 256
    .name:           _ZN7rocprim17ROCPRIM_400000_NS6detail17trampoline_kernelINS0_14default_configENS1_22reduce_config_selectorIjEEZNS1_11reduce_implILb1ES3_N6thrust23THRUST_200600_302600_NS6detail15normal_iteratorINS8_10device_ptrIjEEEEPjj11plus_mod_10IjEEE10hipError_tPvRmT1_T2_T3_mT4_P12ihipStream_tbEUlT_E0_NS1_11comp_targetILNS1_3genE9ELNS1_11target_archE1100ELNS1_3gpuE3ELNS1_3repE0EEENS1_30default_config_static_selectorELNS0_4arch9wavefront6targetE1EEEvSK_
    .private_segment_fixed_size: 0
    .sgpr_count:     6
    .sgpr_spill_count: 0
    .symbol:         _ZN7rocprim17ROCPRIM_400000_NS6detail17trampoline_kernelINS0_14default_configENS1_22reduce_config_selectorIjEEZNS1_11reduce_implILb1ES3_N6thrust23THRUST_200600_302600_NS6detail15normal_iteratorINS8_10device_ptrIjEEEEPjj11plus_mod_10IjEEE10hipError_tPvRmT1_T2_T3_mT4_P12ihipStream_tbEUlT_E0_NS1_11comp_targetILNS1_3genE9ELNS1_11target_archE1100ELNS1_3gpuE3ELNS1_3repE0EEENS1_30default_config_static_selectorELNS0_4arch9wavefront6targetE1EEEvSK_.kd
    .uniform_work_group_size: 1
    .uses_dynamic_stack: false
    .vgpr_count:     0
    .vgpr_spill_count: 0
    .wavefront_size: 64
  - .agpr_count:     0
    .args:
      - .offset:         0
        .size:           56
        .value_kind:     by_value
    .group_segment_fixed_size: 0
    .kernarg_segment_align: 8
    .kernarg_segment_size: 56
    .language:       OpenCL C
    .language_version:
      - 2
      - 0
    .max_flat_workgroup_size: 256
    .name:           _ZN7rocprim17ROCPRIM_400000_NS6detail17trampoline_kernelINS0_14default_configENS1_22reduce_config_selectorIjEEZNS1_11reduce_implILb1ES3_N6thrust23THRUST_200600_302600_NS6detail15normal_iteratorINS8_10device_ptrIjEEEEPjj11plus_mod_10IjEEE10hipError_tPvRmT1_T2_T3_mT4_P12ihipStream_tbEUlT_E0_NS1_11comp_targetILNS1_3genE8ELNS1_11target_archE1030ELNS1_3gpuE2ELNS1_3repE0EEENS1_30default_config_static_selectorELNS0_4arch9wavefront6targetE1EEEvSK_
    .private_segment_fixed_size: 0
    .sgpr_count:     6
    .sgpr_spill_count: 0
    .symbol:         _ZN7rocprim17ROCPRIM_400000_NS6detail17trampoline_kernelINS0_14default_configENS1_22reduce_config_selectorIjEEZNS1_11reduce_implILb1ES3_N6thrust23THRUST_200600_302600_NS6detail15normal_iteratorINS8_10device_ptrIjEEEEPjj11plus_mod_10IjEEE10hipError_tPvRmT1_T2_T3_mT4_P12ihipStream_tbEUlT_E0_NS1_11comp_targetILNS1_3genE8ELNS1_11target_archE1030ELNS1_3gpuE2ELNS1_3repE0EEENS1_30default_config_static_selectorELNS0_4arch9wavefront6targetE1EEEvSK_.kd
    .uniform_work_group_size: 1
    .uses_dynamic_stack: false
    .vgpr_count:     0
    .vgpr_spill_count: 0
    .wavefront_size: 64
  - .agpr_count:     0
    .args:
      - .offset:         0
        .size:           40
        .value_kind:     by_value
    .group_segment_fixed_size: 112
    .kernarg_segment_align: 8
    .kernarg_segment_size: 40
    .language:       OpenCL C
    .language_version:
      - 2
      - 0
    .max_flat_workgroup_size: 256
    .name:           _ZN7rocprim17ROCPRIM_400000_NS6detail17trampoline_kernelINS0_14default_configENS1_22reduce_config_selectorIjEEZNS1_11reduce_implILb1ES3_N6thrust23THRUST_200600_302600_NS6detail15normal_iteratorINS8_10device_ptrIjEEEEPjj11plus_mod_10IjEEE10hipError_tPvRmT1_T2_T3_mT4_P12ihipStream_tbEUlT_E1_NS1_11comp_targetILNS1_3genE0ELNS1_11target_archE4294967295ELNS1_3gpuE0ELNS1_3repE0EEENS1_30default_config_static_selectorELNS0_4arch9wavefront6targetE1EEEvSK_
    .private_segment_fixed_size: 0
    .sgpr_count:     84
    .sgpr_spill_count: 0
    .symbol:         _ZN7rocprim17ROCPRIM_400000_NS6detail17trampoline_kernelINS0_14default_configENS1_22reduce_config_selectorIjEEZNS1_11reduce_implILb1ES3_N6thrust23THRUST_200600_302600_NS6detail15normal_iteratorINS8_10device_ptrIjEEEEPjj11plus_mod_10IjEEE10hipError_tPvRmT1_T2_T3_mT4_P12ihipStream_tbEUlT_E1_NS1_11comp_targetILNS1_3genE0ELNS1_11target_archE4294967295ELNS1_3gpuE0ELNS1_3repE0EEENS1_30default_config_static_selectorELNS0_4arch9wavefront6targetE1EEEvSK_.kd
    .uniform_work_group_size: 1
    .uses_dynamic_stack: false
    .vgpr_count:     36
    .vgpr_spill_count: 0
    .wavefront_size: 64
  - .agpr_count:     0
    .args:
      - .offset:         0
        .size:           40
        .value_kind:     by_value
    .group_segment_fixed_size: 0
    .kernarg_segment_align: 8
    .kernarg_segment_size: 40
    .language:       OpenCL C
    .language_version:
      - 2
      - 0
    .max_flat_workgroup_size: 256
    .name:           _ZN7rocprim17ROCPRIM_400000_NS6detail17trampoline_kernelINS0_14default_configENS1_22reduce_config_selectorIjEEZNS1_11reduce_implILb1ES3_N6thrust23THRUST_200600_302600_NS6detail15normal_iteratorINS8_10device_ptrIjEEEEPjj11plus_mod_10IjEEE10hipError_tPvRmT1_T2_T3_mT4_P12ihipStream_tbEUlT_E1_NS1_11comp_targetILNS1_3genE5ELNS1_11target_archE942ELNS1_3gpuE9ELNS1_3repE0EEENS1_30default_config_static_selectorELNS0_4arch9wavefront6targetE1EEEvSK_
    .private_segment_fixed_size: 0
    .sgpr_count:     6
    .sgpr_spill_count: 0
    .symbol:         _ZN7rocprim17ROCPRIM_400000_NS6detail17trampoline_kernelINS0_14default_configENS1_22reduce_config_selectorIjEEZNS1_11reduce_implILb1ES3_N6thrust23THRUST_200600_302600_NS6detail15normal_iteratorINS8_10device_ptrIjEEEEPjj11plus_mod_10IjEEE10hipError_tPvRmT1_T2_T3_mT4_P12ihipStream_tbEUlT_E1_NS1_11comp_targetILNS1_3genE5ELNS1_11target_archE942ELNS1_3gpuE9ELNS1_3repE0EEENS1_30default_config_static_selectorELNS0_4arch9wavefront6targetE1EEEvSK_.kd
    .uniform_work_group_size: 1
    .uses_dynamic_stack: false
    .vgpr_count:     0
    .vgpr_spill_count: 0
    .wavefront_size: 64
  - .agpr_count:     0
    .args:
      - .offset:         0
        .size:           40
        .value_kind:     by_value
    .group_segment_fixed_size: 0
    .kernarg_segment_align: 8
    .kernarg_segment_size: 40
    .language:       OpenCL C
    .language_version:
      - 2
      - 0
    .max_flat_workgroup_size: 128
    .name:           _ZN7rocprim17ROCPRIM_400000_NS6detail17trampoline_kernelINS0_14default_configENS1_22reduce_config_selectorIjEEZNS1_11reduce_implILb1ES3_N6thrust23THRUST_200600_302600_NS6detail15normal_iteratorINS8_10device_ptrIjEEEEPjj11plus_mod_10IjEEE10hipError_tPvRmT1_T2_T3_mT4_P12ihipStream_tbEUlT_E1_NS1_11comp_targetILNS1_3genE4ELNS1_11target_archE910ELNS1_3gpuE8ELNS1_3repE0EEENS1_30default_config_static_selectorELNS0_4arch9wavefront6targetE1EEEvSK_
    .private_segment_fixed_size: 0
    .sgpr_count:     6
    .sgpr_spill_count: 0
    .symbol:         _ZN7rocprim17ROCPRIM_400000_NS6detail17trampoline_kernelINS0_14default_configENS1_22reduce_config_selectorIjEEZNS1_11reduce_implILb1ES3_N6thrust23THRUST_200600_302600_NS6detail15normal_iteratorINS8_10device_ptrIjEEEEPjj11plus_mod_10IjEEE10hipError_tPvRmT1_T2_T3_mT4_P12ihipStream_tbEUlT_E1_NS1_11comp_targetILNS1_3genE4ELNS1_11target_archE910ELNS1_3gpuE8ELNS1_3repE0EEENS1_30default_config_static_selectorELNS0_4arch9wavefront6targetE1EEEvSK_.kd
    .uniform_work_group_size: 1
    .uses_dynamic_stack: false
    .vgpr_count:     0
    .vgpr_spill_count: 0
    .wavefront_size: 64
  - .agpr_count:     0
    .args:
      - .offset:         0
        .size:           40
        .value_kind:     by_value
    .group_segment_fixed_size: 0
    .kernarg_segment_align: 8
    .kernarg_segment_size: 40
    .language:       OpenCL C
    .language_version:
      - 2
      - 0
    .max_flat_workgroup_size: 256
    .name:           _ZN7rocprim17ROCPRIM_400000_NS6detail17trampoline_kernelINS0_14default_configENS1_22reduce_config_selectorIjEEZNS1_11reduce_implILb1ES3_N6thrust23THRUST_200600_302600_NS6detail15normal_iteratorINS8_10device_ptrIjEEEEPjj11plus_mod_10IjEEE10hipError_tPvRmT1_T2_T3_mT4_P12ihipStream_tbEUlT_E1_NS1_11comp_targetILNS1_3genE3ELNS1_11target_archE908ELNS1_3gpuE7ELNS1_3repE0EEENS1_30default_config_static_selectorELNS0_4arch9wavefront6targetE1EEEvSK_
    .private_segment_fixed_size: 0
    .sgpr_count:     6
    .sgpr_spill_count: 0
    .symbol:         _ZN7rocprim17ROCPRIM_400000_NS6detail17trampoline_kernelINS0_14default_configENS1_22reduce_config_selectorIjEEZNS1_11reduce_implILb1ES3_N6thrust23THRUST_200600_302600_NS6detail15normal_iteratorINS8_10device_ptrIjEEEEPjj11plus_mod_10IjEEE10hipError_tPvRmT1_T2_T3_mT4_P12ihipStream_tbEUlT_E1_NS1_11comp_targetILNS1_3genE3ELNS1_11target_archE908ELNS1_3gpuE7ELNS1_3repE0EEENS1_30default_config_static_selectorELNS0_4arch9wavefront6targetE1EEEvSK_.kd
    .uniform_work_group_size: 1
    .uses_dynamic_stack: false
    .vgpr_count:     0
    .vgpr_spill_count: 0
    .wavefront_size: 64
  - .agpr_count:     0
    .args:
      - .offset:         0
        .size:           40
        .value_kind:     by_value
    .group_segment_fixed_size: 0
    .kernarg_segment_align: 8
    .kernarg_segment_size: 40
    .language:       OpenCL C
    .language_version:
      - 2
      - 0
    .max_flat_workgroup_size: 256
    .name:           _ZN7rocprim17ROCPRIM_400000_NS6detail17trampoline_kernelINS0_14default_configENS1_22reduce_config_selectorIjEEZNS1_11reduce_implILb1ES3_N6thrust23THRUST_200600_302600_NS6detail15normal_iteratorINS8_10device_ptrIjEEEEPjj11plus_mod_10IjEEE10hipError_tPvRmT1_T2_T3_mT4_P12ihipStream_tbEUlT_E1_NS1_11comp_targetILNS1_3genE2ELNS1_11target_archE906ELNS1_3gpuE6ELNS1_3repE0EEENS1_30default_config_static_selectorELNS0_4arch9wavefront6targetE1EEEvSK_
    .private_segment_fixed_size: 0
    .sgpr_count:     6
    .sgpr_spill_count: 0
    .symbol:         _ZN7rocprim17ROCPRIM_400000_NS6detail17trampoline_kernelINS0_14default_configENS1_22reduce_config_selectorIjEEZNS1_11reduce_implILb1ES3_N6thrust23THRUST_200600_302600_NS6detail15normal_iteratorINS8_10device_ptrIjEEEEPjj11plus_mod_10IjEEE10hipError_tPvRmT1_T2_T3_mT4_P12ihipStream_tbEUlT_E1_NS1_11comp_targetILNS1_3genE2ELNS1_11target_archE906ELNS1_3gpuE6ELNS1_3repE0EEENS1_30default_config_static_selectorELNS0_4arch9wavefront6targetE1EEEvSK_.kd
    .uniform_work_group_size: 1
    .uses_dynamic_stack: false
    .vgpr_count:     0
    .vgpr_spill_count: 0
    .wavefront_size: 64
  - .agpr_count:     0
    .args:
      - .offset:         0
        .size:           40
        .value_kind:     by_value
    .group_segment_fixed_size: 0
    .kernarg_segment_align: 8
    .kernarg_segment_size: 40
    .language:       OpenCL C
    .language_version:
      - 2
      - 0
    .max_flat_workgroup_size: 256
    .name:           _ZN7rocprim17ROCPRIM_400000_NS6detail17trampoline_kernelINS0_14default_configENS1_22reduce_config_selectorIjEEZNS1_11reduce_implILb1ES3_N6thrust23THRUST_200600_302600_NS6detail15normal_iteratorINS8_10device_ptrIjEEEEPjj11plus_mod_10IjEEE10hipError_tPvRmT1_T2_T3_mT4_P12ihipStream_tbEUlT_E1_NS1_11comp_targetILNS1_3genE10ELNS1_11target_archE1201ELNS1_3gpuE5ELNS1_3repE0EEENS1_30default_config_static_selectorELNS0_4arch9wavefront6targetE1EEEvSK_
    .private_segment_fixed_size: 0
    .sgpr_count:     6
    .sgpr_spill_count: 0
    .symbol:         _ZN7rocprim17ROCPRIM_400000_NS6detail17trampoline_kernelINS0_14default_configENS1_22reduce_config_selectorIjEEZNS1_11reduce_implILb1ES3_N6thrust23THRUST_200600_302600_NS6detail15normal_iteratorINS8_10device_ptrIjEEEEPjj11plus_mod_10IjEEE10hipError_tPvRmT1_T2_T3_mT4_P12ihipStream_tbEUlT_E1_NS1_11comp_targetILNS1_3genE10ELNS1_11target_archE1201ELNS1_3gpuE5ELNS1_3repE0EEENS1_30default_config_static_selectorELNS0_4arch9wavefront6targetE1EEEvSK_.kd
    .uniform_work_group_size: 1
    .uses_dynamic_stack: false
    .vgpr_count:     0
    .vgpr_spill_count: 0
    .wavefront_size: 64
  - .agpr_count:     0
    .args:
      - .offset:         0
        .size:           40
        .value_kind:     by_value
    .group_segment_fixed_size: 0
    .kernarg_segment_align: 8
    .kernarg_segment_size: 40
    .language:       OpenCL C
    .language_version:
      - 2
      - 0
    .max_flat_workgroup_size: 256
    .name:           _ZN7rocprim17ROCPRIM_400000_NS6detail17trampoline_kernelINS0_14default_configENS1_22reduce_config_selectorIjEEZNS1_11reduce_implILb1ES3_N6thrust23THRUST_200600_302600_NS6detail15normal_iteratorINS8_10device_ptrIjEEEEPjj11plus_mod_10IjEEE10hipError_tPvRmT1_T2_T3_mT4_P12ihipStream_tbEUlT_E1_NS1_11comp_targetILNS1_3genE10ELNS1_11target_archE1200ELNS1_3gpuE4ELNS1_3repE0EEENS1_30default_config_static_selectorELNS0_4arch9wavefront6targetE1EEEvSK_
    .private_segment_fixed_size: 0
    .sgpr_count:     6
    .sgpr_spill_count: 0
    .symbol:         _ZN7rocprim17ROCPRIM_400000_NS6detail17trampoline_kernelINS0_14default_configENS1_22reduce_config_selectorIjEEZNS1_11reduce_implILb1ES3_N6thrust23THRUST_200600_302600_NS6detail15normal_iteratorINS8_10device_ptrIjEEEEPjj11plus_mod_10IjEEE10hipError_tPvRmT1_T2_T3_mT4_P12ihipStream_tbEUlT_E1_NS1_11comp_targetILNS1_3genE10ELNS1_11target_archE1200ELNS1_3gpuE4ELNS1_3repE0EEENS1_30default_config_static_selectorELNS0_4arch9wavefront6targetE1EEEvSK_.kd
    .uniform_work_group_size: 1
    .uses_dynamic_stack: false
    .vgpr_count:     0
    .vgpr_spill_count: 0
    .wavefront_size: 64
  - .agpr_count:     0
    .args:
      - .offset:         0
        .size:           40
        .value_kind:     by_value
    .group_segment_fixed_size: 0
    .kernarg_segment_align: 8
    .kernarg_segment_size: 40
    .language:       OpenCL C
    .language_version:
      - 2
      - 0
    .max_flat_workgroup_size: 256
    .name:           _ZN7rocprim17ROCPRIM_400000_NS6detail17trampoline_kernelINS0_14default_configENS1_22reduce_config_selectorIjEEZNS1_11reduce_implILb1ES3_N6thrust23THRUST_200600_302600_NS6detail15normal_iteratorINS8_10device_ptrIjEEEEPjj11plus_mod_10IjEEE10hipError_tPvRmT1_T2_T3_mT4_P12ihipStream_tbEUlT_E1_NS1_11comp_targetILNS1_3genE9ELNS1_11target_archE1100ELNS1_3gpuE3ELNS1_3repE0EEENS1_30default_config_static_selectorELNS0_4arch9wavefront6targetE1EEEvSK_
    .private_segment_fixed_size: 0
    .sgpr_count:     6
    .sgpr_spill_count: 0
    .symbol:         _ZN7rocprim17ROCPRIM_400000_NS6detail17trampoline_kernelINS0_14default_configENS1_22reduce_config_selectorIjEEZNS1_11reduce_implILb1ES3_N6thrust23THRUST_200600_302600_NS6detail15normal_iteratorINS8_10device_ptrIjEEEEPjj11plus_mod_10IjEEE10hipError_tPvRmT1_T2_T3_mT4_P12ihipStream_tbEUlT_E1_NS1_11comp_targetILNS1_3genE9ELNS1_11target_archE1100ELNS1_3gpuE3ELNS1_3repE0EEENS1_30default_config_static_selectorELNS0_4arch9wavefront6targetE1EEEvSK_.kd
    .uniform_work_group_size: 1
    .uses_dynamic_stack: false
    .vgpr_count:     0
    .vgpr_spill_count: 0
    .wavefront_size: 64
  - .agpr_count:     0
    .args:
      - .offset:         0
        .size:           40
        .value_kind:     by_value
    .group_segment_fixed_size: 0
    .kernarg_segment_align: 8
    .kernarg_segment_size: 40
    .language:       OpenCL C
    .language_version:
      - 2
      - 0
    .max_flat_workgroup_size: 256
    .name:           _ZN7rocprim17ROCPRIM_400000_NS6detail17trampoline_kernelINS0_14default_configENS1_22reduce_config_selectorIjEEZNS1_11reduce_implILb1ES3_N6thrust23THRUST_200600_302600_NS6detail15normal_iteratorINS8_10device_ptrIjEEEEPjj11plus_mod_10IjEEE10hipError_tPvRmT1_T2_T3_mT4_P12ihipStream_tbEUlT_E1_NS1_11comp_targetILNS1_3genE8ELNS1_11target_archE1030ELNS1_3gpuE2ELNS1_3repE0EEENS1_30default_config_static_selectorELNS0_4arch9wavefront6targetE1EEEvSK_
    .private_segment_fixed_size: 0
    .sgpr_count:     6
    .sgpr_spill_count: 0
    .symbol:         _ZN7rocprim17ROCPRIM_400000_NS6detail17trampoline_kernelINS0_14default_configENS1_22reduce_config_selectorIjEEZNS1_11reduce_implILb1ES3_N6thrust23THRUST_200600_302600_NS6detail15normal_iteratorINS8_10device_ptrIjEEEEPjj11plus_mod_10IjEEE10hipError_tPvRmT1_T2_T3_mT4_P12ihipStream_tbEUlT_E1_NS1_11comp_targetILNS1_3genE8ELNS1_11target_archE1030ELNS1_3gpuE2ELNS1_3repE0EEENS1_30default_config_static_selectorELNS0_4arch9wavefront6targetE1EEEvSK_.kd
    .uniform_work_group_size: 1
    .uses_dynamic_stack: false
    .vgpr_count:     0
    .vgpr_spill_count: 0
    .wavefront_size: 64
  - .agpr_count:     0
    .args:
      - .offset:         0
        .size:           56
        .value_kind:     by_value
    .group_segment_fixed_size: 8
    .kernarg_segment_align: 8
    .kernarg_segment_size: 56
    .language:       OpenCL C
    .language_version:
      - 2
      - 0
    .max_flat_workgroup_size: 128
    .name:           _ZN7rocprim17ROCPRIM_400000_NS6detail17trampoline_kernelINS0_14default_configENS1_22reduce_config_selectorItEEZNS1_11reduce_implILb1ES3_PtS7_t11plus_mod_10ItEEE10hipError_tPvRmT1_T2_T3_mT4_P12ihipStream_tbEUlT_E0_NS1_11comp_targetILNS1_3genE0ELNS1_11target_archE4294967295ELNS1_3gpuE0ELNS1_3repE0EEENS1_30default_config_static_selectorELNS0_4arch9wavefront6targetE1EEEvSD_
    .private_segment_fixed_size: 0
    .sgpr_count:     35
    .sgpr_spill_count: 0
    .symbol:         _ZN7rocprim17ROCPRIM_400000_NS6detail17trampoline_kernelINS0_14default_configENS1_22reduce_config_selectorItEEZNS1_11reduce_implILb1ES3_PtS7_t11plus_mod_10ItEEE10hipError_tPvRmT1_T2_T3_mT4_P12ihipStream_tbEUlT_E0_NS1_11comp_targetILNS1_3genE0ELNS1_11target_archE4294967295ELNS1_3gpuE0ELNS1_3repE0EEENS1_30default_config_static_selectorELNS0_4arch9wavefront6targetE1EEEvSD_.kd
    .uniform_work_group_size: 1
    .uses_dynamic_stack: false
    .vgpr_count:     21
    .vgpr_spill_count: 0
    .wavefront_size: 64
  - .agpr_count:     0
    .args:
      - .offset:         0
        .size:           56
        .value_kind:     by_value
    .group_segment_fixed_size: 0
    .kernarg_segment_align: 8
    .kernarg_segment_size: 56
    .language:       OpenCL C
    .language_version:
      - 2
      - 0
    .max_flat_workgroup_size: 256
    .name:           _ZN7rocprim17ROCPRIM_400000_NS6detail17trampoline_kernelINS0_14default_configENS1_22reduce_config_selectorItEEZNS1_11reduce_implILb1ES3_PtS7_t11plus_mod_10ItEEE10hipError_tPvRmT1_T2_T3_mT4_P12ihipStream_tbEUlT_E0_NS1_11comp_targetILNS1_3genE5ELNS1_11target_archE942ELNS1_3gpuE9ELNS1_3repE0EEENS1_30default_config_static_selectorELNS0_4arch9wavefront6targetE1EEEvSD_
    .private_segment_fixed_size: 0
    .sgpr_count:     6
    .sgpr_spill_count: 0
    .symbol:         _ZN7rocprim17ROCPRIM_400000_NS6detail17trampoline_kernelINS0_14default_configENS1_22reduce_config_selectorItEEZNS1_11reduce_implILb1ES3_PtS7_t11plus_mod_10ItEEE10hipError_tPvRmT1_T2_T3_mT4_P12ihipStream_tbEUlT_E0_NS1_11comp_targetILNS1_3genE5ELNS1_11target_archE942ELNS1_3gpuE9ELNS1_3repE0EEENS1_30default_config_static_selectorELNS0_4arch9wavefront6targetE1EEEvSD_.kd
    .uniform_work_group_size: 1
    .uses_dynamic_stack: false
    .vgpr_count:     0
    .vgpr_spill_count: 0
    .wavefront_size: 64
  - .agpr_count:     0
    .args:
      - .offset:         0
        .size:           56
        .value_kind:     by_value
    .group_segment_fixed_size: 0
    .kernarg_segment_align: 8
    .kernarg_segment_size: 56
    .language:       OpenCL C
    .language_version:
      - 2
      - 0
    .max_flat_workgroup_size: 64
    .name:           _ZN7rocprim17ROCPRIM_400000_NS6detail17trampoline_kernelINS0_14default_configENS1_22reduce_config_selectorItEEZNS1_11reduce_implILb1ES3_PtS7_t11plus_mod_10ItEEE10hipError_tPvRmT1_T2_T3_mT4_P12ihipStream_tbEUlT_E0_NS1_11comp_targetILNS1_3genE4ELNS1_11target_archE910ELNS1_3gpuE8ELNS1_3repE0EEENS1_30default_config_static_selectorELNS0_4arch9wavefront6targetE1EEEvSD_
    .private_segment_fixed_size: 0
    .sgpr_count:     6
    .sgpr_spill_count: 0
    .symbol:         _ZN7rocprim17ROCPRIM_400000_NS6detail17trampoline_kernelINS0_14default_configENS1_22reduce_config_selectorItEEZNS1_11reduce_implILb1ES3_PtS7_t11plus_mod_10ItEEE10hipError_tPvRmT1_T2_T3_mT4_P12ihipStream_tbEUlT_E0_NS1_11comp_targetILNS1_3genE4ELNS1_11target_archE910ELNS1_3gpuE8ELNS1_3repE0EEENS1_30default_config_static_selectorELNS0_4arch9wavefront6targetE1EEEvSD_.kd
    .uniform_work_group_size: 1
    .uses_dynamic_stack: false
    .vgpr_count:     0
    .vgpr_spill_count: 0
    .wavefront_size: 64
  - .agpr_count:     0
    .args:
      - .offset:         0
        .size:           56
        .value_kind:     by_value
    .group_segment_fixed_size: 0
    .kernarg_segment_align: 8
    .kernarg_segment_size: 56
    .language:       OpenCL C
    .language_version:
      - 2
      - 0
    .max_flat_workgroup_size: 128
    .name:           _ZN7rocprim17ROCPRIM_400000_NS6detail17trampoline_kernelINS0_14default_configENS1_22reduce_config_selectorItEEZNS1_11reduce_implILb1ES3_PtS7_t11plus_mod_10ItEEE10hipError_tPvRmT1_T2_T3_mT4_P12ihipStream_tbEUlT_E0_NS1_11comp_targetILNS1_3genE3ELNS1_11target_archE908ELNS1_3gpuE7ELNS1_3repE0EEENS1_30default_config_static_selectorELNS0_4arch9wavefront6targetE1EEEvSD_
    .private_segment_fixed_size: 0
    .sgpr_count:     6
    .sgpr_spill_count: 0
    .symbol:         _ZN7rocprim17ROCPRIM_400000_NS6detail17trampoline_kernelINS0_14default_configENS1_22reduce_config_selectorItEEZNS1_11reduce_implILb1ES3_PtS7_t11plus_mod_10ItEEE10hipError_tPvRmT1_T2_T3_mT4_P12ihipStream_tbEUlT_E0_NS1_11comp_targetILNS1_3genE3ELNS1_11target_archE908ELNS1_3gpuE7ELNS1_3repE0EEENS1_30default_config_static_selectorELNS0_4arch9wavefront6targetE1EEEvSD_.kd
    .uniform_work_group_size: 1
    .uses_dynamic_stack: false
    .vgpr_count:     0
    .vgpr_spill_count: 0
    .wavefront_size: 64
  - .agpr_count:     0
    .args:
      - .offset:         0
        .size:           56
        .value_kind:     by_value
    .group_segment_fixed_size: 0
    .kernarg_segment_align: 8
    .kernarg_segment_size: 56
    .language:       OpenCL C
    .language_version:
      - 2
      - 0
    .max_flat_workgroup_size: 256
    .name:           _ZN7rocprim17ROCPRIM_400000_NS6detail17trampoline_kernelINS0_14default_configENS1_22reduce_config_selectorItEEZNS1_11reduce_implILb1ES3_PtS7_t11plus_mod_10ItEEE10hipError_tPvRmT1_T2_T3_mT4_P12ihipStream_tbEUlT_E0_NS1_11comp_targetILNS1_3genE2ELNS1_11target_archE906ELNS1_3gpuE6ELNS1_3repE0EEENS1_30default_config_static_selectorELNS0_4arch9wavefront6targetE1EEEvSD_
    .private_segment_fixed_size: 0
    .sgpr_count:     6
    .sgpr_spill_count: 0
    .symbol:         _ZN7rocprim17ROCPRIM_400000_NS6detail17trampoline_kernelINS0_14default_configENS1_22reduce_config_selectorItEEZNS1_11reduce_implILb1ES3_PtS7_t11plus_mod_10ItEEE10hipError_tPvRmT1_T2_T3_mT4_P12ihipStream_tbEUlT_E0_NS1_11comp_targetILNS1_3genE2ELNS1_11target_archE906ELNS1_3gpuE6ELNS1_3repE0EEENS1_30default_config_static_selectorELNS0_4arch9wavefront6targetE1EEEvSD_.kd
    .uniform_work_group_size: 1
    .uses_dynamic_stack: false
    .vgpr_count:     0
    .vgpr_spill_count: 0
    .wavefront_size: 64
  - .agpr_count:     0
    .args:
      - .offset:         0
        .size:           56
        .value_kind:     by_value
    .group_segment_fixed_size: 0
    .kernarg_segment_align: 8
    .kernarg_segment_size: 56
    .language:       OpenCL C
    .language_version:
      - 2
      - 0
    .max_flat_workgroup_size: 256
    .name:           _ZN7rocprim17ROCPRIM_400000_NS6detail17trampoline_kernelINS0_14default_configENS1_22reduce_config_selectorItEEZNS1_11reduce_implILb1ES3_PtS7_t11plus_mod_10ItEEE10hipError_tPvRmT1_T2_T3_mT4_P12ihipStream_tbEUlT_E0_NS1_11comp_targetILNS1_3genE10ELNS1_11target_archE1201ELNS1_3gpuE5ELNS1_3repE0EEENS1_30default_config_static_selectorELNS0_4arch9wavefront6targetE1EEEvSD_
    .private_segment_fixed_size: 0
    .sgpr_count:     6
    .sgpr_spill_count: 0
    .symbol:         _ZN7rocprim17ROCPRIM_400000_NS6detail17trampoline_kernelINS0_14default_configENS1_22reduce_config_selectorItEEZNS1_11reduce_implILb1ES3_PtS7_t11plus_mod_10ItEEE10hipError_tPvRmT1_T2_T3_mT4_P12ihipStream_tbEUlT_E0_NS1_11comp_targetILNS1_3genE10ELNS1_11target_archE1201ELNS1_3gpuE5ELNS1_3repE0EEENS1_30default_config_static_selectorELNS0_4arch9wavefront6targetE1EEEvSD_.kd
    .uniform_work_group_size: 1
    .uses_dynamic_stack: false
    .vgpr_count:     0
    .vgpr_spill_count: 0
    .wavefront_size: 64
  - .agpr_count:     0
    .args:
      - .offset:         0
        .size:           56
        .value_kind:     by_value
    .group_segment_fixed_size: 0
    .kernarg_segment_align: 8
    .kernarg_segment_size: 56
    .language:       OpenCL C
    .language_version:
      - 2
      - 0
    .max_flat_workgroup_size: 256
    .name:           _ZN7rocprim17ROCPRIM_400000_NS6detail17trampoline_kernelINS0_14default_configENS1_22reduce_config_selectorItEEZNS1_11reduce_implILb1ES3_PtS7_t11plus_mod_10ItEEE10hipError_tPvRmT1_T2_T3_mT4_P12ihipStream_tbEUlT_E0_NS1_11comp_targetILNS1_3genE10ELNS1_11target_archE1200ELNS1_3gpuE4ELNS1_3repE0EEENS1_30default_config_static_selectorELNS0_4arch9wavefront6targetE1EEEvSD_
    .private_segment_fixed_size: 0
    .sgpr_count:     6
    .sgpr_spill_count: 0
    .symbol:         _ZN7rocprim17ROCPRIM_400000_NS6detail17trampoline_kernelINS0_14default_configENS1_22reduce_config_selectorItEEZNS1_11reduce_implILb1ES3_PtS7_t11plus_mod_10ItEEE10hipError_tPvRmT1_T2_T3_mT4_P12ihipStream_tbEUlT_E0_NS1_11comp_targetILNS1_3genE10ELNS1_11target_archE1200ELNS1_3gpuE4ELNS1_3repE0EEENS1_30default_config_static_selectorELNS0_4arch9wavefront6targetE1EEEvSD_.kd
    .uniform_work_group_size: 1
    .uses_dynamic_stack: false
    .vgpr_count:     0
    .vgpr_spill_count: 0
    .wavefront_size: 64
  - .agpr_count:     0
    .args:
      - .offset:         0
        .size:           56
        .value_kind:     by_value
    .group_segment_fixed_size: 0
    .kernarg_segment_align: 8
    .kernarg_segment_size: 56
    .language:       OpenCL C
    .language_version:
      - 2
      - 0
    .max_flat_workgroup_size: 256
    .name:           _ZN7rocprim17ROCPRIM_400000_NS6detail17trampoline_kernelINS0_14default_configENS1_22reduce_config_selectorItEEZNS1_11reduce_implILb1ES3_PtS7_t11plus_mod_10ItEEE10hipError_tPvRmT1_T2_T3_mT4_P12ihipStream_tbEUlT_E0_NS1_11comp_targetILNS1_3genE9ELNS1_11target_archE1100ELNS1_3gpuE3ELNS1_3repE0EEENS1_30default_config_static_selectorELNS0_4arch9wavefront6targetE1EEEvSD_
    .private_segment_fixed_size: 0
    .sgpr_count:     6
    .sgpr_spill_count: 0
    .symbol:         _ZN7rocprim17ROCPRIM_400000_NS6detail17trampoline_kernelINS0_14default_configENS1_22reduce_config_selectorItEEZNS1_11reduce_implILb1ES3_PtS7_t11plus_mod_10ItEEE10hipError_tPvRmT1_T2_T3_mT4_P12ihipStream_tbEUlT_E0_NS1_11comp_targetILNS1_3genE9ELNS1_11target_archE1100ELNS1_3gpuE3ELNS1_3repE0EEENS1_30default_config_static_selectorELNS0_4arch9wavefront6targetE1EEEvSD_.kd
    .uniform_work_group_size: 1
    .uses_dynamic_stack: false
    .vgpr_count:     0
    .vgpr_spill_count: 0
    .wavefront_size: 64
  - .agpr_count:     0
    .args:
      - .offset:         0
        .size:           56
        .value_kind:     by_value
    .group_segment_fixed_size: 0
    .kernarg_segment_align: 8
    .kernarg_segment_size: 56
    .language:       OpenCL C
    .language_version:
      - 2
      - 0
    .max_flat_workgroup_size: 256
    .name:           _ZN7rocprim17ROCPRIM_400000_NS6detail17trampoline_kernelINS0_14default_configENS1_22reduce_config_selectorItEEZNS1_11reduce_implILb1ES3_PtS7_t11plus_mod_10ItEEE10hipError_tPvRmT1_T2_T3_mT4_P12ihipStream_tbEUlT_E0_NS1_11comp_targetILNS1_3genE8ELNS1_11target_archE1030ELNS1_3gpuE2ELNS1_3repE0EEENS1_30default_config_static_selectorELNS0_4arch9wavefront6targetE1EEEvSD_
    .private_segment_fixed_size: 0
    .sgpr_count:     6
    .sgpr_spill_count: 0
    .symbol:         _ZN7rocprim17ROCPRIM_400000_NS6detail17trampoline_kernelINS0_14default_configENS1_22reduce_config_selectorItEEZNS1_11reduce_implILb1ES3_PtS7_t11plus_mod_10ItEEE10hipError_tPvRmT1_T2_T3_mT4_P12ihipStream_tbEUlT_E0_NS1_11comp_targetILNS1_3genE8ELNS1_11target_archE1030ELNS1_3gpuE2ELNS1_3repE0EEENS1_30default_config_static_selectorELNS0_4arch9wavefront6targetE1EEEvSD_.kd
    .uniform_work_group_size: 1
    .uses_dynamic_stack: false
    .vgpr_count:     0
    .vgpr_spill_count: 0
    .wavefront_size: 64
  - .agpr_count:     0
    .args:
      - .offset:         0
        .size:           40
        .value_kind:     by_value
    .group_segment_fixed_size: 32
    .kernarg_segment_align: 8
    .kernarg_segment_size: 40
    .language:       OpenCL C
    .language_version:
      - 2
      - 0
    .max_flat_workgroup_size: 128
    .name:           _ZN7rocprim17ROCPRIM_400000_NS6detail17trampoline_kernelINS0_14default_configENS1_22reduce_config_selectorItEEZNS1_11reduce_implILb1ES3_PtS7_t11plus_mod_10ItEEE10hipError_tPvRmT1_T2_T3_mT4_P12ihipStream_tbEUlT_E1_NS1_11comp_targetILNS1_3genE0ELNS1_11target_archE4294967295ELNS1_3gpuE0ELNS1_3repE0EEENS1_30default_config_static_selectorELNS0_4arch9wavefront6targetE1EEEvSD_
    .private_segment_fixed_size: 0
    .sgpr_count:     106
    .sgpr_spill_count: 44
    .symbol:         _ZN7rocprim17ROCPRIM_400000_NS6detail17trampoline_kernelINS0_14default_configENS1_22reduce_config_selectorItEEZNS1_11reduce_implILb1ES3_PtS7_t11plus_mod_10ItEEE10hipError_tPvRmT1_T2_T3_mT4_P12ihipStream_tbEUlT_E1_NS1_11comp_targetILNS1_3genE0ELNS1_11target_archE4294967295ELNS1_3gpuE0ELNS1_3repE0EEENS1_30default_config_static_selectorELNS0_4arch9wavefront6targetE1EEEvSD_.kd
    .uniform_work_group_size: 1
    .uses_dynamic_stack: false
    .vgpr_count:     68
    .vgpr_spill_count: 0
    .wavefront_size: 64
  - .agpr_count:     0
    .args:
      - .offset:         0
        .size:           40
        .value_kind:     by_value
    .group_segment_fixed_size: 0
    .kernarg_segment_align: 8
    .kernarg_segment_size: 40
    .language:       OpenCL C
    .language_version:
      - 2
      - 0
    .max_flat_workgroup_size: 256
    .name:           _ZN7rocprim17ROCPRIM_400000_NS6detail17trampoline_kernelINS0_14default_configENS1_22reduce_config_selectorItEEZNS1_11reduce_implILb1ES3_PtS7_t11plus_mod_10ItEEE10hipError_tPvRmT1_T2_T3_mT4_P12ihipStream_tbEUlT_E1_NS1_11comp_targetILNS1_3genE5ELNS1_11target_archE942ELNS1_3gpuE9ELNS1_3repE0EEENS1_30default_config_static_selectorELNS0_4arch9wavefront6targetE1EEEvSD_
    .private_segment_fixed_size: 0
    .sgpr_count:     6
    .sgpr_spill_count: 0
    .symbol:         _ZN7rocprim17ROCPRIM_400000_NS6detail17trampoline_kernelINS0_14default_configENS1_22reduce_config_selectorItEEZNS1_11reduce_implILb1ES3_PtS7_t11plus_mod_10ItEEE10hipError_tPvRmT1_T2_T3_mT4_P12ihipStream_tbEUlT_E1_NS1_11comp_targetILNS1_3genE5ELNS1_11target_archE942ELNS1_3gpuE9ELNS1_3repE0EEENS1_30default_config_static_selectorELNS0_4arch9wavefront6targetE1EEEvSD_.kd
    .uniform_work_group_size: 1
    .uses_dynamic_stack: false
    .vgpr_count:     0
    .vgpr_spill_count: 0
    .wavefront_size: 64
  - .agpr_count:     0
    .args:
      - .offset:         0
        .size:           40
        .value_kind:     by_value
    .group_segment_fixed_size: 0
    .kernarg_segment_align: 8
    .kernarg_segment_size: 40
    .language:       OpenCL C
    .language_version:
      - 2
      - 0
    .max_flat_workgroup_size: 64
    .name:           _ZN7rocprim17ROCPRIM_400000_NS6detail17trampoline_kernelINS0_14default_configENS1_22reduce_config_selectorItEEZNS1_11reduce_implILb1ES3_PtS7_t11plus_mod_10ItEEE10hipError_tPvRmT1_T2_T3_mT4_P12ihipStream_tbEUlT_E1_NS1_11comp_targetILNS1_3genE4ELNS1_11target_archE910ELNS1_3gpuE8ELNS1_3repE0EEENS1_30default_config_static_selectorELNS0_4arch9wavefront6targetE1EEEvSD_
    .private_segment_fixed_size: 0
    .sgpr_count:     6
    .sgpr_spill_count: 0
    .symbol:         _ZN7rocprim17ROCPRIM_400000_NS6detail17trampoline_kernelINS0_14default_configENS1_22reduce_config_selectorItEEZNS1_11reduce_implILb1ES3_PtS7_t11plus_mod_10ItEEE10hipError_tPvRmT1_T2_T3_mT4_P12ihipStream_tbEUlT_E1_NS1_11comp_targetILNS1_3genE4ELNS1_11target_archE910ELNS1_3gpuE8ELNS1_3repE0EEENS1_30default_config_static_selectorELNS0_4arch9wavefront6targetE1EEEvSD_.kd
    .uniform_work_group_size: 1
    .uses_dynamic_stack: false
    .vgpr_count:     0
    .vgpr_spill_count: 0
    .wavefront_size: 64
  - .agpr_count:     0
    .args:
      - .offset:         0
        .size:           40
        .value_kind:     by_value
    .group_segment_fixed_size: 0
    .kernarg_segment_align: 8
    .kernarg_segment_size: 40
    .language:       OpenCL C
    .language_version:
      - 2
      - 0
    .max_flat_workgroup_size: 128
    .name:           _ZN7rocprim17ROCPRIM_400000_NS6detail17trampoline_kernelINS0_14default_configENS1_22reduce_config_selectorItEEZNS1_11reduce_implILb1ES3_PtS7_t11plus_mod_10ItEEE10hipError_tPvRmT1_T2_T3_mT4_P12ihipStream_tbEUlT_E1_NS1_11comp_targetILNS1_3genE3ELNS1_11target_archE908ELNS1_3gpuE7ELNS1_3repE0EEENS1_30default_config_static_selectorELNS0_4arch9wavefront6targetE1EEEvSD_
    .private_segment_fixed_size: 0
    .sgpr_count:     6
    .sgpr_spill_count: 0
    .symbol:         _ZN7rocprim17ROCPRIM_400000_NS6detail17trampoline_kernelINS0_14default_configENS1_22reduce_config_selectorItEEZNS1_11reduce_implILb1ES3_PtS7_t11plus_mod_10ItEEE10hipError_tPvRmT1_T2_T3_mT4_P12ihipStream_tbEUlT_E1_NS1_11comp_targetILNS1_3genE3ELNS1_11target_archE908ELNS1_3gpuE7ELNS1_3repE0EEENS1_30default_config_static_selectorELNS0_4arch9wavefront6targetE1EEEvSD_.kd
    .uniform_work_group_size: 1
    .uses_dynamic_stack: false
    .vgpr_count:     0
    .vgpr_spill_count: 0
    .wavefront_size: 64
  - .agpr_count:     0
    .args:
      - .offset:         0
        .size:           40
        .value_kind:     by_value
    .group_segment_fixed_size: 0
    .kernarg_segment_align: 8
    .kernarg_segment_size: 40
    .language:       OpenCL C
    .language_version:
      - 2
      - 0
    .max_flat_workgroup_size: 256
    .name:           _ZN7rocprim17ROCPRIM_400000_NS6detail17trampoline_kernelINS0_14default_configENS1_22reduce_config_selectorItEEZNS1_11reduce_implILb1ES3_PtS7_t11plus_mod_10ItEEE10hipError_tPvRmT1_T2_T3_mT4_P12ihipStream_tbEUlT_E1_NS1_11comp_targetILNS1_3genE2ELNS1_11target_archE906ELNS1_3gpuE6ELNS1_3repE0EEENS1_30default_config_static_selectorELNS0_4arch9wavefront6targetE1EEEvSD_
    .private_segment_fixed_size: 0
    .sgpr_count:     6
    .sgpr_spill_count: 0
    .symbol:         _ZN7rocprim17ROCPRIM_400000_NS6detail17trampoline_kernelINS0_14default_configENS1_22reduce_config_selectorItEEZNS1_11reduce_implILb1ES3_PtS7_t11plus_mod_10ItEEE10hipError_tPvRmT1_T2_T3_mT4_P12ihipStream_tbEUlT_E1_NS1_11comp_targetILNS1_3genE2ELNS1_11target_archE906ELNS1_3gpuE6ELNS1_3repE0EEENS1_30default_config_static_selectorELNS0_4arch9wavefront6targetE1EEEvSD_.kd
    .uniform_work_group_size: 1
    .uses_dynamic_stack: false
    .vgpr_count:     0
    .vgpr_spill_count: 0
    .wavefront_size: 64
  - .agpr_count:     0
    .args:
      - .offset:         0
        .size:           40
        .value_kind:     by_value
    .group_segment_fixed_size: 0
    .kernarg_segment_align: 8
    .kernarg_segment_size: 40
    .language:       OpenCL C
    .language_version:
      - 2
      - 0
    .max_flat_workgroup_size: 256
    .name:           _ZN7rocprim17ROCPRIM_400000_NS6detail17trampoline_kernelINS0_14default_configENS1_22reduce_config_selectorItEEZNS1_11reduce_implILb1ES3_PtS7_t11plus_mod_10ItEEE10hipError_tPvRmT1_T2_T3_mT4_P12ihipStream_tbEUlT_E1_NS1_11comp_targetILNS1_3genE10ELNS1_11target_archE1201ELNS1_3gpuE5ELNS1_3repE0EEENS1_30default_config_static_selectorELNS0_4arch9wavefront6targetE1EEEvSD_
    .private_segment_fixed_size: 0
    .sgpr_count:     6
    .sgpr_spill_count: 0
    .symbol:         _ZN7rocprim17ROCPRIM_400000_NS6detail17trampoline_kernelINS0_14default_configENS1_22reduce_config_selectorItEEZNS1_11reduce_implILb1ES3_PtS7_t11plus_mod_10ItEEE10hipError_tPvRmT1_T2_T3_mT4_P12ihipStream_tbEUlT_E1_NS1_11comp_targetILNS1_3genE10ELNS1_11target_archE1201ELNS1_3gpuE5ELNS1_3repE0EEENS1_30default_config_static_selectorELNS0_4arch9wavefront6targetE1EEEvSD_.kd
    .uniform_work_group_size: 1
    .uses_dynamic_stack: false
    .vgpr_count:     0
    .vgpr_spill_count: 0
    .wavefront_size: 64
  - .agpr_count:     0
    .args:
      - .offset:         0
        .size:           40
        .value_kind:     by_value
    .group_segment_fixed_size: 0
    .kernarg_segment_align: 8
    .kernarg_segment_size: 40
    .language:       OpenCL C
    .language_version:
      - 2
      - 0
    .max_flat_workgroup_size: 256
    .name:           _ZN7rocprim17ROCPRIM_400000_NS6detail17trampoline_kernelINS0_14default_configENS1_22reduce_config_selectorItEEZNS1_11reduce_implILb1ES3_PtS7_t11plus_mod_10ItEEE10hipError_tPvRmT1_T2_T3_mT4_P12ihipStream_tbEUlT_E1_NS1_11comp_targetILNS1_3genE10ELNS1_11target_archE1200ELNS1_3gpuE4ELNS1_3repE0EEENS1_30default_config_static_selectorELNS0_4arch9wavefront6targetE1EEEvSD_
    .private_segment_fixed_size: 0
    .sgpr_count:     6
    .sgpr_spill_count: 0
    .symbol:         _ZN7rocprim17ROCPRIM_400000_NS6detail17trampoline_kernelINS0_14default_configENS1_22reduce_config_selectorItEEZNS1_11reduce_implILb1ES3_PtS7_t11plus_mod_10ItEEE10hipError_tPvRmT1_T2_T3_mT4_P12ihipStream_tbEUlT_E1_NS1_11comp_targetILNS1_3genE10ELNS1_11target_archE1200ELNS1_3gpuE4ELNS1_3repE0EEENS1_30default_config_static_selectorELNS0_4arch9wavefront6targetE1EEEvSD_.kd
    .uniform_work_group_size: 1
    .uses_dynamic_stack: false
    .vgpr_count:     0
    .vgpr_spill_count: 0
    .wavefront_size: 64
  - .agpr_count:     0
    .args:
      - .offset:         0
        .size:           40
        .value_kind:     by_value
    .group_segment_fixed_size: 0
    .kernarg_segment_align: 8
    .kernarg_segment_size: 40
    .language:       OpenCL C
    .language_version:
      - 2
      - 0
    .max_flat_workgroup_size: 256
    .name:           _ZN7rocprim17ROCPRIM_400000_NS6detail17trampoline_kernelINS0_14default_configENS1_22reduce_config_selectorItEEZNS1_11reduce_implILb1ES3_PtS7_t11plus_mod_10ItEEE10hipError_tPvRmT1_T2_T3_mT4_P12ihipStream_tbEUlT_E1_NS1_11comp_targetILNS1_3genE9ELNS1_11target_archE1100ELNS1_3gpuE3ELNS1_3repE0EEENS1_30default_config_static_selectorELNS0_4arch9wavefront6targetE1EEEvSD_
    .private_segment_fixed_size: 0
    .sgpr_count:     6
    .sgpr_spill_count: 0
    .symbol:         _ZN7rocprim17ROCPRIM_400000_NS6detail17trampoline_kernelINS0_14default_configENS1_22reduce_config_selectorItEEZNS1_11reduce_implILb1ES3_PtS7_t11plus_mod_10ItEEE10hipError_tPvRmT1_T2_T3_mT4_P12ihipStream_tbEUlT_E1_NS1_11comp_targetILNS1_3genE9ELNS1_11target_archE1100ELNS1_3gpuE3ELNS1_3repE0EEENS1_30default_config_static_selectorELNS0_4arch9wavefront6targetE1EEEvSD_.kd
    .uniform_work_group_size: 1
    .uses_dynamic_stack: false
    .vgpr_count:     0
    .vgpr_spill_count: 0
    .wavefront_size: 64
  - .agpr_count:     0
    .args:
      - .offset:         0
        .size:           40
        .value_kind:     by_value
    .group_segment_fixed_size: 0
    .kernarg_segment_align: 8
    .kernarg_segment_size: 40
    .language:       OpenCL C
    .language_version:
      - 2
      - 0
    .max_flat_workgroup_size: 256
    .name:           _ZN7rocprim17ROCPRIM_400000_NS6detail17trampoline_kernelINS0_14default_configENS1_22reduce_config_selectorItEEZNS1_11reduce_implILb1ES3_PtS7_t11plus_mod_10ItEEE10hipError_tPvRmT1_T2_T3_mT4_P12ihipStream_tbEUlT_E1_NS1_11comp_targetILNS1_3genE8ELNS1_11target_archE1030ELNS1_3gpuE2ELNS1_3repE0EEENS1_30default_config_static_selectorELNS0_4arch9wavefront6targetE1EEEvSD_
    .private_segment_fixed_size: 0
    .sgpr_count:     6
    .sgpr_spill_count: 0
    .symbol:         _ZN7rocprim17ROCPRIM_400000_NS6detail17trampoline_kernelINS0_14default_configENS1_22reduce_config_selectorItEEZNS1_11reduce_implILb1ES3_PtS7_t11plus_mod_10ItEEE10hipError_tPvRmT1_T2_T3_mT4_P12ihipStream_tbEUlT_E1_NS1_11comp_targetILNS1_3genE8ELNS1_11target_archE1030ELNS1_3gpuE2ELNS1_3repE0EEENS1_30default_config_static_selectorELNS0_4arch9wavefront6targetE1EEEvSD_.kd
    .uniform_work_group_size: 1
    .uses_dynamic_stack: false
    .vgpr_count:     0
    .vgpr_spill_count: 0
    .wavefront_size: 64
  - .agpr_count:     0
    .args:
      - .offset:         0
        .size:           56
        .value_kind:     by_value
    .group_segment_fixed_size: 8
    .kernarg_segment_align: 8
    .kernarg_segment_size: 56
    .language:       OpenCL C
    .language_version:
      - 2
      - 0
    .max_flat_workgroup_size: 128
    .name:           _ZN7rocprim17ROCPRIM_400000_NS6detail17trampoline_kernelINS0_14default_configENS1_22reduce_config_selectorItEEZNS1_11reduce_implILb1ES3_N6thrust23THRUST_200600_302600_NS6detail15normal_iteratorINS8_10device_ptrItEEEEPtt11plus_mod_10ItEEE10hipError_tPvRmT1_T2_T3_mT4_P12ihipStream_tbEUlT_E0_NS1_11comp_targetILNS1_3genE0ELNS1_11target_archE4294967295ELNS1_3gpuE0ELNS1_3repE0EEENS1_30default_config_static_selectorELNS0_4arch9wavefront6targetE1EEEvSK_
    .private_segment_fixed_size: 0
    .sgpr_count:     34
    .sgpr_spill_count: 0
    .symbol:         _ZN7rocprim17ROCPRIM_400000_NS6detail17trampoline_kernelINS0_14default_configENS1_22reduce_config_selectorItEEZNS1_11reduce_implILb1ES3_N6thrust23THRUST_200600_302600_NS6detail15normal_iteratorINS8_10device_ptrItEEEEPtt11plus_mod_10ItEEE10hipError_tPvRmT1_T2_T3_mT4_P12ihipStream_tbEUlT_E0_NS1_11comp_targetILNS1_3genE0ELNS1_11target_archE4294967295ELNS1_3gpuE0ELNS1_3repE0EEENS1_30default_config_static_selectorELNS0_4arch9wavefront6targetE1EEEvSK_.kd
    .uniform_work_group_size: 1
    .uses_dynamic_stack: false
    .vgpr_count:     21
    .vgpr_spill_count: 0
    .wavefront_size: 64
  - .agpr_count:     0
    .args:
      - .offset:         0
        .size:           56
        .value_kind:     by_value
    .group_segment_fixed_size: 0
    .kernarg_segment_align: 8
    .kernarg_segment_size: 56
    .language:       OpenCL C
    .language_version:
      - 2
      - 0
    .max_flat_workgroup_size: 256
    .name:           _ZN7rocprim17ROCPRIM_400000_NS6detail17trampoline_kernelINS0_14default_configENS1_22reduce_config_selectorItEEZNS1_11reduce_implILb1ES3_N6thrust23THRUST_200600_302600_NS6detail15normal_iteratorINS8_10device_ptrItEEEEPtt11plus_mod_10ItEEE10hipError_tPvRmT1_T2_T3_mT4_P12ihipStream_tbEUlT_E0_NS1_11comp_targetILNS1_3genE5ELNS1_11target_archE942ELNS1_3gpuE9ELNS1_3repE0EEENS1_30default_config_static_selectorELNS0_4arch9wavefront6targetE1EEEvSK_
    .private_segment_fixed_size: 0
    .sgpr_count:     6
    .sgpr_spill_count: 0
    .symbol:         _ZN7rocprim17ROCPRIM_400000_NS6detail17trampoline_kernelINS0_14default_configENS1_22reduce_config_selectorItEEZNS1_11reduce_implILb1ES3_N6thrust23THRUST_200600_302600_NS6detail15normal_iteratorINS8_10device_ptrItEEEEPtt11plus_mod_10ItEEE10hipError_tPvRmT1_T2_T3_mT4_P12ihipStream_tbEUlT_E0_NS1_11comp_targetILNS1_3genE5ELNS1_11target_archE942ELNS1_3gpuE9ELNS1_3repE0EEENS1_30default_config_static_selectorELNS0_4arch9wavefront6targetE1EEEvSK_.kd
    .uniform_work_group_size: 1
    .uses_dynamic_stack: false
    .vgpr_count:     0
    .vgpr_spill_count: 0
    .wavefront_size: 64
  - .agpr_count:     0
    .args:
      - .offset:         0
        .size:           56
        .value_kind:     by_value
    .group_segment_fixed_size: 0
    .kernarg_segment_align: 8
    .kernarg_segment_size: 56
    .language:       OpenCL C
    .language_version:
      - 2
      - 0
    .max_flat_workgroup_size: 64
    .name:           _ZN7rocprim17ROCPRIM_400000_NS6detail17trampoline_kernelINS0_14default_configENS1_22reduce_config_selectorItEEZNS1_11reduce_implILb1ES3_N6thrust23THRUST_200600_302600_NS6detail15normal_iteratorINS8_10device_ptrItEEEEPtt11plus_mod_10ItEEE10hipError_tPvRmT1_T2_T3_mT4_P12ihipStream_tbEUlT_E0_NS1_11comp_targetILNS1_3genE4ELNS1_11target_archE910ELNS1_3gpuE8ELNS1_3repE0EEENS1_30default_config_static_selectorELNS0_4arch9wavefront6targetE1EEEvSK_
    .private_segment_fixed_size: 0
    .sgpr_count:     6
    .sgpr_spill_count: 0
    .symbol:         _ZN7rocprim17ROCPRIM_400000_NS6detail17trampoline_kernelINS0_14default_configENS1_22reduce_config_selectorItEEZNS1_11reduce_implILb1ES3_N6thrust23THRUST_200600_302600_NS6detail15normal_iteratorINS8_10device_ptrItEEEEPtt11plus_mod_10ItEEE10hipError_tPvRmT1_T2_T3_mT4_P12ihipStream_tbEUlT_E0_NS1_11comp_targetILNS1_3genE4ELNS1_11target_archE910ELNS1_3gpuE8ELNS1_3repE0EEENS1_30default_config_static_selectorELNS0_4arch9wavefront6targetE1EEEvSK_.kd
    .uniform_work_group_size: 1
    .uses_dynamic_stack: false
    .vgpr_count:     0
    .vgpr_spill_count: 0
    .wavefront_size: 64
  - .agpr_count:     0
    .args:
      - .offset:         0
        .size:           56
        .value_kind:     by_value
    .group_segment_fixed_size: 0
    .kernarg_segment_align: 8
    .kernarg_segment_size: 56
    .language:       OpenCL C
    .language_version:
      - 2
      - 0
    .max_flat_workgroup_size: 128
    .name:           _ZN7rocprim17ROCPRIM_400000_NS6detail17trampoline_kernelINS0_14default_configENS1_22reduce_config_selectorItEEZNS1_11reduce_implILb1ES3_N6thrust23THRUST_200600_302600_NS6detail15normal_iteratorINS8_10device_ptrItEEEEPtt11plus_mod_10ItEEE10hipError_tPvRmT1_T2_T3_mT4_P12ihipStream_tbEUlT_E0_NS1_11comp_targetILNS1_3genE3ELNS1_11target_archE908ELNS1_3gpuE7ELNS1_3repE0EEENS1_30default_config_static_selectorELNS0_4arch9wavefront6targetE1EEEvSK_
    .private_segment_fixed_size: 0
    .sgpr_count:     6
    .sgpr_spill_count: 0
    .symbol:         _ZN7rocprim17ROCPRIM_400000_NS6detail17trampoline_kernelINS0_14default_configENS1_22reduce_config_selectorItEEZNS1_11reduce_implILb1ES3_N6thrust23THRUST_200600_302600_NS6detail15normal_iteratorINS8_10device_ptrItEEEEPtt11plus_mod_10ItEEE10hipError_tPvRmT1_T2_T3_mT4_P12ihipStream_tbEUlT_E0_NS1_11comp_targetILNS1_3genE3ELNS1_11target_archE908ELNS1_3gpuE7ELNS1_3repE0EEENS1_30default_config_static_selectorELNS0_4arch9wavefront6targetE1EEEvSK_.kd
    .uniform_work_group_size: 1
    .uses_dynamic_stack: false
    .vgpr_count:     0
    .vgpr_spill_count: 0
    .wavefront_size: 64
  - .agpr_count:     0
    .args:
      - .offset:         0
        .size:           56
        .value_kind:     by_value
    .group_segment_fixed_size: 0
    .kernarg_segment_align: 8
    .kernarg_segment_size: 56
    .language:       OpenCL C
    .language_version:
      - 2
      - 0
    .max_flat_workgroup_size: 256
    .name:           _ZN7rocprim17ROCPRIM_400000_NS6detail17trampoline_kernelINS0_14default_configENS1_22reduce_config_selectorItEEZNS1_11reduce_implILb1ES3_N6thrust23THRUST_200600_302600_NS6detail15normal_iteratorINS8_10device_ptrItEEEEPtt11plus_mod_10ItEEE10hipError_tPvRmT1_T2_T3_mT4_P12ihipStream_tbEUlT_E0_NS1_11comp_targetILNS1_3genE2ELNS1_11target_archE906ELNS1_3gpuE6ELNS1_3repE0EEENS1_30default_config_static_selectorELNS0_4arch9wavefront6targetE1EEEvSK_
    .private_segment_fixed_size: 0
    .sgpr_count:     6
    .sgpr_spill_count: 0
    .symbol:         _ZN7rocprim17ROCPRIM_400000_NS6detail17trampoline_kernelINS0_14default_configENS1_22reduce_config_selectorItEEZNS1_11reduce_implILb1ES3_N6thrust23THRUST_200600_302600_NS6detail15normal_iteratorINS8_10device_ptrItEEEEPtt11plus_mod_10ItEEE10hipError_tPvRmT1_T2_T3_mT4_P12ihipStream_tbEUlT_E0_NS1_11comp_targetILNS1_3genE2ELNS1_11target_archE906ELNS1_3gpuE6ELNS1_3repE0EEENS1_30default_config_static_selectorELNS0_4arch9wavefront6targetE1EEEvSK_.kd
    .uniform_work_group_size: 1
    .uses_dynamic_stack: false
    .vgpr_count:     0
    .vgpr_spill_count: 0
    .wavefront_size: 64
  - .agpr_count:     0
    .args:
      - .offset:         0
        .size:           56
        .value_kind:     by_value
    .group_segment_fixed_size: 0
    .kernarg_segment_align: 8
    .kernarg_segment_size: 56
    .language:       OpenCL C
    .language_version:
      - 2
      - 0
    .max_flat_workgroup_size: 256
    .name:           _ZN7rocprim17ROCPRIM_400000_NS6detail17trampoline_kernelINS0_14default_configENS1_22reduce_config_selectorItEEZNS1_11reduce_implILb1ES3_N6thrust23THRUST_200600_302600_NS6detail15normal_iteratorINS8_10device_ptrItEEEEPtt11plus_mod_10ItEEE10hipError_tPvRmT1_T2_T3_mT4_P12ihipStream_tbEUlT_E0_NS1_11comp_targetILNS1_3genE10ELNS1_11target_archE1201ELNS1_3gpuE5ELNS1_3repE0EEENS1_30default_config_static_selectorELNS0_4arch9wavefront6targetE1EEEvSK_
    .private_segment_fixed_size: 0
    .sgpr_count:     6
    .sgpr_spill_count: 0
    .symbol:         _ZN7rocprim17ROCPRIM_400000_NS6detail17trampoline_kernelINS0_14default_configENS1_22reduce_config_selectorItEEZNS1_11reduce_implILb1ES3_N6thrust23THRUST_200600_302600_NS6detail15normal_iteratorINS8_10device_ptrItEEEEPtt11plus_mod_10ItEEE10hipError_tPvRmT1_T2_T3_mT4_P12ihipStream_tbEUlT_E0_NS1_11comp_targetILNS1_3genE10ELNS1_11target_archE1201ELNS1_3gpuE5ELNS1_3repE0EEENS1_30default_config_static_selectorELNS0_4arch9wavefront6targetE1EEEvSK_.kd
    .uniform_work_group_size: 1
    .uses_dynamic_stack: false
    .vgpr_count:     0
    .vgpr_spill_count: 0
    .wavefront_size: 64
  - .agpr_count:     0
    .args:
      - .offset:         0
        .size:           56
        .value_kind:     by_value
    .group_segment_fixed_size: 0
    .kernarg_segment_align: 8
    .kernarg_segment_size: 56
    .language:       OpenCL C
    .language_version:
      - 2
      - 0
    .max_flat_workgroup_size: 256
    .name:           _ZN7rocprim17ROCPRIM_400000_NS6detail17trampoline_kernelINS0_14default_configENS1_22reduce_config_selectorItEEZNS1_11reduce_implILb1ES3_N6thrust23THRUST_200600_302600_NS6detail15normal_iteratorINS8_10device_ptrItEEEEPtt11plus_mod_10ItEEE10hipError_tPvRmT1_T2_T3_mT4_P12ihipStream_tbEUlT_E0_NS1_11comp_targetILNS1_3genE10ELNS1_11target_archE1200ELNS1_3gpuE4ELNS1_3repE0EEENS1_30default_config_static_selectorELNS0_4arch9wavefront6targetE1EEEvSK_
    .private_segment_fixed_size: 0
    .sgpr_count:     6
    .sgpr_spill_count: 0
    .symbol:         _ZN7rocprim17ROCPRIM_400000_NS6detail17trampoline_kernelINS0_14default_configENS1_22reduce_config_selectorItEEZNS1_11reduce_implILb1ES3_N6thrust23THRUST_200600_302600_NS6detail15normal_iteratorINS8_10device_ptrItEEEEPtt11plus_mod_10ItEEE10hipError_tPvRmT1_T2_T3_mT4_P12ihipStream_tbEUlT_E0_NS1_11comp_targetILNS1_3genE10ELNS1_11target_archE1200ELNS1_3gpuE4ELNS1_3repE0EEENS1_30default_config_static_selectorELNS0_4arch9wavefront6targetE1EEEvSK_.kd
    .uniform_work_group_size: 1
    .uses_dynamic_stack: false
    .vgpr_count:     0
    .vgpr_spill_count: 0
    .wavefront_size: 64
  - .agpr_count:     0
    .args:
      - .offset:         0
        .size:           56
        .value_kind:     by_value
    .group_segment_fixed_size: 0
    .kernarg_segment_align: 8
    .kernarg_segment_size: 56
    .language:       OpenCL C
    .language_version:
      - 2
      - 0
    .max_flat_workgroup_size: 256
    .name:           _ZN7rocprim17ROCPRIM_400000_NS6detail17trampoline_kernelINS0_14default_configENS1_22reduce_config_selectorItEEZNS1_11reduce_implILb1ES3_N6thrust23THRUST_200600_302600_NS6detail15normal_iteratorINS8_10device_ptrItEEEEPtt11plus_mod_10ItEEE10hipError_tPvRmT1_T2_T3_mT4_P12ihipStream_tbEUlT_E0_NS1_11comp_targetILNS1_3genE9ELNS1_11target_archE1100ELNS1_3gpuE3ELNS1_3repE0EEENS1_30default_config_static_selectorELNS0_4arch9wavefront6targetE1EEEvSK_
    .private_segment_fixed_size: 0
    .sgpr_count:     6
    .sgpr_spill_count: 0
    .symbol:         _ZN7rocprim17ROCPRIM_400000_NS6detail17trampoline_kernelINS0_14default_configENS1_22reduce_config_selectorItEEZNS1_11reduce_implILb1ES3_N6thrust23THRUST_200600_302600_NS6detail15normal_iteratorINS8_10device_ptrItEEEEPtt11plus_mod_10ItEEE10hipError_tPvRmT1_T2_T3_mT4_P12ihipStream_tbEUlT_E0_NS1_11comp_targetILNS1_3genE9ELNS1_11target_archE1100ELNS1_3gpuE3ELNS1_3repE0EEENS1_30default_config_static_selectorELNS0_4arch9wavefront6targetE1EEEvSK_.kd
    .uniform_work_group_size: 1
    .uses_dynamic_stack: false
    .vgpr_count:     0
    .vgpr_spill_count: 0
    .wavefront_size: 64
  - .agpr_count:     0
    .args:
      - .offset:         0
        .size:           56
        .value_kind:     by_value
    .group_segment_fixed_size: 0
    .kernarg_segment_align: 8
    .kernarg_segment_size: 56
    .language:       OpenCL C
    .language_version:
      - 2
      - 0
    .max_flat_workgroup_size: 256
    .name:           _ZN7rocprim17ROCPRIM_400000_NS6detail17trampoline_kernelINS0_14default_configENS1_22reduce_config_selectorItEEZNS1_11reduce_implILb1ES3_N6thrust23THRUST_200600_302600_NS6detail15normal_iteratorINS8_10device_ptrItEEEEPtt11plus_mod_10ItEEE10hipError_tPvRmT1_T2_T3_mT4_P12ihipStream_tbEUlT_E0_NS1_11comp_targetILNS1_3genE8ELNS1_11target_archE1030ELNS1_3gpuE2ELNS1_3repE0EEENS1_30default_config_static_selectorELNS0_4arch9wavefront6targetE1EEEvSK_
    .private_segment_fixed_size: 0
    .sgpr_count:     6
    .sgpr_spill_count: 0
    .symbol:         _ZN7rocprim17ROCPRIM_400000_NS6detail17trampoline_kernelINS0_14default_configENS1_22reduce_config_selectorItEEZNS1_11reduce_implILb1ES3_N6thrust23THRUST_200600_302600_NS6detail15normal_iteratorINS8_10device_ptrItEEEEPtt11plus_mod_10ItEEE10hipError_tPvRmT1_T2_T3_mT4_P12ihipStream_tbEUlT_E0_NS1_11comp_targetILNS1_3genE8ELNS1_11target_archE1030ELNS1_3gpuE2ELNS1_3repE0EEENS1_30default_config_static_selectorELNS0_4arch9wavefront6targetE1EEEvSK_.kd
    .uniform_work_group_size: 1
    .uses_dynamic_stack: false
    .vgpr_count:     0
    .vgpr_spill_count: 0
    .wavefront_size: 64
  - .agpr_count:     0
    .args:
      - .offset:         0
        .size:           40
        .value_kind:     by_value
    .group_segment_fixed_size: 32
    .kernarg_segment_align: 8
    .kernarg_segment_size: 40
    .language:       OpenCL C
    .language_version:
      - 2
      - 0
    .max_flat_workgroup_size: 128
    .name:           _ZN7rocprim17ROCPRIM_400000_NS6detail17trampoline_kernelINS0_14default_configENS1_22reduce_config_selectorItEEZNS1_11reduce_implILb1ES3_N6thrust23THRUST_200600_302600_NS6detail15normal_iteratorINS8_10device_ptrItEEEEPtt11plus_mod_10ItEEE10hipError_tPvRmT1_T2_T3_mT4_P12ihipStream_tbEUlT_E1_NS1_11comp_targetILNS1_3genE0ELNS1_11target_archE4294967295ELNS1_3gpuE0ELNS1_3repE0EEENS1_30default_config_static_selectorELNS0_4arch9wavefront6targetE1EEEvSK_
    .private_segment_fixed_size: 0
    .sgpr_count:     106
    .sgpr_spill_count: 44
    .symbol:         _ZN7rocprim17ROCPRIM_400000_NS6detail17trampoline_kernelINS0_14default_configENS1_22reduce_config_selectorItEEZNS1_11reduce_implILb1ES3_N6thrust23THRUST_200600_302600_NS6detail15normal_iteratorINS8_10device_ptrItEEEEPtt11plus_mod_10ItEEE10hipError_tPvRmT1_T2_T3_mT4_P12ihipStream_tbEUlT_E1_NS1_11comp_targetILNS1_3genE0ELNS1_11target_archE4294967295ELNS1_3gpuE0ELNS1_3repE0EEENS1_30default_config_static_selectorELNS0_4arch9wavefront6targetE1EEEvSK_.kd
    .uniform_work_group_size: 1
    .uses_dynamic_stack: false
    .vgpr_count:     68
    .vgpr_spill_count: 0
    .wavefront_size: 64
  - .agpr_count:     0
    .args:
      - .offset:         0
        .size:           40
        .value_kind:     by_value
    .group_segment_fixed_size: 0
    .kernarg_segment_align: 8
    .kernarg_segment_size: 40
    .language:       OpenCL C
    .language_version:
      - 2
      - 0
    .max_flat_workgroup_size: 256
    .name:           _ZN7rocprim17ROCPRIM_400000_NS6detail17trampoline_kernelINS0_14default_configENS1_22reduce_config_selectorItEEZNS1_11reduce_implILb1ES3_N6thrust23THRUST_200600_302600_NS6detail15normal_iteratorINS8_10device_ptrItEEEEPtt11plus_mod_10ItEEE10hipError_tPvRmT1_T2_T3_mT4_P12ihipStream_tbEUlT_E1_NS1_11comp_targetILNS1_3genE5ELNS1_11target_archE942ELNS1_3gpuE9ELNS1_3repE0EEENS1_30default_config_static_selectorELNS0_4arch9wavefront6targetE1EEEvSK_
    .private_segment_fixed_size: 0
    .sgpr_count:     6
    .sgpr_spill_count: 0
    .symbol:         _ZN7rocprim17ROCPRIM_400000_NS6detail17trampoline_kernelINS0_14default_configENS1_22reduce_config_selectorItEEZNS1_11reduce_implILb1ES3_N6thrust23THRUST_200600_302600_NS6detail15normal_iteratorINS8_10device_ptrItEEEEPtt11plus_mod_10ItEEE10hipError_tPvRmT1_T2_T3_mT4_P12ihipStream_tbEUlT_E1_NS1_11comp_targetILNS1_3genE5ELNS1_11target_archE942ELNS1_3gpuE9ELNS1_3repE0EEENS1_30default_config_static_selectorELNS0_4arch9wavefront6targetE1EEEvSK_.kd
    .uniform_work_group_size: 1
    .uses_dynamic_stack: false
    .vgpr_count:     0
    .vgpr_spill_count: 0
    .wavefront_size: 64
  - .agpr_count:     0
    .args:
      - .offset:         0
        .size:           40
        .value_kind:     by_value
    .group_segment_fixed_size: 0
    .kernarg_segment_align: 8
    .kernarg_segment_size: 40
    .language:       OpenCL C
    .language_version:
      - 2
      - 0
    .max_flat_workgroup_size: 64
    .name:           _ZN7rocprim17ROCPRIM_400000_NS6detail17trampoline_kernelINS0_14default_configENS1_22reduce_config_selectorItEEZNS1_11reduce_implILb1ES3_N6thrust23THRUST_200600_302600_NS6detail15normal_iteratorINS8_10device_ptrItEEEEPtt11plus_mod_10ItEEE10hipError_tPvRmT1_T2_T3_mT4_P12ihipStream_tbEUlT_E1_NS1_11comp_targetILNS1_3genE4ELNS1_11target_archE910ELNS1_3gpuE8ELNS1_3repE0EEENS1_30default_config_static_selectorELNS0_4arch9wavefront6targetE1EEEvSK_
    .private_segment_fixed_size: 0
    .sgpr_count:     6
    .sgpr_spill_count: 0
    .symbol:         _ZN7rocprim17ROCPRIM_400000_NS6detail17trampoline_kernelINS0_14default_configENS1_22reduce_config_selectorItEEZNS1_11reduce_implILb1ES3_N6thrust23THRUST_200600_302600_NS6detail15normal_iteratorINS8_10device_ptrItEEEEPtt11plus_mod_10ItEEE10hipError_tPvRmT1_T2_T3_mT4_P12ihipStream_tbEUlT_E1_NS1_11comp_targetILNS1_3genE4ELNS1_11target_archE910ELNS1_3gpuE8ELNS1_3repE0EEENS1_30default_config_static_selectorELNS0_4arch9wavefront6targetE1EEEvSK_.kd
    .uniform_work_group_size: 1
    .uses_dynamic_stack: false
    .vgpr_count:     0
    .vgpr_spill_count: 0
    .wavefront_size: 64
  - .agpr_count:     0
    .args:
      - .offset:         0
        .size:           40
        .value_kind:     by_value
    .group_segment_fixed_size: 0
    .kernarg_segment_align: 8
    .kernarg_segment_size: 40
    .language:       OpenCL C
    .language_version:
      - 2
      - 0
    .max_flat_workgroup_size: 128
    .name:           _ZN7rocprim17ROCPRIM_400000_NS6detail17trampoline_kernelINS0_14default_configENS1_22reduce_config_selectorItEEZNS1_11reduce_implILb1ES3_N6thrust23THRUST_200600_302600_NS6detail15normal_iteratorINS8_10device_ptrItEEEEPtt11plus_mod_10ItEEE10hipError_tPvRmT1_T2_T3_mT4_P12ihipStream_tbEUlT_E1_NS1_11comp_targetILNS1_3genE3ELNS1_11target_archE908ELNS1_3gpuE7ELNS1_3repE0EEENS1_30default_config_static_selectorELNS0_4arch9wavefront6targetE1EEEvSK_
    .private_segment_fixed_size: 0
    .sgpr_count:     6
    .sgpr_spill_count: 0
    .symbol:         _ZN7rocprim17ROCPRIM_400000_NS6detail17trampoline_kernelINS0_14default_configENS1_22reduce_config_selectorItEEZNS1_11reduce_implILb1ES3_N6thrust23THRUST_200600_302600_NS6detail15normal_iteratorINS8_10device_ptrItEEEEPtt11plus_mod_10ItEEE10hipError_tPvRmT1_T2_T3_mT4_P12ihipStream_tbEUlT_E1_NS1_11comp_targetILNS1_3genE3ELNS1_11target_archE908ELNS1_3gpuE7ELNS1_3repE0EEENS1_30default_config_static_selectorELNS0_4arch9wavefront6targetE1EEEvSK_.kd
    .uniform_work_group_size: 1
    .uses_dynamic_stack: false
    .vgpr_count:     0
    .vgpr_spill_count: 0
    .wavefront_size: 64
  - .agpr_count:     0
    .args:
      - .offset:         0
        .size:           40
        .value_kind:     by_value
    .group_segment_fixed_size: 0
    .kernarg_segment_align: 8
    .kernarg_segment_size: 40
    .language:       OpenCL C
    .language_version:
      - 2
      - 0
    .max_flat_workgroup_size: 256
    .name:           _ZN7rocprim17ROCPRIM_400000_NS6detail17trampoline_kernelINS0_14default_configENS1_22reduce_config_selectorItEEZNS1_11reduce_implILb1ES3_N6thrust23THRUST_200600_302600_NS6detail15normal_iteratorINS8_10device_ptrItEEEEPtt11plus_mod_10ItEEE10hipError_tPvRmT1_T2_T3_mT4_P12ihipStream_tbEUlT_E1_NS1_11comp_targetILNS1_3genE2ELNS1_11target_archE906ELNS1_3gpuE6ELNS1_3repE0EEENS1_30default_config_static_selectorELNS0_4arch9wavefront6targetE1EEEvSK_
    .private_segment_fixed_size: 0
    .sgpr_count:     6
    .sgpr_spill_count: 0
    .symbol:         _ZN7rocprim17ROCPRIM_400000_NS6detail17trampoline_kernelINS0_14default_configENS1_22reduce_config_selectorItEEZNS1_11reduce_implILb1ES3_N6thrust23THRUST_200600_302600_NS6detail15normal_iteratorINS8_10device_ptrItEEEEPtt11plus_mod_10ItEEE10hipError_tPvRmT1_T2_T3_mT4_P12ihipStream_tbEUlT_E1_NS1_11comp_targetILNS1_3genE2ELNS1_11target_archE906ELNS1_3gpuE6ELNS1_3repE0EEENS1_30default_config_static_selectorELNS0_4arch9wavefront6targetE1EEEvSK_.kd
    .uniform_work_group_size: 1
    .uses_dynamic_stack: false
    .vgpr_count:     0
    .vgpr_spill_count: 0
    .wavefront_size: 64
  - .agpr_count:     0
    .args:
      - .offset:         0
        .size:           40
        .value_kind:     by_value
    .group_segment_fixed_size: 0
    .kernarg_segment_align: 8
    .kernarg_segment_size: 40
    .language:       OpenCL C
    .language_version:
      - 2
      - 0
    .max_flat_workgroup_size: 256
    .name:           _ZN7rocprim17ROCPRIM_400000_NS6detail17trampoline_kernelINS0_14default_configENS1_22reduce_config_selectorItEEZNS1_11reduce_implILb1ES3_N6thrust23THRUST_200600_302600_NS6detail15normal_iteratorINS8_10device_ptrItEEEEPtt11plus_mod_10ItEEE10hipError_tPvRmT1_T2_T3_mT4_P12ihipStream_tbEUlT_E1_NS1_11comp_targetILNS1_3genE10ELNS1_11target_archE1201ELNS1_3gpuE5ELNS1_3repE0EEENS1_30default_config_static_selectorELNS0_4arch9wavefront6targetE1EEEvSK_
    .private_segment_fixed_size: 0
    .sgpr_count:     6
    .sgpr_spill_count: 0
    .symbol:         _ZN7rocprim17ROCPRIM_400000_NS6detail17trampoline_kernelINS0_14default_configENS1_22reduce_config_selectorItEEZNS1_11reduce_implILb1ES3_N6thrust23THRUST_200600_302600_NS6detail15normal_iteratorINS8_10device_ptrItEEEEPtt11plus_mod_10ItEEE10hipError_tPvRmT1_T2_T3_mT4_P12ihipStream_tbEUlT_E1_NS1_11comp_targetILNS1_3genE10ELNS1_11target_archE1201ELNS1_3gpuE5ELNS1_3repE0EEENS1_30default_config_static_selectorELNS0_4arch9wavefront6targetE1EEEvSK_.kd
    .uniform_work_group_size: 1
    .uses_dynamic_stack: false
    .vgpr_count:     0
    .vgpr_spill_count: 0
    .wavefront_size: 64
  - .agpr_count:     0
    .args:
      - .offset:         0
        .size:           40
        .value_kind:     by_value
    .group_segment_fixed_size: 0
    .kernarg_segment_align: 8
    .kernarg_segment_size: 40
    .language:       OpenCL C
    .language_version:
      - 2
      - 0
    .max_flat_workgroup_size: 256
    .name:           _ZN7rocprim17ROCPRIM_400000_NS6detail17trampoline_kernelINS0_14default_configENS1_22reduce_config_selectorItEEZNS1_11reduce_implILb1ES3_N6thrust23THRUST_200600_302600_NS6detail15normal_iteratorINS8_10device_ptrItEEEEPtt11plus_mod_10ItEEE10hipError_tPvRmT1_T2_T3_mT4_P12ihipStream_tbEUlT_E1_NS1_11comp_targetILNS1_3genE10ELNS1_11target_archE1200ELNS1_3gpuE4ELNS1_3repE0EEENS1_30default_config_static_selectorELNS0_4arch9wavefront6targetE1EEEvSK_
    .private_segment_fixed_size: 0
    .sgpr_count:     6
    .sgpr_spill_count: 0
    .symbol:         _ZN7rocprim17ROCPRIM_400000_NS6detail17trampoline_kernelINS0_14default_configENS1_22reduce_config_selectorItEEZNS1_11reduce_implILb1ES3_N6thrust23THRUST_200600_302600_NS6detail15normal_iteratorINS8_10device_ptrItEEEEPtt11plus_mod_10ItEEE10hipError_tPvRmT1_T2_T3_mT4_P12ihipStream_tbEUlT_E1_NS1_11comp_targetILNS1_3genE10ELNS1_11target_archE1200ELNS1_3gpuE4ELNS1_3repE0EEENS1_30default_config_static_selectorELNS0_4arch9wavefront6targetE1EEEvSK_.kd
    .uniform_work_group_size: 1
    .uses_dynamic_stack: false
    .vgpr_count:     0
    .vgpr_spill_count: 0
    .wavefront_size: 64
  - .agpr_count:     0
    .args:
      - .offset:         0
        .size:           40
        .value_kind:     by_value
    .group_segment_fixed_size: 0
    .kernarg_segment_align: 8
    .kernarg_segment_size: 40
    .language:       OpenCL C
    .language_version:
      - 2
      - 0
    .max_flat_workgroup_size: 256
    .name:           _ZN7rocprim17ROCPRIM_400000_NS6detail17trampoline_kernelINS0_14default_configENS1_22reduce_config_selectorItEEZNS1_11reduce_implILb1ES3_N6thrust23THRUST_200600_302600_NS6detail15normal_iteratorINS8_10device_ptrItEEEEPtt11plus_mod_10ItEEE10hipError_tPvRmT1_T2_T3_mT4_P12ihipStream_tbEUlT_E1_NS1_11comp_targetILNS1_3genE9ELNS1_11target_archE1100ELNS1_3gpuE3ELNS1_3repE0EEENS1_30default_config_static_selectorELNS0_4arch9wavefront6targetE1EEEvSK_
    .private_segment_fixed_size: 0
    .sgpr_count:     6
    .sgpr_spill_count: 0
    .symbol:         _ZN7rocprim17ROCPRIM_400000_NS6detail17trampoline_kernelINS0_14default_configENS1_22reduce_config_selectorItEEZNS1_11reduce_implILb1ES3_N6thrust23THRUST_200600_302600_NS6detail15normal_iteratorINS8_10device_ptrItEEEEPtt11plus_mod_10ItEEE10hipError_tPvRmT1_T2_T3_mT4_P12ihipStream_tbEUlT_E1_NS1_11comp_targetILNS1_3genE9ELNS1_11target_archE1100ELNS1_3gpuE3ELNS1_3repE0EEENS1_30default_config_static_selectorELNS0_4arch9wavefront6targetE1EEEvSK_.kd
    .uniform_work_group_size: 1
    .uses_dynamic_stack: false
    .vgpr_count:     0
    .vgpr_spill_count: 0
    .wavefront_size: 64
  - .agpr_count:     0
    .args:
      - .offset:         0
        .size:           40
        .value_kind:     by_value
    .group_segment_fixed_size: 0
    .kernarg_segment_align: 8
    .kernarg_segment_size: 40
    .language:       OpenCL C
    .language_version:
      - 2
      - 0
    .max_flat_workgroup_size: 256
    .name:           _ZN7rocprim17ROCPRIM_400000_NS6detail17trampoline_kernelINS0_14default_configENS1_22reduce_config_selectorItEEZNS1_11reduce_implILb1ES3_N6thrust23THRUST_200600_302600_NS6detail15normal_iteratorINS8_10device_ptrItEEEEPtt11plus_mod_10ItEEE10hipError_tPvRmT1_T2_T3_mT4_P12ihipStream_tbEUlT_E1_NS1_11comp_targetILNS1_3genE8ELNS1_11target_archE1030ELNS1_3gpuE2ELNS1_3repE0EEENS1_30default_config_static_selectorELNS0_4arch9wavefront6targetE1EEEvSK_
    .private_segment_fixed_size: 0
    .sgpr_count:     6
    .sgpr_spill_count: 0
    .symbol:         _ZN7rocprim17ROCPRIM_400000_NS6detail17trampoline_kernelINS0_14default_configENS1_22reduce_config_selectorItEEZNS1_11reduce_implILb1ES3_N6thrust23THRUST_200600_302600_NS6detail15normal_iteratorINS8_10device_ptrItEEEEPtt11plus_mod_10ItEEE10hipError_tPvRmT1_T2_T3_mT4_P12ihipStream_tbEUlT_E1_NS1_11comp_targetILNS1_3genE8ELNS1_11target_archE1030ELNS1_3gpuE2ELNS1_3repE0EEENS1_30default_config_static_selectorELNS0_4arch9wavefront6targetE1EEEvSK_.kd
    .uniform_work_group_size: 1
    .uses_dynamic_stack: false
    .vgpr_count:     0
    .vgpr_spill_count: 0
    .wavefront_size: 64
  - .agpr_count:     0
    .args:
      - .offset:         0
        .size:           56
        .value_kind:     by_value
    .group_segment_fixed_size: 8
    .kernarg_segment_align: 8
    .kernarg_segment_size: 56
    .language:       OpenCL C
    .language_version:
      - 2
      - 0
    .max_flat_workgroup_size: 256
    .name:           _ZN7rocprim17ROCPRIM_400000_NS6detail17trampoline_kernelINS0_14default_configENS1_22reduce_config_selectorIhEEZNS1_11reduce_implILb1ES3_PhS7_h11plus_mod_10IhEEE10hipError_tPvRmT1_T2_T3_mT4_P12ihipStream_tbEUlT_E0_NS1_11comp_targetILNS1_3genE0ELNS1_11target_archE4294967295ELNS1_3gpuE0ELNS1_3repE0EEENS1_30default_config_static_selectorELNS0_4arch9wavefront6targetE1EEEvSD_
    .private_segment_fixed_size: 0
    .sgpr_count:     54
    .sgpr_spill_count: 0
    .symbol:         _ZN7rocprim17ROCPRIM_400000_NS6detail17trampoline_kernelINS0_14default_configENS1_22reduce_config_selectorIhEEZNS1_11reduce_implILb1ES3_PhS7_h11plus_mod_10IhEEE10hipError_tPvRmT1_T2_T3_mT4_P12ihipStream_tbEUlT_E0_NS1_11comp_targetILNS1_3genE0ELNS1_11target_archE4294967295ELNS1_3gpuE0ELNS1_3repE0EEENS1_30default_config_static_selectorELNS0_4arch9wavefront6targetE1EEEvSD_.kd
    .uniform_work_group_size: 1
    .uses_dynamic_stack: false
    .vgpr_count:     35
    .vgpr_spill_count: 0
    .wavefront_size: 64
  - .agpr_count:     0
    .args:
      - .offset:         0
        .size:           56
        .value_kind:     by_value
    .group_segment_fixed_size: 0
    .kernarg_segment_align: 8
    .kernarg_segment_size: 56
    .language:       OpenCL C
    .language_version:
      - 2
      - 0
    .max_flat_workgroup_size: 256
    .name:           _ZN7rocprim17ROCPRIM_400000_NS6detail17trampoline_kernelINS0_14default_configENS1_22reduce_config_selectorIhEEZNS1_11reduce_implILb1ES3_PhS7_h11plus_mod_10IhEEE10hipError_tPvRmT1_T2_T3_mT4_P12ihipStream_tbEUlT_E0_NS1_11comp_targetILNS1_3genE5ELNS1_11target_archE942ELNS1_3gpuE9ELNS1_3repE0EEENS1_30default_config_static_selectorELNS0_4arch9wavefront6targetE1EEEvSD_
    .private_segment_fixed_size: 0
    .sgpr_count:     6
    .sgpr_spill_count: 0
    .symbol:         _ZN7rocprim17ROCPRIM_400000_NS6detail17trampoline_kernelINS0_14default_configENS1_22reduce_config_selectorIhEEZNS1_11reduce_implILb1ES3_PhS7_h11plus_mod_10IhEEE10hipError_tPvRmT1_T2_T3_mT4_P12ihipStream_tbEUlT_E0_NS1_11comp_targetILNS1_3genE5ELNS1_11target_archE942ELNS1_3gpuE9ELNS1_3repE0EEENS1_30default_config_static_selectorELNS0_4arch9wavefront6targetE1EEEvSD_.kd
    .uniform_work_group_size: 1
    .uses_dynamic_stack: false
    .vgpr_count:     0
    .vgpr_spill_count: 0
    .wavefront_size: 64
  - .agpr_count:     0
    .args:
      - .offset:         0
        .size:           56
        .value_kind:     by_value
    .group_segment_fixed_size: 0
    .kernarg_segment_align: 8
    .kernarg_segment_size: 56
    .language:       OpenCL C
    .language_version:
      - 2
      - 0
    .max_flat_workgroup_size: 128
    .name:           _ZN7rocprim17ROCPRIM_400000_NS6detail17trampoline_kernelINS0_14default_configENS1_22reduce_config_selectorIhEEZNS1_11reduce_implILb1ES3_PhS7_h11plus_mod_10IhEEE10hipError_tPvRmT1_T2_T3_mT4_P12ihipStream_tbEUlT_E0_NS1_11comp_targetILNS1_3genE4ELNS1_11target_archE910ELNS1_3gpuE8ELNS1_3repE0EEENS1_30default_config_static_selectorELNS0_4arch9wavefront6targetE1EEEvSD_
    .private_segment_fixed_size: 0
    .sgpr_count:     6
    .sgpr_spill_count: 0
    .symbol:         _ZN7rocprim17ROCPRIM_400000_NS6detail17trampoline_kernelINS0_14default_configENS1_22reduce_config_selectorIhEEZNS1_11reduce_implILb1ES3_PhS7_h11plus_mod_10IhEEE10hipError_tPvRmT1_T2_T3_mT4_P12ihipStream_tbEUlT_E0_NS1_11comp_targetILNS1_3genE4ELNS1_11target_archE910ELNS1_3gpuE8ELNS1_3repE0EEENS1_30default_config_static_selectorELNS0_4arch9wavefront6targetE1EEEvSD_.kd
    .uniform_work_group_size: 1
    .uses_dynamic_stack: false
    .vgpr_count:     0
    .vgpr_spill_count: 0
    .wavefront_size: 64
  - .agpr_count:     0
    .args:
      - .offset:         0
        .size:           56
        .value_kind:     by_value
    .group_segment_fixed_size: 0
    .kernarg_segment_align: 8
    .kernarg_segment_size: 56
    .language:       OpenCL C
    .language_version:
      - 2
      - 0
    .max_flat_workgroup_size: 256
    .name:           _ZN7rocprim17ROCPRIM_400000_NS6detail17trampoline_kernelINS0_14default_configENS1_22reduce_config_selectorIhEEZNS1_11reduce_implILb1ES3_PhS7_h11plus_mod_10IhEEE10hipError_tPvRmT1_T2_T3_mT4_P12ihipStream_tbEUlT_E0_NS1_11comp_targetILNS1_3genE3ELNS1_11target_archE908ELNS1_3gpuE7ELNS1_3repE0EEENS1_30default_config_static_selectorELNS0_4arch9wavefront6targetE1EEEvSD_
    .private_segment_fixed_size: 0
    .sgpr_count:     6
    .sgpr_spill_count: 0
    .symbol:         _ZN7rocprim17ROCPRIM_400000_NS6detail17trampoline_kernelINS0_14default_configENS1_22reduce_config_selectorIhEEZNS1_11reduce_implILb1ES3_PhS7_h11plus_mod_10IhEEE10hipError_tPvRmT1_T2_T3_mT4_P12ihipStream_tbEUlT_E0_NS1_11comp_targetILNS1_3genE3ELNS1_11target_archE908ELNS1_3gpuE7ELNS1_3repE0EEENS1_30default_config_static_selectorELNS0_4arch9wavefront6targetE1EEEvSD_.kd
    .uniform_work_group_size: 1
    .uses_dynamic_stack: false
    .vgpr_count:     0
    .vgpr_spill_count: 0
    .wavefront_size: 64
  - .agpr_count:     0
    .args:
      - .offset:         0
        .size:           56
        .value_kind:     by_value
    .group_segment_fixed_size: 0
    .kernarg_segment_align: 8
    .kernarg_segment_size: 56
    .language:       OpenCL C
    .language_version:
      - 2
      - 0
    .max_flat_workgroup_size: 128
    .name:           _ZN7rocprim17ROCPRIM_400000_NS6detail17trampoline_kernelINS0_14default_configENS1_22reduce_config_selectorIhEEZNS1_11reduce_implILb1ES3_PhS7_h11plus_mod_10IhEEE10hipError_tPvRmT1_T2_T3_mT4_P12ihipStream_tbEUlT_E0_NS1_11comp_targetILNS1_3genE2ELNS1_11target_archE906ELNS1_3gpuE6ELNS1_3repE0EEENS1_30default_config_static_selectorELNS0_4arch9wavefront6targetE1EEEvSD_
    .private_segment_fixed_size: 0
    .sgpr_count:     6
    .sgpr_spill_count: 0
    .symbol:         _ZN7rocprim17ROCPRIM_400000_NS6detail17trampoline_kernelINS0_14default_configENS1_22reduce_config_selectorIhEEZNS1_11reduce_implILb1ES3_PhS7_h11plus_mod_10IhEEE10hipError_tPvRmT1_T2_T3_mT4_P12ihipStream_tbEUlT_E0_NS1_11comp_targetILNS1_3genE2ELNS1_11target_archE906ELNS1_3gpuE6ELNS1_3repE0EEENS1_30default_config_static_selectorELNS0_4arch9wavefront6targetE1EEEvSD_.kd
    .uniform_work_group_size: 1
    .uses_dynamic_stack: false
    .vgpr_count:     0
    .vgpr_spill_count: 0
    .wavefront_size: 64
  - .agpr_count:     0
    .args:
      - .offset:         0
        .size:           56
        .value_kind:     by_value
    .group_segment_fixed_size: 0
    .kernarg_segment_align: 8
    .kernarg_segment_size: 56
    .language:       OpenCL C
    .language_version:
      - 2
      - 0
    .max_flat_workgroup_size: 256
    .name:           _ZN7rocprim17ROCPRIM_400000_NS6detail17trampoline_kernelINS0_14default_configENS1_22reduce_config_selectorIhEEZNS1_11reduce_implILb1ES3_PhS7_h11plus_mod_10IhEEE10hipError_tPvRmT1_T2_T3_mT4_P12ihipStream_tbEUlT_E0_NS1_11comp_targetILNS1_3genE10ELNS1_11target_archE1201ELNS1_3gpuE5ELNS1_3repE0EEENS1_30default_config_static_selectorELNS0_4arch9wavefront6targetE1EEEvSD_
    .private_segment_fixed_size: 0
    .sgpr_count:     6
    .sgpr_spill_count: 0
    .symbol:         _ZN7rocprim17ROCPRIM_400000_NS6detail17trampoline_kernelINS0_14default_configENS1_22reduce_config_selectorIhEEZNS1_11reduce_implILb1ES3_PhS7_h11plus_mod_10IhEEE10hipError_tPvRmT1_T2_T3_mT4_P12ihipStream_tbEUlT_E0_NS1_11comp_targetILNS1_3genE10ELNS1_11target_archE1201ELNS1_3gpuE5ELNS1_3repE0EEENS1_30default_config_static_selectorELNS0_4arch9wavefront6targetE1EEEvSD_.kd
    .uniform_work_group_size: 1
    .uses_dynamic_stack: false
    .vgpr_count:     0
    .vgpr_spill_count: 0
    .wavefront_size: 64
  - .agpr_count:     0
    .args:
      - .offset:         0
        .size:           56
        .value_kind:     by_value
    .group_segment_fixed_size: 0
    .kernarg_segment_align: 8
    .kernarg_segment_size: 56
    .language:       OpenCL C
    .language_version:
      - 2
      - 0
    .max_flat_workgroup_size: 256
    .name:           _ZN7rocprim17ROCPRIM_400000_NS6detail17trampoline_kernelINS0_14default_configENS1_22reduce_config_selectorIhEEZNS1_11reduce_implILb1ES3_PhS7_h11plus_mod_10IhEEE10hipError_tPvRmT1_T2_T3_mT4_P12ihipStream_tbEUlT_E0_NS1_11comp_targetILNS1_3genE10ELNS1_11target_archE1200ELNS1_3gpuE4ELNS1_3repE0EEENS1_30default_config_static_selectorELNS0_4arch9wavefront6targetE1EEEvSD_
    .private_segment_fixed_size: 0
    .sgpr_count:     6
    .sgpr_spill_count: 0
    .symbol:         _ZN7rocprim17ROCPRIM_400000_NS6detail17trampoline_kernelINS0_14default_configENS1_22reduce_config_selectorIhEEZNS1_11reduce_implILb1ES3_PhS7_h11plus_mod_10IhEEE10hipError_tPvRmT1_T2_T3_mT4_P12ihipStream_tbEUlT_E0_NS1_11comp_targetILNS1_3genE10ELNS1_11target_archE1200ELNS1_3gpuE4ELNS1_3repE0EEENS1_30default_config_static_selectorELNS0_4arch9wavefront6targetE1EEEvSD_.kd
    .uniform_work_group_size: 1
    .uses_dynamic_stack: false
    .vgpr_count:     0
    .vgpr_spill_count: 0
    .wavefront_size: 64
  - .agpr_count:     0
    .args:
      - .offset:         0
        .size:           56
        .value_kind:     by_value
    .group_segment_fixed_size: 0
    .kernarg_segment_align: 8
    .kernarg_segment_size: 56
    .language:       OpenCL C
    .language_version:
      - 2
      - 0
    .max_flat_workgroup_size: 128
    .name:           _ZN7rocprim17ROCPRIM_400000_NS6detail17trampoline_kernelINS0_14default_configENS1_22reduce_config_selectorIhEEZNS1_11reduce_implILb1ES3_PhS7_h11plus_mod_10IhEEE10hipError_tPvRmT1_T2_T3_mT4_P12ihipStream_tbEUlT_E0_NS1_11comp_targetILNS1_3genE9ELNS1_11target_archE1100ELNS1_3gpuE3ELNS1_3repE0EEENS1_30default_config_static_selectorELNS0_4arch9wavefront6targetE1EEEvSD_
    .private_segment_fixed_size: 0
    .sgpr_count:     6
    .sgpr_spill_count: 0
    .symbol:         _ZN7rocprim17ROCPRIM_400000_NS6detail17trampoline_kernelINS0_14default_configENS1_22reduce_config_selectorIhEEZNS1_11reduce_implILb1ES3_PhS7_h11plus_mod_10IhEEE10hipError_tPvRmT1_T2_T3_mT4_P12ihipStream_tbEUlT_E0_NS1_11comp_targetILNS1_3genE9ELNS1_11target_archE1100ELNS1_3gpuE3ELNS1_3repE0EEENS1_30default_config_static_selectorELNS0_4arch9wavefront6targetE1EEEvSD_.kd
    .uniform_work_group_size: 1
    .uses_dynamic_stack: false
    .vgpr_count:     0
    .vgpr_spill_count: 0
    .wavefront_size: 64
  - .agpr_count:     0
    .args:
      - .offset:         0
        .size:           56
        .value_kind:     by_value
    .group_segment_fixed_size: 0
    .kernarg_segment_align: 8
    .kernarg_segment_size: 56
    .language:       OpenCL C
    .language_version:
      - 2
      - 0
    .max_flat_workgroup_size: 256
    .name:           _ZN7rocprim17ROCPRIM_400000_NS6detail17trampoline_kernelINS0_14default_configENS1_22reduce_config_selectorIhEEZNS1_11reduce_implILb1ES3_PhS7_h11plus_mod_10IhEEE10hipError_tPvRmT1_T2_T3_mT4_P12ihipStream_tbEUlT_E0_NS1_11comp_targetILNS1_3genE8ELNS1_11target_archE1030ELNS1_3gpuE2ELNS1_3repE0EEENS1_30default_config_static_selectorELNS0_4arch9wavefront6targetE1EEEvSD_
    .private_segment_fixed_size: 0
    .sgpr_count:     6
    .sgpr_spill_count: 0
    .symbol:         _ZN7rocprim17ROCPRIM_400000_NS6detail17trampoline_kernelINS0_14default_configENS1_22reduce_config_selectorIhEEZNS1_11reduce_implILb1ES3_PhS7_h11plus_mod_10IhEEE10hipError_tPvRmT1_T2_T3_mT4_P12ihipStream_tbEUlT_E0_NS1_11comp_targetILNS1_3genE8ELNS1_11target_archE1030ELNS1_3gpuE2ELNS1_3repE0EEENS1_30default_config_static_selectorELNS0_4arch9wavefront6targetE1EEEvSD_.kd
    .uniform_work_group_size: 1
    .uses_dynamic_stack: false
    .vgpr_count:     0
    .vgpr_spill_count: 0
    .wavefront_size: 64
  - .agpr_count:     32
    .args:
      - .offset:         0
        .size:           40
        .value_kind:     by_value
      - .offset:         40
        .size:           4
        .value_kind:     hidden_block_count_x
      - .offset:         44
        .size:           4
        .value_kind:     hidden_block_count_y
      - .offset:         48
        .size:           4
        .value_kind:     hidden_block_count_z
      - .offset:         52
        .size:           2
        .value_kind:     hidden_group_size_x
      - .offset:         54
        .size:           2
        .value_kind:     hidden_group_size_y
      - .offset:         56
        .size:           2
        .value_kind:     hidden_group_size_z
      - .offset:         58
        .size:           2
        .value_kind:     hidden_remainder_x
      - .offset:         60
        .size:           2
        .value_kind:     hidden_remainder_y
      - .offset:         62
        .size:           2
        .value_kind:     hidden_remainder_z
      - .offset:         80
        .size:           8
        .value_kind:     hidden_global_offset_x
      - .offset:         88
        .size:           8
        .value_kind:     hidden_global_offset_y
      - .offset:         96
        .size:           8
        .value_kind:     hidden_global_offset_z
      - .offset:         104
        .size:           2
        .value_kind:     hidden_grid_dims
    .group_segment_fixed_size: 36
    .kernarg_segment_align: 8
    .kernarg_segment_size: 296
    .language:       OpenCL C
    .language_version:
      - 2
      - 0
    .max_flat_workgroup_size: 256
    .name:           _ZN7rocprim17ROCPRIM_400000_NS6detail17trampoline_kernelINS0_14default_configENS1_22reduce_config_selectorIhEEZNS1_11reduce_implILb1ES3_PhS7_h11plus_mod_10IhEEE10hipError_tPvRmT1_T2_T3_mT4_P12ihipStream_tbEUlT_E1_NS1_11comp_targetILNS1_3genE0ELNS1_11target_archE4294967295ELNS1_3gpuE0ELNS1_3repE0EEENS1_30default_config_static_selectorELNS0_4arch9wavefront6targetE1EEEvSD_
    .private_segment_fixed_size: 116
    .sgpr_count:     106
    .sgpr_spill_count: 0
    .symbol:         _ZN7rocprim17ROCPRIM_400000_NS6detail17trampoline_kernelINS0_14default_configENS1_22reduce_config_selectorIhEEZNS1_11reduce_implILb1ES3_PhS7_h11plus_mod_10IhEEE10hipError_tPvRmT1_T2_T3_mT4_P12ihipStream_tbEUlT_E1_NS1_11comp_targetILNS1_3genE0ELNS1_11target_archE4294967295ELNS1_3gpuE0ELNS1_3repE0EEENS1_30default_config_static_selectorELNS0_4arch9wavefront6targetE1EEEvSD_.kd
    .uniform_work_group_size: 1
    .uses_dynamic_stack: false
    .vgpr_count:     264
    .vgpr_spill_count: 0
    .wavefront_size: 64
  - .agpr_count:     0
    .args:
      - .offset:         0
        .size:           40
        .value_kind:     by_value
    .group_segment_fixed_size: 0
    .kernarg_segment_align: 8
    .kernarg_segment_size: 40
    .language:       OpenCL C
    .language_version:
      - 2
      - 0
    .max_flat_workgroup_size: 256
    .name:           _ZN7rocprim17ROCPRIM_400000_NS6detail17trampoline_kernelINS0_14default_configENS1_22reduce_config_selectorIhEEZNS1_11reduce_implILb1ES3_PhS7_h11plus_mod_10IhEEE10hipError_tPvRmT1_T2_T3_mT4_P12ihipStream_tbEUlT_E1_NS1_11comp_targetILNS1_3genE5ELNS1_11target_archE942ELNS1_3gpuE9ELNS1_3repE0EEENS1_30default_config_static_selectorELNS0_4arch9wavefront6targetE1EEEvSD_
    .private_segment_fixed_size: 0
    .sgpr_count:     6
    .sgpr_spill_count: 0
    .symbol:         _ZN7rocprim17ROCPRIM_400000_NS6detail17trampoline_kernelINS0_14default_configENS1_22reduce_config_selectorIhEEZNS1_11reduce_implILb1ES3_PhS7_h11plus_mod_10IhEEE10hipError_tPvRmT1_T2_T3_mT4_P12ihipStream_tbEUlT_E1_NS1_11comp_targetILNS1_3genE5ELNS1_11target_archE942ELNS1_3gpuE9ELNS1_3repE0EEENS1_30default_config_static_selectorELNS0_4arch9wavefront6targetE1EEEvSD_.kd
    .uniform_work_group_size: 1
    .uses_dynamic_stack: false
    .vgpr_count:     0
    .vgpr_spill_count: 0
    .wavefront_size: 64
  - .agpr_count:     0
    .args:
      - .offset:         0
        .size:           40
        .value_kind:     by_value
    .group_segment_fixed_size: 0
    .kernarg_segment_align: 8
    .kernarg_segment_size: 40
    .language:       OpenCL C
    .language_version:
      - 2
      - 0
    .max_flat_workgroup_size: 128
    .name:           _ZN7rocprim17ROCPRIM_400000_NS6detail17trampoline_kernelINS0_14default_configENS1_22reduce_config_selectorIhEEZNS1_11reduce_implILb1ES3_PhS7_h11plus_mod_10IhEEE10hipError_tPvRmT1_T2_T3_mT4_P12ihipStream_tbEUlT_E1_NS1_11comp_targetILNS1_3genE4ELNS1_11target_archE910ELNS1_3gpuE8ELNS1_3repE0EEENS1_30default_config_static_selectorELNS0_4arch9wavefront6targetE1EEEvSD_
    .private_segment_fixed_size: 0
    .sgpr_count:     6
    .sgpr_spill_count: 0
    .symbol:         _ZN7rocprim17ROCPRIM_400000_NS6detail17trampoline_kernelINS0_14default_configENS1_22reduce_config_selectorIhEEZNS1_11reduce_implILb1ES3_PhS7_h11plus_mod_10IhEEE10hipError_tPvRmT1_T2_T3_mT4_P12ihipStream_tbEUlT_E1_NS1_11comp_targetILNS1_3genE4ELNS1_11target_archE910ELNS1_3gpuE8ELNS1_3repE0EEENS1_30default_config_static_selectorELNS0_4arch9wavefront6targetE1EEEvSD_.kd
    .uniform_work_group_size: 1
    .uses_dynamic_stack: false
    .vgpr_count:     0
    .vgpr_spill_count: 0
    .wavefront_size: 64
  - .agpr_count:     0
    .args:
      - .offset:         0
        .size:           40
        .value_kind:     by_value
    .group_segment_fixed_size: 0
    .kernarg_segment_align: 8
    .kernarg_segment_size: 40
    .language:       OpenCL C
    .language_version:
      - 2
      - 0
    .max_flat_workgroup_size: 256
    .name:           _ZN7rocprim17ROCPRIM_400000_NS6detail17trampoline_kernelINS0_14default_configENS1_22reduce_config_selectorIhEEZNS1_11reduce_implILb1ES3_PhS7_h11plus_mod_10IhEEE10hipError_tPvRmT1_T2_T3_mT4_P12ihipStream_tbEUlT_E1_NS1_11comp_targetILNS1_3genE3ELNS1_11target_archE908ELNS1_3gpuE7ELNS1_3repE0EEENS1_30default_config_static_selectorELNS0_4arch9wavefront6targetE1EEEvSD_
    .private_segment_fixed_size: 0
    .sgpr_count:     6
    .sgpr_spill_count: 0
    .symbol:         _ZN7rocprim17ROCPRIM_400000_NS6detail17trampoline_kernelINS0_14default_configENS1_22reduce_config_selectorIhEEZNS1_11reduce_implILb1ES3_PhS7_h11plus_mod_10IhEEE10hipError_tPvRmT1_T2_T3_mT4_P12ihipStream_tbEUlT_E1_NS1_11comp_targetILNS1_3genE3ELNS1_11target_archE908ELNS1_3gpuE7ELNS1_3repE0EEENS1_30default_config_static_selectorELNS0_4arch9wavefront6targetE1EEEvSD_.kd
    .uniform_work_group_size: 1
    .uses_dynamic_stack: false
    .vgpr_count:     0
    .vgpr_spill_count: 0
    .wavefront_size: 64
  - .agpr_count:     0
    .args:
      - .offset:         0
        .size:           40
        .value_kind:     by_value
    .group_segment_fixed_size: 0
    .kernarg_segment_align: 8
    .kernarg_segment_size: 40
    .language:       OpenCL C
    .language_version:
      - 2
      - 0
    .max_flat_workgroup_size: 128
    .name:           _ZN7rocprim17ROCPRIM_400000_NS6detail17trampoline_kernelINS0_14default_configENS1_22reduce_config_selectorIhEEZNS1_11reduce_implILb1ES3_PhS7_h11plus_mod_10IhEEE10hipError_tPvRmT1_T2_T3_mT4_P12ihipStream_tbEUlT_E1_NS1_11comp_targetILNS1_3genE2ELNS1_11target_archE906ELNS1_3gpuE6ELNS1_3repE0EEENS1_30default_config_static_selectorELNS0_4arch9wavefront6targetE1EEEvSD_
    .private_segment_fixed_size: 0
    .sgpr_count:     6
    .sgpr_spill_count: 0
    .symbol:         _ZN7rocprim17ROCPRIM_400000_NS6detail17trampoline_kernelINS0_14default_configENS1_22reduce_config_selectorIhEEZNS1_11reduce_implILb1ES3_PhS7_h11plus_mod_10IhEEE10hipError_tPvRmT1_T2_T3_mT4_P12ihipStream_tbEUlT_E1_NS1_11comp_targetILNS1_3genE2ELNS1_11target_archE906ELNS1_3gpuE6ELNS1_3repE0EEENS1_30default_config_static_selectorELNS0_4arch9wavefront6targetE1EEEvSD_.kd
    .uniform_work_group_size: 1
    .uses_dynamic_stack: false
    .vgpr_count:     0
    .vgpr_spill_count: 0
    .wavefront_size: 64
  - .agpr_count:     0
    .args:
      - .offset:         0
        .size:           40
        .value_kind:     by_value
    .group_segment_fixed_size: 0
    .kernarg_segment_align: 8
    .kernarg_segment_size: 40
    .language:       OpenCL C
    .language_version:
      - 2
      - 0
    .max_flat_workgroup_size: 256
    .name:           _ZN7rocprim17ROCPRIM_400000_NS6detail17trampoline_kernelINS0_14default_configENS1_22reduce_config_selectorIhEEZNS1_11reduce_implILb1ES3_PhS7_h11plus_mod_10IhEEE10hipError_tPvRmT1_T2_T3_mT4_P12ihipStream_tbEUlT_E1_NS1_11comp_targetILNS1_3genE10ELNS1_11target_archE1201ELNS1_3gpuE5ELNS1_3repE0EEENS1_30default_config_static_selectorELNS0_4arch9wavefront6targetE1EEEvSD_
    .private_segment_fixed_size: 0
    .sgpr_count:     6
    .sgpr_spill_count: 0
    .symbol:         _ZN7rocprim17ROCPRIM_400000_NS6detail17trampoline_kernelINS0_14default_configENS1_22reduce_config_selectorIhEEZNS1_11reduce_implILb1ES3_PhS7_h11plus_mod_10IhEEE10hipError_tPvRmT1_T2_T3_mT4_P12ihipStream_tbEUlT_E1_NS1_11comp_targetILNS1_3genE10ELNS1_11target_archE1201ELNS1_3gpuE5ELNS1_3repE0EEENS1_30default_config_static_selectorELNS0_4arch9wavefront6targetE1EEEvSD_.kd
    .uniform_work_group_size: 1
    .uses_dynamic_stack: false
    .vgpr_count:     0
    .vgpr_spill_count: 0
    .wavefront_size: 64
  - .agpr_count:     0
    .args:
      - .offset:         0
        .size:           40
        .value_kind:     by_value
    .group_segment_fixed_size: 0
    .kernarg_segment_align: 8
    .kernarg_segment_size: 40
    .language:       OpenCL C
    .language_version:
      - 2
      - 0
    .max_flat_workgroup_size: 256
    .name:           _ZN7rocprim17ROCPRIM_400000_NS6detail17trampoline_kernelINS0_14default_configENS1_22reduce_config_selectorIhEEZNS1_11reduce_implILb1ES3_PhS7_h11plus_mod_10IhEEE10hipError_tPvRmT1_T2_T3_mT4_P12ihipStream_tbEUlT_E1_NS1_11comp_targetILNS1_3genE10ELNS1_11target_archE1200ELNS1_3gpuE4ELNS1_3repE0EEENS1_30default_config_static_selectorELNS0_4arch9wavefront6targetE1EEEvSD_
    .private_segment_fixed_size: 0
    .sgpr_count:     6
    .sgpr_spill_count: 0
    .symbol:         _ZN7rocprim17ROCPRIM_400000_NS6detail17trampoline_kernelINS0_14default_configENS1_22reduce_config_selectorIhEEZNS1_11reduce_implILb1ES3_PhS7_h11plus_mod_10IhEEE10hipError_tPvRmT1_T2_T3_mT4_P12ihipStream_tbEUlT_E1_NS1_11comp_targetILNS1_3genE10ELNS1_11target_archE1200ELNS1_3gpuE4ELNS1_3repE0EEENS1_30default_config_static_selectorELNS0_4arch9wavefront6targetE1EEEvSD_.kd
    .uniform_work_group_size: 1
    .uses_dynamic_stack: false
    .vgpr_count:     0
    .vgpr_spill_count: 0
    .wavefront_size: 64
  - .agpr_count:     0
    .args:
      - .offset:         0
        .size:           40
        .value_kind:     by_value
    .group_segment_fixed_size: 0
    .kernarg_segment_align: 8
    .kernarg_segment_size: 40
    .language:       OpenCL C
    .language_version:
      - 2
      - 0
    .max_flat_workgroup_size: 128
    .name:           _ZN7rocprim17ROCPRIM_400000_NS6detail17trampoline_kernelINS0_14default_configENS1_22reduce_config_selectorIhEEZNS1_11reduce_implILb1ES3_PhS7_h11plus_mod_10IhEEE10hipError_tPvRmT1_T2_T3_mT4_P12ihipStream_tbEUlT_E1_NS1_11comp_targetILNS1_3genE9ELNS1_11target_archE1100ELNS1_3gpuE3ELNS1_3repE0EEENS1_30default_config_static_selectorELNS0_4arch9wavefront6targetE1EEEvSD_
    .private_segment_fixed_size: 0
    .sgpr_count:     6
    .sgpr_spill_count: 0
    .symbol:         _ZN7rocprim17ROCPRIM_400000_NS6detail17trampoline_kernelINS0_14default_configENS1_22reduce_config_selectorIhEEZNS1_11reduce_implILb1ES3_PhS7_h11plus_mod_10IhEEE10hipError_tPvRmT1_T2_T3_mT4_P12ihipStream_tbEUlT_E1_NS1_11comp_targetILNS1_3genE9ELNS1_11target_archE1100ELNS1_3gpuE3ELNS1_3repE0EEENS1_30default_config_static_selectorELNS0_4arch9wavefront6targetE1EEEvSD_.kd
    .uniform_work_group_size: 1
    .uses_dynamic_stack: false
    .vgpr_count:     0
    .vgpr_spill_count: 0
    .wavefront_size: 64
  - .agpr_count:     0
    .args:
      - .offset:         0
        .size:           40
        .value_kind:     by_value
    .group_segment_fixed_size: 0
    .kernarg_segment_align: 8
    .kernarg_segment_size: 40
    .language:       OpenCL C
    .language_version:
      - 2
      - 0
    .max_flat_workgroup_size: 256
    .name:           _ZN7rocprim17ROCPRIM_400000_NS6detail17trampoline_kernelINS0_14default_configENS1_22reduce_config_selectorIhEEZNS1_11reduce_implILb1ES3_PhS7_h11plus_mod_10IhEEE10hipError_tPvRmT1_T2_T3_mT4_P12ihipStream_tbEUlT_E1_NS1_11comp_targetILNS1_3genE8ELNS1_11target_archE1030ELNS1_3gpuE2ELNS1_3repE0EEENS1_30default_config_static_selectorELNS0_4arch9wavefront6targetE1EEEvSD_
    .private_segment_fixed_size: 0
    .sgpr_count:     6
    .sgpr_spill_count: 0
    .symbol:         _ZN7rocprim17ROCPRIM_400000_NS6detail17trampoline_kernelINS0_14default_configENS1_22reduce_config_selectorIhEEZNS1_11reduce_implILb1ES3_PhS7_h11plus_mod_10IhEEE10hipError_tPvRmT1_T2_T3_mT4_P12ihipStream_tbEUlT_E1_NS1_11comp_targetILNS1_3genE8ELNS1_11target_archE1030ELNS1_3gpuE2ELNS1_3repE0EEENS1_30default_config_static_selectorELNS0_4arch9wavefront6targetE1EEEvSD_.kd
    .uniform_work_group_size: 1
    .uses_dynamic_stack: false
    .vgpr_count:     0
    .vgpr_spill_count: 0
    .wavefront_size: 64
  - .agpr_count:     0
    .args:
      - .offset:         0
        .size:           56
        .value_kind:     by_value
    .group_segment_fixed_size: 8
    .kernarg_segment_align: 8
    .kernarg_segment_size: 56
    .language:       OpenCL C
    .language_version:
      - 2
      - 0
    .max_flat_workgroup_size: 256
    .name:           _ZN7rocprim17ROCPRIM_400000_NS6detail17trampoline_kernelINS0_14default_configENS1_22reduce_config_selectorIhEEZNS1_11reduce_implILb1ES3_N6thrust23THRUST_200600_302600_NS6detail15normal_iteratorINS8_10device_ptrIhEEEEPhh11plus_mod_10IhEEE10hipError_tPvRmT1_T2_T3_mT4_P12ihipStream_tbEUlT_E0_NS1_11comp_targetILNS1_3genE0ELNS1_11target_archE4294967295ELNS1_3gpuE0ELNS1_3repE0EEENS1_30default_config_static_selectorELNS0_4arch9wavefront6targetE1EEEvSK_
    .private_segment_fixed_size: 0
    .sgpr_count:     54
    .sgpr_spill_count: 0
    .symbol:         _ZN7rocprim17ROCPRIM_400000_NS6detail17trampoline_kernelINS0_14default_configENS1_22reduce_config_selectorIhEEZNS1_11reduce_implILb1ES3_N6thrust23THRUST_200600_302600_NS6detail15normal_iteratorINS8_10device_ptrIhEEEEPhh11plus_mod_10IhEEE10hipError_tPvRmT1_T2_T3_mT4_P12ihipStream_tbEUlT_E0_NS1_11comp_targetILNS1_3genE0ELNS1_11target_archE4294967295ELNS1_3gpuE0ELNS1_3repE0EEENS1_30default_config_static_selectorELNS0_4arch9wavefront6targetE1EEEvSK_.kd
    .uniform_work_group_size: 1
    .uses_dynamic_stack: false
    .vgpr_count:     35
    .vgpr_spill_count: 0
    .wavefront_size: 64
  - .agpr_count:     0
    .args:
      - .offset:         0
        .size:           56
        .value_kind:     by_value
    .group_segment_fixed_size: 0
    .kernarg_segment_align: 8
    .kernarg_segment_size: 56
    .language:       OpenCL C
    .language_version:
      - 2
      - 0
    .max_flat_workgroup_size: 256
    .name:           _ZN7rocprim17ROCPRIM_400000_NS6detail17trampoline_kernelINS0_14default_configENS1_22reduce_config_selectorIhEEZNS1_11reduce_implILb1ES3_N6thrust23THRUST_200600_302600_NS6detail15normal_iteratorINS8_10device_ptrIhEEEEPhh11plus_mod_10IhEEE10hipError_tPvRmT1_T2_T3_mT4_P12ihipStream_tbEUlT_E0_NS1_11comp_targetILNS1_3genE5ELNS1_11target_archE942ELNS1_3gpuE9ELNS1_3repE0EEENS1_30default_config_static_selectorELNS0_4arch9wavefront6targetE1EEEvSK_
    .private_segment_fixed_size: 0
    .sgpr_count:     6
    .sgpr_spill_count: 0
    .symbol:         _ZN7rocprim17ROCPRIM_400000_NS6detail17trampoline_kernelINS0_14default_configENS1_22reduce_config_selectorIhEEZNS1_11reduce_implILb1ES3_N6thrust23THRUST_200600_302600_NS6detail15normal_iteratorINS8_10device_ptrIhEEEEPhh11plus_mod_10IhEEE10hipError_tPvRmT1_T2_T3_mT4_P12ihipStream_tbEUlT_E0_NS1_11comp_targetILNS1_3genE5ELNS1_11target_archE942ELNS1_3gpuE9ELNS1_3repE0EEENS1_30default_config_static_selectorELNS0_4arch9wavefront6targetE1EEEvSK_.kd
    .uniform_work_group_size: 1
    .uses_dynamic_stack: false
    .vgpr_count:     0
    .vgpr_spill_count: 0
    .wavefront_size: 64
  - .agpr_count:     0
    .args:
      - .offset:         0
        .size:           56
        .value_kind:     by_value
    .group_segment_fixed_size: 0
    .kernarg_segment_align: 8
    .kernarg_segment_size: 56
    .language:       OpenCL C
    .language_version:
      - 2
      - 0
    .max_flat_workgroup_size: 128
    .name:           _ZN7rocprim17ROCPRIM_400000_NS6detail17trampoline_kernelINS0_14default_configENS1_22reduce_config_selectorIhEEZNS1_11reduce_implILb1ES3_N6thrust23THRUST_200600_302600_NS6detail15normal_iteratorINS8_10device_ptrIhEEEEPhh11plus_mod_10IhEEE10hipError_tPvRmT1_T2_T3_mT4_P12ihipStream_tbEUlT_E0_NS1_11comp_targetILNS1_3genE4ELNS1_11target_archE910ELNS1_3gpuE8ELNS1_3repE0EEENS1_30default_config_static_selectorELNS0_4arch9wavefront6targetE1EEEvSK_
    .private_segment_fixed_size: 0
    .sgpr_count:     6
    .sgpr_spill_count: 0
    .symbol:         _ZN7rocprim17ROCPRIM_400000_NS6detail17trampoline_kernelINS0_14default_configENS1_22reduce_config_selectorIhEEZNS1_11reduce_implILb1ES3_N6thrust23THRUST_200600_302600_NS6detail15normal_iteratorINS8_10device_ptrIhEEEEPhh11plus_mod_10IhEEE10hipError_tPvRmT1_T2_T3_mT4_P12ihipStream_tbEUlT_E0_NS1_11comp_targetILNS1_3genE4ELNS1_11target_archE910ELNS1_3gpuE8ELNS1_3repE0EEENS1_30default_config_static_selectorELNS0_4arch9wavefront6targetE1EEEvSK_.kd
    .uniform_work_group_size: 1
    .uses_dynamic_stack: false
    .vgpr_count:     0
    .vgpr_spill_count: 0
    .wavefront_size: 64
  - .agpr_count:     0
    .args:
      - .offset:         0
        .size:           56
        .value_kind:     by_value
    .group_segment_fixed_size: 0
    .kernarg_segment_align: 8
    .kernarg_segment_size: 56
    .language:       OpenCL C
    .language_version:
      - 2
      - 0
    .max_flat_workgroup_size: 256
    .name:           _ZN7rocprim17ROCPRIM_400000_NS6detail17trampoline_kernelINS0_14default_configENS1_22reduce_config_selectorIhEEZNS1_11reduce_implILb1ES3_N6thrust23THRUST_200600_302600_NS6detail15normal_iteratorINS8_10device_ptrIhEEEEPhh11plus_mod_10IhEEE10hipError_tPvRmT1_T2_T3_mT4_P12ihipStream_tbEUlT_E0_NS1_11comp_targetILNS1_3genE3ELNS1_11target_archE908ELNS1_3gpuE7ELNS1_3repE0EEENS1_30default_config_static_selectorELNS0_4arch9wavefront6targetE1EEEvSK_
    .private_segment_fixed_size: 0
    .sgpr_count:     6
    .sgpr_spill_count: 0
    .symbol:         _ZN7rocprim17ROCPRIM_400000_NS6detail17trampoline_kernelINS0_14default_configENS1_22reduce_config_selectorIhEEZNS1_11reduce_implILb1ES3_N6thrust23THRUST_200600_302600_NS6detail15normal_iteratorINS8_10device_ptrIhEEEEPhh11plus_mod_10IhEEE10hipError_tPvRmT1_T2_T3_mT4_P12ihipStream_tbEUlT_E0_NS1_11comp_targetILNS1_3genE3ELNS1_11target_archE908ELNS1_3gpuE7ELNS1_3repE0EEENS1_30default_config_static_selectorELNS0_4arch9wavefront6targetE1EEEvSK_.kd
    .uniform_work_group_size: 1
    .uses_dynamic_stack: false
    .vgpr_count:     0
    .vgpr_spill_count: 0
    .wavefront_size: 64
  - .agpr_count:     0
    .args:
      - .offset:         0
        .size:           56
        .value_kind:     by_value
    .group_segment_fixed_size: 0
    .kernarg_segment_align: 8
    .kernarg_segment_size: 56
    .language:       OpenCL C
    .language_version:
      - 2
      - 0
    .max_flat_workgroup_size: 128
    .name:           _ZN7rocprim17ROCPRIM_400000_NS6detail17trampoline_kernelINS0_14default_configENS1_22reduce_config_selectorIhEEZNS1_11reduce_implILb1ES3_N6thrust23THRUST_200600_302600_NS6detail15normal_iteratorINS8_10device_ptrIhEEEEPhh11plus_mod_10IhEEE10hipError_tPvRmT1_T2_T3_mT4_P12ihipStream_tbEUlT_E0_NS1_11comp_targetILNS1_3genE2ELNS1_11target_archE906ELNS1_3gpuE6ELNS1_3repE0EEENS1_30default_config_static_selectorELNS0_4arch9wavefront6targetE1EEEvSK_
    .private_segment_fixed_size: 0
    .sgpr_count:     6
    .sgpr_spill_count: 0
    .symbol:         _ZN7rocprim17ROCPRIM_400000_NS6detail17trampoline_kernelINS0_14default_configENS1_22reduce_config_selectorIhEEZNS1_11reduce_implILb1ES3_N6thrust23THRUST_200600_302600_NS6detail15normal_iteratorINS8_10device_ptrIhEEEEPhh11plus_mod_10IhEEE10hipError_tPvRmT1_T2_T3_mT4_P12ihipStream_tbEUlT_E0_NS1_11comp_targetILNS1_3genE2ELNS1_11target_archE906ELNS1_3gpuE6ELNS1_3repE0EEENS1_30default_config_static_selectorELNS0_4arch9wavefront6targetE1EEEvSK_.kd
    .uniform_work_group_size: 1
    .uses_dynamic_stack: false
    .vgpr_count:     0
    .vgpr_spill_count: 0
    .wavefront_size: 64
  - .agpr_count:     0
    .args:
      - .offset:         0
        .size:           56
        .value_kind:     by_value
    .group_segment_fixed_size: 0
    .kernarg_segment_align: 8
    .kernarg_segment_size: 56
    .language:       OpenCL C
    .language_version:
      - 2
      - 0
    .max_flat_workgroup_size: 256
    .name:           _ZN7rocprim17ROCPRIM_400000_NS6detail17trampoline_kernelINS0_14default_configENS1_22reduce_config_selectorIhEEZNS1_11reduce_implILb1ES3_N6thrust23THRUST_200600_302600_NS6detail15normal_iteratorINS8_10device_ptrIhEEEEPhh11plus_mod_10IhEEE10hipError_tPvRmT1_T2_T3_mT4_P12ihipStream_tbEUlT_E0_NS1_11comp_targetILNS1_3genE10ELNS1_11target_archE1201ELNS1_3gpuE5ELNS1_3repE0EEENS1_30default_config_static_selectorELNS0_4arch9wavefront6targetE1EEEvSK_
    .private_segment_fixed_size: 0
    .sgpr_count:     6
    .sgpr_spill_count: 0
    .symbol:         _ZN7rocprim17ROCPRIM_400000_NS6detail17trampoline_kernelINS0_14default_configENS1_22reduce_config_selectorIhEEZNS1_11reduce_implILb1ES3_N6thrust23THRUST_200600_302600_NS6detail15normal_iteratorINS8_10device_ptrIhEEEEPhh11plus_mod_10IhEEE10hipError_tPvRmT1_T2_T3_mT4_P12ihipStream_tbEUlT_E0_NS1_11comp_targetILNS1_3genE10ELNS1_11target_archE1201ELNS1_3gpuE5ELNS1_3repE0EEENS1_30default_config_static_selectorELNS0_4arch9wavefront6targetE1EEEvSK_.kd
    .uniform_work_group_size: 1
    .uses_dynamic_stack: false
    .vgpr_count:     0
    .vgpr_spill_count: 0
    .wavefront_size: 64
  - .agpr_count:     0
    .args:
      - .offset:         0
        .size:           56
        .value_kind:     by_value
    .group_segment_fixed_size: 0
    .kernarg_segment_align: 8
    .kernarg_segment_size: 56
    .language:       OpenCL C
    .language_version:
      - 2
      - 0
    .max_flat_workgroup_size: 256
    .name:           _ZN7rocprim17ROCPRIM_400000_NS6detail17trampoline_kernelINS0_14default_configENS1_22reduce_config_selectorIhEEZNS1_11reduce_implILb1ES3_N6thrust23THRUST_200600_302600_NS6detail15normal_iteratorINS8_10device_ptrIhEEEEPhh11plus_mod_10IhEEE10hipError_tPvRmT1_T2_T3_mT4_P12ihipStream_tbEUlT_E0_NS1_11comp_targetILNS1_3genE10ELNS1_11target_archE1200ELNS1_3gpuE4ELNS1_3repE0EEENS1_30default_config_static_selectorELNS0_4arch9wavefront6targetE1EEEvSK_
    .private_segment_fixed_size: 0
    .sgpr_count:     6
    .sgpr_spill_count: 0
    .symbol:         _ZN7rocprim17ROCPRIM_400000_NS6detail17trampoline_kernelINS0_14default_configENS1_22reduce_config_selectorIhEEZNS1_11reduce_implILb1ES3_N6thrust23THRUST_200600_302600_NS6detail15normal_iteratorINS8_10device_ptrIhEEEEPhh11plus_mod_10IhEEE10hipError_tPvRmT1_T2_T3_mT4_P12ihipStream_tbEUlT_E0_NS1_11comp_targetILNS1_3genE10ELNS1_11target_archE1200ELNS1_3gpuE4ELNS1_3repE0EEENS1_30default_config_static_selectorELNS0_4arch9wavefront6targetE1EEEvSK_.kd
    .uniform_work_group_size: 1
    .uses_dynamic_stack: false
    .vgpr_count:     0
    .vgpr_spill_count: 0
    .wavefront_size: 64
  - .agpr_count:     0
    .args:
      - .offset:         0
        .size:           56
        .value_kind:     by_value
    .group_segment_fixed_size: 0
    .kernarg_segment_align: 8
    .kernarg_segment_size: 56
    .language:       OpenCL C
    .language_version:
      - 2
      - 0
    .max_flat_workgroup_size: 128
    .name:           _ZN7rocprim17ROCPRIM_400000_NS6detail17trampoline_kernelINS0_14default_configENS1_22reduce_config_selectorIhEEZNS1_11reduce_implILb1ES3_N6thrust23THRUST_200600_302600_NS6detail15normal_iteratorINS8_10device_ptrIhEEEEPhh11plus_mod_10IhEEE10hipError_tPvRmT1_T2_T3_mT4_P12ihipStream_tbEUlT_E0_NS1_11comp_targetILNS1_3genE9ELNS1_11target_archE1100ELNS1_3gpuE3ELNS1_3repE0EEENS1_30default_config_static_selectorELNS0_4arch9wavefront6targetE1EEEvSK_
    .private_segment_fixed_size: 0
    .sgpr_count:     6
    .sgpr_spill_count: 0
    .symbol:         _ZN7rocprim17ROCPRIM_400000_NS6detail17trampoline_kernelINS0_14default_configENS1_22reduce_config_selectorIhEEZNS1_11reduce_implILb1ES3_N6thrust23THRUST_200600_302600_NS6detail15normal_iteratorINS8_10device_ptrIhEEEEPhh11plus_mod_10IhEEE10hipError_tPvRmT1_T2_T3_mT4_P12ihipStream_tbEUlT_E0_NS1_11comp_targetILNS1_3genE9ELNS1_11target_archE1100ELNS1_3gpuE3ELNS1_3repE0EEENS1_30default_config_static_selectorELNS0_4arch9wavefront6targetE1EEEvSK_.kd
    .uniform_work_group_size: 1
    .uses_dynamic_stack: false
    .vgpr_count:     0
    .vgpr_spill_count: 0
    .wavefront_size: 64
  - .agpr_count:     0
    .args:
      - .offset:         0
        .size:           56
        .value_kind:     by_value
    .group_segment_fixed_size: 0
    .kernarg_segment_align: 8
    .kernarg_segment_size: 56
    .language:       OpenCL C
    .language_version:
      - 2
      - 0
    .max_flat_workgroup_size: 256
    .name:           _ZN7rocprim17ROCPRIM_400000_NS6detail17trampoline_kernelINS0_14default_configENS1_22reduce_config_selectorIhEEZNS1_11reduce_implILb1ES3_N6thrust23THRUST_200600_302600_NS6detail15normal_iteratorINS8_10device_ptrIhEEEEPhh11plus_mod_10IhEEE10hipError_tPvRmT1_T2_T3_mT4_P12ihipStream_tbEUlT_E0_NS1_11comp_targetILNS1_3genE8ELNS1_11target_archE1030ELNS1_3gpuE2ELNS1_3repE0EEENS1_30default_config_static_selectorELNS0_4arch9wavefront6targetE1EEEvSK_
    .private_segment_fixed_size: 0
    .sgpr_count:     6
    .sgpr_spill_count: 0
    .symbol:         _ZN7rocprim17ROCPRIM_400000_NS6detail17trampoline_kernelINS0_14default_configENS1_22reduce_config_selectorIhEEZNS1_11reduce_implILb1ES3_N6thrust23THRUST_200600_302600_NS6detail15normal_iteratorINS8_10device_ptrIhEEEEPhh11plus_mod_10IhEEE10hipError_tPvRmT1_T2_T3_mT4_P12ihipStream_tbEUlT_E0_NS1_11comp_targetILNS1_3genE8ELNS1_11target_archE1030ELNS1_3gpuE2ELNS1_3repE0EEENS1_30default_config_static_selectorELNS0_4arch9wavefront6targetE1EEEvSK_.kd
    .uniform_work_group_size: 1
    .uses_dynamic_stack: false
    .vgpr_count:     0
    .vgpr_spill_count: 0
    .wavefront_size: 64
  - .agpr_count:     32
    .args:
      - .offset:         0
        .size:           40
        .value_kind:     by_value
      - .offset:         40
        .size:           4
        .value_kind:     hidden_block_count_x
      - .offset:         44
        .size:           4
        .value_kind:     hidden_block_count_y
      - .offset:         48
        .size:           4
        .value_kind:     hidden_block_count_z
      - .offset:         52
        .size:           2
        .value_kind:     hidden_group_size_x
      - .offset:         54
        .size:           2
        .value_kind:     hidden_group_size_y
      - .offset:         56
        .size:           2
        .value_kind:     hidden_group_size_z
      - .offset:         58
        .size:           2
        .value_kind:     hidden_remainder_x
      - .offset:         60
        .size:           2
        .value_kind:     hidden_remainder_y
      - .offset:         62
        .size:           2
        .value_kind:     hidden_remainder_z
      - .offset:         80
        .size:           8
        .value_kind:     hidden_global_offset_x
      - .offset:         88
        .size:           8
        .value_kind:     hidden_global_offset_y
      - .offset:         96
        .size:           8
        .value_kind:     hidden_global_offset_z
      - .offset:         104
        .size:           2
        .value_kind:     hidden_grid_dims
    .group_segment_fixed_size: 36
    .kernarg_segment_align: 8
    .kernarg_segment_size: 296
    .language:       OpenCL C
    .language_version:
      - 2
      - 0
    .max_flat_workgroup_size: 256
    .name:           _ZN7rocprim17ROCPRIM_400000_NS6detail17trampoline_kernelINS0_14default_configENS1_22reduce_config_selectorIhEEZNS1_11reduce_implILb1ES3_N6thrust23THRUST_200600_302600_NS6detail15normal_iteratorINS8_10device_ptrIhEEEEPhh11plus_mod_10IhEEE10hipError_tPvRmT1_T2_T3_mT4_P12ihipStream_tbEUlT_E1_NS1_11comp_targetILNS1_3genE0ELNS1_11target_archE4294967295ELNS1_3gpuE0ELNS1_3repE0EEENS1_30default_config_static_selectorELNS0_4arch9wavefront6targetE1EEEvSK_
    .private_segment_fixed_size: 116
    .sgpr_count:     106
    .sgpr_spill_count: 0
    .symbol:         _ZN7rocprim17ROCPRIM_400000_NS6detail17trampoline_kernelINS0_14default_configENS1_22reduce_config_selectorIhEEZNS1_11reduce_implILb1ES3_N6thrust23THRUST_200600_302600_NS6detail15normal_iteratorINS8_10device_ptrIhEEEEPhh11plus_mod_10IhEEE10hipError_tPvRmT1_T2_T3_mT4_P12ihipStream_tbEUlT_E1_NS1_11comp_targetILNS1_3genE0ELNS1_11target_archE4294967295ELNS1_3gpuE0ELNS1_3repE0EEENS1_30default_config_static_selectorELNS0_4arch9wavefront6targetE1EEEvSK_.kd
    .uniform_work_group_size: 1
    .uses_dynamic_stack: false
    .vgpr_count:     264
    .vgpr_spill_count: 0
    .wavefront_size: 64
  - .agpr_count:     0
    .args:
      - .offset:         0
        .size:           40
        .value_kind:     by_value
    .group_segment_fixed_size: 0
    .kernarg_segment_align: 8
    .kernarg_segment_size: 40
    .language:       OpenCL C
    .language_version:
      - 2
      - 0
    .max_flat_workgroup_size: 256
    .name:           _ZN7rocprim17ROCPRIM_400000_NS6detail17trampoline_kernelINS0_14default_configENS1_22reduce_config_selectorIhEEZNS1_11reduce_implILb1ES3_N6thrust23THRUST_200600_302600_NS6detail15normal_iteratorINS8_10device_ptrIhEEEEPhh11plus_mod_10IhEEE10hipError_tPvRmT1_T2_T3_mT4_P12ihipStream_tbEUlT_E1_NS1_11comp_targetILNS1_3genE5ELNS1_11target_archE942ELNS1_3gpuE9ELNS1_3repE0EEENS1_30default_config_static_selectorELNS0_4arch9wavefront6targetE1EEEvSK_
    .private_segment_fixed_size: 0
    .sgpr_count:     6
    .sgpr_spill_count: 0
    .symbol:         _ZN7rocprim17ROCPRIM_400000_NS6detail17trampoline_kernelINS0_14default_configENS1_22reduce_config_selectorIhEEZNS1_11reduce_implILb1ES3_N6thrust23THRUST_200600_302600_NS6detail15normal_iteratorINS8_10device_ptrIhEEEEPhh11plus_mod_10IhEEE10hipError_tPvRmT1_T2_T3_mT4_P12ihipStream_tbEUlT_E1_NS1_11comp_targetILNS1_3genE5ELNS1_11target_archE942ELNS1_3gpuE9ELNS1_3repE0EEENS1_30default_config_static_selectorELNS0_4arch9wavefront6targetE1EEEvSK_.kd
    .uniform_work_group_size: 1
    .uses_dynamic_stack: false
    .vgpr_count:     0
    .vgpr_spill_count: 0
    .wavefront_size: 64
  - .agpr_count:     0
    .args:
      - .offset:         0
        .size:           40
        .value_kind:     by_value
    .group_segment_fixed_size: 0
    .kernarg_segment_align: 8
    .kernarg_segment_size: 40
    .language:       OpenCL C
    .language_version:
      - 2
      - 0
    .max_flat_workgroup_size: 128
    .name:           _ZN7rocprim17ROCPRIM_400000_NS6detail17trampoline_kernelINS0_14default_configENS1_22reduce_config_selectorIhEEZNS1_11reduce_implILb1ES3_N6thrust23THRUST_200600_302600_NS6detail15normal_iteratorINS8_10device_ptrIhEEEEPhh11plus_mod_10IhEEE10hipError_tPvRmT1_T2_T3_mT4_P12ihipStream_tbEUlT_E1_NS1_11comp_targetILNS1_3genE4ELNS1_11target_archE910ELNS1_3gpuE8ELNS1_3repE0EEENS1_30default_config_static_selectorELNS0_4arch9wavefront6targetE1EEEvSK_
    .private_segment_fixed_size: 0
    .sgpr_count:     6
    .sgpr_spill_count: 0
    .symbol:         _ZN7rocprim17ROCPRIM_400000_NS6detail17trampoline_kernelINS0_14default_configENS1_22reduce_config_selectorIhEEZNS1_11reduce_implILb1ES3_N6thrust23THRUST_200600_302600_NS6detail15normal_iteratorINS8_10device_ptrIhEEEEPhh11plus_mod_10IhEEE10hipError_tPvRmT1_T2_T3_mT4_P12ihipStream_tbEUlT_E1_NS1_11comp_targetILNS1_3genE4ELNS1_11target_archE910ELNS1_3gpuE8ELNS1_3repE0EEENS1_30default_config_static_selectorELNS0_4arch9wavefront6targetE1EEEvSK_.kd
    .uniform_work_group_size: 1
    .uses_dynamic_stack: false
    .vgpr_count:     0
    .vgpr_spill_count: 0
    .wavefront_size: 64
  - .agpr_count:     0
    .args:
      - .offset:         0
        .size:           40
        .value_kind:     by_value
    .group_segment_fixed_size: 0
    .kernarg_segment_align: 8
    .kernarg_segment_size: 40
    .language:       OpenCL C
    .language_version:
      - 2
      - 0
    .max_flat_workgroup_size: 256
    .name:           _ZN7rocprim17ROCPRIM_400000_NS6detail17trampoline_kernelINS0_14default_configENS1_22reduce_config_selectorIhEEZNS1_11reduce_implILb1ES3_N6thrust23THRUST_200600_302600_NS6detail15normal_iteratorINS8_10device_ptrIhEEEEPhh11plus_mod_10IhEEE10hipError_tPvRmT1_T2_T3_mT4_P12ihipStream_tbEUlT_E1_NS1_11comp_targetILNS1_3genE3ELNS1_11target_archE908ELNS1_3gpuE7ELNS1_3repE0EEENS1_30default_config_static_selectorELNS0_4arch9wavefront6targetE1EEEvSK_
    .private_segment_fixed_size: 0
    .sgpr_count:     6
    .sgpr_spill_count: 0
    .symbol:         _ZN7rocprim17ROCPRIM_400000_NS6detail17trampoline_kernelINS0_14default_configENS1_22reduce_config_selectorIhEEZNS1_11reduce_implILb1ES3_N6thrust23THRUST_200600_302600_NS6detail15normal_iteratorINS8_10device_ptrIhEEEEPhh11plus_mod_10IhEEE10hipError_tPvRmT1_T2_T3_mT4_P12ihipStream_tbEUlT_E1_NS1_11comp_targetILNS1_3genE3ELNS1_11target_archE908ELNS1_3gpuE7ELNS1_3repE0EEENS1_30default_config_static_selectorELNS0_4arch9wavefront6targetE1EEEvSK_.kd
    .uniform_work_group_size: 1
    .uses_dynamic_stack: false
    .vgpr_count:     0
    .vgpr_spill_count: 0
    .wavefront_size: 64
  - .agpr_count:     0
    .args:
      - .offset:         0
        .size:           40
        .value_kind:     by_value
    .group_segment_fixed_size: 0
    .kernarg_segment_align: 8
    .kernarg_segment_size: 40
    .language:       OpenCL C
    .language_version:
      - 2
      - 0
    .max_flat_workgroup_size: 128
    .name:           _ZN7rocprim17ROCPRIM_400000_NS6detail17trampoline_kernelINS0_14default_configENS1_22reduce_config_selectorIhEEZNS1_11reduce_implILb1ES3_N6thrust23THRUST_200600_302600_NS6detail15normal_iteratorINS8_10device_ptrIhEEEEPhh11plus_mod_10IhEEE10hipError_tPvRmT1_T2_T3_mT4_P12ihipStream_tbEUlT_E1_NS1_11comp_targetILNS1_3genE2ELNS1_11target_archE906ELNS1_3gpuE6ELNS1_3repE0EEENS1_30default_config_static_selectorELNS0_4arch9wavefront6targetE1EEEvSK_
    .private_segment_fixed_size: 0
    .sgpr_count:     6
    .sgpr_spill_count: 0
    .symbol:         _ZN7rocprim17ROCPRIM_400000_NS6detail17trampoline_kernelINS0_14default_configENS1_22reduce_config_selectorIhEEZNS1_11reduce_implILb1ES3_N6thrust23THRUST_200600_302600_NS6detail15normal_iteratorINS8_10device_ptrIhEEEEPhh11plus_mod_10IhEEE10hipError_tPvRmT1_T2_T3_mT4_P12ihipStream_tbEUlT_E1_NS1_11comp_targetILNS1_3genE2ELNS1_11target_archE906ELNS1_3gpuE6ELNS1_3repE0EEENS1_30default_config_static_selectorELNS0_4arch9wavefront6targetE1EEEvSK_.kd
    .uniform_work_group_size: 1
    .uses_dynamic_stack: false
    .vgpr_count:     0
    .vgpr_spill_count: 0
    .wavefront_size: 64
  - .agpr_count:     0
    .args:
      - .offset:         0
        .size:           40
        .value_kind:     by_value
    .group_segment_fixed_size: 0
    .kernarg_segment_align: 8
    .kernarg_segment_size: 40
    .language:       OpenCL C
    .language_version:
      - 2
      - 0
    .max_flat_workgroup_size: 256
    .name:           _ZN7rocprim17ROCPRIM_400000_NS6detail17trampoline_kernelINS0_14default_configENS1_22reduce_config_selectorIhEEZNS1_11reduce_implILb1ES3_N6thrust23THRUST_200600_302600_NS6detail15normal_iteratorINS8_10device_ptrIhEEEEPhh11plus_mod_10IhEEE10hipError_tPvRmT1_T2_T3_mT4_P12ihipStream_tbEUlT_E1_NS1_11comp_targetILNS1_3genE10ELNS1_11target_archE1201ELNS1_3gpuE5ELNS1_3repE0EEENS1_30default_config_static_selectorELNS0_4arch9wavefront6targetE1EEEvSK_
    .private_segment_fixed_size: 0
    .sgpr_count:     6
    .sgpr_spill_count: 0
    .symbol:         _ZN7rocprim17ROCPRIM_400000_NS6detail17trampoline_kernelINS0_14default_configENS1_22reduce_config_selectorIhEEZNS1_11reduce_implILb1ES3_N6thrust23THRUST_200600_302600_NS6detail15normal_iteratorINS8_10device_ptrIhEEEEPhh11plus_mod_10IhEEE10hipError_tPvRmT1_T2_T3_mT4_P12ihipStream_tbEUlT_E1_NS1_11comp_targetILNS1_3genE10ELNS1_11target_archE1201ELNS1_3gpuE5ELNS1_3repE0EEENS1_30default_config_static_selectorELNS0_4arch9wavefront6targetE1EEEvSK_.kd
    .uniform_work_group_size: 1
    .uses_dynamic_stack: false
    .vgpr_count:     0
    .vgpr_spill_count: 0
    .wavefront_size: 64
  - .agpr_count:     0
    .args:
      - .offset:         0
        .size:           40
        .value_kind:     by_value
    .group_segment_fixed_size: 0
    .kernarg_segment_align: 8
    .kernarg_segment_size: 40
    .language:       OpenCL C
    .language_version:
      - 2
      - 0
    .max_flat_workgroup_size: 256
    .name:           _ZN7rocprim17ROCPRIM_400000_NS6detail17trampoline_kernelINS0_14default_configENS1_22reduce_config_selectorIhEEZNS1_11reduce_implILb1ES3_N6thrust23THRUST_200600_302600_NS6detail15normal_iteratorINS8_10device_ptrIhEEEEPhh11plus_mod_10IhEEE10hipError_tPvRmT1_T2_T3_mT4_P12ihipStream_tbEUlT_E1_NS1_11comp_targetILNS1_3genE10ELNS1_11target_archE1200ELNS1_3gpuE4ELNS1_3repE0EEENS1_30default_config_static_selectorELNS0_4arch9wavefront6targetE1EEEvSK_
    .private_segment_fixed_size: 0
    .sgpr_count:     6
    .sgpr_spill_count: 0
    .symbol:         _ZN7rocprim17ROCPRIM_400000_NS6detail17trampoline_kernelINS0_14default_configENS1_22reduce_config_selectorIhEEZNS1_11reduce_implILb1ES3_N6thrust23THRUST_200600_302600_NS6detail15normal_iteratorINS8_10device_ptrIhEEEEPhh11plus_mod_10IhEEE10hipError_tPvRmT1_T2_T3_mT4_P12ihipStream_tbEUlT_E1_NS1_11comp_targetILNS1_3genE10ELNS1_11target_archE1200ELNS1_3gpuE4ELNS1_3repE0EEENS1_30default_config_static_selectorELNS0_4arch9wavefront6targetE1EEEvSK_.kd
    .uniform_work_group_size: 1
    .uses_dynamic_stack: false
    .vgpr_count:     0
    .vgpr_spill_count: 0
    .wavefront_size: 64
  - .agpr_count:     0
    .args:
      - .offset:         0
        .size:           40
        .value_kind:     by_value
    .group_segment_fixed_size: 0
    .kernarg_segment_align: 8
    .kernarg_segment_size: 40
    .language:       OpenCL C
    .language_version:
      - 2
      - 0
    .max_flat_workgroup_size: 128
    .name:           _ZN7rocprim17ROCPRIM_400000_NS6detail17trampoline_kernelINS0_14default_configENS1_22reduce_config_selectorIhEEZNS1_11reduce_implILb1ES3_N6thrust23THRUST_200600_302600_NS6detail15normal_iteratorINS8_10device_ptrIhEEEEPhh11plus_mod_10IhEEE10hipError_tPvRmT1_T2_T3_mT4_P12ihipStream_tbEUlT_E1_NS1_11comp_targetILNS1_3genE9ELNS1_11target_archE1100ELNS1_3gpuE3ELNS1_3repE0EEENS1_30default_config_static_selectorELNS0_4arch9wavefront6targetE1EEEvSK_
    .private_segment_fixed_size: 0
    .sgpr_count:     6
    .sgpr_spill_count: 0
    .symbol:         _ZN7rocprim17ROCPRIM_400000_NS6detail17trampoline_kernelINS0_14default_configENS1_22reduce_config_selectorIhEEZNS1_11reduce_implILb1ES3_N6thrust23THRUST_200600_302600_NS6detail15normal_iteratorINS8_10device_ptrIhEEEEPhh11plus_mod_10IhEEE10hipError_tPvRmT1_T2_T3_mT4_P12ihipStream_tbEUlT_E1_NS1_11comp_targetILNS1_3genE9ELNS1_11target_archE1100ELNS1_3gpuE3ELNS1_3repE0EEENS1_30default_config_static_selectorELNS0_4arch9wavefront6targetE1EEEvSK_.kd
    .uniform_work_group_size: 1
    .uses_dynamic_stack: false
    .vgpr_count:     0
    .vgpr_spill_count: 0
    .wavefront_size: 64
  - .agpr_count:     0
    .args:
      - .offset:         0
        .size:           40
        .value_kind:     by_value
    .group_segment_fixed_size: 0
    .kernarg_segment_align: 8
    .kernarg_segment_size: 40
    .language:       OpenCL C
    .language_version:
      - 2
      - 0
    .max_flat_workgroup_size: 256
    .name:           _ZN7rocprim17ROCPRIM_400000_NS6detail17trampoline_kernelINS0_14default_configENS1_22reduce_config_selectorIhEEZNS1_11reduce_implILb1ES3_N6thrust23THRUST_200600_302600_NS6detail15normal_iteratorINS8_10device_ptrIhEEEEPhh11plus_mod_10IhEEE10hipError_tPvRmT1_T2_T3_mT4_P12ihipStream_tbEUlT_E1_NS1_11comp_targetILNS1_3genE8ELNS1_11target_archE1030ELNS1_3gpuE2ELNS1_3repE0EEENS1_30default_config_static_selectorELNS0_4arch9wavefront6targetE1EEEvSK_
    .private_segment_fixed_size: 0
    .sgpr_count:     6
    .sgpr_spill_count: 0
    .symbol:         _ZN7rocprim17ROCPRIM_400000_NS6detail17trampoline_kernelINS0_14default_configENS1_22reduce_config_selectorIhEEZNS1_11reduce_implILb1ES3_N6thrust23THRUST_200600_302600_NS6detail15normal_iteratorINS8_10device_ptrIhEEEEPhh11plus_mod_10IhEEE10hipError_tPvRmT1_T2_T3_mT4_P12ihipStream_tbEUlT_E1_NS1_11comp_targetILNS1_3genE8ELNS1_11target_archE1030ELNS1_3gpuE2ELNS1_3repE0EEENS1_30default_config_static_selectorELNS0_4arch9wavefront6targetE1EEEvSK_.kd
    .uniform_work_group_size: 1
    .uses_dynamic_stack: false
    .vgpr_count:     0
    .vgpr_spill_count: 0
    .wavefront_size: 64
  - .agpr_count:     0
    .args:
      - .offset:         0
        .size:           64
        .value_kind:     by_value
    .group_segment_fixed_size: 64
    .kernarg_segment_align: 8
    .kernarg_segment_size: 64
    .language:       OpenCL C
    .language_version:
      - 2
      - 0
    .max_flat_workgroup_size: 256
    .name:           _ZN7rocprim17ROCPRIM_400000_NS6detail17trampoline_kernelINS0_14default_configENS1_22reduce_config_selectorIdEEZNS1_11reduce_implILb1ES3_PdS7_d9plus_mod3IdEEE10hipError_tPvRmT1_T2_T3_mT4_P12ihipStream_tbEUlT_E0_NS1_11comp_targetILNS1_3genE0ELNS1_11target_archE4294967295ELNS1_3gpuE0ELNS1_3repE0EEENS1_30default_config_static_selectorELNS0_4arch9wavefront6targetE1EEEvSD_
    .private_segment_fixed_size: 0
    .sgpr_count:     58
    .sgpr_spill_count: 0
    .symbol:         _ZN7rocprim17ROCPRIM_400000_NS6detail17trampoline_kernelINS0_14default_configENS1_22reduce_config_selectorIdEEZNS1_11reduce_implILb1ES3_PdS7_d9plus_mod3IdEEE10hipError_tPvRmT1_T2_T3_mT4_P12ihipStream_tbEUlT_E0_NS1_11comp_targetILNS1_3genE0ELNS1_11target_archE4294967295ELNS1_3gpuE0ELNS1_3repE0EEENS1_30default_config_static_selectorELNS0_4arch9wavefront6targetE1EEEvSD_.kd
    .uniform_work_group_size: 1
    .uses_dynamic_stack: false
    .vgpr_count:     68
    .vgpr_spill_count: 0
    .wavefront_size: 64
  - .agpr_count:     0
    .args:
      - .offset:         0
        .size:           64
        .value_kind:     by_value
    .group_segment_fixed_size: 0
    .kernarg_segment_align: 8
    .kernarg_segment_size: 64
    .language:       OpenCL C
    .language_version:
      - 2
      - 0
    .max_flat_workgroup_size: 256
    .name:           _ZN7rocprim17ROCPRIM_400000_NS6detail17trampoline_kernelINS0_14default_configENS1_22reduce_config_selectorIdEEZNS1_11reduce_implILb1ES3_PdS7_d9plus_mod3IdEEE10hipError_tPvRmT1_T2_T3_mT4_P12ihipStream_tbEUlT_E0_NS1_11comp_targetILNS1_3genE5ELNS1_11target_archE942ELNS1_3gpuE9ELNS1_3repE0EEENS1_30default_config_static_selectorELNS0_4arch9wavefront6targetE1EEEvSD_
    .private_segment_fixed_size: 0
    .sgpr_count:     6
    .sgpr_spill_count: 0
    .symbol:         _ZN7rocprim17ROCPRIM_400000_NS6detail17trampoline_kernelINS0_14default_configENS1_22reduce_config_selectorIdEEZNS1_11reduce_implILb1ES3_PdS7_d9plus_mod3IdEEE10hipError_tPvRmT1_T2_T3_mT4_P12ihipStream_tbEUlT_E0_NS1_11comp_targetILNS1_3genE5ELNS1_11target_archE942ELNS1_3gpuE9ELNS1_3repE0EEENS1_30default_config_static_selectorELNS0_4arch9wavefront6targetE1EEEvSD_.kd
    .uniform_work_group_size: 1
    .uses_dynamic_stack: false
    .vgpr_count:     0
    .vgpr_spill_count: 0
    .wavefront_size: 64
  - .agpr_count:     0
    .args:
      - .offset:         0
        .size:           64
        .value_kind:     by_value
    .group_segment_fixed_size: 0
    .kernarg_segment_align: 8
    .kernarg_segment_size: 64
    .language:       OpenCL C
    .language_version:
      - 2
      - 0
    .max_flat_workgroup_size: 256
    .name:           _ZN7rocprim17ROCPRIM_400000_NS6detail17trampoline_kernelINS0_14default_configENS1_22reduce_config_selectorIdEEZNS1_11reduce_implILb1ES3_PdS7_d9plus_mod3IdEEE10hipError_tPvRmT1_T2_T3_mT4_P12ihipStream_tbEUlT_E0_NS1_11comp_targetILNS1_3genE4ELNS1_11target_archE910ELNS1_3gpuE8ELNS1_3repE0EEENS1_30default_config_static_selectorELNS0_4arch9wavefront6targetE1EEEvSD_
    .private_segment_fixed_size: 0
    .sgpr_count:     6
    .sgpr_spill_count: 0
    .symbol:         _ZN7rocprim17ROCPRIM_400000_NS6detail17trampoline_kernelINS0_14default_configENS1_22reduce_config_selectorIdEEZNS1_11reduce_implILb1ES3_PdS7_d9plus_mod3IdEEE10hipError_tPvRmT1_T2_T3_mT4_P12ihipStream_tbEUlT_E0_NS1_11comp_targetILNS1_3genE4ELNS1_11target_archE910ELNS1_3gpuE8ELNS1_3repE0EEENS1_30default_config_static_selectorELNS0_4arch9wavefront6targetE1EEEvSD_.kd
    .uniform_work_group_size: 1
    .uses_dynamic_stack: false
    .vgpr_count:     0
    .vgpr_spill_count: 0
    .wavefront_size: 64
  - .agpr_count:     0
    .args:
      - .offset:         0
        .size:           64
        .value_kind:     by_value
    .group_segment_fixed_size: 0
    .kernarg_segment_align: 8
    .kernarg_segment_size: 64
    .language:       OpenCL C
    .language_version:
      - 2
      - 0
    .max_flat_workgroup_size: 256
    .name:           _ZN7rocprim17ROCPRIM_400000_NS6detail17trampoline_kernelINS0_14default_configENS1_22reduce_config_selectorIdEEZNS1_11reduce_implILb1ES3_PdS7_d9plus_mod3IdEEE10hipError_tPvRmT1_T2_T3_mT4_P12ihipStream_tbEUlT_E0_NS1_11comp_targetILNS1_3genE3ELNS1_11target_archE908ELNS1_3gpuE7ELNS1_3repE0EEENS1_30default_config_static_selectorELNS0_4arch9wavefront6targetE1EEEvSD_
    .private_segment_fixed_size: 0
    .sgpr_count:     6
    .sgpr_spill_count: 0
    .symbol:         _ZN7rocprim17ROCPRIM_400000_NS6detail17trampoline_kernelINS0_14default_configENS1_22reduce_config_selectorIdEEZNS1_11reduce_implILb1ES3_PdS7_d9plus_mod3IdEEE10hipError_tPvRmT1_T2_T3_mT4_P12ihipStream_tbEUlT_E0_NS1_11comp_targetILNS1_3genE3ELNS1_11target_archE908ELNS1_3gpuE7ELNS1_3repE0EEENS1_30default_config_static_selectorELNS0_4arch9wavefront6targetE1EEEvSD_.kd
    .uniform_work_group_size: 1
    .uses_dynamic_stack: false
    .vgpr_count:     0
    .vgpr_spill_count: 0
    .wavefront_size: 64
  - .agpr_count:     0
    .args:
      - .offset:         0
        .size:           64
        .value_kind:     by_value
    .group_segment_fixed_size: 0
    .kernarg_segment_align: 8
    .kernarg_segment_size: 64
    .language:       OpenCL C
    .language_version:
      - 2
      - 0
    .max_flat_workgroup_size: 128
    .name:           _ZN7rocprim17ROCPRIM_400000_NS6detail17trampoline_kernelINS0_14default_configENS1_22reduce_config_selectorIdEEZNS1_11reduce_implILb1ES3_PdS7_d9plus_mod3IdEEE10hipError_tPvRmT1_T2_T3_mT4_P12ihipStream_tbEUlT_E0_NS1_11comp_targetILNS1_3genE2ELNS1_11target_archE906ELNS1_3gpuE6ELNS1_3repE0EEENS1_30default_config_static_selectorELNS0_4arch9wavefront6targetE1EEEvSD_
    .private_segment_fixed_size: 0
    .sgpr_count:     6
    .sgpr_spill_count: 0
    .symbol:         _ZN7rocprim17ROCPRIM_400000_NS6detail17trampoline_kernelINS0_14default_configENS1_22reduce_config_selectorIdEEZNS1_11reduce_implILb1ES3_PdS7_d9plus_mod3IdEEE10hipError_tPvRmT1_T2_T3_mT4_P12ihipStream_tbEUlT_E0_NS1_11comp_targetILNS1_3genE2ELNS1_11target_archE906ELNS1_3gpuE6ELNS1_3repE0EEENS1_30default_config_static_selectorELNS0_4arch9wavefront6targetE1EEEvSD_.kd
    .uniform_work_group_size: 1
    .uses_dynamic_stack: false
    .vgpr_count:     0
    .vgpr_spill_count: 0
    .wavefront_size: 64
  - .agpr_count:     0
    .args:
      - .offset:         0
        .size:           64
        .value_kind:     by_value
    .group_segment_fixed_size: 0
    .kernarg_segment_align: 8
    .kernarg_segment_size: 64
    .language:       OpenCL C
    .language_version:
      - 2
      - 0
    .max_flat_workgroup_size: 256
    .name:           _ZN7rocprim17ROCPRIM_400000_NS6detail17trampoline_kernelINS0_14default_configENS1_22reduce_config_selectorIdEEZNS1_11reduce_implILb1ES3_PdS7_d9plus_mod3IdEEE10hipError_tPvRmT1_T2_T3_mT4_P12ihipStream_tbEUlT_E0_NS1_11comp_targetILNS1_3genE10ELNS1_11target_archE1201ELNS1_3gpuE5ELNS1_3repE0EEENS1_30default_config_static_selectorELNS0_4arch9wavefront6targetE1EEEvSD_
    .private_segment_fixed_size: 0
    .sgpr_count:     6
    .sgpr_spill_count: 0
    .symbol:         _ZN7rocprim17ROCPRIM_400000_NS6detail17trampoline_kernelINS0_14default_configENS1_22reduce_config_selectorIdEEZNS1_11reduce_implILb1ES3_PdS7_d9plus_mod3IdEEE10hipError_tPvRmT1_T2_T3_mT4_P12ihipStream_tbEUlT_E0_NS1_11comp_targetILNS1_3genE10ELNS1_11target_archE1201ELNS1_3gpuE5ELNS1_3repE0EEENS1_30default_config_static_selectorELNS0_4arch9wavefront6targetE1EEEvSD_.kd
    .uniform_work_group_size: 1
    .uses_dynamic_stack: false
    .vgpr_count:     0
    .vgpr_spill_count: 0
    .wavefront_size: 64
  - .agpr_count:     0
    .args:
      - .offset:         0
        .size:           64
        .value_kind:     by_value
    .group_segment_fixed_size: 0
    .kernarg_segment_align: 8
    .kernarg_segment_size: 64
    .language:       OpenCL C
    .language_version:
      - 2
      - 0
    .max_flat_workgroup_size: 256
    .name:           _ZN7rocprim17ROCPRIM_400000_NS6detail17trampoline_kernelINS0_14default_configENS1_22reduce_config_selectorIdEEZNS1_11reduce_implILb1ES3_PdS7_d9plus_mod3IdEEE10hipError_tPvRmT1_T2_T3_mT4_P12ihipStream_tbEUlT_E0_NS1_11comp_targetILNS1_3genE10ELNS1_11target_archE1200ELNS1_3gpuE4ELNS1_3repE0EEENS1_30default_config_static_selectorELNS0_4arch9wavefront6targetE1EEEvSD_
    .private_segment_fixed_size: 0
    .sgpr_count:     6
    .sgpr_spill_count: 0
    .symbol:         _ZN7rocprim17ROCPRIM_400000_NS6detail17trampoline_kernelINS0_14default_configENS1_22reduce_config_selectorIdEEZNS1_11reduce_implILb1ES3_PdS7_d9plus_mod3IdEEE10hipError_tPvRmT1_T2_T3_mT4_P12ihipStream_tbEUlT_E0_NS1_11comp_targetILNS1_3genE10ELNS1_11target_archE1200ELNS1_3gpuE4ELNS1_3repE0EEENS1_30default_config_static_selectorELNS0_4arch9wavefront6targetE1EEEvSD_.kd
    .uniform_work_group_size: 1
    .uses_dynamic_stack: false
    .vgpr_count:     0
    .vgpr_spill_count: 0
    .wavefront_size: 64
  - .agpr_count:     0
    .args:
      - .offset:         0
        .size:           64
        .value_kind:     by_value
    .group_segment_fixed_size: 0
    .kernarg_segment_align: 8
    .kernarg_segment_size: 64
    .language:       OpenCL C
    .language_version:
      - 2
      - 0
    .max_flat_workgroup_size: 256
    .name:           _ZN7rocprim17ROCPRIM_400000_NS6detail17trampoline_kernelINS0_14default_configENS1_22reduce_config_selectorIdEEZNS1_11reduce_implILb1ES3_PdS7_d9plus_mod3IdEEE10hipError_tPvRmT1_T2_T3_mT4_P12ihipStream_tbEUlT_E0_NS1_11comp_targetILNS1_3genE9ELNS1_11target_archE1100ELNS1_3gpuE3ELNS1_3repE0EEENS1_30default_config_static_selectorELNS0_4arch9wavefront6targetE1EEEvSD_
    .private_segment_fixed_size: 0
    .sgpr_count:     6
    .sgpr_spill_count: 0
    .symbol:         _ZN7rocprim17ROCPRIM_400000_NS6detail17trampoline_kernelINS0_14default_configENS1_22reduce_config_selectorIdEEZNS1_11reduce_implILb1ES3_PdS7_d9plus_mod3IdEEE10hipError_tPvRmT1_T2_T3_mT4_P12ihipStream_tbEUlT_E0_NS1_11comp_targetILNS1_3genE9ELNS1_11target_archE1100ELNS1_3gpuE3ELNS1_3repE0EEENS1_30default_config_static_selectorELNS0_4arch9wavefront6targetE1EEEvSD_.kd
    .uniform_work_group_size: 1
    .uses_dynamic_stack: false
    .vgpr_count:     0
    .vgpr_spill_count: 0
    .wavefront_size: 64
  - .agpr_count:     0
    .args:
      - .offset:         0
        .size:           64
        .value_kind:     by_value
    .group_segment_fixed_size: 0
    .kernarg_segment_align: 8
    .kernarg_segment_size: 64
    .language:       OpenCL C
    .language_version:
      - 2
      - 0
    .max_flat_workgroup_size: 256
    .name:           _ZN7rocprim17ROCPRIM_400000_NS6detail17trampoline_kernelINS0_14default_configENS1_22reduce_config_selectorIdEEZNS1_11reduce_implILb1ES3_PdS7_d9plus_mod3IdEEE10hipError_tPvRmT1_T2_T3_mT4_P12ihipStream_tbEUlT_E0_NS1_11comp_targetILNS1_3genE8ELNS1_11target_archE1030ELNS1_3gpuE2ELNS1_3repE0EEENS1_30default_config_static_selectorELNS0_4arch9wavefront6targetE1EEEvSD_
    .private_segment_fixed_size: 0
    .sgpr_count:     6
    .sgpr_spill_count: 0
    .symbol:         _ZN7rocprim17ROCPRIM_400000_NS6detail17trampoline_kernelINS0_14default_configENS1_22reduce_config_selectorIdEEZNS1_11reduce_implILb1ES3_PdS7_d9plus_mod3IdEEE10hipError_tPvRmT1_T2_T3_mT4_P12ihipStream_tbEUlT_E0_NS1_11comp_targetILNS1_3genE8ELNS1_11target_archE1030ELNS1_3gpuE2ELNS1_3repE0EEENS1_30default_config_static_selectorELNS0_4arch9wavefront6targetE1EEEvSD_.kd
    .uniform_work_group_size: 1
    .uses_dynamic_stack: false
    .vgpr_count:     0
    .vgpr_spill_count: 0
    .wavefront_size: 64
  - .agpr_count:     0
    .args:
      - .offset:         0
        .size:           48
        .value_kind:     by_value
    .group_segment_fixed_size: 192
    .kernarg_segment_align: 8
    .kernarg_segment_size: 48
    .language:       OpenCL C
    .language_version:
      - 2
      - 0
    .max_flat_workgroup_size: 256
    .name:           _ZN7rocprim17ROCPRIM_400000_NS6detail17trampoline_kernelINS0_14default_configENS1_22reduce_config_selectorIdEEZNS1_11reduce_implILb1ES3_PdS7_d9plus_mod3IdEEE10hipError_tPvRmT1_T2_T3_mT4_P12ihipStream_tbEUlT_E1_NS1_11comp_targetILNS1_3genE0ELNS1_11target_archE4294967295ELNS1_3gpuE0ELNS1_3repE0EEENS1_30default_config_static_selectorELNS0_4arch9wavefront6targetE1EEEvSD_
    .private_segment_fixed_size: 0
    .sgpr_count:     57
    .sgpr_spill_count: 0
    .symbol:         _ZN7rocprim17ROCPRIM_400000_NS6detail17trampoline_kernelINS0_14default_configENS1_22reduce_config_selectorIdEEZNS1_11reduce_implILb1ES3_PdS7_d9plus_mod3IdEEE10hipError_tPvRmT1_T2_T3_mT4_P12ihipStream_tbEUlT_E1_NS1_11comp_targetILNS1_3genE0ELNS1_11target_archE4294967295ELNS1_3gpuE0ELNS1_3repE0EEENS1_30default_config_static_selectorELNS0_4arch9wavefront6targetE1EEEvSD_.kd
    .uniform_work_group_size: 1
    .uses_dynamic_stack: false
    .vgpr_count:     36
    .vgpr_spill_count: 0
    .wavefront_size: 64
  - .agpr_count:     0
    .args:
      - .offset:         0
        .size:           48
        .value_kind:     by_value
    .group_segment_fixed_size: 0
    .kernarg_segment_align: 8
    .kernarg_segment_size: 48
    .language:       OpenCL C
    .language_version:
      - 2
      - 0
    .max_flat_workgroup_size: 256
    .name:           _ZN7rocprim17ROCPRIM_400000_NS6detail17trampoline_kernelINS0_14default_configENS1_22reduce_config_selectorIdEEZNS1_11reduce_implILb1ES3_PdS7_d9plus_mod3IdEEE10hipError_tPvRmT1_T2_T3_mT4_P12ihipStream_tbEUlT_E1_NS1_11comp_targetILNS1_3genE5ELNS1_11target_archE942ELNS1_3gpuE9ELNS1_3repE0EEENS1_30default_config_static_selectorELNS0_4arch9wavefront6targetE1EEEvSD_
    .private_segment_fixed_size: 0
    .sgpr_count:     6
    .sgpr_spill_count: 0
    .symbol:         _ZN7rocprim17ROCPRIM_400000_NS6detail17trampoline_kernelINS0_14default_configENS1_22reduce_config_selectorIdEEZNS1_11reduce_implILb1ES3_PdS7_d9plus_mod3IdEEE10hipError_tPvRmT1_T2_T3_mT4_P12ihipStream_tbEUlT_E1_NS1_11comp_targetILNS1_3genE5ELNS1_11target_archE942ELNS1_3gpuE9ELNS1_3repE0EEENS1_30default_config_static_selectorELNS0_4arch9wavefront6targetE1EEEvSD_.kd
    .uniform_work_group_size: 1
    .uses_dynamic_stack: false
    .vgpr_count:     0
    .vgpr_spill_count: 0
    .wavefront_size: 64
  - .agpr_count:     0
    .args:
      - .offset:         0
        .size:           48
        .value_kind:     by_value
    .group_segment_fixed_size: 0
    .kernarg_segment_align: 8
    .kernarg_segment_size: 48
    .language:       OpenCL C
    .language_version:
      - 2
      - 0
    .max_flat_workgroup_size: 256
    .name:           _ZN7rocprim17ROCPRIM_400000_NS6detail17trampoline_kernelINS0_14default_configENS1_22reduce_config_selectorIdEEZNS1_11reduce_implILb1ES3_PdS7_d9plus_mod3IdEEE10hipError_tPvRmT1_T2_T3_mT4_P12ihipStream_tbEUlT_E1_NS1_11comp_targetILNS1_3genE4ELNS1_11target_archE910ELNS1_3gpuE8ELNS1_3repE0EEENS1_30default_config_static_selectorELNS0_4arch9wavefront6targetE1EEEvSD_
    .private_segment_fixed_size: 0
    .sgpr_count:     6
    .sgpr_spill_count: 0
    .symbol:         _ZN7rocprim17ROCPRIM_400000_NS6detail17trampoline_kernelINS0_14default_configENS1_22reduce_config_selectorIdEEZNS1_11reduce_implILb1ES3_PdS7_d9plus_mod3IdEEE10hipError_tPvRmT1_T2_T3_mT4_P12ihipStream_tbEUlT_E1_NS1_11comp_targetILNS1_3genE4ELNS1_11target_archE910ELNS1_3gpuE8ELNS1_3repE0EEENS1_30default_config_static_selectorELNS0_4arch9wavefront6targetE1EEEvSD_.kd
    .uniform_work_group_size: 1
    .uses_dynamic_stack: false
    .vgpr_count:     0
    .vgpr_spill_count: 0
    .wavefront_size: 64
  - .agpr_count:     0
    .args:
      - .offset:         0
        .size:           48
        .value_kind:     by_value
    .group_segment_fixed_size: 0
    .kernarg_segment_align: 8
    .kernarg_segment_size: 48
    .language:       OpenCL C
    .language_version:
      - 2
      - 0
    .max_flat_workgroup_size: 256
    .name:           _ZN7rocprim17ROCPRIM_400000_NS6detail17trampoline_kernelINS0_14default_configENS1_22reduce_config_selectorIdEEZNS1_11reduce_implILb1ES3_PdS7_d9plus_mod3IdEEE10hipError_tPvRmT1_T2_T3_mT4_P12ihipStream_tbEUlT_E1_NS1_11comp_targetILNS1_3genE3ELNS1_11target_archE908ELNS1_3gpuE7ELNS1_3repE0EEENS1_30default_config_static_selectorELNS0_4arch9wavefront6targetE1EEEvSD_
    .private_segment_fixed_size: 0
    .sgpr_count:     6
    .sgpr_spill_count: 0
    .symbol:         _ZN7rocprim17ROCPRIM_400000_NS6detail17trampoline_kernelINS0_14default_configENS1_22reduce_config_selectorIdEEZNS1_11reduce_implILb1ES3_PdS7_d9plus_mod3IdEEE10hipError_tPvRmT1_T2_T3_mT4_P12ihipStream_tbEUlT_E1_NS1_11comp_targetILNS1_3genE3ELNS1_11target_archE908ELNS1_3gpuE7ELNS1_3repE0EEENS1_30default_config_static_selectorELNS0_4arch9wavefront6targetE1EEEvSD_.kd
    .uniform_work_group_size: 1
    .uses_dynamic_stack: false
    .vgpr_count:     0
    .vgpr_spill_count: 0
    .wavefront_size: 64
  - .agpr_count:     0
    .args:
      - .offset:         0
        .size:           48
        .value_kind:     by_value
    .group_segment_fixed_size: 0
    .kernarg_segment_align: 8
    .kernarg_segment_size: 48
    .language:       OpenCL C
    .language_version:
      - 2
      - 0
    .max_flat_workgroup_size: 128
    .name:           _ZN7rocprim17ROCPRIM_400000_NS6detail17trampoline_kernelINS0_14default_configENS1_22reduce_config_selectorIdEEZNS1_11reduce_implILb1ES3_PdS7_d9plus_mod3IdEEE10hipError_tPvRmT1_T2_T3_mT4_P12ihipStream_tbEUlT_E1_NS1_11comp_targetILNS1_3genE2ELNS1_11target_archE906ELNS1_3gpuE6ELNS1_3repE0EEENS1_30default_config_static_selectorELNS0_4arch9wavefront6targetE1EEEvSD_
    .private_segment_fixed_size: 0
    .sgpr_count:     6
    .sgpr_spill_count: 0
    .symbol:         _ZN7rocprim17ROCPRIM_400000_NS6detail17trampoline_kernelINS0_14default_configENS1_22reduce_config_selectorIdEEZNS1_11reduce_implILb1ES3_PdS7_d9plus_mod3IdEEE10hipError_tPvRmT1_T2_T3_mT4_P12ihipStream_tbEUlT_E1_NS1_11comp_targetILNS1_3genE2ELNS1_11target_archE906ELNS1_3gpuE6ELNS1_3repE0EEENS1_30default_config_static_selectorELNS0_4arch9wavefront6targetE1EEEvSD_.kd
    .uniform_work_group_size: 1
    .uses_dynamic_stack: false
    .vgpr_count:     0
    .vgpr_spill_count: 0
    .wavefront_size: 64
  - .agpr_count:     0
    .args:
      - .offset:         0
        .size:           48
        .value_kind:     by_value
    .group_segment_fixed_size: 0
    .kernarg_segment_align: 8
    .kernarg_segment_size: 48
    .language:       OpenCL C
    .language_version:
      - 2
      - 0
    .max_flat_workgroup_size: 256
    .name:           _ZN7rocprim17ROCPRIM_400000_NS6detail17trampoline_kernelINS0_14default_configENS1_22reduce_config_selectorIdEEZNS1_11reduce_implILb1ES3_PdS7_d9plus_mod3IdEEE10hipError_tPvRmT1_T2_T3_mT4_P12ihipStream_tbEUlT_E1_NS1_11comp_targetILNS1_3genE10ELNS1_11target_archE1201ELNS1_3gpuE5ELNS1_3repE0EEENS1_30default_config_static_selectorELNS0_4arch9wavefront6targetE1EEEvSD_
    .private_segment_fixed_size: 0
    .sgpr_count:     6
    .sgpr_spill_count: 0
    .symbol:         _ZN7rocprim17ROCPRIM_400000_NS6detail17trampoline_kernelINS0_14default_configENS1_22reduce_config_selectorIdEEZNS1_11reduce_implILb1ES3_PdS7_d9plus_mod3IdEEE10hipError_tPvRmT1_T2_T3_mT4_P12ihipStream_tbEUlT_E1_NS1_11comp_targetILNS1_3genE10ELNS1_11target_archE1201ELNS1_3gpuE5ELNS1_3repE0EEENS1_30default_config_static_selectorELNS0_4arch9wavefront6targetE1EEEvSD_.kd
    .uniform_work_group_size: 1
    .uses_dynamic_stack: false
    .vgpr_count:     0
    .vgpr_spill_count: 0
    .wavefront_size: 64
  - .agpr_count:     0
    .args:
      - .offset:         0
        .size:           48
        .value_kind:     by_value
    .group_segment_fixed_size: 0
    .kernarg_segment_align: 8
    .kernarg_segment_size: 48
    .language:       OpenCL C
    .language_version:
      - 2
      - 0
    .max_flat_workgroup_size: 256
    .name:           _ZN7rocprim17ROCPRIM_400000_NS6detail17trampoline_kernelINS0_14default_configENS1_22reduce_config_selectorIdEEZNS1_11reduce_implILb1ES3_PdS7_d9plus_mod3IdEEE10hipError_tPvRmT1_T2_T3_mT4_P12ihipStream_tbEUlT_E1_NS1_11comp_targetILNS1_3genE10ELNS1_11target_archE1200ELNS1_3gpuE4ELNS1_3repE0EEENS1_30default_config_static_selectorELNS0_4arch9wavefront6targetE1EEEvSD_
    .private_segment_fixed_size: 0
    .sgpr_count:     6
    .sgpr_spill_count: 0
    .symbol:         _ZN7rocprim17ROCPRIM_400000_NS6detail17trampoline_kernelINS0_14default_configENS1_22reduce_config_selectorIdEEZNS1_11reduce_implILb1ES3_PdS7_d9plus_mod3IdEEE10hipError_tPvRmT1_T2_T3_mT4_P12ihipStream_tbEUlT_E1_NS1_11comp_targetILNS1_3genE10ELNS1_11target_archE1200ELNS1_3gpuE4ELNS1_3repE0EEENS1_30default_config_static_selectorELNS0_4arch9wavefront6targetE1EEEvSD_.kd
    .uniform_work_group_size: 1
    .uses_dynamic_stack: false
    .vgpr_count:     0
    .vgpr_spill_count: 0
    .wavefront_size: 64
  - .agpr_count:     0
    .args:
      - .offset:         0
        .size:           48
        .value_kind:     by_value
    .group_segment_fixed_size: 0
    .kernarg_segment_align: 8
    .kernarg_segment_size: 48
    .language:       OpenCL C
    .language_version:
      - 2
      - 0
    .max_flat_workgroup_size: 256
    .name:           _ZN7rocprim17ROCPRIM_400000_NS6detail17trampoline_kernelINS0_14default_configENS1_22reduce_config_selectorIdEEZNS1_11reduce_implILb1ES3_PdS7_d9plus_mod3IdEEE10hipError_tPvRmT1_T2_T3_mT4_P12ihipStream_tbEUlT_E1_NS1_11comp_targetILNS1_3genE9ELNS1_11target_archE1100ELNS1_3gpuE3ELNS1_3repE0EEENS1_30default_config_static_selectorELNS0_4arch9wavefront6targetE1EEEvSD_
    .private_segment_fixed_size: 0
    .sgpr_count:     6
    .sgpr_spill_count: 0
    .symbol:         _ZN7rocprim17ROCPRIM_400000_NS6detail17trampoline_kernelINS0_14default_configENS1_22reduce_config_selectorIdEEZNS1_11reduce_implILb1ES3_PdS7_d9plus_mod3IdEEE10hipError_tPvRmT1_T2_T3_mT4_P12ihipStream_tbEUlT_E1_NS1_11comp_targetILNS1_3genE9ELNS1_11target_archE1100ELNS1_3gpuE3ELNS1_3repE0EEENS1_30default_config_static_selectorELNS0_4arch9wavefront6targetE1EEEvSD_.kd
    .uniform_work_group_size: 1
    .uses_dynamic_stack: false
    .vgpr_count:     0
    .vgpr_spill_count: 0
    .wavefront_size: 64
  - .agpr_count:     0
    .args:
      - .offset:         0
        .size:           48
        .value_kind:     by_value
    .group_segment_fixed_size: 0
    .kernarg_segment_align: 8
    .kernarg_segment_size: 48
    .language:       OpenCL C
    .language_version:
      - 2
      - 0
    .max_flat_workgroup_size: 256
    .name:           _ZN7rocprim17ROCPRIM_400000_NS6detail17trampoline_kernelINS0_14default_configENS1_22reduce_config_selectorIdEEZNS1_11reduce_implILb1ES3_PdS7_d9plus_mod3IdEEE10hipError_tPvRmT1_T2_T3_mT4_P12ihipStream_tbEUlT_E1_NS1_11comp_targetILNS1_3genE8ELNS1_11target_archE1030ELNS1_3gpuE2ELNS1_3repE0EEENS1_30default_config_static_selectorELNS0_4arch9wavefront6targetE1EEEvSD_
    .private_segment_fixed_size: 0
    .sgpr_count:     6
    .sgpr_spill_count: 0
    .symbol:         _ZN7rocprim17ROCPRIM_400000_NS6detail17trampoline_kernelINS0_14default_configENS1_22reduce_config_selectorIdEEZNS1_11reduce_implILb1ES3_PdS7_d9plus_mod3IdEEE10hipError_tPvRmT1_T2_T3_mT4_P12ihipStream_tbEUlT_E1_NS1_11comp_targetILNS1_3genE8ELNS1_11target_archE1030ELNS1_3gpuE2ELNS1_3repE0EEENS1_30default_config_static_selectorELNS0_4arch9wavefront6targetE1EEEvSD_.kd
    .uniform_work_group_size: 1
    .uses_dynamic_stack: false
    .vgpr_count:     0
    .vgpr_spill_count: 0
    .wavefront_size: 64
  - .agpr_count:     0
    .args:
      - .offset:         0
        .size:           64
        .value_kind:     by_value
    .group_segment_fixed_size: 64
    .kernarg_segment_align: 8
    .kernarg_segment_size: 64
    .language:       OpenCL C
    .language_version:
      - 2
      - 0
    .max_flat_workgroup_size: 256
    .name:           _ZN7rocprim17ROCPRIM_400000_NS6detail17trampoline_kernelINS0_14default_configENS1_22reduce_config_selectorIdEEZNS1_11reduce_implILb1ES3_N6thrust23THRUST_200600_302600_NS6detail15normal_iteratorINS8_10device_ptrIdEEEEPdd9plus_mod3IdEEE10hipError_tPvRmT1_T2_T3_mT4_P12ihipStream_tbEUlT_E0_NS1_11comp_targetILNS1_3genE0ELNS1_11target_archE4294967295ELNS1_3gpuE0ELNS1_3repE0EEENS1_30default_config_static_selectorELNS0_4arch9wavefront6targetE1EEEvSK_
    .private_segment_fixed_size: 0
    .sgpr_count:     58
    .sgpr_spill_count: 0
    .symbol:         _ZN7rocprim17ROCPRIM_400000_NS6detail17trampoline_kernelINS0_14default_configENS1_22reduce_config_selectorIdEEZNS1_11reduce_implILb1ES3_N6thrust23THRUST_200600_302600_NS6detail15normal_iteratorINS8_10device_ptrIdEEEEPdd9plus_mod3IdEEE10hipError_tPvRmT1_T2_T3_mT4_P12ihipStream_tbEUlT_E0_NS1_11comp_targetILNS1_3genE0ELNS1_11target_archE4294967295ELNS1_3gpuE0ELNS1_3repE0EEENS1_30default_config_static_selectorELNS0_4arch9wavefront6targetE1EEEvSK_.kd
    .uniform_work_group_size: 1
    .uses_dynamic_stack: false
    .vgpr_count:     68
    .vgpr_spill_count: 0
    .wavefront_size: 64
  - .agpr_count:     0
    .args:
      - .offset:         0
        .size:           64
        .value_kind:     by_value
    .group_segment_fixed_size: 0
    .kernarg_segment_align: 8
    .kernarg_segment_size: 64
    .language:       OpenCL C
    .language_version:
      - 2
      - 0
    .max_flat_workgroup_size: 256
    .name:           _ZN7rocprim17ROCPRIM_400000_NS6detail17trampoline_kernelINS0_14default_configENS1_22reduce_config_selectorIdEEZNS1_11reduce_implILb1ES3_N6thrust23THRUST_200600_302600_NS6detail15normal_iteratorINS8_10device_ptrIdEEEEPdd9plus_mod3IdEEE10hipError_tPvRmT1_T2_T3_mT4_P12ihipStream_tbEUlT_E0_NS1_11comp_targetILNS1_3genE5ELNS1_11target_archE942ELNS1_3gpuE9ELNS1_3repE0EEENS1_30default_config_static_selectorELNS0_4arch9wavefront6targetE1EEEvSK_
    .private_segment_fixed_size: 0
    .sgpr_count:     6
    .sgpr_spill_count: 0
    .symbol:         _ZN7rocprim17ROCPRIM_400000_NS6detail17trampoline_kernelINS0_14default_configENS1_22reduce_config_selectorIdEEZNS1_11reduce_implILb1ES3_N6thrust23THRUST_200600_302600_NS6detail15normal_iteratorINS8_10device_ptrIdEEEEPdd9plus_mod3IdEEE10hipError_tPvRmT1_T2_T3_mT4_P12ihipStream_tbEUlT_E0_NS1_11comp_targetILNS1_3genE5ELNS1_11target_archE942ELNS1_3gpuE9ELNS1_3repE0EEENS1_30default_config_static_selectorELNS0_4arch9wavefront6targetE1EEEvSK_.kd
    .uniform_work_group_size: 1
    .uses_dynamic_stack: false
    .vgpr_count:     0
    .vgpr_spill_count: 0
    .wavefront_size: 64
  - .agpr_count:     0
    .args:
      - .offset:         0
        .size:           64
        .value_kind:     by_value
    .group_segment_fixed_size: 0
    .kernarg_segment_align: 8
    .kernarg_segment_size: 64
    .language:       OpenCL C
    .language_version:
      - 2
      - 0
    .max_flat_workgroup_size: 256
    .name:           _ZN7rocprim17ROCPRIM_400000_NS6detail17trampoline_kernelINS0_14default_configENS1_22reduce_config_selectorIdEEZNS1_11reduce_implILb1ES3_N6thrust23THRUST_200600_302600_NS6detail15normal_iteratorINS8_10device_ptrIdEEEEPdd9plus_mod3IdEEE10hipError_tPvRmT1_T2_T3_mT4_P12ihipStream_tbEUlT_E0_NS1_11comp_targetILNS1_3genE4ELNS1_11target_archE910ELNS1_3gpuE8ELNS1_3repE0EEENS1_30default_config_static_selectorELNS0_4arch9wavefront6targetE1EEEvSK_
    .private_segment_fixed_size: 0
    .sgpr_count:     6
    .sgpr_spill_count: 0
    .symbol:         _ZN7rocprim17ROCPRIM_400000_NS6detail17trampoline_kernelINS0_14default_configENS1_22reduce_config_selectorIdEEZNS1_11reduce_implILb1ES3_N6thrust23THRUST_200600_302600_NS6detail15normal_iteratorINS8_10device_ptrIdEEEEPdd9plus_mod3IdEEE10hipError_tPvRmT1_T2_T3_mT4_P12ihipStream_tbEUlT_E0_NS1_11comp_targetILNS1_3genE4ELNS1_11target_archE910ELNS1_3gpuE8ELNS1_3repE0EEENS1_30default_config_static_selectorELNS0_4arch9wavefront6targetE1EEEvSK_.kd
    .uniform_work_group_size: 1
    .uses_dynamic_stack: false
    .vgpr_count:     0
    .vgpr_spill_count: 0
    .wavefront_size: 64
  - .agpr_count:     0
    .args:
      - .offset:         0
        .size:           64
        .value_kind:     by_value
    .group_segment_fixed_size: 0
    .kernarg_segment_align: 8
    .kernarg_segment_size: 64
    .language:       OpenCL C
    .language_version:
      - 2
      - 0
    .max_flat_workgroup_size: 256
    .name:           _ZN7rocprim17ROCPRIM_400000_NS6detail17trampoline_kernelINS0_14default_configENS1_22reduce_config_selectorIdEEZNS1_11reduce_implILb1ES3_N6thrust23THRUST_200600_302600_NS6detail15normal_iteratorINS8_10device_ptrIdEEEEPdd9plus_mod3IdEEE10hipError_tPvRmT1_T2_T3_mT4_P12ihipStream_tbEUlT_E0_NS1_11comp_targetILNS1_3genE3ELNS1_11target_archE908ELNS1_3gpuE7ELNS1_3repE0EEENS1_30default_config_static_selectorELNS0_4arch9wavefront6targetE1EEEvSK_
    .private_segment_fixed_size: 0
    .sgpr_count:     6
    .sgpr_spill_count: 0
    .symbol:         _ZN7rocprim17ROCPRIM_400000_NS6detail17trampoline_kernelINS0_14default_configENS1_22reduce_config_selectorIdEEZNS1_11reduce_implILb1ES3_N6thrust23THRUST_200600_302600_NS6detail15normal_iteratorINS8_10device_ptrIdEEEEPdd9plus_mod3IdEEE10hipError_tPvRmT1_T2_T3_mT4_P12ihipStream_tbEUlT_E0_NS1_11comp_targetILNS1_3genE3ELNS1_11target_archE908ELNS1_3gpuE7ELNS1_3repE0EEENS1_30default_config_static_selectorELNS0_4arch9wavefront6targetE1EEEvSK_.kd
    .uniform_work_group_size: 1
    .uses_dynamic_stack: false
    .vgpr_count:     0
    .vgpr_spill_count: 0
    .wavefront_size: 64
  - .agpr_count:     0
    .args:
      - .offset:         0
        .size:           64
        .value_kind:     by_value
    .group_segment_fixed_size: 0
    .kernarg_segment_align: 8
    .kernarg_segment_size: 64
    .language:       OpenCL C
    .language_version:
      - 2
      - 0
    .max_flat_workgroup_size: 128
    .name:           _ZN7rocprim17ROCPRIM_400000_NS6detail17trampoline_kernelINS0_14default_configENS1_22reduce_config_selectorIdEEZNS1_11reduce_implILb1ES3_N6thrust23THRUST_200600_302600_NS6detail15normal_iteratorINS8_10device_ptrIdEEEEPdd9plus_mod3IdEEE10hipError_tPvRmT1_T2_T3_mT4_P12ihipStream_tbEUlT_E0_NS1_11comp_targetILNS1_3genE2ELNS1_11target_archE906ELNS1_3gpuE6ELNS1_3repE0EEENS1_30default_config_static_selectorELNS0_4arch9wavefront6targetE1EEEvSK_
    .private_segment_fixed_size: 0
    .sgpr_count:     6
    .sgpr_spill_count: 0
    .symbol:         _ZN7rocprim17ROCPRIM_400000_NS6detail17trampoline_kernelINS0_14default_configENS1_22reduce_config_selectorIdEEZNS1_11reduce_implILb1ES3_N6thrust23THRUST_200600_302600_NS6detail15normal_iteratorINS8_10device_ptrIdEEEEPdd9plus_mod3IdEEE10hipError_tPvRmT1_T2_T3_mT4_P12ihipStream_tbEUlT_E0_NS1_11comp_targetILNS1_3genE2ELNS1_11target_archE906ELNS1_3gpuE6ELNS1_3repE0EEENS1_30default_config_static_selectorELNS0_4arch9wavefront6targetE1EEEvSK_.kd
    .uniform_work_group_size: 1
    .uses_dynamic_stack: false
    .vgpr_count:     0
    .vgpr_spill_count: 0
    .wavefront_size: 64
  - .agpr_count:     0
    .args:
      - .offset:         0
        .size:           64
        .value_kind:     by_value
    .group_segment_fixed_size: 0
    .kernarg_segment_align: 8
    .kernarg_segment_size: 64
    .language:       OpenCL C
    .language_version:
      - 2
      - 0
    .max_flat_workgroup_size: 256
    .name:           _ZN7rocprim17ROCPRIM_400000_NS6detail17trampoline_kernelINS0_14default_configENS1_22reduce_config_selectorIdEEZNS1_11reduce_implILb1ES3_N6thrust23THRUST_200600_302600_NS6detail15normal_iteratorINS8_10device_ptrIdEEEEPdd9plus_mod3IdEEE10hipError_tPvRmT1_T2_T3_mT4_P12ihipStream_tbEUlT_E0_NS1_11comp_targetILNS1_3genE10ELNS1_11target_archE1201ELNS1_3gpuE5ELNS1_3repE0EEENS1_30default_config_static_selectorELNS0_4arch9wavefront6targetE1EEEvSK_
    .private_segment_fixed_size: 0
    .sgpr_count:     6
    .sgpr_spill_count: 0
    .symbol:         _ZN7rocprim17ROCPRIM_400000_NS6detail17trampoline_kernelINS0_14default_configENS1_22reduce_config_selectorIdEEZNS1_11reduce_implILb1ES3_N6thrust23THRUST_200600_302600_NS6detail15normal_iteratorINS8_10device_ptrIdEEEEPdd9plus_mod3IdEEE10hipError_tPvRmT1_T2_T3_mT4_P12ihipStream_tbEUlT_E0_NS1_11comp_targetILNS1_3genE10ELNS1_11target_archE1201ELNS1_3gpuE5ELNS1_3repE0EEENS1_30default_config_static_selectorELNS0_4arch9wavefront6targetE1EEEvSK_.kd
    .uniform_work_group_size: 1
    .uses_dynamic_stack: false
    .vgpr_count:     0
    .vgpr_spill_count: 0
    .wavefront_size: 64
  - .agpr_count:     0
    .args:
      - .offset:         0
        .size:           64
        .value_kind:     by_value
    .group_segment_fixed_size: 0
    .kernarg_segment_align: 8
    .kernarg_segment_size: 64
    .language:       OpenCL C
    .language_version:
      - 2
      - 0
    .max_flat_workgroup_size: 256
    .name:           _ZN7rocprim17ROCPRIM_400000_NS6detail17trampoline_kernelINS0_14default_configENS1_22reduce_config_selectorIdEEZNS1_11reduce_implILb1ES3_N6thrust23THRUST_200600_302600_NS6detail15normal_iteratorINS8_10device_ptrIdEEEEPdd9plus_mod3IdEEE10hipError_tPvRmT1_T2_T3_mT4_P12ihipStream_tbEUlT_E0_NS1_11comp_targetILNS1_3genE10ELNS1_11target_archE1200ELNS1_3gpuE4ELNS1_3repE0EEENS1_30default_config_static_selectorELNS0_4arch9wavefront6targetE1EEEvSK_
    .private_segment_fixed_size: 0
    .sgpr_count:     6
    .sgpr_spill_count: 0
    .symbol:         _ZN7rocprim17ROCPRIM_400000_NS6detail17trampoline_kernelINS0_14default_configENS1_22reduce_config_selectorIdEEZNS1_11reduce_implILb1ES3_N6thrust23THRUST_200600_302600_NS6detail15normal_iteratorINS8_10device_ptrIdEEEEPdd9plus_mod3IdEEE10hipError_tPvRmT1_T2_T3_mT4_P12ihipStream_tbEUlT_E0_NS1_11comp_targetILNS1_3genE10ELNS1_11target_archE1200ELNS1_3gpuE4ELNS1_3repE0EEENS1_30default_config_static_selectorELNS0_4arch9wavefront6targetE1EEEvSK_.kd
    .uniform_work_group_size: 1
    .uses_dynamic_stack: false
    .vgpr_count:     0
    .vgpr_spill_count: 0
    .wavefront_size: 64
  - .agpr_count:     0
    .args:
      - .offset:         0
        .size:           64
        .value_kind:     by_value
    .group_segment_fixed_size: 0
    .kernarg_segment_align: 8
    .kernarg_segment_size: 64
    .language:       OpenCL C
    .language_version:
      - 2
      - 0
    .max_flat_workgroup_size: 256
    .name:           _ZN7rocprim17ROCPRIM_400000_NS6detail17trampoline_kernelINS0_14default_configENS1_22reduce_config_selectorIdEEZNS1_11reduce_implILb1ES3_N6thrust23THRUST_200600_302600_NS6detail15normal_iteratorINS8_10device_ptrIdEEEEPdd9plus_mod3IdEEE10hipError_tPvRmT1_T2_T3_mT4_P12ihipStream_tbEUlT_E0_NS1_11comp_targetILNS1_3genE9ELNS1_11target_archE1100ELNS1_3gpuE3ELNS1_3repE0EEENS1_30default_config_static_selectorELNS0_4arch9wavefront6targetE1EEEvSK_
    .private_segment_fixed_size: 0
    .sgpr_count:     6
    .sgpr_spill_count: 0
    .symbol:         _ZN7rocprim17ROCPRIM_400000_NS6detail17trampoline_kernelINS0_14default_configENS1_22reduce_config_selectorIdEEZNS1_11reduce_implILb1ES3_N6thrust23THRUST_200600_302600_NS6detail15normal_iteratorINS8_10device_ptrIdEEEEPdd9plus_mod3IdEEE10hipError_tPvRmT1_T2_T3_mT4_P12ihipStream_tbEUlT_E0_NS1_11comp_targetILNS1_3genE9ELNS1_11target_archE1100ELNS1_3gpuE3ELNS1_3repE0EEENS1_30default_config_static_selectorELNS0_4arch9wavefront6targetE1EEEvSK_.kd
    .uniform_work_group_size: 1
    .uses_dynamic_stack: false
    .vgpr_count:     0
    .vgpr_spill_count: 0
    .wavefront_size: 64
  - .agpr_count:     0
    .args:
      - .offset:         0
        .size:           64
        .value_kind:     by_value
    .group_segment_fixed_size: 0
    .kernarg_segment_align: 8
    .kernarg_segment_size: 64
    .language:       OpenCL C
    .language_version:
      - 2
      - 0
    .max_flat_workgroup_size: 256
    .name:           _ZN7rocprim17ROCPRIM_400000_NS6detail17trampoline_kernelINS0_14default_configENS1_22reduce_config_selectorIdEEZNS1_11reduce_implILb1ES3_N6thrust23THRUST_200600_302600_NS6detail15normal_iteratorINS8_10device_ptrIdEEEEPdd9plus_mod3IdEEE10hipError_tPvRmT1_T2_T3_mT4_P12ihipStream_tbEUlT_E0_NS1_11comp_targetILNS1_3genE8ELNS1_11target_archE1030ELNS1_3gpuE2ELNS1_3repE0EEENS1_30default_config_static_selectorELNS0_4arch9wavefront6targetE1EEEvSK_
    .private_segment_fixed_size: 0
    .sgpr_count:     6
    .sgpr_spill_count: 0
    .symbol:         _ZN7rocprim17ROCPRIM_400000_NS6detail17trampoline_kernelINS0_14default_configENS1_22reduce_config_selectorIdEEZNS1_11reduce_implILb1ES3_N6thrust23THRUST_200600_302600_NS6detail15normal_iteratorINS8_10device_ptrIdEEEEPdd9plus_mod3IdEEE10hipError_tPvRmT1_T2_T3_mT4_P12ihipStream_tbEUlT_E0_NS1_11comp_targetILNS1_3genE8ELNS1_11target_archE1030ELNS1_3gpuE2ELNS1_3repE0EEENS1_30default_config_static_selectorELNS0_4arch9wavefront6targetE1EEEvSK_.kd
    .uniform_work_group_size: 1
    .uses_dynamic_stack: false
    .vgpr_count:     0
    .vgpr_spill_count: 0
    .wavefront_size: 64
  - .agpr_count:     0
    .args:
      - .offset:         0
        .size:           48
        .value_kind:     by_value
    .group_segment_fixed_size: 192
    .kernarg_segment_align: 8
    .kernarg_segment_size: 48
    .language:       OpenCL C
    .language_version:
      - 2
      - 0
    .max_flat_workgroup_size: 256
    .name:           _ZN7rocprim17ROCPRIM_400000_NS6detail17trampoline_kernelINS0_14default_configENS1_22reduce_config_selectorIdEEZNS1_11reduce_implILb1ES3_N6thrust23THRUST_200600_302600_NS6detail15normal_iteratorINS8_10device_ptrIdEEEEPdd9plus_mod3IdEEE10hipError_tPvRmT1_T2_T3_mT4_P12ihipStream_tbEUlT_E1_NS1_11comp_targetILNS1_3genE0ELNS1_11target_archE4294967295ELNS1_3gpuE0ELNS1_3repE0EEENS1_30default_config_static_selectorELNS0_4arch9wavefront6targetE1EEEvSK_
    .private_segment_fixed_size: 0
    .sgpr_count:     57
    .sgpr_spill_count: 0
    .symbol:         _ZN7rocprim17ROCPRIM_400000_NS6detail17trampoline_kernelINS0_14default_configENS1_22reduce_config_selectorIdEEZNS1_11reduce_implILb1ES3_N6thrust23THRUST_200600_302600_NS6detail15normal_iteratorINS8_10device_ptrIdEEEEPdd9plus_mod3IdEEE10hipError_tPvRmT1_T2_T3_mT4_P12ihipStream_tbEUlT_E1_NS1_11comp_targetILNS1_3genE0ELNS1_11target_archE4294967295ELNS1_3gpuE0ELNS1_3repE0EEENS1_30default_config_static_selectorELNS0_4arch9wavefront6targetE1EEEvSK_.kd
    .uniform_work_group_size: 1
    .uses_dynamic_stack: false
    .vgpr_count:     36
    .vgpr_spill_count: 0
    .wavefront_size: 64
  - .agpr_count:     0
    .args:
      - .offset:         0
        .size:           48
        .value_kind:     by_value
    .group_segment_fixed_size: 0
    .kernarg_segment_align: 8
    .kernarg_segment_size: 48
    .language:       OpenCL C
    .language_version:
      - 2
      - 0
    .max_flat_workgroup_size: 256
    .name:           _ZN7rocprim17ROCPRIM_400000_NS6detail17trampoline_kernelINS0_14default_configENS1_22reduce_config_selectorIdEEZNS1_11reduce_implILb1ES3_N6thrust23THRUST_200600_302600_NS6detail15normal_iteratorINS8_10device_ptrIdEEEEPdd9plus_mod3IdEEE10hipError_tPvRmT1_T2_T3_mT4_P12ihipStream_tbEUlT_E1_NS1_11comp_targetILNS1_3genE5ELNS1_11target_archE942ELNS1_3gpuE9ELNS1_3repE0EEENS1_30default_config_static_selectorELNS0_4arch9wavefront6targetE1EEEvSK_
    .private_segment_fixed_size: 0
    .sgpr_count:     6
    .sgpr_spill_count: 0
    .symbol:         _ZN7rocprim17ROCPRIM_400000_NS6detail17trampoline_kernelINS0_14default_configENS1_22reduce_config_selectorIdEEZNS1_11reduce_implILb1ES3_N6thrust23THRUST_200600_302600_NS6detail15normal_iteratorINS8_10device_ptrIdEEEEPdd9plus_mod3IdEEE10hipError_tPvRmT1_T2_T3_mT4_P12ihipStream_tbEUlT_E1_NS1_11comp_targetILNS1_3genE5ELNS1_11target_archE942ELNS1_3gpuE9ELNS1_3repE0EEENS1_30default_config_static_selectorELNS0_4arch9wavefront6targetE1EEEvSK_.kd
    .uniform_work_group_size: 1
    .uses_dynamic_stack: false
    .vgpr_count:     0
    .vgpr_spill_count: 0
    .wavefront_size: 64
  - .agpr_count:     0
    .args:
      - .offset:         0
        .size:           48
        .value_kind:     by_value
    .group_segment_fixed_size: 0
    .kernarg_segment_align: 8
    .kernarg_segment_size: 48
    .language:       OpenCL C
    .language_version:
      - 2
      - 0
    .max_flat_workgroup_size: 256
    .name:           _ZN7rocprim17ROCPRIM_400000_NS6detail17trampoline_kernelINS0_14default_configENS1_22reduce_config_selectorIdEEZNS1_11reduce_implILb1ES3_N6thrust23THRUST_200600_302600_NS6detail15normal_iteratorINS8_10device_ptrIdEEEEPdd9plus_mod3IdEEE10hipError_tPvRmT1_T2_T3_mT4_P12ihipStream_tbEUlT_E1_NS1_11comp_targetILNS1_3genE4ELNS1_11target_archE910ELNS1_3gpuE8ELNS1_3repE0EEENS1_30default_config_static_selectorELNS0_4arch9wavefront6targetE1EEEvSK_
    .private_segment_fixed_size: 0
    .sgpr_count:     6
    .sgpr_spill_count: 0
    .symbol:         _ZN7rocprim17ROCPRIM_400000_NS6detail17trampoline_kernelINS0_14default_configENS1_22reduce_config_selectorIdEEZNS1_11reduce_implILb1ES3_N6thrust23THRUST_200600_302600_NS6detail15normal_iteratorINS8_10device_ptrIdEEEEPdd9plus_mod3IdEEE10hipError_tPvRmT1_T2_T3_mT4_P12ihipStream_tbEUlT_E1_NS1_11comp_targetILNS1_3genE4ELNS1_11target_archE910ELNS1_3gpuE8ELNS1_3repE0EEENS1_30default_config_static_selectorELNS0_4arch9wavefront6targetE1EEEvSK_.kd
    .uniform_work_group_size: 1
    .uses_dynamic_stack: false
    .vgpr_count:     0
    .vgpr_spill_count: 0
    .wavefront_size: 64
  - .agpr_count:     0
    .args:
      - .offset:         0
        .size:           48
        .value_kind:     by_value
    .group_segment_fixed_size: 0
    .kernarg_segment_align: 8
    .kernarg_segment_size: 48
    .language:       OpenCL C
    .language_version:
      - 2
      - 0
    .max_flat_workgroup_size: 256
    .name:           _ZN7rocprim17ROCPRIM_400000_NS6detail17trampoline_kernelINS0_14default_configENS1_22reduce_config_selectorIdEEZNS1_11reduce_implILb1ES3_N6thrust23THRUST_200600_302600_NS6detail15normal_iteratorINS8_10device_ptrIdEEEEPdd9plus_mod3IdEEE10hipError_tPvRmT1_T2_T3_mT4_P12ihipStream_tbEUlT_E1_NS1_11comp_targetILNS1_3genE3ELNS1_11target_archE908ELNS1_3gpuE7ELNS1_3repE0EEENS1_30default_config_static_selectorELNS0_4arch9wavefront6targetE1EEEvSK_
    .private_segment_fixed_size: 0
    .sgpr_count:     6
    .sgpr_spill_count: 0
    .symbol:         _ZN7rocprim17ROCPRIM_400000_NS6detail17trampoline_kernelINS0_14default_configENS1_22reduce_config_selectorIdEEZNS1_11reduce_implILb1ES3_N6thrust23THRUST_200600_302600_NS6detail15normal_iteratorINS8_10device_ptrIdEEEEPdd9plus_mod3IdEEE10hipError_tPvRmT1_T2_T3_mT4_P12ihipStream_tbEUlT_E1_NS1_11comp_targetILNS1_3genE3ELNS1_11target_archE908ELNS1_3gpuE7ELNS1_3repE0EEENS1_30default_config_static_selectorELNS0_4arch9wavefront6targetE1EEEvSK_.kd
    .uniform_work_group_size: 1
    .uses_dynamic_stack: false
    .vgpr_count:     0
    .vgpr_spill_count: 0
    .wavefront_size: 64
  - .agpr_count:     0
    .args:
      - .offset:         0
        .size:           48
        .value_kind:     by_value
    .group_segment_fixed_size: 0
    .kernarg_segment_align: 8
    .kernarg_segment_size: 48
    .language:       OpenCL C
    .language_version:
      - 2
      - 0
    .max_flat_workgroup_size: 128
    .name:           _ZN7rocprim17ROCPRIM_400000_NS6detail17trampoline_kernelINS0_14default_configENS1_22reduce_config_selectorIdEEZNS1_11reduce_implILb1ES3_N6thrust23THRUST_200600_302600_NS6detail15normal_iteratorINS8_10device_ptrIdEEEEPdd9plus_mod3IdEEE10hipError_tPvRmT1_T2_T3_mT4_P12ihipStream_tbEUlT_E1_NS1_11comp_targetILNS1_3genE2ELNS1_11target_archE906ELNS1_3gpuE6ELNS1_3repE0EEENS1_30default_config_static_selectorELNS0_4arch9wavefront6targetE1EEEvSK_
    .private_segment_fixed_size: 0
    .sgpr_count:     6
    .sgpr_spill_count: 0
    .symbol:         _ZN7rocprim17ROCPRIM_400000_NS6detail17trampoline_kernelINS0_14default_configENS1_22reduce_config_selectorIdEEZNS1_11reduce_implILb1ES3_N6thrust23THRUST_200600_302600_NS6detail15normal_iteratorINS8_10device_ptrIdEEEEPdd9plus_mod3IdEEE10hipError_tPvRmT1_T2_T3_mT4_P12ihipStream_tbEUlT_E1_NS1_11comp_targetILNS1_3genE2ELNS1_11target_archE906ELNS1_3gpuE6ELNS1_3repE0EEENS1_30default_config_static_selectorELNS0_4arch9wavefront6targetE1EEEvSK_.kd
    .uniform_work_group_size: 1
    .uses_dynamic_stack: false
    .vgpr_count:     0
    .vgpr_spill_count: 0
    .wavefront_size: 64
  - .agpr_count:     0
    .args:
      - .offset:         0
        .size:           48
        .value_kind:     by_value
    .group_segment_fixed_size: 0
    .kernarg_segment_align: 8
    .kernarg_segment_size: 48
    .language:       OpenCL C
    .language_version:
      - 2
      - 0
    .max_flat_workgroup_size: 256
    .name:           _ZN7rocprim17ROCPRIM_400000_NS6detail17trampoline_kernelINS0_14default_configENS1_22reduce_config_selectorIdEEZNS1_11reduce_implILb1ES3_N6thrust23THRUST_200600_302600_NS6detail15normal_iteratorINS8_10device_ptrIdEEEEPdd9plus_mod3IdEEE10hipError_tPvRmT1_T2_T3_mT4_P12ihipStream_tbEUlT_E1_NS1_11comp_targetILNS1_3genE10ELNS1_11target_archE1201ELNS1_3gpuE5ELNS1_3repE0EEENS1_30default_config_static_selectorELNS0_4arch9wavefront6targetE1EEEvSK_
    .private_segment_fixed_size: 0
    .sgpr_count:     6
    .sgpr_spill_count: 0
    .symbol:         _ZN7rocprim17ROCPRIM_400000_NS6detail17trampoline_kernelINS0_14default_configENS1_22reduce_config_selectorIdEEZNS1_11reduce_implILb1ES3_N6thrust23THRUST_200600_302600_NS6detail15normal_iteratorINS8_10device_ptrIdEEEEPdd9plus_mod3IdEEE10hipError_tPvRmT1_T2_T3_mT4_P12ihipStream_tbEUlT_E1_NS1_11comp_targetILNS1_3genE10ELNS1_11target_archE1201ELNS1_3gpuE5ELNS1_3repE0EEENS1_30default_config_static_selectorELNS0_4arch9wavefront6targetE1EEEvSK_.kd
    .uniform_work_group_size: 1
    .uses_dynamic_stack: false
    .vgpr_count:     0
    .vgpr_spill_count: 0
    .wavefront_size: 64
  - .agpr_count:     0
    .args:
      - .offset:         0
        .size:           48
        .value_kind:     by_value
    .group_segment_fixed_size: 0
    .kernarg_segment_align: 8
    .kernarg_segment_size: 48
    .language:       OpenCL C
    .language_version:
      - 2
      - 0
    .max_flat_workgroup_size: 256
    .name:           _ZN7rocprim17ROCPRIM_400000_NS6detail17trampoline_kernelINS0_14default_configENS1_22reduce_config_selectorIdEEZNS1_11reduce_implILb1ES3_N6thrust23THRUST_200600_302600_NS6detail15normal_iteratorINS8_10device_ptrIdEEEEPdd9plus_mod3IdEEE10hipError_tPvRmT1_T2_T3_mT4_P12ihipStream_tbEUlT_E1_NS1_11comp_targetILNS1_3genE10ELNS1_11target_archE1200ELNS1_3gpuE4ELNS1_3repE0EEENS1_30default_config_static_selectorELNS0_4arch9wavefront6targetE1EEEvSK_
    .private_segment_fixed_size: 0
    .sgpr_count:     6
    .sgpr_spill_count: 0
    .symbol:         _ZN7rocprim17ROCPRIM_400000_NS6detail17trampoline_kernelINS0_14default_configENS1_22reduce_config_selectorIdEEZNS1_11reduce_implILb1ES3_N6thrust23THRUST_200600_302600_NS6detail15normal_iteratorINS8_10device_ptrIdEEEEPdd9plus_mod3IdEEE10hipError_tPvRmT1_T2_T3_mT4_P12ihipStream_tbEUlT_E1_NS1_11comp_targetILNS1_3genE10ELNS1_11target_archE1200ELNS1_3gpuE4ELNS1_3repE0EEENS1_30default_config_static_selectorELNS0_4arch9wavefront6targetE1EEEvSK_.kd
    .uniform_work_group_size: 1
    .uses_dynamic_stack: false
    .vgpr_count:     0
    .vgpr_spill_count: 0
    .wavefront_size: 64
  - .agpr_count:     0
    .args:
      - .offset:         0
        .size:           48
        .value_kind:     by_value
    .group_segment_fixed_size: 0
    .kernarg_segment_align: 8
    .kernarg_segment_size: 48
    .language:       OpenCL C
    .language_version:
      - 2
      - 0
    .max_flat_workgroup_size: 256
    .name:           _ZN7rocprim17ROCPRIM_400000_NS6detail17trampoline_kernelINS0_14default_configENS1_22reduce_config_selectorIdEEZNS1_11reduce_implILb1ES3_N6thrust23THRUST_200600_302600_NS6detail15normal_iteratorINS8_10device_ptrIdEEEEPdd9plus_mod3IdEEE10hipError_tPvRmT1_T2_T3_mT4_P12ihipStream_tbEUlT_E1_NS1_11comp_targetILNS1_3genE9ELNS1_11target_archE1100ELNS1_3gpuE3ELNS1_3repE0EEENS1_30default_config_static_selectorELNS0_4arch9wavefront6targetE1EEEvSK_
    .private_segment_fixed_size: 0
    .sgpr_count:     6
    .sgpr_spill_count: 0
    .symbol:         _ZN7rocprim17ROCPRIM_400000_NS6detail17trampoline_kernelINS0_14default_configENS1_22reduce_config_selectorIdEEZNS1_11reduce_implILb1ES3_N6thrust23THRUST_200600_302600_NS6detail15normal_iteratorINS8_10device_ptrIdEEEEPdd9plus_mod3IdEEE10hipError_tPvRmT1_T2_T3_mT4_P12ihipStream_tbEUlT_E1_NS1_11comp_targetILNS1_3genE9ELNS1_11target_archE1100ELNS1_3gpuE3ELNS1_3repE0EEENS1_30default_config_static_selectorELNS0_4arch9wavefront6targetE1EEEvSK_.kd
    .uniform_work_group_size: 1
    .uses_dynamic_stack: false
    .vgpr_count:     0
    .vgpr_spill_count: 0
    .wavefront_size: 64
  - .agpr_count:     0
    .args:
      - .offset:         0
        .size:           48
        .value_kind:     by_value
    .group_segment_fixed_size: 0
    .kernarg_segment_align: 8
    .kernarg_segment_size: 48
    .language:       OpenCL C
    .language_version:
      - 2
      - 0
    .max_flat_workgroup_size: 256
    .name:           _ZN7rocprim17ROCPRIM_400000_NS6detail17trampoline_kernelINS0_14default_configENS1_22reduce_config_selectorIdEEZNS1_11reduce_implILb1ES3_N6thrust23THRUST_200600_302600_NS6detail15normal_iteratorINS8_10device_ptrIdEEEEPdd9plus_mod3IdEEE10hipError_tPvRmT1_T2_T3_mT4_P12ihipStream_tbEUlT_E1_NS1_11comp_targetILNS1_3genE8ELNS1_11target_archE1030ELNS1_3gpuE2ELNS1_3repE0EEENS1_30default_config_static_selectorELNS0_4arch9wavefront6targetE1EEEvSK_
    .private_segment_fixed_size: 0
    .sgpr_count:     6
    .sgpr_spill_count: 0
    .symbol:         _ZN7rocprim17ROCPRIM_400000_NS6detail17trampoline_kernelINS0_14default_configENS1_22reduce_config_selectorIdEEZNS1_11reduce_implILb1ES3_N6thrust23THRUST_200600_302600_NS6detail15normal_iteratorINS8_10device_ptrIdEEEEPdd9plus_mod3IdEEE10hipError_tPvRmT1_T2_T3_mT4_P12ihipStream_tbEUlT_E1_NS1_11comp_targetILNS1_3genE8ELNS1_11target_archE1030ELNS1_3gpuE2ELNS1_3repE0EEENS1_30default_config_static_selectorELNS0_4arch9wavefront6targetE1EEEvSK_.kd
    .uniform_work_group_size: 1
    .uses_dynamic_stack: false
    .vgpr_count:     0
    .vgpr_spill_count: 0
    .wavefront_size: 64
  - .agpr_count:     0
    .args:
      - .offset:         0
        .size:           64
        .value_kind:     by_value
    .group_segment_fixed_size: 32
    .kernarg_segment_align: 8
    .kernarg_segment_size: 64
    .language:       OpenCL C
    .language_version:
      - 2
      - 0
    .max_flat_workgroup_size: 256
    .name:           _ZN7rocprim17ROCPRIM_400000_NS6detail17trampoline_kernelINS0_14default_configENS1_22reduce_config_selectorIfEEZNS1_11reduce_implILb1ES3_PfS7_f9plus_mod3IfEEE10hipError_tPvRmT1_T2_T3_mT4_P12ihipStream_tbEUlT_E0_NS1_11comp_targetILNS1_3genE0ELNS1_11target_archE4294967295ELNS1_3gpuE0ELNS1_3repE0EEENS1_30default_config_static_selectorELNS0_4arch9wavefront6targetE1EEEvSD_
    .private_segment_fixed_size: 0
    .sgpr_count:     27
    .sgpr_spill_count: 0
    .symbol:         _ZN7rocprim17ROCPRIM_400000_NS6detail17trampoline_kernelINS0_14default_configENS1_22reduce_config_selectorIfEEZNS1_11reduce_implILb1ES3_PfS7_f9plus_mod3IfEEE10hipError_tPvRmT1_T2_T3_mT4_P12ihipStream_tbEUlT_E0_NS1_11comp_targetILNS1_3genE0ELNS1_11target_archE4294967295ELNS1_3gpuE0ELNS1_3repE0EEENS1_30default_config_static_selectorELNS0_4arch9wavefront6targetE1EEEvSD_.kd
    .uniform_work_group_size: 1
    .uses_dynamic_stack: false
    .vgpr_count:     12
    .vgpr_spill_count: 0
    .wavefront_size: 64
  - .agpr_count:     0
    .args:
      - .offset:         0
        .size:           64
        .value_kind:     by_value
    .group_segment_fixed_size: 0
    .kernarg_segment_align: 8
    .kernarg_segment_size: 64
    .language:       OpenCL C
    .language_version:
      - 2
      - 0
    .max_flat_workgroup_size: 128
    .name:           _ZN7rocprim17ROCPRIM_400000_NS6detail17trampoline_kernelINS0_14default_configENS1_22reduce_config_selectorIfEEZNS1_11reduce_implILb1ES3_PfS7_f9plus_mod3IfEEE10hipError_tPvRmT1_T2_T3_mT4_P12ihipStream_tbEUlT_E0_NS1_11comp_targetILNS1_3genE5ELNS1_11target_archE942ELNS1_3gpuE9ELNS1_3repE0EEENS1_30default_config_static_selectorELNS0_4arch9wavefront6targetE1EEEvSD_
    .private_segment_fixed_size: 0
    .sgpr_count:     6
    .sgpr_spill_count: 0
    .symbol:         _ZN7rocprim17ROCPRIM_400000_NS6detail17trampoline_kernelINS0_14default_configENS1_22reduce_config_selectorIfEEZNS1_11reduce_implILb1ES3_PfS7_f9plus_mod3IfEEE10hipError_tPvRmT1_T2_T3_mT4_P12ihipStream_tbEUlT_E0_NS1_11comp_targetILNS1_3genE5ELNS1_11target_archE942ELNS1_3gpuE9ELNS1_3repE0EEENS1_30default_config_static_selectorELNS0_4arch9wavefront6targetE1EEEvSD_.kd
    .uniform_work_group_size: 1
    .uses_dynamic_stack: false
    .vgpr_count:     0
    .vgpr_spill_count: 0
    .wavefront_size: 64
  - .agpr_count:     0
    .args:
      - .offset:         0
        .size:           64
        .value_kind:     by_value
    .group_segment_fixed_size: 0
    .kernarg_segment_align: 8
    .kernarg_segment_size: 64
    .language:       OpenCL C
    .language_version:
      - 2
      - 0
    .max_flat_workgroup_size: 128
    .name:           _ZN7rocprim17ROCPRIM_400000_NS6detail17trampoline_kernelINS0_14default_configENS1_22reduce_config_selectorIfEEZNS1_11reduce_implILb1ES3_PfS7_f9plus_mod3IfEEE10hipError_tPvRmT1_T2_T3_mT4_P12ihipStream_tbEUlT_E0_NS1_11comp_targetILNS1_3genE4ELNS1_11target_archE910ELNS1_3gpuE8ELNS1_3repE0EEENS1_30default_config_static_selectorELNS0_4arch9wavefront6targetE1EEEvSD_
    .private_segment_fixed_size: 0
    .sgpr_count:     6
    .sgpr_spill_count: 0
    .symbol:         _ZN7rocprim17ROCPRIM_400000_NS6detail17trampoline_kernelINS0_14default_configENS1_22reduce_config_selectorIfEEZNS1_11reduce_implILb1ES3_PfS7_f9plus_mod3IfEEE10hipError_tPvRmT1_T2_T3_mT4_P12ihipStream_tbEUlT_E0_NS1_11comp_targetILNS1_3genE4ELNS1_11target_archE910ELNS1_3gpuE8ELNS1_3repE0EEENS1_30default_config_static_selectorELNS0_4arch9wavefront6targetE1EEEvSD_.kd
    .uniform_work_group_size: 1
    .uses_dynamic_stack: false
    .vgpr_count:     0
    .vgpr_spill_count: 0
    .wavefront_size: 64
  - .agpr_count:     0
    .args:
      - .offset:         0
        .size:           64
        .value_kind:     by_value
    .group_segment_fixed_size: 0
    .kernarg_segment_align: 8
    .kernarg_segment_size: 64
    .language:       OpenCL C
    .language_version:
      - 2
      - 0
    .max_flat_workgroup_size: 256
    .name:           _ZN7rocprim17ROCPRIM_400000_NS6detail17trampoline_kernelINS0_14default_configENS1_22reduce_config_selectorIfEEZNS1_11reduce_implILb1ES3_PfS7_f9plus_mod3IfEEE10hipError_tPvRmT1_T2_T3_mT4_P12ihipStream_tbEUlT_E0_NS1_11comp_targetILNS1_3genE3ELNS1_11target_archE908ELNS1_3gpuE7ELNS1_3repE0EEENS1_30default_config_static_selectorELNS0_4arch9wavefront6targetE1EEEvSD_
    .private_segment_fixed_size: 0
    .sgpr_count:     6
    .sgpr_spill_count: 0
    .symbol:         _ZN7rocprim17ROCPRIM_400000_NS6detail17trampoline_kernelINS0_14default_configENS1_22reduce_config_selectorIfEEZNS1_11reduce_implILb1ES3_PfS7_f9plus_mod3IfEEE10hipError_tPvRmT1_T2_T3_mT4_P12ihipStream_tbEUlT_E0_NS1_11comp_targetILNS1_3genE3ELNS1_11target_archE908ELNS1_3gpuE7ELNS1_3repE0EEENS1_30default_config_static_selectorELNS0_4arch9wavefront6targetE1EEEvSD_.kd
    .uniform_work_group_size: 1
    .uses_dynamic_stack: false
    .vgpr_count:     0
    .vgpr_spill_count: 0
    .wavefront_size: 64
  - .agpr_count:     0
    .args:
      - .offset:         0
        .size:           64
        .value_kind:     by_value
    .group_segment_fixed_size: 0
    .kernarg_segment_align: 8
    .kernarg_segment_size: 64
    .language:       OpenCL C
    .language_version:
      - 2
      - 0
    .max_flat_workgroup_size: 256
    .name:           _ZN7rocprim17ROCPRIM_400000_NS6detail17trampoline_kernelINS0_14default_configENS1_22reduce_config_selectorIfEEZNS1_11reduce_implILb1ES3_PfS7_f9plus_mod3IfEEE10hipError_tPvRmT1_T2_T3_mT4_P12ihipStream_tbEUlT_E0_NS1_11comp_targetILNS1_3genE2ELNS1_11target_archE906ELNS1_3gpuE6ELNS1_3repE0EEENS1_30default_config_static_selectorELNS0_4arch9wavefront6targetE1EEEvSD_
    .private_segment_fixed_size: 0
    .sgpr_count:     6
    .sgpr_spill_count: 0
    .symbol:         _ZN7rocprim17ROCPRIM_400000_NS6detail17trampoline_kernelINS0_14default_configENS1_22reduce_config_selectorIfEEZNS1_11reduce_implILb1ES3_PfS7_f9plus_mod3IfEEE10hipError_tPvRmT1_T2_T3_mT4_P12ihipStream_tbEUlT_E0_NS1_11comp_targetILNS1_3genE2ELNS1_11target_archE906ELNS1_3gpuE6ELNS1_3repE0EEENS1_30default_config_static_selectorELNS0_4arch9wavefront6targetE1EEEvSD_.kd
    .uniform_work_group_size: 1
    .uses_dynamic_stack: false
    .vgpr_count:     0
    .vgpr_spill_count: 0
    .wavefront_size: 64
  - .agpr_count:     0
    .args:
      - .offset:         0
        .size:           64
        .value_kind:     by_value
    .group_segment_fixed_size: 0
    .kernarg_segment_align: 8
    .kernarg_segment_size: 64
    .language:       OpenCL C
    .language_version:
      - 2
      - 0
    .max_flat_workgroup_size: 256
    .name:           _ZN7rocprim17ROCPRIM_400000_NS6detail17trampoline_kernelINS0_14default_configENS1_22reduce_config_selectorIfEEZNS1_11reduce_implILb1ES3_PfS7_f9plus_mod3IfEEE10hipError_tPvRmT1_T2_T3_mT4_P12ihipStream_tbEUlT_E0_NS1_11comp_targetILNS1_3genE10ELNS1_11target_archE1201ELNS1_3gpuE5ELNS1_3repE0EEENS1_30default_config_static_selectorELNS0_4arch9wavefront6targetE1EEEvSD_
    .private_segment_fixed_size: 0
    .sgpr_count:     6
    .sgpr_spill_count: 0
    .symbol:         _ZN7rocprim17ROCPRIM_400000_NS6detail17trampoline_kernelINS0_14default_configENS1_22reduce_config_selectorIfEEZNS1_11reduce_implILb1ES3_PfS7_f9plus_mod3IfEEE10hipError_tPvRmT1_T2_T3_mT4_P12ihipStream_tbEUlT_E0_NS1_11comp_targetILNS1_3genE10ELNS1_11target_archE1201ELNS1_3gpuE5ELNS1_3repE0EEENS1_30default_config_static_selectorELNS0_4arch9wavefront6targetE1EEEvSD_.kd
    .uniform_work_group_size: 1
    .uses_dynamic_stack: false
    .vgpr_count:     0
    .vgpr_spill_count: 0
    .wavefront_size: 64
  - .agpr_count:     0
    .args:
      - .offset:         0
        .size:           64
        .value_kind:     by_value
    .group_segment_fixed_size: 0
    .kernarg_segment_align: 8
    .kernarg_segment_size: 64
    .language:       OpenCL C
    .language_version:
      - 2
      - 0
    .max_flat_workgroup_size: 256
    .name:           _ZN7rocprim17ROCPRIM_400000_NS6detail17trampoline_kernelINS0_14default_configENS1_22reduce_config_selectorIfEEZNS1_11reduce_implILb1ES3_PfS7_f9plus_mod3IfEEE10hipError_tPvRmT1_T2_T3_mT4_P12ihipStream_tbEUlT_E0_NS1_11comp_targetILNS1_3genE10ELNS1_11target_archE1200ELNS1_3gpuE4ELNS1_3repE0EEENS1_30default_config_static_selectorELNS0_4arch9wavefront6targetE1EEEvSD_
    .private_segment_fixed_size: 0
    .sgpr_count:     6
    .sgpr_spill_count: 0
    .symbol:         _ZN7rocprim17ROCPRIM_400000_NS6detail17trampoline_kernelINS0_14default_configENS1_22reduce_config_selectorIfEEZNS1_11reduce_implILb1ES3_PfS7_f9plus_mod3IfEEE10hipError_tPvRmT1_T2_T3_mT4_P12ihipStream_tbEUlT_E0_NS1_11comp_targetILNS1_3genE10ELNS1_11target_archE1200ELNS1_3gpuE4ELNS1_3repE0EEENS1_30default_config_static_selectorELNS0_4arch9wavefront6targetE1EEEvSD_.kd
    .uniform_work_group_size: 1
    .uses_dynamic_stack: false
    .vgpr_count:     0
    .vgpr_spill_count: 0
    .wavefront_size: 64
  - .agpr_count:     0
    .args:
      - .offset:         0
        .size:           64
        .value_kind:     by_value
    .group_segment_fixed_size: 0
    .kernarg_segment_align: 8
    .kernarg_segment_size: 64
    .language:       OpenCL C
    .language_version:
      - 2
      - 0
    .max_flat_workgroup_size: 256
    .name:           _ZN7rocprim17ROCPRIM_400000_NS6detail17trampoline_kernelINS0_14default_configENS1_22reduce_config_selectorIfEEZNS1_11reduce_implILb1ES3_PfS7_f9plus_mod3IfEEE10hipError_tPvRmT1_T2_T3_mT4_P12ihipStream_tbEUlT_E0_NS1_11comp_targetILNS1_3genE9ELNS1_11target_archE1100ELNS1_3gpuE3ELNS1_3repE0EEENS1_30default_config_static_selectorELNS0_4arch9wavefront6targetE1EEEvSD_
    .private_segment_fixed_size: 0
    .sgpr_count:     6
    .sgpr_spill_count: 0
    .symbol:         _ZN7rocprim17ROCPRIM_400000_NS6detail17trampoline_kernelINS0_14default_configENS1_22reduce_config_selectorIfEEZNS1_11reduce_implILb1ES3_PfS7_f9plus_mod3IfEEE10hipError_tPvRmT1_T2_T3_mT4_P12ihipStream_tbEUlT_E0_NS1_11comp_targetILNS1_3genE9ELNS1_11target_archE1100ELNS1_3gpuE3ELNS1_3repE0EEENS1_30default_config_static_selectorELNS0_4arch9wavefront6targetE1EEEvSD_.kd
    .uniform_work_group_size: 1
    .uses_dynamic_stack: false
    .vgpr_count:     0
    .vgpr_spill_count: 0
    .wavefront_size: 64
  - .agpr_count:     0
    .args:
      - .offset:         0
        .size:           64
        .value_kind:     by_value
    .group_segment_fixed_size: 0
    .kernarg_segment_align: 8
    .kernarg_segment_size: 64
    .language:       OpenCL C
    .language_version:
      - 2
      - 0
    .max_flat_workgroup_size: 256
    .name:           _ZN7rocprim17ROCPRIM_400000_NS6detail17trampoline_kernelINS0_14default_configENS1_22reduce_config_selectorIfEEZNS1_11reduce_implILb1ES3_PfS7_f9plus_mod3IfEEE10hipError_tPvRmT1_T2_T3_mT4_P12ihipStream_tbEUlT_E0_NS1_11comp_targetILNS1_3genE8ELNS1_11target_archE1030ELNS1_3gpuE2ELNS1_3repE0EEENS1_30default_config_static_selectorELNS0_4arch9wavefront6targetE1EEEvSD_
    .private_segment_fixed_size: 0
    .sgpr_count:     6
    .sgpr_spill_count: 0
    .symbol:         _ZN7rocprim17ROCPRIM_400000_NS6detail17trampoline_kernelINS0_14default_configENS1_22reduce_config_selectorIfEEZNS1_11reduce_implILb1ES3_PfS7_f9plus_mod3IfEEE10hipError_tPvRmT1_T2_T3_mT4_P12ihipStream_tbEUlT_E0_NS1_11comp_targetILNS1_3genE8ELNS1_11target_archE1030ELNS1_3gpuE2ELNS1_3repE0EEENS1_30default_config_static_selectorELNS0_4arch9wavefront6targetE1EEEvSD_.kd
    .uniform_work_group_size: 1
    .uses_dynamic_stack: false
    .vgpr_count:     0
    .vgpr_spill_count: 0
    .wavefront_size: 64
  - .agpr_count:     0
    .args:
      - .offset:         0
        .size:           48
        .value_kind:     by_value
    .group_segment_fixed_size: 112
    .kernarg_segment_align: 8
    .kernarg_segment_size: 48
    .language:       OpenCL C
    .language_version:
      - 2
      - 0
    .max_flat_workgroup_size: 256
    .name:           _ZN7rocprim17ROCPRIM_400000_NS6detail17trampoline_kernelINS0_14default_configENS1_22reduce_config_selectorIfEEZNS1_11reduce_implILb1ES3_PfS7_f9plus_mod3IfEEE10hipError_tPvRmT1_T2_T3_mT4_P12ihipStream_tbEUlT_E1_NS1_11comp_targetILNS1_3genE0ELNS1_11target_archE4294967295ELNS1_3gpuE0ELNS1_3repE0EEENS1_30default_config_static_selectorELNS0_4arch9wavefront6targetE1EEEvSD_
    .private_segment_fixed_size: 0
    .sgpr_count:     88
    .sgpr_spill_count: 0
    .symbol:         _ZN7rocprim17ROCPRIM_400000_NS6detail17trampoline_kernelINS0_14default_configENS1_22reduce_config_selectorIfEEZNS1_11reduce_implILb1ES3_PfS7_f9plus_mod3IfEEE10hipError_tPvRmT1_T2_T3_mT4_P12ihipStream_tbEUlT_E1_NS1_11comp_targetILNS1_3genE0ELNS1_11target_archE4294967295ELNS1_3gpuE0ELNS1_3repE0EEENS1_30default_config_static_selectorELNS0_4arch9wavefront6targetE1EEEvSD_.kd
    .uniform_work_group_size: 1
    .uses_dynamic_stack: false
    .vgpr_count:     36
    .vgpr_spill_count: 0
    .wavefront_size: 64
  - .agpr_count:     0
    .args:
      - .offset:         0
        .size:           48
        .value_kind:     by_value
    .group_segment_fixed_size: 0
    .kernarg_segment_align: 8
    .kernarg_segment_size: 48
    .language:       OpenCL C
    .language_version:
      - 2
      - 0
    .max_flat_workgroup_size: 128
    .name:           _ZN7rocprim17ROCPRIM_400000_NS6detail17trampoline_kernelINS0_14default_configENS1_22reduce_config_selectorIfEEZNS1_11reduce_implILb1ES3_PfS7_f9plus_mod3IfEEE10hipError_tPvRmT1_T2_T3_mT4_P12ihipStream_tbEUlT_E1_NS1_11comp_targetILNS1_3genE5ELNS1_11target_archE942ELNS1_3gpuE9ELNS1_3repE0EEENS1_30default_config_static_selectorELNS0_4arch9wavefront6targetE1EEEvSD_
    .private_segment_fixed_size: 0
    .sgpr_count:     6
    .sgpr_spill_count: 0
    .symbol:         _ZN7rocprim17ROCPRIM_400000_NS6detail17trampoline_kernelINS0_14default_configENS1_22reduce_config_selectorIfEEZNS1_11reduce_implILb1ES3_PfS7_f9plus_mod3IfEEE10hipError_tPvRmT1_T2_T3_mT4_P12ihipStream_tbEUlT_E1_NS1_11comp_targetILNS1_3genE5ELNS1_11target_archE942ELNS1_3gpuE9ELNS1_3repE0EEENS1_30default_config_static_selectorELNS0_4arch9wavefront6targetE1EEEvSD_.kd
    .uniform_work_group_size: 1
    .uses_dynamic_stack: false
    .vgpr_count:     0
    .vgpr_spill_count: 0
    .wavefront_size: 64
  - .agpr_count:     0
    .args:
      - .offset:         0
        .size:           48
        .value_kind:     by_value
    .group_segment_fixed_size: 0
    .kernarg_segment_align: 8
    .kernarg_segment_size: 48
    .language:       OpenCL C
    .language_version:
      - 2
      - 0
    .max_flat_workgroup_size: 128
    .name:           _ZN7rocprim17ROCPRIM_400000_NS6detail17trampoline_kernelINS0_14default_configENS1_22reduce_config_selectorIfEEZNS1_11reduce_implILb1ES3_PfS7_f9plus_mod3IfEEE10hipError_tPvRmT1_T2_T3_mT4_P12ihipStream_tbEUlT_E1_NS1_11comp_targetILNS1_3genE4ELNS1_11target_archE910ELNS1_3gpuE8ELNS1_3repE0EEENS1_30default_config_static_selectorELNS0_4arch9wavefront6targetE1EEEvSD_
    .private_segment_fixed_size: 0
    .sgpr_count:     6
    .sgpr_spill_count: 0
    .symbol:         _ZN7rocprim17ROCPRIM_400000_NS6detail17trampoline_kernelINS0_14default_configENS1_22reduce_config_selectorIfEEZNS1_11reduce_implILb1ES3_PfS7_f9plus_mod3IfEEE10hipError_tPvRmT1_T2_T3_mT4_P12ihipStream_tbEUlT_E1_NS1_11comp_targetILNS1_3genE4ELNS1_11target_archE910ELNS1_3gpuE8ELNS1_3repE0EEENS1_30default_config_static_selectorELNS0_4arch9wavefront6targetE1EEEvSD_.kd
    .uniform_work_group_size: 1
    .uses_dynamic_stack: false
    .vgpr_count:     0
    .vgpr_spill_count: 0
    .wavefront_size: 64
  - .agpr_count:     0
    .args:
      - .offset:         0
        .size:           48
        .value_kind:     by_value
    .group_segment_fixed_size: 0
    .kernarg_segment_align: 8
    .kernarg_segment_size: 48
    .language:       OpenCL C
    .language_version:
      - 2
      - 0
    .max_flat_workgroup_size: 256
    .name:           _ZN7rocprim17ROCPRIM_400000_NS6detail17trampoline_kernelINS0_14default_configENS1_22reduce_config_selectorIfEEZNS1_11reduce_implILb1ES3_PfS7_f9plus_mod3IfEEE10hipError_tPvRmT1_T2_T3_mT4_P12ihipStream_tbEUlT_E1_NS1_11comp_targetILNS1_3genE3ELNS1_11target_archE908ELNS1_3gpuE7ELNS1_3repE0EEENS1_30default_config_static_selectorELNS0_4arch9wavefront6targetE1EEEvSD_
    .private_segment_fixed_size: 0
    .sgpr_count:     6
    .sgpr_spill_count: 0
    .symbol:         _ZN7rocprim17ROCPRIM_400000_NS6detail17trampoline_kernelINS0_14default_configENS1_22reduce_config_selectorIfEEZNS1_11reduce_implILb1ES3_PfS7_f9plus_mod3IfEEE10hipError_tPvRmT1_T2_T3_mT4_P12ihipStream_tbEUlT_E1_NS1_11comp_targetILNS1_3genE3ELNS1_11target_archE908ELNS1_3gpuE7ELNS1_3repE0EEENS1_30default_config_static_selectorELNS0_4arch9wavefront6targetE1EEEvSD_.kd
    .uniform_work_group_size: 1
    .uses_dynamic_stack: false
    .vgpr_count:     0
    .vgpr_spill_count: 0
    .wavefront_size: 64
  - .agpr_count:     0
    .args:
      - .offset:         0
        .size:           48
        .value_kind:     by_value
    .group_segment_fixed_size: 0
    .kernarg_segment_align: 8
    .kernarg_segment_size: 48
    .language:       OpenCL C
    .language_version:
      - 2
      - 0
    .max_flat_workgroup_size: 256
    .name:           _ZN7rocprim17ROCPRIM_400000_NS6detail17trampoline_kernelINS0_14default_configENS1_22reduce_config_selectorIfEEZNS1_11reduce_implILb1ES3_PfS7_f9plus_mod3IfEEE10hipError_tPvRmT1_T2_T3_mT4_P12ihipStream_tbEUlT_E1_NS1_11comp_targetILNS1_3genE2ELNS1_11target_archE906ELNS1_3gpuE6ELNS1_3repE0EEENS1_30default_config_static_selectorELNS0_4arch9wavefront6targetE1EEEvSD_
    .private_segment_fixed_size: 0
    .sgpr_count:     6
    .sgpr_spill_count: 0
    .symbol:         _ZN7rocprim17ROCPRIM_400000_NS6detail17trampoline_kernelINS0_14default_configENS1_22reduce_config_selectorIfEEZNS1_11reduce_implILb1ES3_PfS7_f9plus_mod3IfEEE10hipError_tPvRmT1_T2_T3_mT4_P12ihipStream_tbEUlT_E1_NS1_11comp_targetILNS1_3genE2ELNS1_11target_archE906ELNS1_3gpuE6ELNS1_3repE0EEENS1_30default_config_static_selectorELNS0_4arch9wavefront6targetE1EEEvSD_.kd
    .uniform_work_group_size: 1
    .uses_dynamic_stack: false
    .vgpr_count:     0
    .vgpr_spill_count: 0
    .wavefront_size: 64
  - .agpr_count:     0
    .args:
      - .offset:         0
        .size:           48
        .value_kind:     by_value
    .group_segment_fixed_size: 0
    .kernarg_segment_align: 8
    .kernarg_segment_size: 48
    .language:       OpenCL C
    .language_version:
      - 2
      - 0
    .max_flat_workgroup_size: 256
    .name:           _ZN7rocprim17ROCPRIM_400000_NS6detail17trampoline_kernelINS0_14default_configENS1_22reduce_config_selectorIfEEZNS1_11reduce_implILb1ES3_PfS7_f9plus_mod3IfEEE10hipError_tPvRmT1_T2_T3_mT4_P12ihipStream_tbEUlT_E1_NS1_11comp_targetILNS1_3genE10ELNS1_11target_archE1201ELNS1_3gpuE5ELNS1_3repE0EEENS1_30default_config_static_selectorELNS0_4arch9wavefront6targetE1EEEvSD_
    .private_segment_fixed_size: 0
    .sgpr_count:     6
    .sgpr_spill_count: 0
    .symbol:         _ZN7rocprim17ROCPRIM_400000_NS6detail17trampoline_kernelINS0_14default_configENS1_22reduce_config_selectorIfEEZNS1_11reduce_implILb1ES3_PfS7_f9plus_mod3IfEEE10hipError_tPvRmT1_T2_T3_mT4_P12ihipStream_tbEUlT_E1_NS1_11comp_targetILNS1_3genE10ELNS1_11target_archE1201ELNS1_3gpuE5ELNS1_3repE0EEENS1_30default_config_static_selectorELNS0_4arch9wavefront6targetE1EEEvSD_.kd
    .uniform_work_group_size: 1
    .uses_dynamic_stack: false
    .vgpr_count:     0
    .vgpr_spill_count: 0
    .wavefront_size: 64
  - .agpr_count:     0
    .args:
      - .offset:         0
        .size:           48
        .value_kind:     by_value
    .group_segment_fixed_size: 0
    .kernarg_segment_align: 8
    .kernarg_segment_size: 48
    .language:       OpenCL C
    .language_version:
      - 2
      - 0
    .max_flat_workgroup_size: 256
    .name:           _ZN7rocprim17ROCPRIM_400000_NS6detail17trampoline_kernelINS0_14default_configENS1_22reduce_config_selectorIfEEZNS1_11reduce_implILb1ES3_PfS7_f9plus_mod3IfEEE10hipError_tPvRmT1_T2_T3_mT4_P12ihipStream_tbEUlT_E1_NS1_11comp_targetILNS1_3genE10ELNS1_11target_archE1200ELNS1_3gpuE4ELNS1_3repE0EEENS1_30default_config_static_selectorELNS0_4arch9wavefront6targetE1EEEvSD_
    .private_segment_fixed_size: 0
    .sgpr_count:     6
    .sgpr_spill_count: 0
    .symbol:         _ZN7rocprim17ROCPRIM_400000_NS6detail17trampoline_kernelINS0_14default_configENS1_22reduce_config_selectorIfEEZNS1_11reduce_implILb1ES3_PfS7_f9plus_mod3IfEEE10hipError_tPvRmT1_T2_T3_mT4_P12ihipStream_tbEUlT_E1_NS1_11comp_targetILNS1_3genE10ELNS1_11target_archE1200ELNS1_3gpuE4ELNS1_3repE0EEENS1_30default_config_static_selectorELNS0_4arch9wavefront6targetE1EEEvSD_.kd
    .uniform_work_group_size: 1
    .uses_dynamic_stack: false
    .vgpr_count:     0
    .vgpr_spill_count: 0
    .wavefront_size: 64
  - .agpr_count:     0
    .args:
      - .offset:         0
        .size:           48
        .value_kind:     by_value
    .group_segment_fixed_size: 0
    .kernarg_segment_align: 8
    .kernarg_segment_size: 48
    .language:       OpenCL C
    .language_version:
      - 2
      - 0
    .max_flat_workgroup_size: 256
    .name:           _ZN7rocprim17ROCPRIM_400000_NS6detail17trampoline_kernelINS0_14default_configENS1_22reduce_config_selectorIfEEZNS1_11reduce_implILb1ES3_PfS7_f9plus_mod3IfEEE10hipError_tPvRmT1_T2_T3_mT4_P12ihipStream_tbEUlT_E1_NS1_11comp_targetILNS1_3genE9ELNS1_11target_archE1100ELNS1_3gpuE3ELNS1_3repE0EEENS1_30default_config_static_selectorELNS0_4arch9wavefront6targetE1EEEvSD_
    .private_segment_fixed_size: 0
    .sgpr_count:     6
    .sgpr_spill_count: 0
    .symbol:         _ZN7rocprim17ROCPRIM_400000_NS6detail17trampoline_kernelINS0_14default_configENS1_22reduce_config_selectorIfEEZNS1_11reduce_implILb1ES3_PfS7_f9plus_mod3IfEEE10hipError_tPvRmT1_T2_T3_mT4_P12ihipStream_tbEUlT_E1_NS1_11comp_targetILNS1_3genE9ELNS1_11target_archE1100ELNS1_3gpuE3ELNS1_3repE0EEENS1_30default_config_static_selectorELNS0_4arch9wavefront6targetE1EEEvSD_.kd
    .uniform_work_group_size: 1
    .uses_dynamic_stack: false
    .vgpr_count:     0
    .vgpr_spill_count: 0
    .wavefront_size: 64
  - .agpr_count:     0
    .args:
      - .offset:         0
        .size:           48
        .value_kind:     by_value
    .group_segment_fixed_size: 0
    .kernarg_segment_align: 8
    .kernarg_segment_size: 48
    .language:       OpenCL C
    .language_version:
      - 2
      - 0
    .max_flat_workgroup_size: 256
    .name:           _ZN7rocprim17ROCPRIM_400000_NS6detail17trampoline_kernelINS0_14default_configENS1_22reduce_config_selectorIfEEZNS1_11reduce_implILb1ES3_PfS7_f9plus_mod3IfEEE10hipError_tPvRmT1_T2_T3_mT4_P12ihipStream_tbEUlT_E1_NS1_11comp_targetILNS1_3genE8ELNS1_11target_archE1030ELNS1_3gpuE2ELNS1_3repE0EEENS1_30default_config_static_selectorELNS0_4arch9wavefront6targetE1EEEvSD_
    .private_segment_fixed_size: 0
    .sgpr_count:     6
    .sgpr_spill_count: 0
    .symbol:         _ZN7rocprim17ROCPRIM_400000_NS6detail17trampoline_kernelINS0_14default_configENS1_22reduce_config_selectorIfEEZNS1_11reduce_implILb1ES3_PfS7_f9plus_mod3IfEEE10hipError_tPvRmT1_T2_T3_mT4_P12ihipStream_tbEUlT_E1_NS1_11comp_targetILNS1_3genE8ELNS1_11target_archE1030ELNS1_3gpuE2ELNS1_3repE0EEENS1_30default_config_static_selectorELNS0_4arch9wavefront6targetE1EEEvSD_.kd
    .uniform_work_group_size: 1
    .uses_dynamic_stack: false
    .vgpr_count:     0
    .vgpr_spill_count: 0
    .wavefront_size: 64
  - .agpr_count:     0
    .args:
      - .offset:         0
        .size:           64
        .value_kind:     by_value
    .group_segment_fixed_size: 32
    .kernarg_segment_align: 8
    .kernarg_segment_size: 64
    .language:       OpenCL C
    .language_version:
      - 2
      - 0
    .max_flat_workgroup_size: 256
    .name:           _ZN7rocprim17ROCPRIM_400000_NS6detail17trampoline_kernelINS0_14default_configENS1_22reduce_config_selectorIfEEZNS1_11reduce_implILb1ES3_N6thrust23THRUST_200600_302600_NS6detail15normal_iteratorINS8_10device_ptrIfEEEEPff9plus_mod3IfEEE10hipError_tPvRmT1_T2_T3_mT4_P12ihipStream_tbEUlT_E0_NS1_11comp_targetILNS1_3genE0ELNS1_11target_archE4294967295ELNS1_3gpuE0ELNS1_3repE0EEENS1_30default_config_static_selectorELNS0_4arch9wavefront6targetE1EEEvSK_
    .private_segment_fixed_size: 0
    .sgpr_count:     27
    .sgpr_spill_count: 0
    .symbol:         _ZN7rocprim17ROCPRIM_400000_NS6detail17trampoline_kernelINS0_14default_configENS1_22reduce_config_selectorIfEEZNS1_11reduce_implILb1ES3_N6thrust23THRUST_200600_302600_NS6detail15normal_iteratorINS8_10device_ptrIfEEEEPff9plus_mod3IfEEE10hipError_tPvRmT1_T2_T3_mT4_P12ihipStream_tbEUlT_E0_NS1_11comp_targetILNS1_3genE0ELNS1_11target_archE4294967295ELNS1_3gpuE0ELNS1_3repE0EEENS1_30default_config_static_selectorELNS0_4arch9wavefront6targetE1EEEvSK_.kd
    .uniform_work_group_size: 1
    .uses_dynamic_stack: false
    .vgpr_count:     12
    .vgpr_spill_count: 0
    .wavefront_size: 64
  - .agpr_count:     0
    .args:
      - .offset:         0
        .size:           64
        .value_kind:     by_value
    .group_segment_fixed_size: 0
    .kernarg_segment_align: 8
    .kernarg_segment_size: 64
    .language:       OpenCL C
    .language_version:
      - 2
      - 0
    .max_flat_workgroup_size: 128
    .name:           _ZN7rocprim17ROCPRIM_400000_NS6detail17trampoline_kernelINS0_14default_configENS1_22reduce_config_selectorIfEEZNS1_11reduce_implILb1ES3_N6thrust23THRUST_200600_302600_NS6detail15normal_iteratorINS8_10device_ptrIfEEEEPff9plus_mod3IfEEE10hipError_tPvRmT1_T2_T3_mT4_P12ihipStream_tbEUlT_E0_NS1_11comp_targetILNS1_3genE5ELNS1_11target_archE942ELNS1_3gpuE9ELNS1_3repE0EEENS1_30default_config_static_selectorELNS0_4arch9wavefront6targetE1EEEvSK_
    .private_segment_fixed_size: 0
    .sgpr_count:     6
    .sgpr_spill_count: 0
    .symbol:         _ZN7rocprim17ROCPRIM_400000_NS6detail17trampoline_kernelINS0_14default_configENS1_22reduce_config_selectorIfEEZNS1_11reduce_implILb1ES3_N6thrust23THRUST_200600_302600_NS6detail15normal_iteratorINS8_10device_ptrIfEEEEPff9plus_mod3IfEEE10hipError_tPvRmT1_T2_T3_mT4_P12ihipStream_tbEUlT_E0_NS1_11comp_targetILNS1_3genE5ELNS1_11target_archE942ELNS1_3gpuE9ELNS1_3repE0EEENS1_30default_config_static_selectorELNS0_4arch9wavefront6targetE1EEEvSK_.kd
    .uniform_work_group_size: 1
    .uses_dynamic_stack: false
    .vgpr_count:     0
    .vgpr_spill_count: 0
    .wavefront_size: 64
  - .agpr_count:     0
    .args:
      - .offset:         0
        .size:           64
        .value_kind:     by_value
    .group_segment_fixed_size: 0
    .kernarg_segment_align: 8
    .kernarg_segment_size: 64
    .language:       OpenCL C
    .language_version:
      - 2
      - 0
    .max_flat_workgroup_size: 128
    .name:           _ZN7rocprim17ROCPRIM_400000_NS6detail17trampoline_kernelINS0_14default_configENS1_22reduce_config_selectorIfEEZNS1_11reduce_implILb1ES3_N6thrust23THRUST_200600_302600_NS6detail15normal_iteratorINS8_10device_ptrIfEEEEPff9plus_mod3IfEEE10hipError_tPvRmT1_T2_T3_mT4_P12ihipStream_tbEUlT_E0_NS1_11comp_targetILNS1_3genE4ELNS1_11target_archE910ELNS1_3gpuE8ELNS1_3repE0EEENS1_30default_config_static_selectorELNS0_4arch9wavefront6targetE1EEEvSK_
    .private_segment_fixed_size: 0
    .sgpr_count:     6
    .sgpr_spill_count: 0
    .symbol:         _ZN7rocprim17ROCPRIM_400000_NS6detail17trampoline_kernelINS0_14default_configENS1_22reduce_config_selectorIfEEZNS1_11reduce_implILb1ES3_N6thrust23THRUST_200600_302600_NS6detail15normal_iteratorINS8_10device_ptrIfEEEEPff9plus_mod3IfEEE10hipError_tPvRmT1_T2_T3_mT4_P12ihipStream_tbEUlT_E0_NS1_11comp_targetILNS1_3genE4ELNS1_11target_archE910ELNS1_3gpuE8ELNS1_3repE0EEENS1_30default_config_static_selectorELNS0_4arch9wavefront6targetE1EEEvSK_.kd
    .uniform_work_group_size: 1
    .uses_dynamic_stack: false
    .vgpr_count:     0
    .vgpr_spill_count: 0
    .wavefront_size: 64
  - .agpr_count:     0
    .args:
      - .offset:         0
        .size:           64
        .value_kind:     by_value
    .group_segment_fixed_size: 0
    .kernarg_segment_align: 8
    .kernarg_segment_size: 64
    .language:       OpenCL C
    .language_version:
      - 2
      - 0
    .max_flat_workgroup_size: 256
    .name:           _ZN7rocprim17ROCPRIM_400000_NS6detail17trampoline_kernelINS0_14default_configENS1_22reduce_config_selectorIfEEZNS1_11reduce_implILb1ES3_N6thrust23THRUST_200600_302600_NS6detail15normal_iteratorINS8_10device_ptrIfEEEEPff9plus_mod3IfEEE10hipError_tPvRmT1_T2_T3_mT4_P12ihipStream_tbEUlT_E0_NS1_11comp_targetILNS1_3genE3ELNS1_11target_archE908ELNS1_3gpuE7ELNS1_3repE0EEENS1_30default_config_static_selectorELNS0_4arch9wavefront6targetE1EEEvSK_
    .private_segment_fixed_size: 0
    .sgpr_count:     6
    .sgpr_spill_count: 0
    .symbol:         _ZN7rocprim17ROCPRIM_400000_NS6detail17trampoline_kernelINS0_14default_configENS1_22reduce_config_selectorIfEEZNS1_11reduce_implILb1ES3_N6thrust23THRUST_200600_302600_NS6detail15normal_iteratorINS8_10device_ptrIfEEEEPff9plus_mod3IfEEE10hipError_tPvRmT1_T2_T3_mT4_P12ihipStream_tbEUlT_E0_NS1_11comp_targetILNS1_3genE3ELNS1_11target_archE908ELNS1_3gpuE7ELNS1_3repE0EEENS1_30default_config_static_selectorELNS0_4arch9wavefront6targetE1EEEvSK_.kd
    .uniform_work_group_size: 1
    .uses_dynamic_stack: false
    .vgpr_count:     0
    .vgpr_spill_count: 0
    .wavefront_size: 64
  - .agpr_count:     0
    .args:
      - .offset:         0
        .size:           64
        .value_kind:     by_value
    .group_segment_fixed_size: 0
    .kernarg_segment_align: 8
    .kernarg_segment_size: 64
    .language:       OpenCL C
    .language_version:
      - 2
      - 0
    .max_flat_workgroup_size: 256
    .name:           _ZN7rocprim17ROCPRIM_400000_NS6detail17trampoline_kernelINS0_14default_configENS1_22reduce_config_selectorIfEEZNS1_11reduce_implILb1ES3_N6thrust23THRUST_200600_302600_NS6detail15normal_iteratorINS8_10device_ptrIfEEEEPff9plus_mod3IfEEE10hipError_tPvRmT1_T2_T3_mT4_P12ihipStream_tbEUlT_E0_NS1_11comp_targetILNS1_3genE2ELNS1_11target_archE906ELNS1_3gpuE6ELNS1_3repE0EEENS1_30default_config_static_selectorELNS0_4arch9wavefront6targetE1EEEvSK_
    .private_segment_fixed_size: 0
    .sgpr_count:     6
    .sgpr_spill_count: 0
    .symbol:         _ZN7rocprim17ROCPRIM_400000_NS6detail17trampoline_kernelINS0_14default_configENS1_22reduce_config_selectorIfEEZNS1_11reduce_implILb1ES3_N6thrust23THRUST_200600_302600_NS6detail15normal_iteratorINS8_10device_ptrIfEEEEPff9plus_mod3IfEEE10hipError_tPvRmT1_T2_T3_mT4_P12ihipStream_tbEUlT_E0_NS1_11comp_targetILNS1_3genE2ELNS1_11target_archE906ELNS1_3gpuE6ELNS1_3repE0EEENS1_30default_config_static_selectorELNS0_4arch9wavefront6targetE1EEEvSK_.kd
    .uniform_work_group_size: 1
    .uses_dynamic_stack: false
    .vgpr_count:     0
    .vgpr_spill_count: 0
    .wavefront_size: 64
  - .agpr_count:     0
    .args:
      - .offset:         0
        .size:           64
        .value_kind:     by_value
    .group_segment_fixed_size: 0
    .kernarg_segment_align: 8
    .kernarg_segment_size: 64
    .language:       OpenCL C
    .language_version:
      - 2
      - 0
    .max_flat_workgroup_size: 256
    .name:           _ZN7rocprim17ROCPRIM_400000_NS6detail17trampoline_kernelINS0_14default_configENS1_22reduce_config_selectorIfEEZNS1_11reduce_implILb1ES3_N6thrust23THRUST_200600_302600_NS6detail15normal_iteratorINS8_10device_ptrIfEEEEPff9plus_mod3IfEEE10hipError_tPvRmT1_T2_T3_mT4_P12ihipStream_tbEUlT_E0_NS1_11comp_targetILNS1_3genE10ELNS1_11target_archE1201ELNS1_3gpuE5ELNS1_3repE0EEENS1_30default_config_static_selectorELNS0_4arch9wavefront6targetE1EEEvSK_
    .private_segment_fixed_size: 0
    .sgpr_count:     6
    .sgpr_spill_count: 0
    .symbol:         _ZN7rocprim17ROCPRIM_400000_NS6detail17trampoline_kernelINS0_14default_configENS1_22reduce_config_selectorIfEEZNS1_11reduce_implILb1ES3_N6thrust23THRUST_200600_302600_NS6detail15normal_iteratorINS8_10device_ptrIfEEEEPff9plus_mod3IfEEE10hipError_tPvRmT1_T2_T3_mT4_P12ihipStream_tbEUlT_E0_NS1_11comp_targetILNS1_3genE10ELNS1_11target_archE1201ELNS1_3gpuE5ELNS1_3repE0EEENS1_30default_config_static_selectorELNS0_4arch9wavefront6targetE1EEEvSK_.kd
    .uniform_work_group_size: 1
    .uses_dynamic_stack: false
    .vgpr_count:     0
    .vgpr_spill_count: 0
    .wavefront_size: 64
  - .agpr_count:     0
    .args:
      - .offset:         0
        .size:           64
        .value_kind:     by_value
    .group_segment_fixed_size: 0
    .kernarg_segment_align: 8
    .kernarg_segment_size: 64
    .language:       OpenCL C
    .language_version:
      - 2
      - 0
    .max_flat_workgroup_size: 256
    .name:           _ZN7rocprim17ROCPRIM_400000_NS6detail17trampoline_kernelINS0_14default_configENS1_22reduce_config_selectorIfEEZNS1_11reduce_implILb1ES3_N6thrust23THRUST_200600_302600_NS6detail15normal_iteratorINS8_10device_ptrIfEEEEPff9plus_mod3IfEEE10hipError_tPvRmT1_T2_T3_mT4_P12ihipStream_tbEUlT_E0_NS1_11comp_targetILNS1_3genE10ELNS1_11target_archE1200ELNS1_3gpuE4ELNS1_3repE0EEENS1_30default_config_static_selectorELNS0_4arch9wavefront6targetE1EEEvSK_
    .private_segment_fixed_size: 0
    .sgpr_count:     6
    .sgpr_spill_count: 0
    .symbol:         _ZN7rocprim17ROCPRIM_400000_NS6detail17trampoline_kernelINS0_14default_configENS1_22reduce_config_selectorIfEEZNS1_11reduce_implILb1ES3_N6thrust23THRUST_200600_302600_NS6detail15normal_iteratorINS8_10device_ptrIfEEEEPff9plus_mod3IfEEE10hipError_tPvRmT1_T2_T3_mT4_P12ihipStream_tbEUlT_E0_NS1_11comp_targetILNS1_3genE10ELNS1_11target_archE1200ELNS1_3gpuE4ELNS1_3repE0EEENS1_30default_config_static_selectorELNS0_4arch9wavefront6targetE1EEEvSK_.kd
    .uniform_work_group_size: 1
    .uses_dynamic_stack: false
    .vgpr_count:     0
    .vgpr_spill_count: 0
    .wavefront_size: 64
  - .agpr_count:     0
    .args:
      - .offset:         0
        .size:           64
        .value_kind:     by_value
    .group_segment_fixed_size: 0
    .kernarg_segment_align: 8
    .kernarg_segment_size: 64
    .language:       OpenCL C
    .language_version:
      - 2
      - 0
    .max_flat_workgroup_size: 256
    .name:           _ZN7rocprim17ROCPRIM_400000_NS6detail17trampoline_kernelINS0_14default_configENS1_22reduce_config_selectorIfEEZNS1_11reduce_implILb1ES3_N6thrust23THRUST_200600_302600_NS6detail15normal_iteratorINS8_10device_ptrIfEEEEPff9plus_mod3IfEEE10hipError_tPvRmT1_T2_T3_mT4_P12ihipStream_tbEUlT_E0_NS1_11comp_targetILNS1_3genE9ELNS1_11target_archE1100ELNS1_3gpuE3ELNS1_3repE0EEENS1_30default_config_static_selectorELNS0_4arch9wavefront6targetE1EEEvSK_
    .private_segment_fixed_size: 0
    .sgpr_count:     6
    .sgpr_spill_count: 0
    .symbol:         _ZN7rocprim17ROCPRIM_400000_NS6detail17trampoline_kernelINS0_14default_configENS1_22reduce_config_selectorIfEEZNS1_11reduce_implILb1ES3_N6thrust23THRUST_200600_302600_NS6detail15normal_iteratorINS8_10device_ptrIfEEEEPff9plus_mod3IfEEE10hipError_tPvRmT1_T2_T3_mT4_P12ihipStream_tbEUlT_E0_NS1_11comp_targetILNS1_3genE9ELNS1_11target_archE1100ELNS1_3gpuE3ELNS1_3repE0EEENS1_30default_config_static_selectorELNS0_4arch9wavefront6targetE1EEEvSK_.kd
    .uniform_work_group_size: 1
    .uses_dynamic_stack: false
    .vgpr_count:     0
    .vgpr_spill_count: 0
    .wavefront_size: 64
  - .agpr_count:     0
    .args:
      - .offset:         0
        .size:           64
        .value_kind:     by_value
    .group_segment_fixed_size: 0
    .kernarg_segment_align: 8
    .kernarg_segment_size: 64
    .language:       OpenCL C
    .language_version:
      - 2
      - 0
    .max_flat_workgroup_size: 256
    .name:           _ZN7rocprim17ROCPRIM_400000_NS6detail17trampoline_kernelINS0_14default_configENS1_22reduce_config_selectorIfEEZNS1_11reduce_implILb1ES3_N6thrust23THRUST_200600_302600_NS6detail15normal_iteratorINS8_10device_ptrIfEEEEPff9plus_mod3IfEEE10hipError_tPvRmT1_T2_T3_mT4_P12ihipStream_tbEUlT_E0_NS1_11comp_targetILNS1_3genE8ELNS1_11target_archE1030ELNS1_3gpuE2ELNS1_3repE0EEENS1_30default_config_static_selectorELNS0_4arch9wavefront6targetE1EEEvSK_
    .private_segment_fixed_size: 0
    .sgpr_count:     6
    .sgpr_spill_count: 0
    .symbol:         _ZN7rocprim17ROCPRIM_400000_NS6detail17trampoline_kernelINS0_14default_configENS1_22reduce_config_selectorIfEEZNS1_11reduce_implILb1ES3_N6thrust23THRUST_200600_302600_NS6detail15normal_iteratorINS8_10device_ptrIfEEEEPff9plus_mod3IfEEE10hipError_tPvRmT1_T2_T3_mT4_P12ihipStream_tbEUlT_E0_NS1_11comp_targetILNS1_3genE8ELNS1_11target_archE1030ELNS1_3gpuE2ELNS1_3repE0EEENS1_30default_config_static_selectorELNS0_4arch9wavefront6targetE1EEEvSK_.kd
    .uniform_work_group_size: 1
    .uses_dynamic_stack: false
    .vgpr_count:     0
    .vgpr_spill_count: 0
    .wavefront_size: 64
  - .agpr_count:     0
    .args:
      - .offset:         0
        .size:           48
        .value_kind:     by_value
    .group_segment_fixed_size: 112
    .kernarg_segment_align: 8
    .kernarg_segment_size: 48
    .language:       OpenCL C
    .language_version:
      - 2
      - 0
    .max_flat_workgroup_size: 256
    .name:           _ZN7rocprim17ROCPRIM_400000_NS6detail17trampoline_kernelINS0_14default_configENS1_22reduce_config_selectorIfEEZNS1_11reduce_implILb1ES3_N6thrust23THRUST_200600_302600_NS6detail15normal_iteratorINS8_10device_ptrIfEEEEPff9plus_mod3IfEEE10hipError_tPvRmT1_T2_T3_mT4_P12ihipStream_tbEUlT_E1_NS1_11comp_targetILNS1_3genE0ELNS1_11target_archE4294967295ELNS1_3gpuE0ELNS1_3repE0EEENS1_30default_config_static_selectorELNS0_4arch9wavefront6targetE1EEEvSK_
    .private_segment_fixed_size: 0
    .sgpr_count:     88
    .sgpr_spill_count: 0
    .symbol:         _ZN7rocprim17ROCPRIM_400000_NS6detail17trampoline_kernelINS0_14default_configENS1_22reduce_config_selectorIfEEZNS1_11reduce_implILb1ES3_N6thrust23THRUST_200600_302600_NS6detail15normal_iteratorINS8_10device_ptrIfEEEEPff9plus_mod3IfEEE10hipError_tPvRmT1_T2_T3_mT4_P12ihipStream_tbEUlT_E1_NS1_11comp_targetILNS1_3genE0ELNS1_11target_archE4294967295ELNS1_3gpuE0ELNS1_3repE0EEENS1_30default_config_static_selectorELNS0_4arch9wavefront6targetE1EEEvSK_.kd
    .uniform_work_group_size: 1
    .uses_dynamic_stack: false
    .vgpr_count:     36
    .vgpr_spill_count: 0
    .wavefront_size: 64
  - .agpr_count:     0
    .args:
      - .offset:         0
        .size:           48
        .value_kind:     by_value
    .group_segment_fixed_size: 0
    .kernarg_segment_align: 8
    .kernarg_segment_size: 48
    .language:       OpenCL C
    .language_version:
      - 2
      - 0
    .max_flat_workgroup_size: 128
    .name:           _ZN7rocprim17ROCPRIM_400000_NS6detail17trampoline_kernelINS0_14default_configENS1_22reduce_config_selectorIfEEZNS1_11reduce_implILb1ES3_N6thrust23THRUST_200600_302600_NS6detail15normal_iteratorINS8_10device_ptrIfEEEEPff9plus_mod3IfEEE10hipError_tPvRmT1_T2_T3_mT4_P12ihipStream_tbEUlT_E1_NS1_11comp_targetILNS1_3genE5ELNS1_11target_archE942ELNS1_3gpuE9ELNS1_3repE0EEENS1_30default_config_static_selectorELNS0_4arch9wavefront6targetE1EEEvSK_
    .private_segment_fixed_size: 0
    .sgpr_count:     6
    .sgpr_spill_count: 0
    .symbol:         _ZN7rocprim17ROCPRIM_400000_NS6detail17trampoline_kernelINS0_14default_configENS1_22reduce_config_selectorIfEEZNS1_11reduce_implILb1ES3_N6thrust23THRUST_200600_302600_NS6detail15normal_iteratorINS8_10device_ptrIfEEEEPff9plus_mod3IfEEE10hipError_tPvRmT1_T2_T3_mT4_P12ihipStream_tbEUlT_E1_NS1_11comp_targetILNS1_3genE5ELNS1_11target_archE942ELNS1_3gpuE9ELNS1_3repE0EEENS1_30default_config_static_selectorELNS0_4arch9wavefront6targetE1EEEvSK_.kd
    .uniform_work_group_size: 1
    .uses_dynamic_stack: false
    .vgpr_count:     0
    .vgpr_spill_count: 0
    .wavefront_size: 64
  - .agpr_count:     0
    .args:
      - .offset:         0
        .size:           48
        .value_kind:     by_value
    .group_segment_fixed_size: 0
    .kernarg_segment_align: 8
    .kernarg_segment_size: 48
    .language:       OpenCL C
    .language_version:
      - 2
      - 0
    .max_flat_workgroup_size: 128
    .name:           _ZN7rocprim17ROCPRIM_400000_NS6detail17trampoline_kernelINS0_14default_configENS1_22reduce_config_selectorIfEEZNS1_11reduce_implILb1ES3_N6thrust23THRUST_200600_302600_NS6detail15normal_iteratorINS8_10device_ptrIfEEEEPff9plus_mod3IfEEE10hipError_tPvRmT1_T2_T3_mT4_P12ihipStream_tbEUlT_E1_NS1_11comp_targetILNS1_3genE4ELNS1_11target_archE910ELNS1_3gpuE8ELNS1_3repE0EEENS1_30default_config_static_selectorELNS0_4arch9wavefront6targetE1EEEvSK_
    .private_segment_fixed_size: 0
    .sgpr_count:     6
    .sgpr_spill_count: 0
    .symbol:         _ZN7rocprim17ROCPRIM_400000_NS6detail17trampoline_kernelINS0_14default_configENS1_22reduce_config_selectorIfEEZNS1_11reduce_implILb1ES3_N6thrust23THRUST_200600_302600_NS6detail15normal_iteratorINS8_10device_ptrIfEEEEPff9plus_mod3IfEEE10hipError_tPvRmT1_T2_T3_mT4_P12ihipStream_tbEUlT_E1_NS1_11comp_targetILNS1_3genE4ELNS1_11target_archE910ELNS1_3gpuE8ELNS1_3repE0EEENS1_30default_config_static_selectorELNS0_4arch9wavefront6targetE1EEEvSK_.kd
    .uniform_work_group_size: 1
    .uses_dynamic_stack: false
    .vgpr_count:     0
    .vgpr_spill_count: 0
    .wavefront_size: 64
  - .agpr_count:     0
    .args:
      - .offset:         0
        .size:           48
        .value_kind:     by_value
    .group_segment_fixed_size: 0
    .kernarg_segment_align: 8
    .kernarg_segment_size: 48
    .language:       OpenCL C
    .language_version:
      - 2
      - 0
    .max_flat_workgroup_size: 256
    .name:           _ZN7rocprim17ROCPRIM_400000_NS6detail17trampoline_kernelINS0_14default_configENS1_22reduce_config_selectorIfEEZNS1_11reduce_implILb1ES3_N6thrust23THRUST_200600_302600_NS6detail15normal_iteratorINS8_10device_ptrIfEEEEPff9plus_mod3IfEEE10hipError_tPvRmT1_T2_T3_mT4_P12ihipStream_tbEUlT_E1_NS1_11comp_targetILNS1_3genE3ELNS1_11target_archE908ELNS1_3gpuE7ELNS1_3repE0EEENS1_30default_config_static_selectorELNS0_4arch9wavefront6targetE1EEEvSK_
    .private_segment_fixed_size: 0
    .sgpr_count:     6
    .sgpr_spill_count: 0
    .symbol:         _ZN7rocprim17ROCPRIM_400000_NS6detail17trampoline_kernelINS0_14default_configENS1_22reduce_config_selectorIfEEZNS1_11reduce_implILb1ES3_N6thrust23THRUST_200600_302600_NS6detail15normal_iteratorINS8_10device_ptrIfEEEEPff9plus_mod3IfEEE10hipError_tPvRmT1_T2_T3_mT4_P12ihipStream_tbEUlT_E1_NS1_11comp_targetILNS1_3genE3ELNS1_11target_archE908ELNS1_3gpuE7ELNS1_3repE0EEENS1_30default_config_static_selectorELNS0_4arch9wavefront6targetE1EEEvSK_.kd
    .uniform_work_group_size: 1
    .uses_dynamic_stack: false
    .vgpr_count:     0
    .vgpr_spill_count: 0
    .wavefront_size: 64
  - .agpr_count:     0
    .args:
      - .offset:         0
        .size:           48
        .value_kind:     by_value
    .group_segment_fixed_size: 0
    .kernarg_segment_align: 8
    .kernarg_segment_size: 48
    .language:       OpenCL C
    .language_version:
      - 2
      - 0
    .max_flat_workgroup_size: 256
    .name:           _ZN7rocprim17ROCPRIM_400000_NS6detail17trampoline_kernelINS0_14default_configENS1_22reduce_config_selectorIfEEZNS1_11reduce_implILb1ES3_N6thrust23THRUST_200600_302600_NS6detail15normal_iteratorINS8_10device_ptrIfEEEEPff9plus_mod3IfEEE10hipError_tPvRmT1_T2_T3_mT4_P12ihipStream_tbEUlT_E1_NS1_11comp_targetILNS1_3genE2ELNS1_11target_archE906ELNS1_3gpuE6ELNS1_3repE0EEENS1_30default_config_static_selectorELNS0_4arch9wavefront6targetE1EEEvSK_
    .private_segment_fixed_size: 0
    .sgpr_count:     6
    .sgpr_spill_count: 0
    .symbol:         _ZN7rocprim17ROCPRIM_400000_NS6detail17trampoline_kernelINS0_14default_configENS1_22reduce_config_selectorIfEEZNS1_11reduce_implILb1ES3_N6thrust23THRUST_200600_302600_NS6detail15normal_iteratorINS8_10device_ptrIfEEEEPff9plus_mod3IfEEE10hipError_tPvRmT1_T2_T3_mT4_P12ihipStream_tbEUlT_E1_NS1_11comp_targetILNS1_3genE2ELNS1_11target_archE906ELNS1_3gpuE6ELNS1_3repE0EEENS1_30default_config_static_selectorELNS0_4arch9wavefront6targetE1EEEvSK_.kd
    .uniform_work_group_size: 1
    .uses_dynamic_stack: false
    .vgpr_count:     0
    .vgpr_spill_count: 0
    .wavefront_size: 64
  - .agpr_count:     0
    .args:
      - .offset:         0
        .size:           48
        .value_kind:     by_value
    .group_segment_fixed_size: 0
    .kernarg_segment_align: 8
    .kernarg_segment_size: 48
    .language:       OpenCL C
    .language_version:
      - 2
      - 0
    .max_flat_workgroup_size: 256
    .name:           _ZN7rocprim17ROCPRIM_400000_NS6detail17trampoline_kernelINS0_14default_configENS1_22reduce_config_selectorIfEEZNS1_11reduce_implILb1ES3_N6thrust23THRUST_200600_302600_NS6detail15normal_iteratorINS8_10device_ptrIfEEEEPff9plus_mod3IfEEE10hipError_tPvRmT1_T2_T3_mT4_P12ihipStream_tbEUlT_E1_NS1_11comp_targetILNS1_3genE10ELNS1_11target_archE1201ELNS1_3gpuE5ELNS1_3repE0EEENS1_30default_config_static_selectorELNS0_4arch9wavefront6targetE1EEEvSK_
    .private_segment_fixed_size: 0
    .sgpr_count:     6
    .sgpr_spill_count: 0
    .symbol:         _ZN7rocprim17ROCPRIM_400000_NS6detail17trampoline_kernelINS0_14default_configENS1_22reduce_config_selectorIfEEZNS1_11reduce_implILb1ES3_N6thrust23THRUST_200600_302600_NS6detail15normal_iteratorINS8_10device_ptrIfEEEEPff9plus_mod3IfEEE10hipError_tPvRmT1_T2_T3_mT4_P12ihipStream_tbEUlT_E1_NS1_11comp_targetILNS1_3genE10ELNS1_11target_archE1201ELNS1_3gpuE5ELNS1_3repE0EEENS1_30default_config_static_selectorELNS0_4arch9wavefront6targetE1EEEvSK_.kd
    .uniform_work_group_size: 1
    .uses_dynamic_stack: false
    .vgpr_count:     0
    .vgpr_spill_count: 0
    .wavefront_size: 64
  - .agpr_count:     0
    .args:
      - .offset:         0
        .size:           48
        .value_kind:     by_value
    .group_segment_fixed_size: 0
    .kernarg_segment_align: 8
    .kernarg_segment_size: 48
    .language:       OpenCL C
    .language_version:
      - 2
      - 0
    .max_flat_workgroup_size: 256
    .name:           _ZN7rocprim17ROCPRIM_400000_NS6detail17trampoline_kernelINS0_14default_configENS1_22reduce_config_selectorIfEEZNS1_11reduce_implILb1ES3_N6thrust23THRUST_200600_302600_NS6detail15normal_iteratorINS8_10device_ptrIfEEEEPff9plus_mod3IfEEE10hipError_tPvRmT1_T2_T3_mT4_P12ihipStream_tbEUlT_E1_NS1_11comp_targetILNS1_3genE10ELNS1_11target_archE1200ELNS1_3gpuE4ELNS1_3repE0EEENS1_30default_config_static_selectorELNS0_4arch9wavefront6targetE1EEEvSK_
    .private_segment_fixed_size: 0
    .sgpr_count:     6
    .sgpr_spill_count: 0
    .symbol:         _ZN7rocprim17ROCPRIM_400000_NS6detail17trampoline_kernelINS0_14default_configENS1_22reduce_config_selectorIfEEZNS1_11reduce_implILb1ES3_N6thrust23THRUST_200600_302600_NS6detail15normal_iteratorINS8_10device_ptrIfEEEEPff9plus_mod3IfEEE10hipError_tPvRmT1_T2_T3_mT4_P12ihipStream_tbEUlT_E1_NS1_11comp_targetILNS1_3genE10ELNS1_11target_archE1200ELNS1_3gpuE4ELNS1_3repE0EEENS1_30default_config_static_selectorELNS0_4arch9wavefront6targetE1EEEvSK_.kd
    .uniform_work_group_size: 1
    .uses_dynamic_stack: false
    .vgpr_count:     0
    .vgpr_spill_count: 0
    .wavefront_size: 64
  - .agpr_count:     0
    .args:
      - .offset:         0
        .size:           48
        .value_kind:     by_value
    .group_segment_fixed_size: 0
    .kernarg_segment_align: 8
    .kernarg_segment_size: 48
    .language:       OpenCL C
    .language_version:
      - 2
      - 0
    .max_flat_workgroup_size: 256
    .name:           _ZN7rocprim17ROCPRIM_400000_NS6detail17trampoline_kernelINS0_14default_configENS1_22reduce_config_selectorIfEEZNS1_11reduce_implILb1ES3_N6thrust23THRUST_200600_302600_NS6detail15normal_iteratorINS8_10device_ptrIfEEEEPff9plus_mod3IfEEE10hipError_tPvRmT1_T2_T3_mT4_P12ihipStream_tbEUlT_E1_NS1_11comp_targetILNS1_3genE9ELNS1_11target_archE1100ELNS1_3gpuE3ELNS1_3repE0EEENS1_30default_config_static_selectorELNS0_4arch9wavefront6targetE1EEEvSK_
    .private_segment_fixed_size: 0
    .sgpr_count:     6
    .sgpr_spill_count: 0
    .symbol:         _ZN7rocprim17ROCPRIM_400000_NS6detail17trampoline_kernelINS0_14default_configENS1_22reduce_config_selectorIfEEZNS1_11reduce_implILb1ES3_N6thrust23THRUST_200600_302600_NS6detail15normal_iteratorINS8_10device_ptrIfEEEEPff9plus_mod3IfEEE10hipError_tPvRmT1_T2_T3_mT4_P12ihipStream_tbEUlT_E1_NS1_11comp_targetILNS1_3genE9ELNS1_11target_archE1100ELNS1_3gpuE3ELNS1_3repE0EEENS1_30default_config_static_selectorELNS0_4arch9wavefront6targetE1EEEvSK_.kd
    .uniform_work_group_size: 1
    .uses_dynamic_stack: false
    .vgpr_count:     0
    .vgpr_spill_count: 0
    .wavefront_size: 64
  - .agpr_count:     0
    .args:
      - .offset:         0
        .size:           48
        .value_kind:     by_value
    .group_segment_fixed_size: 0
    .kernarg_segment_align: 8
    .kernarg_segment_size: 48
    .language:       OpenCL C
    .language_version:
      - 2
      - 0
    .max_flat_workgroup_size: 256
    .name:           _ZN7rocprim17ROCPRIM_400000_NS6detail17trampoline_kernelINS0_14default_configENS1_22reduce_config_selectorIfEEZNS1_11reduce_implILb1ES3_N6thrust23THRUST_200600_302600_NS6detail15normal_iteratorINS8_10device_ptrIfEEEEPff9plus_mod3IfEEE10hipError_tPvRmT1_T2_T3_mT4_P12ihipStream_tbEUlT_E1_NS1_11comp_targetILNS1_3genE8ELNS1_11target_archE1030ELNS1_3gpuE2ELNS1_3repE0EEENS1_30default_config_static_selectorELNS0_4arch9wavefront6targetE1EEEvSK_
    .private_segment_fixed_size: 0
    .sgpr_count:     6
    .sgpr_spill_count: 0
    .symbol:         _ZN7rocprim17ROCPRIM_400000_NS6detail17trampoline_kernelINS0_14default_configENS1_22reduce_config_selectorIfEEZNS1_11reduce_implILb1ES3_N6thrust23THRUST_200600_302600_NS6detail15normal_iteratorINS8_10device_ptrIfEEEEPff9plus_mod3IfEEE10hipError_tPvRmT1_T2_T3_mT4_P12ihipStream_tbEUlT_E1_NS1_11comp_targetILNS1_3genE8ELNS1_11target_archE1030ELNS1_3gpuE2ELNS1_3repE0EEENS1_30default_config_static_selectorELNS0_4arch9wavefront6targetE1EEEvSK_.kd
    .uniform_work_group_size: 1
    .uses_dynamic_stack: false
    .vgpr_count:     0
    .vgpr_spill_count: 0
    .wavefront_size: 64
  - .agpr_count:     0
    .args:
      - .offset:         0
        .size:           64
        .value_kind:     by_value
    .group_segment_fixed_size: 64
    .kernarg_segment_align: 8
    .kernarg_segment_size: 64
    .language:       OpenCL C
    .language_version:
      - 2
      - 0
    .max_flat_workgroup_size: 256
    .name:           _ZN7rocprim17ROCPRIM_400000_NS6detail17trampoline_kernelINS0_14default_configENS1_22reduce_config_selectorIyEEZNS1_11reduce_implILb1ES3_PyS7_y9plus_mod3IyEEE10hipError_tPvRmT1_T2_T3_mT4_P12ihipStream_tbEUlT_E0_NS1_11comp_targetILNS1_3genE0ELNS1_11target_archE4294967295ELNS1_3gpuE0ELNS1_3repE0EEENS1_30default_config_static_selectorELNS0_4arch9wavefront6targetE1EEEvSD_
    .private_segment_fixed_size: 0
    .sgpr_count:     58
    .sgpr_spill_count: 0
    .symbol:         _ZN7rocprim17ROCPRIM_400000_NS6detail17trampoline_kernelINS0_14default_configENS1_22reduce_config_selectorIyEEZNS1_11reduce_implILb1ES3_PyS7_y9plus_mod3IyEEE10hipError_tPvRmT1_T2_T3_mT4_P12ihipStream_tbEUlT_E0_NS1_11comp_targetILNS1_3genE0ELNS1_11target_archE4294967295ELNS1_3gpuE0ELNS1_3repE0EEENS1_30default_config_static_selectorELNS0_4arch9wavefront6targetE1EEEvSD_.kd
    .uniform_work_group_size: 1
    .uses_dynamic_stack: false
    .vgpr_count:     68
    .vgpr_spill_count: 0
    .wavefront_size: 64
  - .agpr_count:     0
    .args:
      - .offset:         0
        .size:           64
        .value_kind:     by_value
    .group_segment_fixed_size: 0
    .kernarg_segment_align: 8
    .kernarg_segment_size: 64
    .language:       OpenCL C
    .language_version:
      - 2
      - 0
    .max_flat_workgroup_size: 256
    .name:           _ZN7rocprim17ROCPRIM_400000_NS6detail17trampoline_kernelINS0_14default_configENS1_22reduce_config_selectorIyEEZNS1_11reduce_implILb1ES3_PyS7_y9plus_mod3IyEEE10hipError_tPvRmT1_T2_T3_mT4_P12ihipStream_tbEUlT_E0_NS1_11comp_targetILNS1_3genE5ELNS1_11target_archE942ELNS1_3gpuE9ELNS1_3repE0EEENS1_30default_config_static_selectorELNS0_4arch9wavefront6targetE1EEEvSD_
    .private_segment_fixed_size: 0
    .sgpr_count:     6
    .sgpr_spill_count: 0
    .symbol:         _ZN7rocprim17ROCPRIM_400000_NS6detail17trampoline_kernelINS0_14default_configENS1_22reduce_config_selectorIyEEZNS1_11reduce_implILb1ES3_PyS7_y9plus_mod3IyEEE10hipError_tPvRmT1_T2_T3_mT4_P12ihipStream_tbEUlT_E0_NS1_11comp_targetILNS1_3genE5ELNS1_11target_archE942ELNS1_3gpuE9ELNS1_3repE0EEENS1_30default_config_static_selectorELNS0_4arch9wavefront6targetE1EEEvSD_.kd
    .uniform_work_group_size: 1
    .uses_dynamic_stack: false
    .vgpr_count:     0
    .vgpr_spill_count: 0
    .wavefront_size: 64
  - .agpr_count:     0
    .args:
      - .offset:         0
        .size:           64
        .value_kind:     by_value
    .group_segment_fixed_size: 0
    .kernarg_segment_align: 8
    .kernarg_segment_size: 64
    .language:       OpenCL C
    .language_version:
      - 2
      - 0
    .max_flat_workgroup_size: 256
    .name:           _ZN7rocprim17ROCPRIM_400000_NS6detail17trampoline_kernelINS0_14default_configENS1_22reduce_config_selectorIyEEZNS1_11reduce_implILb1ES3_PyS7_y9plus_mod3IyEEE10hipError_tPvRmT1_T2_T3_mT4_P12ihipStream_tbEUlT_E0_NS1_11comp_targetILNS1_3genE4ELNS1_11target_archE910ELNS1_3gpuE8ELNS1_3repE0EEENS1_30default_config_static_selectorELNS0_4arch9wavefront6targetE1EEEvSD_
    .private_segment_fixed_size: 0
    .sgpr_count:     6
    .sgpr_spill_count: 0
    .symbol:         _ZN7rocprim17ROCPRIM_400000_NS6detail17trampoline_kernelINS0_14default_configENS1_22reduce_config_selectorIyEEZNS1_11reduce_implILb1ES3_PyS7_y9plus_mod3IyEEE10hipError_tPvRmT1_T2_T3_mT4_P12ihipStream_tbEUlT_E0_NS1_11comp_targetILNS1_3genE4ELNS1_11target_archE910ELNS1_3gpuE8ELNS1_3repE0EEENS1_30default_config_static_selectorELNS0_4arch9wavefront6targetE1EEEvSD_.kd
    .uniform_work_group_size: 1
    .uses_dynamic_stack: false
    .vgpr_count:     0
    .vgpr_spill_count: 0
    .wavefront_size: 64
  - .agpr_count:     0
    .args:
      - .offset:         0
        .size:           64
        .value_kind:     by_value
    .group_segment_fixed_size: 0
    .kernarg_segment_align: 8
    .kernarg_segment_size: 64
    .language:       OpenCL C
    .language_version:
      - 2
      - 0
    .max_flat_workgroup_size: 256
    .name:           _ZN7rocprim17ROCPRIM_400000_NS6detail17trampoline_kernelINS0_14default_configENS1_22reduce_config_selectorIyEEZNS1_11reduce_implILb1ES3_PyS7_y9plus_mod3IyEEE10hipError_tPvRmT1_T2_T3_mT4_P12ihipStream_tbEUlT_E0_NS1_11comp_targetILNS1_3genE3ELNS1_11target_archE908ELNS1_3gpuE7ELNS1_3repE0EEENS1_30default_config_static_selectorELNS0_4arch9wavefront6targetE1EEEvSD_
    .private_segment_fixed_size: 0
    .sgpr_count:     6
    .sgpr_spill_count: 0
    .symbol:         _ZN7rocprim17ROCPRIM_400000_NS6detail17trampoline_kernelINS0_14default_configENS1_22reduce_config_selectorIyEEZNS1_11reduce_implILb1ES3_PyS7_y9plus_mod3IyEEE10hipError_tPvRmT1_T2_T3_mT4_P12ihipStream_tbEUlT_E0_NS1_11comp_targetILNS1_3genE3ELNS1_11target_archE908ELNS1_3gpuE7ELNS1_3repE0EEENS1_30default_config_static_selectorELNS0_4arch9wavefront6targetE1EEEvSD_.kd
    .uniform_work_group_size: 1
    .uses_dynamic_stack: false
    .vgpr_count:     0
    .vgpr_spill_count: 0
    .wavefront_size: 64
  - .agpr_count:     0
    .args:
      - .offset:         0
        .size:           64
        .value_kind:     by_value
    .group_segment_fixed_size: 0
    .kernarg_segment_align: 8
    .kernarg_segment_size: 64
    .language:       OpenCL C
    .language_version:
      - 2
      - 0
    .max_flat_workgroup_size: 256
    .name:           _ZN7rocprim17ROCPRIM_400000_NS6detail17trampoline_kernelINS0_14default_configENS1_22reduce_config_selectorIyEEZNS1_11reduce_implILb1ES3_PyS7_y9plus_mod3IyEEE10hipError_tPvRmT1_T2_T3_mT4_P12ihipStream_tbEUlT_E0_NS1_11comp_targetILNS1_3genE2ELNS1_11target_archE906ELNS1_3gpuE6ELNS1_3repE0EEENS1_30default_config_static_selectorELNS0_4arch9wavefront6targetE1EEEvSD_
    .private_segment_fixed_size: 0
    .sgpr_count:     6
    .sgpr_spill_count: 0
    .symbol:         _ZN7rocprim17ROCPRIM_400000_NS6detail17trampoline_kernelINS0_14default_configENS1_22reduce_config_selectorIyEEZNS1_11reduce_implILb1ES3_PyS7_y9plus_mod3IyEEE10hipError_tPvRmT1_T2_T3_mT4_P12ihipStream_tbEUlT_E0_NS1_11comp_targetILNS1_3genE2ELNS1_11target_archE906ELNS1_3gpuE6ELNS1_3repE0EEENS1_30default_config_static_selectorELNS0_4arch9wavefront6targetE1EEEvSD_.kd
    .uniform_work_group_size: 1
    .uses_dynamic_stack: false
    .vgpr_count:     0
    .vgpr_spill_count: 0
    .wavefront_size: 64
  - .agpr_count:     0
    .args:
      - .offset:         0
        .size:           64
        .value_kind:     by_value
    .group_segment_fixed_size: 0
    .kernarg_segment_align: 8
    .kernarg_segment_size: 64
    .language:       OpenCL C
    .language_version:
      - 2
      - 0
    .max_flat_workgroup_size: 256
    .name:           _ZN7rocprim17ROCPRIM_400000_NS6detail17trampoline_kernelINS0_14default_configENS1_22reduce_config_selectorIyEEZNS1_11reduce_implILb1ES3_PyS7_y9plus_mod3IyEEE10hipError_tPvRmT1_T2_T3_mT4_P12ihipStream_tbEUlT_E0_NS1_11comp_targetILNS1_3genE10ELNS1_11target_archE1201ELNS1_3gpuE5ELNS1_3repE0EEENS1_30default_config_static_selectorELNS0_4arch9wavefront6targetE1EEEvSD_
    .private_segment_fixed_size: 0
    .sgpr_count:     6
    .sgpr_spill_count: 0
    .symbol:         _ZN7rocprim17ROCPRIM_400000_NS6detail17trampoline_kernelINS0_14default_configENS1_22reduce_config_selectorIyEEZNS1_11reduce_implILb1ES3_PyS7_y9plus_mod3IyEEE10hipError_tPvRmT1_T2_T3_mT4_P12ihipStream_tbEUlT_E0_NS1_11comp_targetILNS1_3genE10ELNS1_11target_archE1201ELNS1_3gpuE5ELNS1_3repE0EEENS1_30default_config_static_selectorELNS0_4arch9wavefront6targetE1EEEvSD_.kd
    .uniform_work_group_size: 1
    .uses_dynamic_stack: false
    .vgpr_count:     0
    .vgpr_spill_count: 0
    .wavefront_size: 64
  - .agpr_count:     0
    .args:
      - .offset:         0
        .size:           64
        .value_kind:     by_value
    .group_segment_fixed_size: 0
    .kernarg_segment_align: 8
    .kernarg_segment_size: 64
    .language:       OpenCL C
    .language_version:
      - 2
      - 0
    .max_flat_workgroup_size: 256
    .name:           _ZN7rocprim17ROCPRIM_400000_NS6detail17trampoline_kernelINS0_14default_configENS1_22reduce_config_selectorIyEEZNS1_11reduce_implILb1ES3_PyS7_y9plus_mod3IyEEE10hipError_tPvRmT1_T2_T3_mT4_P12ihipStream_tbEUlT_E0_NS1_11comp_targetILNS1_3genE10ELNS1_11target_archE1200ELNS1_3gpuE4ELNS1_3repE0EEENS1_30default_config_static_selectorELNS0_4arch9wavefront6targetE1EEEvSD_
    .private_segment_fixed_size: 0
    .sgpr_count:     6
    .sgpr_spill_count: 0
    .symbol:         _ZN7rocprim17ROCPRIM_400000_NS6detail17trampoline_kernelINS0_14default_configENS1_22reduce_config_selectorIyEEZNS1_11reduce_implILb1ES3_PyS7_y9plus_mod3IyEEE10hipError_tPvRmT1_T2_T3_mT4_P12ihipStream_tbEUlT_E0_NS1_11comp_targetILNS1_3genE10ELNS1_11target_archE1200ELNS1_3gpuE4ELNS1_3repE0EEENS1_30default_config_static_selectorELNS0_4arch9wavefront6targetE1EEEvSD_.kd
    .uniform_work_group_size: 1
    .uses_dynamic_stack: false
    .vgpr_count:     0
    .vgpr_spill_count: 0
    .wavefront_size: 64
  - .agpr_count:     0
    .args:
      - .offset:         0
        .size:           64
        .value_kind:     by_value
    .group_segment_fixed_size: 0
    .kernarg_segment_align: 8
    .kernarg_segment_size: 64
    .language:       OpenCL C
    .language_version:
      - 2
      - 0
    .max_flat_workgroup_size: 256
    .name:           _ZN7rocprim17ROCPRIM_400000_NS6detail17trampoline_kernelINS0_14default_configENS1_22reduce_config_selectorIyEEZNS1_11reduce_implILb1ES3_PyS7_y9plus_mod3IyEEE10hipError_tPvRmT1_T2_T3_mT4_P12ihipStream_tbEUlT_E0_NS1_11comp_targetILNS1_3genE9ELNS1_11target_archE1100ELNS1_3gpuE3ELNS1_3repE0EEENS1_30default_config_static_selectorELNS0_4arch9wavefront6targetE1EEEvSD_
    .private_segment_fixed_size: 0
    .sgpr_count:     6
    .sgpr_spill_count: 0
    .symbol:         _ZN7rocprim17ROCPRIM_400000_NS6detail17trampoline_kernelINS0_14default_configENS1_22reduce_config_selectorIyEEZNS1_11reduce_implILb1ES3_PyS7_y9plus_mod3IyEEE10hipError_tPvRmT1_T2_T3_mT4_P12ihipStream_tbEUlT_E0_NS1_11comp_targetILNS1_3genE9ELNS1_11target_archE1100ELNS1_3gpuE3ELNS1_3repE0EEENS1_30default_config_static_selectorELNS0_4arch9wavefront6targetE1EEEvSD_.kd
    .uniform_work_group_size: 1
    .uses_dynamic_stack: false
    .vgpr_count:     0
    .vgpr_spill_count: 0
    .wavefront_size: 64
  - .agpr_count:     0
    .args:
      - .offset:         0
        .size:           64
        .value_kind:     by_value
    .group_segment_fixed_size: 0
    .kernarg_segment_align: 8
    .kernarg_segment_size: 64
    .language:       OpenCL C
    .language_version:
      - 2
      - 0
    .max_flat_workgroup_size: 256
    .name:           _ZN7rocprim17ROCPRIM_400000_NS6detail17trampoline_kernelINS0_14default_configENS1_22reduce_config_selectorIyEEZNS1_11reduce_implILb1ES3_PyS7_y9plus_mod3IyEEE10hipError_tPvRmT1_T2_T3_mT4_P12ihipStream_tbEUlT_E0_NS1_11comp_targetILNS1_3genE8ELNS1_11target_archE1030ELNS1_3gpuE2ELNS1_3repE0EEENS1_30default_config_static_selectorELNS0_4arch9wavefront6targetE1EEEvSD_
    .private_segment_fixed_size: 0
    .sgpr_count:     6
    .sgpr_spill_count: 0
    .symbol:         _ZN7rocprim17ROCPRIM_400000_NS6detail17trampoline_kernelINS0_14default_configENS1_22reduce_config_selectorIyEEZNS1_11reduce_implILb1ES3_PyS7_y9plus_mod3IyEEE10hipError_tPvRmT1_T2_T3_mT4_P12ihipStream_tbEUlT_E0_NS1_11comp_targetILNS1_3genE8ELNS1_11target_archE1030ELNS1_3gpuE2ELNS1_3repE0EEENS1_30default_config_static_selectorELNS0_4arch9wavefront6targetE1EEEvSD_.kd
    .uniform_work_group_size: 1
    .uses_dynamic_stack: false
    .vgpr_count:     0
    .vgpr_spill_count: 0
    .wavefront_size: 64
  - .agpr_count:     0
    .args:
      - .offset:         0
        .size:           48
        .value_kind:     by_value
    .group_segment_fixed_size: 192
    .kernarg_segment_align: 8
    .kernarg_segment_size: 48
    .language:       OpenCL C
    .language_version:
      - 2
      - 0
    .max_flat_workgroup_size: 256
    .name:           _ZN7rocprim17ROCPRIM_400000_NS6detail17trampoline_kernelINS0_14default_configENS1_22reduce_config_selectorIyEEZNS1_11reduce_implILb1ES3_PyS7_y9plus_mod3IyEEE10hipError_tPvRmT1_T2_T3_mT4_P12ihipStream_tbEUlT_E1_NS1_11comp_targetILNS1_3genE0ELNS1_11target_archE4294967295ELNS1_3gpuE0ELNS1_3repE0EEENS1_30default_config_static_selectorELNS0_4arch9wavefront6targetE1EEEvSD_
    .private_segment_fixed_size: 0
    .sgpr_count:     57
    .sgpr_spill_count: 0
    .symbol:         _ZN7rocprim17ROCPRIM_400000_NS6detail17trampoline_kernelINS0_14default_configENS1_22reduce_config_selectorIyEEZNS1_11reduce_implILb1ES3_PyS7_y9plus_mod3IyEEE10hipError_tPvRmT1_T2_T3_mT4_P12ihipStream_tbEUlT_E1_NS1_11comp_targetILNS1_3genE0ELNS1_11target_archE4294967295ELNS1_3gpuE0ELNS1_3repE0EEENS1_30default_config_static_selectorELNS0_4arch9wavefront6targetE1EEEvSD_.kd
    .uniform_work_group_size: 1
    .uses_dynamic_stack: false
    .vgpr_count:     36
    .vgpr_spill_count: 0
    .wavefront_size: 64
  - .agpr_count:     0
    .args:
      - .offset:         0
        .size:           48
        .value_kind:     by_value
    .group_segment_fixed_size: 0
    .kernarg_segment_align: 8
    .kernarg_segment_size: 48
    .language:       OpenCL C
    .language_version:
      - 2
      - 0
    .max_flat_workgroup_size: 256
    .name:           _ZN7rocprim17ROCPRIM_400000_NS6detail17trampoline_kernelINS0_14default_configENS1_22reduce_config_selectorIyEEZNS1_11reduce_implILb1ES3_PyS7_y9plus_mod3IyEEE10hipError_tPvRmT1_T2_T3_mT4_P12ihipStream_tbEUlT_E1_NS1_11comp_targetILNS1_3genE5ELNS1_11target_archE942ELNS1_3gpuE9ELNS1_3repE0EEENS1_30default_config_static_selectorELNS0_4arch9wavefront6targetE1EEEvSD_
    .private_segment_fixed_size: 0
    .sgpr_count:     6
    .sgpr_spill_count: 0
    .symbol:         _ZN7rocprim17ROCPRIM_400000_NS6detail17trampoline_kernelINS0_14default_configENS1_22reduce_config_selectorIyEEZNS1_11reduce_implILb1ES3_PyS7_y9plus_mod3IyEEE10hipError_tPvRmT1_T2_T3_mT4_P12ihipStream_tbEUlT_E1_NS1_11comp_targetILNS1_3genE5ELNS1_11target_archE942ELNS1_3gpuE9ELNS1_3repE0EEENS1_30default_config_static_selectorELNS0_4arch9wavefront6targetE1EEEvSD_.kd
    .uniform_work_group_size: 1
    .uses_dynamic_stack: false
    .vgpr_count:     0
    .vgpr_spill_count: 0
    .wavefront_size: 64
  - .agpr_count:     0
    .args:
      - .offset:         0
        .size:           48
        .value_kind:     by_value
    .group_segment_fixed_size: 0
    .kernarg_segment_align: 8
    .kernarg_segment_size: 48
    .language:       OpenCL C
    .language_version:
      - 2
      - 0
    .max_flat_workgroup_size: 256
    .name:           _ZN7rocprim17ROCPRIM_400000_NS6detail17trampoline_kernelINS0_14default_configENS1_22reduce_config_selectorIyEEZNS1_11reduce_implILb1ES3_PyS7_y9plus_mod3IyEEE10hipError_tPvRmT1_T2_T3_mT4_P12ihipStream_tbEUlT_E1_NS1_11comp_targetILNS1_3genE4ELNS1_11target_archE910ELNS1_3gpuE8ELNS1_3repE0EEENS1_30default_config_static_selectorELNS0_4arch9wavefront6targetE1EEEvSD_
    .private_segment_fixed_size: 0
    .sgpr_count:     6
    .sgpr_spill_count: 0
    .symbol:         _ZN7rocprim17ROCPRIM_400000_NS6detail17trampoline_kernelINS0_14default_configENS1_22reduce_config_selectorIyEEZNS1_11reduce_implILb1ES3_PyS7_y9plus_mod3IyEEE10hipError_tPvRmT1_T2_T3_mT4_P12ihipStream_tbEUlT_E1_NS1_11comp_targetILNS1_3genE4ELNS1_11target_archE910ELNS1_3gpuE8ELNS1_3repE0EEENS1_30default_config_static_selectorELNS0_4arch9wavefront6targetE1EEEvSD_.kd
    .uniform_work_group_size: 1
    .uses_dynamic_stack: false
    .vgpr_count:     0
    .vgpr_spill_count: 0
    .wavefront_size: 64
  - .agpr_count:     0
    .args:
      - .offset:         0
        .size:           48
        .value_kind:     by_value
    .group_segment_fixed_size: 0
    .kernarg_segment_align: 8
    .kernarg_segment_size: 48
    .language:       OpenCL C
    .language_version:
      - 2
      - 0
    .max_flat_workgroup_size: 256
    .name:           _ZN7rocprim17ROCPRIM_400000_NS6detail17trampoline_kernelINS0_14default_configENS1_22reduce_config_selectorIyEEZNS1_11reduce_implILb1ES3_PyS7_y9plus_mod3IyEEE10hipError_tPvRmT1_T2_T3_mT4_P12ihipStream_tbEUlT_E1_NS1_11comp_targetILNS1_3genE3ELNS1_11target_archE908ELNS1_3gpuE7ELNS1_3repE0EEENS1_30default_config_static_selectorELNS0_4arch9wavefront6targetE1EEEvSD_
    .private_segment_fixed_size: 0
    .sgpr_count:     6
    .sgpr_spill_count: 0
    .symbol:         _ZN7rocprim17ROCPRIM_400000_NS6detail17trampoline_kernelINS0_14default_configENS1_22reduce_config_selectorIyEEZNS1_11reduce_implILb1ES3_PyS7_y9plus_mod3IyEEE10hipError_tPvRmT1_T2_T3_mT4_P12ihipStream_tbEUlT_E1_NS1_11comp_targetILNS1_3genE3ELNS1_11target_archE908ELNS1_3gpuE7ELNS1_3repE0EEENS1_30default_config_static_selectorELNS0_4arch9wavefront6targetE1EEEvSD_.kd
    .uniform_work_group_size: 1
    .uses_dynamic_stack: false
    .vgpr_count:     0
    .vgpr_spill_count: 0
    .wavefront_size: 64
  - .agpr_count:     0
    .args:
      - .offset:         0
        .size:           48
        .value_kind:     by_value
    .group_segment_fixed_size: 0
    .kernarg_segment_align: 8
    .kernarg_segment_size: 48
    .language:       OpenCL C
    .language_version:
      - 2
      - 0
    .max_flat_workgroup_size: 256
    .name:           _ZN7rocprim17ROCPRIM_400000_NS6detail17trampoline_kernelINS0_14default_configENS1_22reduce_config_selectorIyEEZNS1_11reduce_implILb1ES3_PyS7_y9plus_mod3IyEEE10hipError_tPvRmT1_T2_T3_mT4_P12ihipStream_tbEUlT_E1_NS1_11comp_targetILNS1_3genE2ELNS1_11target_archE906ELNS1_3gpuE6ELNS1_3repE0EEENS1_30default_config_static_selectorELNS0_4arch9wavefront6targetE1EEEvSD_
    .private_segment_fixed_size: 0
    .sgpr_count:     6
    .sgpr_spill_count: 0
    .symbol:         _ZN7rocprim17ROCPRIM_400000_NS6detail17trampoline_kernelINS0_14default_configENS1_22reduce_config_selectorIyEEZNS1_11reduce_implILb1ES3_PyS7_y9plus_mod3IyEEE10hipError_tPvRmT1_T2_T3_mT4_P12ihipStream_tbEUlT_E1_NS1_11comp_targetILNS1_3genE2ELNS1_11target_archE906ELNS1_3gpuE6ELNS1_3repE0EEENS1_30default_config_static_selectorELNS0_4arch9wavefront6targetE1EEEvSD_.kd
    .uniform_work_group_size: 1
    .uses_dynamic_stack: false
    .vgpr_count:     0
    .vgpr_spill_count: 0
    .wavefront_size: 64
  - .agpr_count:     0
    .args:
      - .offset:         0
        .size:           48
        .value_kind:     by_value
    .group_segment_fixed_size: 0
    .kernarg_segment_align: 8
    .kernarg_segment_size: 48
    .language:       OpenCL C
    .language_version:
      - 2
      - 0
    .max_flat_workgroup_size: 256
    .name:           _ZN7rocprim17ROCPRIM_400000_NS6detail17trampoline_kernelINS0_14default_configENS1_22reduce_config_selectorIyEEZNS1_11reduce_implILb1ES3_PyS7_y9plus_mod3IyEEE10hipError_tPvRmT1_T2_T3_mT4_P12ihipStream_tbEUlT_E1_NS1_11comp_targetILNS1_3genE10ELNS1_11target_archE1201ELNS1_3gpuE5ELNS1_3repE0EEENS1_30default_config_static_selectorELNS0_4arch9wavefront6targetE1EEEvSD_
    .private_segment_fixed_size: 0
    .sgpr_count:     6
    .sgpr_spill_count: 0
    .symbol:         _ZN7rocprim17ROCPRIM_400000_NS6detail17trampoline_kernelINS0_14default_configENS1_22reduce_config_selectorIyEEZNS1_11reduce_implILb1ES3_PyS7_y9plus_mod3IyEEE10hipError_tPvRmT1_T2_T3_mT4_P12ihipStream_tbEUlT_E1_NS1_11comp_targetILNS1_3genE10ELNS1_11target_archE1201ELNS1_3gpuE5ELNS1_3repE0EEENS1_30default_config_static_selectorELNS0_4arch9wavefront6targetE1EEEvSD_.kd
    .uniform_work_group_size: 1
    .uses_dynamic_stack: false
    .vgpr_count:     0
    .vgpr_spill_count: 0
    .wavefront_size: 64
  - .agpr_count:     0
    .args:
      - .offset:         0
        .size:           48
        .value_kind:     by_value
    .group_segment_fixed_size: 0
    .kernarg_segment_align: 8
    .kernarg_segment_size: 48
    .language:       OpenCL C
    .language_version:
      - 2
      - 0
    .max_flat_workgroup_size: 256
    .name:           _ZN7rocprim17ROCPRIM_400000_NS6detail17trampoline_kernelINS0_14default_configENS1_22reduce_config_selectorIyEEZNS1_11reduce_implILb1ES3_PyS7_y9plus_mod3IyEEE10hipError_tPvRmT1_T2_T3_mT4_P12ihipStream_tbEUlT_E1_NS1_11comp_targetILNS1_3genE10ELNS1_11target_archE1200ELNS1_3gpuE4ELNS1_3repE0EEENS1_30default_config_static_selectorELNS0_4arch9wavefront6targetE1EEEvSD_
    .private_segment_fixed_size: 0
    .sgpr_count:     6
    .sgpr_spill_count: 0
    .symbol:         _ZN7rocprim17ROCPRIM_400000_NS6detail17trampoline_kernelINS0_14default_configENS1_22reduce_config_selectorIyEEZNS1_11reduce_implILb1ES3_PyS7_y9plus_mod3IyEEE10hipError_tPvRmT1_T2_T3_mT4_P12ihipStream_tbEUlT_E1_NS1_11comp_targetILNS1_3genE10ELNS1_11target_archE1200ELNS1_3gpuE4ELNS1_3repE0EEENS1_30default_config_static_selectorELNS0_4arch9wavefront6targetE1EEEvSD_.kd
    .uniform_work_group_size: 1
    .uses_dynamic_stack: false
    .vgpr_count:     0
    .vgpr_spill_count: 0
    .wavefront_size: 64
  - .agpr_count:     0
    .args:
      - .offset:         0
        .size:           48
        .value_kind:     by_value
    .group_segment_fixed_size: 0
    .kernarg_segment_align: 8
    .kernarg_segment_size: 48
    .language:       OpenCL C
    .language_version:
      - 2
      - 0
    .max_flat_workgroup_size: 256
    .name:           _ZN7rocprim17ROCPRIM_400000_NS6detail17trampoline_kernelINS0_14default_configENS1_22reduce_config_selectorIyEEZNS1_11reduce_implILb1ES3_PyS7_y9plus_mod3IyEEE10hipError_tPvRmT1_T2_T3_mT4_P12ihipStream_tbEUlT_E1_NS1_11comp_targetILNS1_3genE9ELNS1_11target_archE1100ELNS1_3gpuE3ELNS1_3repE0EEENS1_30default_config_static_selectorELNS0_4arch9wavefront6targetE1EEEvSD_
    .private_segment_fixed_size: 0
    .sgpr_count:     6
    .sgpr_spill_count: 0
    .symbol:         _ZN7rocprim17ROCPRIM_400000_NS6detail17trampoline_kernelINS0_14default_configENS1_22reduce_config_selectorIyEEZNS1_11reduce_implILb1ES3_PyS7_y9plus_mod3IyEEE10hipError_tPvRmT1_T2_T3_mT4_P12ihipStream_tbEUlT_E1_NS1_11comp_targetILNS1_3genE9ELNS1_11target_archE1100ELNS1_3gpuE3ELNS1_3repE0EEENS1_30default_config_static_selectorELNS0_4arch9wavefront6targetE1EEEvSD_.kd
    .uniform_work_group_size: 1
    .uses_dynamic_stack: false
    .vgpr_count:     0
    .vgpr_spill_count: 0
    .wavefront_size: 64
  - .agpr_count:     0
    .args:
      - .offset:         0
        .size:           48
        .value_kind:     by_value
    .group_segment_fixed_size: 0
    .kernarg_segment_align: 8
    .kernarg_segment_size: 48
    .language:       OpenCL C
    .language_version:
      - 2
      - 0
    .max_flat_workgroup_size: 256
    .name:           _ZN7rocprim17ROCPRIM_400000_NS6detail17trampoline_kernelINS0_14default_configENS1_22reduce_config_selectorIyEEZNS1_11reduce_implILb1ES3_PyS7_y9plus_mod3IyEEE10hipError_tPvRmT1_T2_T3_mT4_P12ihipStream_tbEUlT_E1_NS1_11comp_targetILNS1_3genE8ELNS1_11target_archE1030ELNS1_3gpuE2ELNS1_3repE0EEENS1_30default_config_static_selectorELNS0_4arch9wavefront6targetE1EEEvSD_
    .private_segment_fixed_size: 0
    .sgpr_count:     6
    .sgpr_spill_count: 0
    .symbol:         _ZN7rocprim17ROCPRIM_400000_NS6detail17trampoline_kernelINS0_14default_configENS1_22reduce_config_selectorIyEEZNS1_11reduce_implILb1ES3_PyS7_y9plus_mod3IyEEE10hipError_tPvRmT1_T2_T3_mT4_P12ihipStream_tbEUlT_E1_NS1_11comp_targetILNS1_3genE8ELNS1_11target_archE1030ELNS1_3gpuE2ELNS1_3repE0EEENS1_30default_config_static_selectorELNS0_4arch9wavefront6targetE1EEEvSD_.kd
    .uniform_work_group_size: 1
    .uses_dynamic_stack: false
    .vgpr_count:     0
    .vgpr_spill_count: 0
    .wavefront_size: 64
  - .agpr_count:     0
    .args:
      - .offset:         0
        .size:           64
        .value_kind:     by_value
    .group_segment_fixed_size: 64
    .kernarg_segment_align: 8
    .kernarg_segment_size: 64
    .language:       OpenCL C
    .language_version:
      - 2
      - 0
    .max_flat_workgroup_size: 256
    .name:           _ZN7rocprim17ROCPRIM_400000_NS6detail17trampoline_kernelINS0_14default_configENS1_22reduce_config_selectorIyEEZNS1_11reduce_implILb1ES3_N6thrust23THRUST_200600_302600_NS6detail15normal_iteratorINS8_10device_ptrIyEEEEPyy9plus_mod3IyEEE10hipError_tPvRmT1_T2_T3_mT4_P12ihipStream_tbEUlT_E0_NS1_11comp_targetILNS1_3genE0ELNS1_11target_archE4294967295ELNS1_3gpuE0ELNS1_3repE0EEENS1_30default_config_static_selectorELNS0_4arch9wavefront6targetE1EEEvSK_
    .private_segment_fixed_size: 0
    .sgpr_count:     58
    .sgpr_spill_count: 0
    .symbol:         _ZN7rocprim17ROCPRIM_400000_NS6detail17trampoline_kernelINS0_14default_configENS1_22reduce_config_selectorIyEEZNS1_11reduce_implILb1ES3_N6thrust23THRUST_200600_302600_NS6detail15normal_iteratorINS8_10device_ptrIyEEEEPyy9plus_mod3IyEEE10hipError_tPvRmT1_T2_T3_mT4_P12ihipStream_tbEUlT_E0_NS1_11comp_targetILNS1_3genE0ELNS1_11target_archE4294967295ELNS1_3gpuE0ELNS1_3repE0EEENS1_30default_config_static_selectorELNS0_4arch9wavefront6targetE1EEEvSK_.kd
    .uniform_work_group_size: 1
    .uses_dynamic_stack: false
    .vgpr_count:     68
    .vgpr_spill_count: 0
    .wavefront_size: 64
  - .agpr_count:     0
    .args:
      - .offset:         0
        .size:           64
        .value_kind:     by_value
    .group_segment_fixed_size: 0
    .kernarg_segment_align: 8
    .kernarg_segment_size: 64
    .language:       OpenCL C
    .language_version:
      - 2
      - 0
    .max_flat_workgroup_size: 256
    .name:           _ZN7rocprim17ROCPRIM_400000_NS6detail17trampoline_kernelINS0_14default_configENS1_22reduce_config_selectorIyEEZNS1_11reduce_implILb1ES3_N6thrust23THRUST_200600_302600_NS6detail15normal_iteratorINS8_10device_ptrIyEEEEPyy9plus_mod3IyEEE10hipError_tPvRmT1_T2_T3_mT4_P12ihipStream_tbEUlT_E0_NS1_11comp_targetILNS1_3genE5ELNS1_11target_archE942ELNS1_3gpuE9ELNS1_3repE0EEENS1_30default_config_static_selectorELNS0_4arch9wavefront6targetE1EEEvSK_
    .private_segment_fixed_size: 0
    .sgpr_count:     6
    .sgpr_spill_count: 0
    .symbol:         _ZN7rocprim17ROCPRIM_400000_NS6detail17trampoline_kernelINS0_14default_configENS1_22reduce_config_selectorIyEEZNS1_11reduce_implILb1ES3_N6thrust23THRUST_200600_302600_NS6detail15normal_iteratorINS8_10device_ptrIyEEEEPyy9plus_mod3IyEEE10hipError_tPvRmT1_T2_T3_mT4_P12ihipStream_tbEUlT_E0_NS1_11comp_targetILNS1_3genE5ELNS1_11target_archE942ELNS1_3gpuE9ELNS1_3repE0EEENS1_30default_config_static_selectorELNS0_4arch9wavefront6targetE1EEEvSK_.kd
    .uniform_work_group_size: 1
    .uses_dynamic_stack: false
    .vgpr_count:     0
    .vgpr_spill_count: 0
    .wavefront_size: 64
  - .agpr_count:     0
    .args:
      - .offset:         0
        .size:           64
        .value_kind:     by_value
    .group_segment_fixed_size: 0
    .kernarg_segment_align: 8
    .kernarg_segment_size: 64
    .language:       OpenCL C
    .language_version:
      - 2
      - 0
    .max_flat_workgroup_size: 256
    .name:           _ZN7rocprim17ROCPRIM_400000_NS6detail17trampoline_kernelINS0_14default_configENS1_22reduce_config_selectorIyEEZNS1_11reduce_implILb1ES3_N6thrust23THRUST_200600_302600_NS6detail15normal_iteratorINS8_10device_ptrIyEEEEPyy9plus_mod3IyEEE10hipError_tPvRmT1_T2_T3_mT4_P12ihipStream_tbEUlT_E0_NS1_11comp_targetILNS1_3genE4ELNS1_11target_archE910ELNS1_3gpuE8ELNS1_3repE0EEENS1_30default_config_static_selectorELNS0_4arch9wavefront6targetE1EEEvSK_
    .private_segment_fixed_size: 0
    .sgpr_count:     6
    .sgpr_spill_count: 0
    .symbol:         _ZN7rocprim17ROCPRIM_400000_NS6detail17trampoline_kernelINS0_14default_configENS1_22reduce_config_selectorIyEEZNS1_11reduce_implILb1ES3_N6thrust23THRUST_200600_302600_NS6detail15normal_iteratorINS8_10device_ptrIyEEEEPyy9plus_mod3IyEEE10hipError_tPvRmT1_T2_T3_mT4_P12ihipStream_tbEUlT_E0_NS1_11comp_targetILNS1_3genE4ELNS1_11target_archE910ELNS1_3gpuE8ELNS1_3repE0EEENS1_30default_config_static_selectorELNS0_4arch9wavefront6targetE1EEEvSK_.kd
    .uniform_work_group_size: 1
    .uses_dynamic_stack: false
    .vgpr_count:     0
    .vgpr_spill_count: 0
    .wavefront_size: 64
  - .agpr_count:     0
    .args:
      - .offset:         0
        .size:           64
        .value_kind:     by_value
    .group_segment_fixed_size: 0
    .kernarg_segment_align: 8
    .kernarg_segment_size: 64
    .language:       OpenCL C
    .language_version:
      - 2
      - 0
    .max_flat_workgroup_size: 256
    .name:           _ZN7rocprim17ROCPRIM_400000_NS6detail17trampoline_kernelINS0_14default_configENS1_22reduce_config_selectorIyEEZNS1_11reduce_implILb1ES3_N6thrust23THRUST_200600_302600_NS6detail15normal_iteratorINS8_10device_ptrIyEEEEPyy9plus_mod3IyEEE10hipError_tPvRmT1_T2_T3_mT4_P12ihipStream_tbEUlT_E0_NS1_11comp_targetILNS1_3genE3ELNS1_11target_archE908ELNS1_3gpuE7ELNS1_3repE0EEENS1_30default_config_static_selectorELNS0_4arch9wavefront6targetE1EEEvSK_
    .private_segment_fixed_size: 0
    .sgpr_count:     6
    .sgpr_spill_count: 0
    .symbol:         _ZN7rocprim17ROCPRIM_400000_NS6detail17trampoline_kernelINS0_14default_configENS1_22reduce_config_selectorIyEEZNS1_11reduce_implILb1ES3_N6thrust23THRUST_200600_302600_NS6detail15normal_iteratorINS8_10device_ptrIyEEEEPyy9plus_mod3IyEEE10hipError_tPvRmT1_T2_T3_mT4_P12ihipStream_tbEUlT_E0_NS1_11comp_targetILNS1_3genE3ELNS1_11target_archE908ELNS1_3gpuE7ELNS1_3repE0EEENS1_30default_config_static_selectorELNS0_4arch9wavefront6targetE1EEEvSK_.kd
    .uniform_work_group_size: 1
    .uses_dynamic_stack: false
    .vgpr_count:     0
    .vgpr_spill_count: 0
    .wavefront_size: 64
  - .agpr_count:     0
    .args:
      - .offset:         0
        .size:           64
        .value_kind:     by_value
    .group_segment_fixed_size: 0
    .kernarg_segment_align: 8
    .kernarg_segment_size: 64
    .language:       OpenCL C
    .language_version:
      - 2
      - 0
    .max_flat_workgroup_size: 256
    .name:           _ZN7rocprim17ROCPRIM_400000_NS6detail17trampoline_kernelINS0_14default_configENS1_22reduce_config_selectorIyEEZNS1_11reduce_implILb1ES3_N6thrust23THRUST_200600_302600_NS6detail15normal_iteratorINS8_10device_ptrIyEEEEPyy9plus_mod3IyEEE10hipError_tPvRmT1_T2_T3_mT4_P12ihipStream_tbEUlT_E0_NS1_11comp_targetILNS1_3genE2ELNS1_11target_archE906ELNS1_3gpuE6ELNS1_3repE0EEENS1_30default_config_static_selectorELNS0_4arch9wavefront6targetE1EEEvSK_
    .private_segment_fixed_size: 0
    .sgpr_count:     6
    .sgpr_spill_count: 0
    .symbol:         _ZN7rocprim17ROCPRIM_400000_NS6detail17trampoline_kernelINS0_14default_configENS1_22reduce_config_selectorIyEEZNS1_11reduce_implILb1ES3_N6thrust23THRUST_200600_302600_NS6detail15normal_iteratorINS8_10device_ptrIyEEEEPyy9plus_mod3IyEEE10hipError_tPvRmT1_T2_T3_mT4_P12ihipStream_tbEUlT_E0_NS1_11comp_targetILNS1_3genE2ELNS1_11target_archE906ELNS1_3gpuE6ELNS1_3repE0EEENS1_30default_config_static_selectorELNS0_4arch9wavefront6targetE1EEEvSK_.kd
    .uniform_work_group_size: 1
    .uses_dynamic_stack: false
    .vgpr_count:     0
    .vgpr_spill_count: 0
    .wavefront_size: 64
  - .agpr_count:     0
    .args:
      - .offset:         0
        .size:           64
        .value_kind:     by_value
    .group_segment_fixed_size: 0
    .kernarg_segment_align: 8
    .kernarg_segment_size: 64
    .language:       OpenCL C
    .language_version:
      - 2
      - 0
    .max_flat_workgroup_size: 256
    .name:           _ZN7rocprim17ROCPRIM_400000_NS6detail17trampoline_kernelINS0_14default_configENS1_22reduce_config_selectorIyEEZNS1_11reduce_implILb1ES3_N6thrust23THRUST_200600_302600_NS6detail15normal_iteratorINS8_10device_ptrIyEEEEPyy9plus_mod3IyEEE10hipError_tPvRmT1_T2_T3_mT4_P12ihipStream_tbEUlT_E0_NS1_11comp_targetILNS1_3genE10ELNS1_11target_archE1201ELNS1_3gpuE5ELNS1_3repE0EEENS1_30default_config_static_selectorELNS0_4arch9wavefront6targetE1EEEvSK_
    .private_segment_fixed_size: 0
    .sgpr_count:     6
    .sgpr_spill_count: 0
    .symbol:         _ZN7rocprim17ROCPRIM_400000_NS6detail17trampoline_kernelINS0_14default_configENS1_22reduce_config_selectorIyEEZNS1_11reduce_implILb1ES3_N6thrust23THRUST_200600_302600_NS6detail15normal_iteratorINS8_10device_ptrIyEEEEPyy9plus_mod3IyEEE10hipError_tPvRmT1_T2_T3_mT4_P12ihipStream_tbEUlT_E0_NS1_11comp_targetILNS1_3genE10ELNS1_11target_archE1201ELNS1_3gpuE5ELNS1_3repE0EEENS1_30default_config_static_selectorELNS0_4arch9wavefront6targetE1EEEvSK_.kd
    .uniform_work_group_size: 1
    .uses_dynamic_stack: false
    .vgpr_count:     0
    .vgpr_spill_count: 0
    .wavefront_size: 64
  - .agpr_count:     0
    .args:
      - .offset:         0
        .size:           64
        .value_kind:     by_value
    .group_segment_fixed_size: 0
    .kernarg_segment_align: 8
    .kernarg_segment_size: 64
    .language:       OpenCL C
    .language_version:
      - 2
      - 0
    .max_flat_workgroup_size: 256
    .name:           _ZN7rocprim17ROCPRIM_400000_NS6detail17trampoline_kernelINS0_14default_configENS1_22reduce_config_selectorIyEEZNS1_11reduce_implILb1ES3_N6thrust23THRUST_200600_302600_NS6detail15normal_iteratorINS8_10device_ptrIyEEEEPyy9plus_mod3IyEEE10hipError_tPvRmT1_T2_T3_mT4_P12ihipStream_tbEUlT_E0_NS1_11comp_targetILNS1_3genE10ELNS1_11target_archE1200ELNS1_3gpuE4ELNS1_3repE0EEENS1_30default_config_static_selectorELNS0_4arch9wavefront6targetE1EEEvSK_
    .private_segment_fixed_size: 0
    .sgpr_count:     6
    .sgpr_spill_count: 0
    .symbol:         _ZN7rocprim17ROCPRIM_400000_NS6detail17trampoline_kernelINS0_14default_configENS1_22reduce_config_selectorIyEEZNS1_11reduce_implILb1ES3_N6thrust23THRUST_200600_302600_NS6detail15normal_iteratorINS8_10device_ptrIyEEEEPyy9plus_mod3IyEEE10hipError_tPvRmT1_T2_T3_mT4_P12ihipStream_tbEUlT_E0_NS1_11comp_targetILNS1_3genE10ELNS1_11target_archE1200ELNS1_3gpuE4ELNS1_3repE0EEENS1_30default_config_static_selectorELNS0_4arch9wavefront6targetE1EEEvSK_.kd
    .uniform_work_group_size: 1
    .uses_dynamic_stack: false
    .vgpr_count:     0
    .vgpr_spill_count: 0
    .wavefront_size: 64
  - .agpr_count:     0
    .args:
      - .offset:         0
        .size:           64
        .value_kind:     by_value
    .group_segment_fixed_size: 0
    .kernarg_segment_align: 8
    .kernarg_segment_size: 64
    .language:       OpenCL C
    .language_version:
      - 2
      - 0
    .max_flat_workgroup_size: 256
    .name:           _ZN7rocprim17ROCPRIM_400000_NS6detail17trampoline_kernelINS0_14default_configENS1_22reduce_config_selectorIyEEZNS1_11reduce_implILb1ES3_N6thrust23THRUST_200600_302600_NS6detail15normal_iteratorINS8_10device_ptrIyEEEEPyy9plus_mod3IyEEE10hipError_tPvRmT1_T2_T3_mT4_P12ihipStream_tbEUlT_E0_NS1_11comp_targetILNS1_3genE9ELNS1_11target_archE1100ELNS1_3gpuE3ELNS1_3repE0EEENS1_30default_config_static_selectorELNS0_4arch9wavefront6targetE1EEEvSK_
    .private_segment_fixed_size: 0
    .sgpr_count:     6
    .sgpr_spill_count: 0
    .symbol:         _ZN7rocprim17ROCPRIM_400000_NS6detail17trampoline_kernelINS0_14default_configENS1_22reduce_config_selectorIyEEZNS1_11reduce_implILb1ES3_N6thrust23THRUST_200600_302600_NS6detail15normal_iteratorINS8_10device_ptrIyEEEEPyy9plus_mod3IyEEE10hipError_tPvRmT1_T2_T3_mT4_P12ihipStream_tbEUlT_E0_NS1_11comp_targetILNS1_3genE9ELNS1_11target_archE1100ELNS1_3gpuE3ELNS1_3repE0EEENS1_30default_config_static_selectorELNS0_4arch9wavefront6targetE1EEEvSK_.kd
    .uniform_work_group_size: 1
    .uses_dynamic_stack: false
    .vgpr_count:     0
    .vgpr_spill_count: 0
    .wavefront_size: 64
  - .agpr_count:     0
    .args:
      - .offset:         0
        .size:           64
        .value_kind:     by_value
    .group_segment_fixed_size: 0
    .kernarg_segment_align: 8
    .kernarg_segment_size: 64
    .language:       OpenCL C
    .language_version:
      - 2
      - 0
    .max_flat_workgroup_size: 256
    .name:           _ZN7rocprim17ROCPRIM_400000_NS6detail17trampoline_kernelINS0_14default_configENS1_22reduce_config_selectorIyEEZNS1_11reduce_implILb1ES3_N6thrust23THRUST_200600_302600_NS6detail15normal_iteratorINS8_10device_ptrIyEEEEPyy9plus_mod3IyEEE10hipError_tPvRmT1_T2_T3_mT4_P12ihipStream_tbEUlT_E0_NS1_11comp_targetILNS1_3genE8ELNS1_11target_archE1030ELNS1_3gpuE2ELNS1_3repE0EEENS1_30default_config_static_selectorELNS0_4arch9wavefront6targetE1EEEvSK_
    .private_segment_fixed_size: 0
    .sgpr_count:     6
    .sgpr_spill_count: 0
    .symbol:         _ZN7rocprim17ROCPRIM_400000_NS6detail17trampoline_kernelINS0_14default_configENS1_22reduce_config_selectorIyEEZNS1_11reduce_implILb1ES3_N6thrust23THRUST_200600_302600_NS6detail15normal_iteratorINS8_10device_ptrIyEEEEPyy9plus_mod3IyEEE10hipError_tPvRmT1_T2_T3_mT4_P12ihipStream_tbEUlT_E0_NS1_11comp_targetILNS1_3genE8ELNS1_11target_archE1030ELNS1_3gpuE2ELNS1_3repE0EEENS1_30default_config_static_selectorELNS0_4arch9wavefront6targetE1EEEvSK_.kd
    .uniform_work_group_size: 1
    .uses_dynamic_stack: false
    .vgpr_count:     0
    .vgpr_spill_count: 0
    .wavefront_size: 64
  - .agpr_count:     0
    .args:
      - .offset:         0
        .size:           48
        .value_kind:     by_value
    .group_segment_fixed_size: 192
    .kernarg_segment_align: 8
    .kernarg_segment_size: 48
    .language:       OpenCL C
    .language_version:
      - 2
      - 0
    .max_flat_workgroup_size: 256
    .name:           _ZN7rocprim17ROCPRIM_400000_NS6detail17trampoline_kernelINS0_14default_configENS1_22reduce_config_selectorIyEEZNS1_11reduce_implILb1ES3_N6thrust23THRUST_200600_302600_NS6detail15normal_iteratorINS8_10device_ptrIyEEEEPyy9plus_mod3IyEEE10hipError_tPvRmT1_T2_T3_mT4_P12ihipStream_tbEUlT_E1_NS1_11comp_targetILNS1_3genE0ELNS1_11target_archE4294967295ELNS1_3gpuE0ELNS1_3repE0EEENS1_30default_config_static_selectorELNS0_4arch9wavefront6targetE1EEEvSK_
    .private_segment_fixed_size: 0
    .sgpr_count:     57
    .sgpr_spill_count: 0
    .symbol:         _ZN7rocprim17ROCPRIM_400000_NS6detail17trampoline_kernelINS0_14default_configENS1_22reduce_config_selectorIyEEZNS1_11reduce_implILb1ES3_N6thrust23THRUST_200600_302600_NS6detail15normal_iteratorINS8_10device_ptrIyEEEEPyy9plus_mod3IyEEE10hipError_tPvRmT1_T2_T3_mT4_P12ihipStream_tbEUlT_E1_NS1_11comp_targetILNS1_3genE0ELNS1_11target_archE4294967295ELNS1_3gpuE0ELNS1_3repE0EEENS1_30default_config_static_selectorELNS0_4arch9wavefront6targetE1EEEvSK_.kd
    .uniform_work_group_size: 1
    .uses_dynamic_stack: false
    .vgpr_count:     36
    .vgpr_spill_count: 0
    .wavefront_size: 64
  - .agpr_count:     0
    .args:
      - .offset:         0
        .size:           48
        .value_kind:     by_value
    .group_segment_fixed_size: 0
    .kernarg_segment_align: 8
    .kernarg_segment_size: 48
    .language:       OpenCL C
    .language_version:
      - 2
      - 0
    .max_flat_workgroup_size: 256
    .name:           _ZN7rocprim17ROCPRIM_400000_NS6detail17trampoline_kernelINS0_14default_configENS1_22reduce_config_selectorIyEEZNS1_11reduce_implILb1ES3_N6thrust23THRUST_200600_302600_NS6detail15normal_iteratorINS8_10device_ptrIyEEEEPyy9plus_mod3IyEEE10hipError_tPvRmT1_T2_T3_mT4_P12ihipStream_tbEUlT_E1_NS1_11comp_targetILNS1_3genE5ELNS1_11target_archE942ELNS1_3gpuE9ELNS1_3repE0EEENS1_30default_config_static_selectorELNS0_4arch9wavefront6targetE1EEEvSK_
    .private_segment_fixed_size: 0
    .sgpr_count:     6
    .sgpr_spill_count: 0
    .symbol:         _ZN7rocprim17ROCPRIM_400000_NS6detail17trampoline_kernelINS0_14default_configENS1_22reduce_config_selectorIyEEZNS1_11reduce_implILb1ES3_N6thrust23THRUST_200600_302600_NS6detail15normal_iteratorINS8_10device_ptrIyEEEEPyy9plus_mod3IyEEE10hipError_tPvRmT1_T2_T3_mT4_P12ihipStream_tbEUlT_E1_NS1_11comp_targetILNS1_3genE5ELNS1_11target_archE942ELNS1_3gpuE9ELNS1_3repE0EEENS1_30default_config_static_selectorELNS0_4arch9wavefront6targetE1EEEvSK_.kd
    .uniform_work_group_size: 1
    .uses_dynamic_stack: false
    .vgpr_count:     0
    .vgpr_spill_count: 0
    .wavefront_size: 64
  - .agpr_count:     0
    .args:
      - .offset:         0
        .size:           48
        .value_kind:     by_value
    .group_segment_fixed_size: 0
    .kernarg_segment_align: 8
    .kernarg_segment_size: 48
    .language:       OpenCL C
    .language_version:
      - 2
      - 0
    .max_flat_workgroup_size: 256
    .name:           _ZN7rocprim17ROCPRIM_400000_NS6detail17trampoline_kernelINS0_14default_configENS1_22reduce_config_selectorIyEEZNS1_11reduce_implILb1ES3_N6thrust23THRUST_200600_302600_NS6detail15normal_iteratorINS8_10device_ptrIyEEEEPyy9plus_mod3IyEEE10hipError_tPvRmT1_T2_T3_mT4_P12ihipStream_tbEUlT_E1_NS1_11comp_targetILNS1_3genE4ELNS1_11target_archE910ELNS1_3gpuE8ELNS1_3repE0EEENS1_30default_config_static_selectorELNS0_4arch9wavefront6targetE1EEEvSK_
    .private_segment_fixed_size: 0
    .sgpr_count:     6
    .sgpr_spill_count: 0
    .symbol:         _ZN7rocprim17ROCPRIM_400000_NS6detail17trampoline_kernelINS0_14default_configENS1_22reduce_config_selectorIyEEZNS1_11reduce_implILb1ES3_N6thrust23THRUST_200600_302600_NS6detail15normal_iteratorINS8_10device_ptrIyEEEEPyy9plus_mod3IyEEE10hipError_tPvRmT1_T2_T3_mT4_P12ihipStream_tbEUlT_E1_NS1_11comp_targetILNS1_3genE4ELNS1_11target_archE910ELNS1_3gpuE8ELNS1_3repE0EEENS1_30default_config_static_selectorELNS0_4arch9wavefront6targetE1EEEvSK_.kd
    .uniform_work_group_size: 1
    .uses_dynamic_stack: false
    .vgpr_count:     0
    .vgpr_spill_count: 0
    .wavefront_size: 64
  - .agpr_count:     0
    .args:
      - .offset:         0
        .size:           48
        .value_kind:     by_value
    .group_segment_fixed_size: 0
    .kernarg_segment_align: 8
    .kernarg_segment_size: 48
    .language:       OpenCL C
    .language_version:
      - 2
      - 0
    .max_flat_workgroup_size: 256
    .name:           _ZN7rocprim17ROCPRIM_400000_NS6detail17trampoline_kernelINS0_14default_configENS1_22reduce_config_selectorIyEEZNS1_11reduce_implILb1ES3_N6thrust23THRUST_200600_302600_NS6detail15normal_iteratorINS8_10device_ptrIyEEEEPyy9plus_mod3IyEEE10hipError_tPvRmT1_T2_T3_mT4_P12ihipStream_tbEUlT_E1_NS1_11comp_targetILNS1_3genE3ELNS1_11target_archE908ELNS1_3gpuE7ELNS1_3repE0EEENS1_30default_config_static_selectorELNS0_4arch9wavefront6targetE1EEEvSK_
    .private_segment_fixed_size: 0
    .sgpr_count:     6
    .sgpr_spill_count: 0
    .symbol:         _ZN7rocprim17ROCPRIM_400000_NS6detail17trampoline_kernelINS0_14default_configENS1_22reduce_config_selectorIyEEZNS1_11reduce_implILb1ES3_N6thrust23THRUST_200600_302600_NS6detail15normal_iteratorINS8_10device_ptrIyEEEEPyy9plus_mod3IyEEE10hipError_tPvRmT1_T2_T3_mT4_P12ihipStream_tbEUlT_E1_NS1_11comp_targetILNS1_3genE3ELNS1_11target_archE908ELNS1_3gpuE7ELNS1_3repE0EEENS1_30default_config_static_selectorELNS0_4arch9wavefront6targetE1EEEvSK_.kd
    .uniform_work_group_size: 1
    .uses_dynamic_stack: false
    .vgpr_count:     0
    .vgpr_spill_count: 0
    .wavefront_size: 64
  - .agpr_count:     0
    .args:
      - .offset:         0
        .size:           48
        .value_kind:     by_value
    .group_segment_fixed_size: 0
    .kernarg_segment_align: 8
    .kernarg_segment_size: 48
    .language:       OpenCL C
    .language_version:
      - 2
      - 0
    .max_flat_workgroup_size: 256
    .name:           _ZN7rocprim17ROCPRIM_400000_NS6detail17trampoline_kernelINS0_14default_configENS1_22reduce_config_selectorIyEEZNS1_11reduce_implILb1ES3_N6thrust23THRUST_200600_302600_NS6detail15normal_iteratorINS8_10device_ptrIyEEEEPyy9plus_mod3IyEEE10hipError_tPvRmT1_T2_T3_mT4_P12ihipStream_tbEUlT_E1_NS1_11comp_targetILNS1_3genE2ELNS1_11target_archE906ELNS1_3gpuE6ELNS1_3repE0EEENS1_30default_config_static_selectorELNS0_4arch9wavefront6targetE1EEEvSK_
    .private_segment_fixed_size: 0
    .sgpr_count:     6
    .sgpr_spill_count: 0
    .symbol:         _ZN7rocprim17ROCPRIM_400000_NS6detail17trampoline_kernelINS0_14default_configENS1_22reduce_config_selectorIyEEZNS1_11reduce_implILb1ES3_N6thrust23THRUST_200600_302600_NS6detail15normal_iteratorINS8_10device_ptrIyEEEEPyy9plus_mod3IyEEE10hipError_tPvRmT1_T2_T3_mT4_P12ihipStream_tbEUlT_E1_NS1_11comp_targetILNS1_3genE2ELNS1_11target_archE906ELNS1_3gpuE6ELNS1_3repE0EEENS1_30default_config_static_selectorELNS0_4arch9wavefront6targetE1EEEvSK_.kd
    .uniform_work_group_size: 1
    .uses_dynamic_stack: false
    .vgpr_count:     0
    .vgpr_spill_count: 0
    .wavefront_size: 64
  - .agpr_count:     0
    .args:
      - .offset:         0
        .size:           48
        .value_kind:     by_value
    .group_segment_fixed_size: 0
    .kernarg_segment_align: 8
    .kernarg_segment_size: 48
    .language:       OpenCL C
    .language_version:
      - 2
      - 0
    .max_flat_workgroup_size: 256
    .name:           _ZN7rocprim17ROCPRIM_400000_NS6detail17trampoline_kernelINS0_14default_configENS1_22reduce_config_selectorIyEEZNS1_11reduce_implILb1ES3_N6thrust23THRUST_200600_302600_NS6detail15normal_iteratorINS8_10device_ptrIyEEEEPyy9plus_mod3IyEEE10hipError_tPvRmT1_T2_T3_mT4_P12ihipStream_tbEUlT_E1_NS1_11comp_targetILNS1_3genE10ELNS1_11target_archE1201ELNS1_3gpuE5ELNS1_3repE0EEENS1_30default_config_static_selectorELNS0_4arch9wavefront6targetE1EEEvSK_
    .private_segment_fixed_size: 0
    .sgpr_count:     6
    .sgpr_spill_count: 0
    .symbol:         _ZN7rocprim17ROCPRIM_400000_NS6detail17trampoline_kernelINS0_14default_configENS1_22reduce_config_selectorIyEEZNS1_11reduce_implILb1ES3_N6thrust23THRUST_200600_302600_NS6detail15normal_iteratorINS8_10device_ptrIyEEEEPyy9plus_mod3IyEEE10hipError_tPvRmT1_T2_T3_mT4_P12ihipStream_tbEUlT_E1_NS1_11comp_targetILNS1_3genE10ELNS1_11target_archE1201ELNS1_3gpuE5ELNS1_3repE0EEENS1_30default_config_static_selectorELNS0_4arch9wavefront6targetE1EEEvSK_.kd
    .uniform_work_group_size: 1
    .uses_dynamic_stack: false
    .vgpr_count:     0
    .vgpr_spill_count: 0
    .wavefront_size: 64
  - .agpr_count:     0
    .args:
      - .offset:         0
        .size:           48
        .value_kind:     by_value
    .group_segment_fixed_size: 0
    .kernarg_segment_align: 8
    .kernarg_segment_size: 48
    .language:       OpenCL C
    .language_version:
      - 2
      - 0
    .max_flat_workgroup_size: 256
    .name:           _ZN7rocprim17ROCPRIM_400000_NS6detail17trampoline_kernelINS0_14default_configENS1_22reduce_config_selectorIyEEZNS1_11reduce_implILb1ES3_N6thrust23THRUST_200600_302600_NS6detail15normal_iteratorINS8_10device_ptrIyEEEEPyy9plus_mod3IyEEE10hipError_tPvRmT1_T2_T3_mT4_P12ihipStream_tbEUlT_E1_NS1_11comp_targetILNS1_3genE10ELNS1_11target_archE1200ELNS1_3gpuE4ELNS1_3repE0EEENS1_30default_config_static_selectorELNS0_4arch9wavefront6targetE1EEEvSK_
    .private_segment_fixed_size: 0
    .sgpr_count:     6
    .sgpr_spill_count: 0
    .symbol:         _ZN7rocprim17ROCPRIM_400000_NS6detail17trampoline_kernelINS0_14default_configENS1_22reduce_config_selectorIyEEZNS1_11reduce_implILb1ES3_N6thrust23THRUST_200600_302600_NS6detail15normal_iteratorINS8_10device_ptrIyEEEEPyy9plus_mod3IyEEE10hipError_tPvRmT1_T2_T3_mT4_P12ihipStream_tbEUlT_E1_NS1_11comp_targetILNS1_3genE10ELNS1_11target_archE1200ELNS1_3gpuE4ELNS1_3repE0EEENS1_30default_config_static_selectorELNS0_4arch9wavefront6targetE1EEEvSK_.kd
    .uniform_work_group_size: 1
    .uses_dynamic_stack: false
    .vgpr_count:     0
    .vgpr_spill_count: 0
    .wavefront_size: 64
  - .agpr_count:     0
    .args:
      - .offset:         0
        .size:           48
        .value_kind:     by_value
    .group_segment_fixed_size: 0
    .kernarg_segment_align: 8
    .kernarg_segment_size: 48
    .language:       OpenCL C
    .language_version:
      - 2
      - 0
    .max_flat_workgroup_size: 256
    .name:           _ZN7rocprim17ROCPRIM_400000_NS6detail17trampoline_kernelINS0_14default_configENS1_22reduce_config_selectorIyEEZNS1_11reduce_implILb1ES3_N6thrust23THRUST_200600_302600_NS6detail15normal_iteratorINS8_10device_ptrIyEEEEPyy9plus_mod3IyEEE10hipError_tPvRmT1_T2_T3_mT4_P12ihipStream_tbEUlT_E1_NS1_11comp_targetILNS1_3genE9ELNS1_11target_archE1100ELNS1_3gpuE3ELNS1_3repE0EEENS1_30default_config_static_selectorELNS0_4arch9wavefront6targetE1EEEvSK_
    .private_segment_fixed_size: 0
    .sgpr_count:     6
    .sgpr_spill_count: 0
    .symbol:         _ZN7rocprim17ROCPRIM_400000_NS6detail17trampoline_kernelINS0_14default_configENS1_22reduce_config_selectorIyEEZNS1_11reduce_implILb1ES3_N6thrust23THRUST_200600_302600_NS6detail15normal_iteratorINS8_10device_ptrIyEEEEPyy9plus_mod3IyEEE10hipError_tPvRmT1_T2_T3_mT4_P12ihipStream_tbEUlT_E1_NS1_11comp_targetILNS1_3genE9ELNS1_11target_archE1100ELNS1_3gpuE3ELNS1_3repE0EEENS1_30default_config_static_selectorELNS0_4arch9wavefront6targetE1EEEvSK_.kd
    .uniform_work_group_size: 1
    .uses_dynamic_stack: false
    .vgpr_count:     0
    .vgpr_spill_count: 0
    .wavefront_size: 64
  - .agpr_count:     0
    .args:
      - .offset:         0
        .size:           48
        .value_kind:     by_value
    .group_segment_fixed_size: 0
    .kernarg_segment_align: 8
    .kernarg_segment_size: 48
    .language:       OpenCL C
    .language_version:
      - 2
      - 0
    .max_flat_workgroup_size: 256
    .name:           _ZN7rocprim17ROCPRIM_400000_NS6detail17trampoline_kernelINS0_14default_configENS1_22reduce_config_selectorIyEEZNS1_11reduce_implILb1ES3_N6thrust23THRUST_200600_302600_NS6detail15normal_iteratorINS8_10device_ptrIyEEEEPyy9plus_mod3IyEEE10hipError_tPvRmT1_T2_T3_mT4_P12ihipStream_tbEUlT_E1_NS1_11comp_targetILNS1_3genE8ELNS1_11target_archE1030ELNS1_3gpuE2ELNS1_3repE0EEENS1_30default_config_static_selectorELNS0_4arch9wavefront6targetE1EEEvSK_
    .private_segment_fixed_size: 0
    .sgpr_count:     6
    .sgpr_spill_count: 0
    .symbol:         _ZN7rocprim17ROCPRIM_400000_NS6detail17trampoline_kernelINS0_14default_configENS1_22reduce_config_selectorIyEEZNS1_11reduce_implILb1ES3_N6thrust23THRUST_200600_302600_NS6detail15normal_iteratorINS8_10device_ptrIyEEEEPyy9plus_mod3IyEEE10hipError_tPvRmT1_T2_T3_mT4_P12ihipStream_tbEUlT_E1_NS1_11comp_targetILNS1_3genE8ELNS1_11target_archE1030ELNS1_3gpuE2ELNS1_3repE0EEENS1_30default_config_static_selectorELNS0_4arch9wavefront6targetE1EEEvSK_.kd
    .uniform_work_group_size: 1
    .uses_dynamic_stack: false
    .vgpr_count:     0
    .vgpr_spill_count: 0
    .wavefront_size: 64
  - .agpr_count:     0
    .args:
      - .offset:         0
        .size:           64
        .value_kind:     by_value
    .group_segment_fixed_size: 32
    .kernarg_segment_align: 8
    .kernarg_segment_size: 64
    .language:       OpenCL C
    .language_version:
      - 2
      - 0
    .max_flat_workgroup_size: 256
    .name:           _ZN7rocprim17ROCPRIM_400000_NS6detail17trampoline_kernelINS0_14default_configENS1_22reduce_config_selectorIjEEZNS1_11reduce_implILb1ES3_PjS7_j9plus_mod3IjEEE10hipError_tPvRmT1_T2_T3_mT4_P12ihipStream_tbEUlT_E0_NS1_11comp_targetILNS1_3genE0ELNS1_11target_archE4294967295ELNS1_3gpuE0ELNS1_3repE0EEENS1_30default_config_static_selectorELNS0_4arch9wavefront6targetE1EEEvSD_
    .private_segment_fixed_size: 0
    .sgpr_count:     27
    .sgpr_spill_count: 0
    .symbol:         _ZN7rocprim17ROCPRIM_400000_NS6detail17trampoline_kernelINS0_14default_configENS1_22reduce_config_selectorIjEEZNS1_11reduce_implILb1ES3_PjS7_j9plus_mod3IjEEE10hipError_tPvRmT1_T2_T3_mT4_P12ihipStream_tbEUlT_E0_NS1_11comp_targetILNS1_3genE0ELNS1_11target_archE4294967295ELNS1_3gpuE0ELNS1_3repE0EEENS1_30default_config_static_selectorELNS0_4arch9wavefront6targetE1EEEvSD_.kd
    .uniform_work_group_size: 1
    .uses_dynamic_stack: false
    .vgpr_count:     12
    .vgpr_spill_count: 0
    .wavefront_size: 64
  - .agpr_count:     0
    .args:
      - .offset:         0
        .size:           64
        .value_kind:     by_value
    .group_segment_fixed_size: 0
    .kernarg_segment_align: 8
    .kernarg_segment_size: 64
    .language:       OpenCL C
    .language_version:
      - 2
      - 0
    .max_flat_workgroup_size: 256
    .name:           _ZN7rocprim17ROCPRIM_400000_NS6detail17trampoline_kernelINS0_14default_configENS1_22reduce_config_selectorIjEEZNS1_11reduce_implILb1ES3_PjS7_j9plus_mod3IjEEE10hipError_tPvRmT1_T2_T3_mT4_P12ihipStream_tbEUlT_E0_NS1_11comp_targetILNS1_3genE5ELNS1_11target_archE942ELNS1_3gpuE9ELNS1_3repE0EEENS1_30default_config_static_selectorELNS0_4arch9wavefront6targetE1EEEvSD_
    .private_segment_fixed_size: 0
    .sgpr_count:     6
    .sgpr_spill_count: 0
    .symbol:         _ZN7rocprim17ROCPRIM_400000_NS6detail17trampoline_kernelINS0_14default_configENS1_22reduce_config_selectorIjEEZNS1_11reduce_implILb1ES3_PjS7_j9plus_mod3IjEEE10hipError_tPvRmT1_T2_T3_mT4_P12ihipStream_tbEUlT_E0_NS1_11comp_targetILNS1_3genE5ELNS1_11target_archE942ELNS1_3gpuE9ELNS1_3repE0EEENS1_30default_config_static_selectorELNS0_4arch9wavefront6targetE1EEEvSD_.kd
    .uniform_work_group_size: 1
    .uses_dynamic_stack: false
    .vgpr_count:     0
    .vgpr_spill_count: 0
    .wavefront_size: 64
  - .agpr_count:     0
    .args:
      - .offset:         0
        .size:           64
        .value_kind:     by_value
    .group_segment_fixed_size: 0
    .kernarg_segment_align: 8
    .kernarg_segment_size: 64
    .language:       OpenCL C
    .language_version:
      - 2
      - 0
    .max_flat_workgroup_size: 128
    .name:           _ZN7rocprim17ROCPRIM_400000_NS6detail17trampoline_kernelINS0_14default_configENS1_22reduce_config_selectorIjEEZNS1_11reduce_implILb1ES3_PjS7_j9plus_mod3IjEEE10hipError_tPvRmT1_T2_T3_mT4_P12ihipStream_tbEUlT_E0_NS1_11comp_targetILNS1_3genE4ELNS1_11target_archE910ELNS1_3gpuE8ELNS1_3repE0EEENS1_30default_config_static_selectorELNS0_4arch9wavefront6targetE1EEEvSD_
    .private_segment_fixed_size: 0
    .sgpr_count:     6
    .sgpr_spill_count: 0
    .symbol:         _ZN7rocprim17ROCPRIM_400000_NS6detail17trampoline_kernelINS0_14default_configENS1_22reduce_config_selectorIjEEZNS1_11reduce_implILb1ES3_PjS7_j9plus_mod3IjEEE10hipError_tPvRmT1_T2_T3_mT4_P12ihipStream_tbEUlT_E0_NS1_11comp_targetILNS1_3genE4ELNS1_11target_archE910ELNS1_3gpuE8ELNS1_3repE0EEENS1_30default_config_static_selectorELNS0_4arch9wavefront6targetE1EEEvSD_.kd
    .uniform_work_group_size: 1
    .uses_dynamic_stack: false
    .vgpr_count:     0
    .vgpr_spill_count: 0
    .wavefront_size: 64
  - .agpr_count:     0
    .args:
      - .offset:         0
        .size:           64
        .value_kind:     by_value
    .group_segment_fixed_size: 0
    .kernarg_segment_align: 8
    .kernarg_segment_size: 64
    .language:       OpenCL C
    .language_version:
      - 2
      - 0
    .max_flat_workgroup_size: 256
    .name:           _ZN7rocprim17ROCPRIM_400000_NS6detail17trampoline_kernelINS0_14default_configENS1_22reduce_config_selectorIjEEZNS1_11reduce_implILb1ES3_PjS7_j9plus_mod3IjEEE10hipError_tPvRmT1_T2_T3_mT4_P12ihipStream_tbEUlT_E0_NS1_11comp_targetILNS1_3genE3ELNS1_11target_archE908ELNS1_3gpuE7ELNS1_3repE0EEENS1_30default_config_static_selectorELNS0_4arch9wavefront6targetE1EEEvSD_
    .private_segment_fixed_size: 0
    .sgpr_count:     6
    .sgpr_spill_count: 0
    .symbol:         _ZN7rocprim17ROCPRIM_400000_NS6detail17trampoline_kernelINS0_14default_configENS1_22reduce_config_selectorIjEEZNS1_11reduce_implILb1ES3_PjS7_j9plus_mod3IjEEE10hipError_tPvRmT1_T2_T3_mT4_P12ihipStream_tbEUlT_E0_NS1_11comp_targetILNS1_3genE3ELNS1_11target_archE908ELNS1_3gpuE7ELNS1_3repE0EEENS1_30default_config_static_selectorELNS0_4arch9wavefront6targetE1EEEvSD_.kd
    .uniform_work_group_size: 1
    .uses_dynamic_stack: false
    .vgpr_count:     0
    .vgpr_spill_count: 0
    .wavefront_size: 64
  - .agpr_count:     0
    .args:
      - .offset:         0
        .size:           64
        .value_kind:     by_value
    .group_segment_fixed_size: 0
    .kernarg_segment_align: 8
    .kernarg_segment_size: 64
    .language:       OpenCL C
    .language_version:
      - 2
      - 0
    .max_flat_workgroup_size: 256
    .name:           _ZN7rocprim17ROCPRIM_400000_NS6detail17trampoline_kernelINS0_14default_configENS1_22reduce_config_selectorIjEEZNS1_11reduce_implILb1ES3_PjS7_j9plus_mod3IjEEE10hipError_tPvRmT1_T2_T3_mT4_P12ihipStream_tbEUlT_E0_NS1_11comp_targetILNS1_3genE2ELNS1_11target_archE906ELNS1_3gpuE6ELNS1_3repE0EEENS1_30default_config_static_selectorELNS0_4arch9wavefront6targetE1EEEvSD_
    .private_segment_fixed_size: 0
    .sgpr_count:     6
    .sgpr_spill_count: 0
    .symbol:         _ZN7rocprim17ROCPRIM_400000_NS6detail17trampoline_kernelINS0_14default_configENS1_22reduce_config_selectorIjEEZNS1_11reduce_implILb1ES3_PjS7_j9plus_mod3IjEEE10hipError_tPvRmT1_T2_T3_mT4_P12ihipStream_tbEUlT_E0_NS1_11comp_targetILNS1_3genE2ELNS1_11target_archE906ELNS1_3gpuE6ELNS1_3repE0EEENS1_30default_config_static_selectorELNS0_4arch9wavefront6targetE1EEEvSD_.kd
    .uniform_work_group_size: 1
    .uses_dynamic_stack: false
    .vgpr_count:     0
    .vgpr_spill_count: 0
    .wavefront_size: 64
  - .agpr_count:     0
    .args:
      - .offset:         0
        .size:           64
        .value_kind:     by_value
    .group_segment_fixed_size: 0
    .kernarg_segment_align: 8
    .kernarg_segment_size: 64
    .language:       OpenCL C
    .language_version:
      - 2
      - 0
    .max_flat_workgroup_size: 256
    .name:           _ZN7rocprim17ROCPRIM_400000_NS6detail17trampoline_kernelINS0_14default_configENS1_22reduce_config_selectorIjEEZNS1_11reduce_implILb1ES3_PjS7_j9plus_mod3IjEEE10hipError_tPvRmT1_T2_T3_mT4_P12ihipStream_tbEUlT_E0_NS1_11comp_targetILNS1_3genE10ELNS1_11target_archE1201ELNS1_3gpuE5ELNS1_3repE0EEENS1_30default_config_static_selectorELNS0_4arch9wavefront6targetE1EEEvSD_
    .private_segment_fixed_size: 0
    .sgpr_count:     6
    .sgpr_spill_count: 0
    .symbol:         _ZN7rocprim17ROCPRIM_400000_NS6detail17trampoline_kernelINS0_14default_configENS1_22reduce_config_selectorIjEEZNS1_11reduce_implILb1ES3_PjS7_j9plus_mod3IjEEE10hipError_tPvRmT1_T2_T3_mT4_P12ihipStream_tbEUlT_E0_NS1_11comp_targetILNS1_3genE10ELNS1_11target_archE1201ELNS1_3gpuE5ELNS1_3repE0EEENS1_30default_config_static_selectorELNS0_4arch9wavefront6targetE1EEEvSD_.kd
    .uniform_work_group_size: 1
    .uses_dynamic_stack: false
    .vgpr_count:     0
    .vgpr_spill_count: 0
    .wavefront_size: 64
  - .agpr_count:     0
    .args:
      - .offset:         0
        .size:           64
        .value_kind:     by_value
    .group_segment_fixed_size: 0
    .kernarg_segment_align: 8
    .kernarg_segment_size: 64
    .language:       OpenCL C
    .language_version:
      - 2
      - 0
    .max_flat_workgroup_size: 256
    .name:           _ZN7rocprim17ROCPRIM_400000_NS6detail17trampoline_kernelINS0_14default_configENS1_22reduce_config_selectorIjEEZNS1_11reduce_implILb1ES3_PjS7_j9plus_mod3IjEEE10hipError_tPvRmT1_T2_T3_mT4_P12ihipStream_tbEUlT_E0_NS1_11comp_targetILNS1_3genE10ELNS1_11target_archE1200ELNS1_3gpuE4ELNS1_3repE0EEENS1_30default_config_static_selectorELNS0_4arch9wavefront6targetE1EEEvSD_
    .private_segment_fixed_size: 0
    .sgpr_count:     6
    .sgpr_spill_count: 0
    .symbol:         _ZN7rocprim17ROCPRIM_400000_NS6detail17trampoline_kernelINS0_14default_configENS1_22reduce_config_selectorIjEEZNS1_11reduce_implILb1ES3_PjS7_j9plus_mod3IjEEE10hipError_tPvRmT1_T2_T3_mT4_P12ihipStream_tbEUlT_E0_NS1_11comp_targetILNS1_3genE10ELNS1_11target_archE1200ELNS1_3gpuE4ELNS1_3repE0EEENS1_30default_config_static_selectorELNS0_4arch9wavefront6targetE1EEEvSD_.kd
    .uniform_work_group_size: 1
    .uses_dynamic_stack: false
    .vgpr_count:     0
    .vgpr_spill_count: 0
    .wavefront_size: 64
  - .agpr_count:     0
    .args:
      - .offset:         0
        .size:           64
        .value_kind:     by_value
    .group_segment_fixed_size: 0
    .kernarg_segment_align: 8
    .kernarg_segment_size: 64
    .language:       OpenCL C
    .language_version:
      - 2
      - 0
    .max_flat_workgroup_size: 256
    .name:           _ZN7rocprim17ROCPRIM_400000_NS6detail17trampoline_kernelINS0_14default_configENS1_22reduce_config_selectorIjEEZNS1_11reduce_implILb1ES3_PjS7_j9plus_mod3IjEEE10hipError_tPvRmT1_T2_T3_mT4_P12ihipStream_tbEUlT_E0_NS1_11comp_targetILNS1_3genE9ELNS1_11target_archE1100ELNS1_3gpuE3ELNS1_3repE0EEENS1_30default_config_static_selectorELNS0_4arch9wavefront6targetE1EEEvSD_
    .private_segment_fixed_size: 0
    .sgpr_count:     6
    .sgpr_spill_count: 0
    .symbol:         _ZN7rocprim17ROCPRIM_400000_NS6detail17trampoline_kernelINS0_14default_configENS1_22reduce_config_selectorIjEEZNS1_11reduce_implILb1ES3_PjS7_j9plus_mod3IjEEE10hipError_tPvRmT1_T2_T3_mT4_P12ihipStream_tbEUlT_E0_NS1_11comp_targetILNS1_3genE9ELNS1_11target_archE1100ELNS1_3gpuE3ELNS1_3repE0EEENS1_30default_config_static_selectorELNS0_4arch9wavefront6targetE1EEEvSD_.kd
    .uniform_work_group_size: 1
    .uses_dynamic_stack: false
    .vgpr_count:     0
    .vgpr_spill_count: 0
    .wavefront_size: 64
  - .agpr_count:     0
    .args:
      - .offset:         0
        .size:           64
        .value_kind:     by_value
    .group_segment_fixed_size: 0
    .kernarg_segment_align: 8
    .kernarg_segment_size: 64
    .language:       OpenCL C
    .language_version:
      - 2
      - 0
    .max_flat_workgroup_size: 256
    .name:           _ZN7rocprim17ROCPRIM_400000_NS6detail17trampoline_kernelINS0_14default_configENS1_22reduce_config_selectorIjEEZNS1_11reduce_implILb1ES3_PjS7_j9plus_mod3IjEEE10hipError_tPvRmT1_T2_T3_mT4_P12ihipStream_tbEUlT_E0_NS1_11comp_targetILNS1_3genE8ELNS1_11target_archE1030ELNS1_3gpuE2ELNS1_3repE0EEENS1_30default_config_static_selectorELNS0_4arch9wavefront6targetE1EEEvSD_
    .private_segment_fixed_size: 0
    .sgpr_count:     6
    .sgpr_spill_count: 0
    .symbol:         _ZN7rocprim17ROCPRIM_400000_NS6detail17trampoline_kernelINS0_14default_configENS1_22reduce_config_selectorIjEEZNS1_11reduce_implILb1ES3_PjS7_j9plus_mod3IjEEE10hipError_tPvRmT1_T2_T3_mT4_P12ihipStream_tbEUlT_E0_NS1_11comp_targetILNS1_3genE8ELNS1_11target_archE1030ELNS1_3gpuE2ELNS1_3repE0EEENS1_30default_config_static_selectorELNS0_4arch9wavefront6targetE1EEEvSD_.kd
    .uniform_work_group_size: 1
    .uses_dynamic_stack: false
    .vgpr_count:     0
    .vgpr_spill_count: 0
    .wavefront_size: 64
  - .agpr_count:     0
    .args:
      - .offset:         0
        .size:           48
        .value_kind:     by_value
    .group_segment_fixed_size: 112
    .kernarg_segment_align: 8
    .kernarg_segment_size: 48
    .language:       OpenCL C
    .language_version:
      - 2
      - 0
    .max_flat_workgroup_size: 256
    .name:           _ZN7rocprim17ROCPRIM_400000_NS6detail17trampoline_kernelINS0_14default_configENS1_22reduce_config_selectorIjEEZNS1_11reduce_implILb1ES3_PjS7_j9plus_mod3IjEEE10hipError_tPvRmT1_T2_T3_mT4_P12ihipStream_tbEUlT_E1_NS1_11comp_targetILNS1_3genE0ELNS1_11target_archE4294967295ELNS1_3gpuE0ELNS1_3repE0EEENS1_30default_config_static_selectorELNS0_4arch9wavefront6targetE1EEEvSD_
    .private_segment_fixed_size: 0
    .sgpr_count:     88
    .sgpr_spill_count: 0
    .symbol:         _ZN7rocprim17ROCPRIM_400000_NS6detail17trampoline_kernelINS0_14default_configENS1_22reduce_config_selectorIjEEZNS1_11reduce_implILb1ES3_PjS7_j9plus_mod3IjEEE10hipError_tPvRmT1_T2_T3_mT4_P12ihipStream_tbEUlT_E1_NS1_11comp_targetILNS1_3genE0ELNS1_11target_archE4294967295ELNS1_3gpuE0ELNS1_3repE0EEENS1_30default_config_static_selectorELNS0_4arch9wavefront6targetE1EEEvSD_.kd
    .uniform_work_group_size: 1
    .uses_dynamic_stack: false
    .vgpr_count:     36
    .vgpr_spill_count: 0
    .wavefront_size: 64
  - .agpr_count:     0
    .args:
      - .offset:         0
        .size:           48
        .value_kind:     by_value
    .group_segment_fixed_size: 0
    .kernarg_segment_align: 8
    .kernarg_segment_size: 48
    .language:       OpenCL C
    .language_version:
      - 2
      - 0
    .max_flat_workgroup_size: 256
    .name:           _ZN7rocprim17ROCPRIM_400000_NS6detail17trampoline_kernelINS0_14default_configENS1_22reduce_config_selectorIjEEZNS1_11reduce_implILb1ES3_PjS7_j9plus_mod3IjEEE10hipError_tPvRmT1_T2_T3_mT4_P12ihipStream_tbEUlT_E1_NS1_11comp_targetILNS1_3genE5ELNS1_11target_archE942ELNS1_3gpuE9ELNS1_3repE0EEENS1_30default_config_static_selectorELNS0_4arch9wavefront6targetE1EEEvSD_
    .private_segment_fixed_size: 0
    .sgpr_count:     6
    .sgpr_spill_count: 0
    .symbol:         _ZN7rocprim17ROCPRIM_400000_NS6detail17trampoline_kernelINS0_14default_configENS1_22reduce_config_selectorIjEEZNS1_11reduce_implILb1ES3_PjS7_j9plus_mod3IjEEE10hipError_tPvRmT1_T2_T3_mT4_P12ihipStream_tbEUlT_E1_NS1_11comp_targetILNS1_3genE5ELNS1_11target_archE942ELNS1_3gpuE9ELNS1_3repE0EEENS1_30default_config_static_selectorELNS0_4arch9wavefront6targetE1EEEvSD_.kd
    .uniform_work_group_size: 1
    .uses_dynamic_stack: false
    .vgpr_count:     0
    .vgpr_spill_count: 0
    .wavefront_size: 64
  - .agpr_count:     0
    .args:
      - .offset:         0
        .size:           48
        .value_kind:     by_value
    .group_segment_fixed_size: 0
    .kernarg_segment_align: 8
    .kernarg_segment_size: 48
    .language:       OpenCL C
    .language_version:
      - 2
      - 0
    .max_flat_workgroup_size: 128
    .name:           _ZN7rocprim17ROCPRIM_400000_NS6detail17trampoline_kernelINS0_14default_configENS1_22reduce_config_selectorIjEEZNS1_11reduce_implILb1ES3_PjS7_j9plus_mod3IjEEE10hipError_tPvRmT1_T2_T3_mT4_P12ihipStream_tbEUlT_E1_NS1_11comp_targetILNS1_3genE4ELNS1_11target_archE910ELNS1_3gpuE8ELNS1_3repE0EEENS1_30default_config_static_selectorELNS0_4arch9wavefront6targetE1EEEvSD_
    .private_segment_fixed_size: 0
    .sgpr_count:     6
    .sgpr_spill_count: 0
    .symbol:         _ZN7rocprim17ROCPRIM_400000_NS6detail17trampoline_kernelINS0_14default_configENS1_22reduce_config_selectorIjEEZNS1_11reduce_implILb1ES3_PjS7_j9plus_mod3IjEEE10hipError_tPvRmT1_T2_T3_mT4_P12ihipStream_tbEUlT_E1_NS1_11comp_targetILNS1_3genE4ELNS1_11target_archE910ELNS1_3gpuE8ELNS1_3repE0EEENS1_30default_config_static_selectorELNS0_4arch9wavefront6targetE1EEEvSD_.kd
    .uniform_work_group_size: 1
    .uses_dynamic_stack: false
    .vgpr_count:     0
    .vgpr_spill_count: 0
    .wavefront_size: 64
  - .agpr_count:     0
    .args:
      - .offset:         0
        .size:           48
        .value_kind:     by_value
    .group_segment_fixed_size: 0
    .kernarg_segment_align: 8
    .kernarg_segment_size: 48
    .language:       OpenCL C
    .language_version:
      - 2
      - 0
    .max_flat_workgroup_size: 256
    .name:           _ZN7rocprim17ROCPRIM_400000_NS6detail17trampoline_kernelINS0_14default_configENS1_22reduce_config_selectorIjEEZNS1_11reduce_implILb1ES3_PjS7_j9plus_mod3IjEEE10hipError_tPvRmT1_T2_T3_mT4_P12ihipStream_tbEUlT_E1_NS1_11comp_targetILNS1_3genE3ELNS1_11target_archE908ELNS1_3gpuE7ELNS1_3repE0EEENS1_30default_config_static_selectorELNS0_4arch9wavefront6targetE1EEEvSD_
    .private_segment_fixed_size: 0
    .sgpr_count:     6
    .sgpr_spill_count: 0
    .symbol:         _ZN7rocprim17ROCPRIM_400000_NS6detail17trampoline_kernelINS0_14default_configENS1_22reduce_config_selectorIjEEZNS1_11reduce_implILb1ES3_PjS7_j9plus_mod3IjEEE10hipError_tPvRmT1_T2_T3_mT4_P12ihipStream_tbEUlT_E1_NS1_11comp_targetILNS1_3genE3ELNS1_11target_archE908ELNS1_3gpuE7ELNS1_3repE0EEENS1_30default_config_static_selectorELNS0_4arch9wavefront6targetE1EEEvSD_.kd
    .uniform_work_group_size: 1
    .uses_dynamic_stack: false
    .vgpr_count:     0
    .vgpr_spill_count: 0
    .wavefront_size: 64
  - .agpr_count:     0
    .args:
      - .offset:         0
        .size:           48
        .value_kind:     by_value
    .group_segment_fixed_size: 0
    .kernarg_segment_align: 8
    .kernarg_segment_size: 48
    .language:       OpenCL C
    .language_version:
      - 2
      - 0
    .max_flat_workgroup_size: 256
    .name:           _ZN7rocprim17ROCPRIM_400000_NS6detail17trampoline_kernelINS0_14default_configENS1_22reduce_config_selectorIjEEZNS1_11reduce_implILb1ES3_PjS7_j9plus_mod3IjEEE10hipError_tPvRmT1_T2_T3_mT4_P12ihipStream_tbEUlT_E1_NS1_11comp_targetILNS1_3genE2ELNS1_11target_archE906ELNS1_3gpuE6ELNS1_3repE0EEENS1_30default_config_static_selectorELNS0_4arch9wavefront6targetE1EEEvSD_
    .private_segment_fixed_size: 0
    .sgpr_count:     6
    .sgpr_spill_count: 0
    .symbol:         _ZN7rocprim17ROCPRIM_400000_NS6detail17trampoline_kernelINS0_14default_configENS1_22reduce_config_selectorIjEEZNS1_11reduce_implILb1ES3_PjS7_j9plus_mod3IjEEE10hipError_tPvRmT1_T2_T3_mT4_P12ihipStream_tbEUlT_E1_NS1_11comp_targetILNS1_3genE2ELNS1_11target_archE906ELNS1_3gpuE6ELNS1_3repE0EEENS1_30default_config_static_selectorELNS0_4arch9wavefront6targetE1EEEvSD_.kd
    .uniform_work_group_size: 1
    .uses_dynamic_stack: false
    .vgpr_count:     0
    .vgpr_spill_count: 0
    .wavefront_size: 64
  - .agpr_count:     0
    .args:
      - .offset:         0
        .size:           48
        .value_kind:     by_value
    .group_segment_fixed_size: 0
    .kernarg_segment_align: 8
    .kernarg_segment_size: 48
    .language:       OpenCL C
    .language_version:
      - 2
      - 0
    .max_flat_workgroup_size: 256
    .name:           _ZN7rocprim17ROCPRIM_400000_NS6detail17trampoline_kernelINS0_14default_configENS1_22reduce_config_selectorIjEEZNS1_11reduce_implILb1ES3_PjS7_j9plus_mod3IjEEE10hipError_tPvRmT1_T2_T3_mT4_P12ihipStream_tbEUlT_E1_NS1_11comp_targetILNS1_3genE10ELNS1_11target_archE1201ELNS1_3gpuE5ELNS1_3repE0EEENS1_30default_config_static_selectorELNS0_4arch9wavefront6targetE1EEEvSD_
    .private_segment_fixed_size: 0
    .sgpr_count:     6
    .sgpr_spill_count: 0
    .symbol:         _ZN7rocprim17ROCPRIM_400000_NS6detail17trampoline_kernelINS0_14default_configENS1_22reduce_config_selectorIjEEZNS1_11reduce_implILb1ES3_PjS7_j9plus_mod3IjEEE10hipError_tPvRmT1_T2_T3_mT4_P12ihipStream_tbEUlT_E1_NS1_11comp_targetILNS1_3genE10ELNS1_11target_archE1201ELNS1_3gpuE5ELNS1_3repE0EEENS1_30default_config_static_selectorELNS0_4arch9wavefront6targetE1EEEvSD_.kd
    .uniform_work_group_size: 1
    .uses_dynamic_stack: false
    .vgpr_count:     0
    .vgpr_spill_count: 0
    .wavefront_size: 64
  - .agpr_count:     0
    .args:
      - .offset:         0
        .size:           48
        .value_kind:     by_value
    .group_segment_fixed_size: 0
    .kernarg_segment_align: 8
    .kernarg_segment_size: 48
    .language:       OpenCL C
    .language_version:
      - 2
      - 0
    .max_flat_workgroup_size: 256
    .name:           _ZN7rocprim17ROCPRIM_400000_NS6detail17trampoline_kernelINS0_14default_configENS1_22reduce_config_selectorIjEEZNS1_11reduce_implILb1ES3_PjS7_j9plus_mod3IjEEE10hipError_tPvRmT1_T2_T3_mT4_P12ihipStream_tbEUlT_E1_NS1_11comp_targetILNS1_3genE10ELNS1_11target_archE1200ELNS1_3gpuE4ELNS1_3repE0EEENS1_30default_config_static_selectorELNS0_4arch9wavefront6targetE1EEEvSD_
    .private_segment_fixed_size: 0
    .sgpr_count:     6
    .sgpr_spill_count: 0
    .symbol:         _ZN7rocprim17ROCPRIM_400000_NS6detail17trampoline_kernelINS0_14default_configENS1_22reduce_config_selectorIjEEZNS1_11reduce_implILb1ES3_PjS7_j9plus_mod3IjEEE10hipError_tPvRmT1_T2_T3_mT4_P12ihipStream_tbEUlT_E1_NS1_11comp_targetILNS1_3genE10ELNS1_11target_archE1200ELNS1_3gpuE4ELNS1_3repE0EEENS1_30default_config_static_selectorELNS0_4arch9wavefront6targetE1EEEvSD_.kd
    .uniform_work_group_size: 1
    .uses_dynamic_stack: false
    .vgpr_count:     0
    .vgpr_spill_count: 0
    .wavefront_size: 64
  - .agpr_count:     0
    .args:
      - .offset:         0
        .size:           48
        .value_kind:     by_value
    .group_segment_fixed_size: 0
    .kernarg_segment_align: 8
    .kernarg_segment_size: 48
    .language:       OpenCL C
    .language_version:
      - 2
      - 0
    .max_flat_workgroup_size: 256
    .name:           _ZN7rocprim17ROCPRIM_400000_NS6detail17trampoline_kernelINS0_14default_configENS1_22reduce_config_selectorIjEEZNS1_11reduce_implILb1ES3_PjS7_j9plus_mod3IjEEE10hipError_tPvRmT1_T2_T3_mT4_P12ihipStream_tbEUlT_E1_NS1_11comp_targetILNS1_3genE9ELNS1_11target_archE1100ELNS1_3gpuE3ELNS1_3repE0EEENS1_30default_config_static_selectorELNS0_4arch9wavefront6targetE1EEEvSD_
    .private_segment_fixed_size: 0
    .sgpr_count:     6
    .sgpr_spill_count: 0
    .symbol:         _ZN7rocprim17ROCPRIM_400000_NS6detail17trampoline_kernelINS0_14default_configENS1_22reduce_config_selectorIjEEZNS1_11reduce_implILb1ES3_PjS7_j9plus_mod3IjEEE10hipError_tPvRmT1_T2_T3_mT4_P12ihipStream_tbEUlT_E1_NS1_11comp_targetILNS1_3genE9ELNS1_11target_archE1100ELNS1_3gpuE3ELNS1_3repE0EEENS1_30default_config_static_selectorELNS0_4arch9wavefront6targetE1EEEvSD_.kd
    .uniform_work_group_size: 1
    .uses_dynamic_stack: false
    .vgpr_count:     0
    .vgpr_spill_count: 0
    .wavefront_size: 64
  - .agpr_count:     0
    .args:
      - .offset:         0
        .size:           48
        .value_kind:     by_value
    .group_segment_fixed_size: 0
    .kernarg_segment_align: 8
    .kernarg_segment_size: 48
    .language:       OpenCL C
    .language_version:
      - 2
      - 0
    .max_flat_workgroup_size: 256
    .name:           _ZN7rocprim17ROCPRIM_400000_NS6detail17trampoline_kernelINS0_14default_configENS1_22reduce_config_selectorIjEEZNS1_11reduce_implILb1ES3_PjS7_j9plus_mod3IjEEE10hipError_tPvRmT1_T2_T3_mT4_P12ihipStream_tbEUlT_E1_NS1_11comp_targetILNS1_3genE8ELNS1_11target_archE1030ELNS1_3gpuE2ELNS1_3repE0EEENS1_30default_config_static_selectorELNS0_4arch9wavefront6targetE1EEEvSD_
    .private_segment_fixed_size: 0
    .sgpr_count:     6
    .sgpr_spill_count: 0
    .symbol:         _ZN7rocprim17ROCPRIM_400000_NS6detail17trampoline_kernelINS0_14default_configENS1_22reduce_config_selectorIjEEZNS1_11reduce_implILb1ES3_PjS7_j9plus_mod3IjEEE10hipError_tPvRmT1_T2_T3_mT4_P12ihipStream_tbEUlT_E1_NS1_11comp_targetILNS1_3genE8ELNS1_11target_archE1030ELNS1_3gpuE2ELNS1_3repE0EEENS1_30default_config_static_selectorELNS0_4arch9wavefront6targetE1EEEvSD_.kd
    .uniform_work_group_size: 1
    .uses_dynamic_stack: false
    .vgpr_count:     0
    .vgpr_spill_count: 0
    .wavefront_size: 64
  - .agpr_count:     0
    .args:
      - .offset:         0
        .size:           64
        .value_kind:     by_value
    .group_segment_fixed_size: 32
    .kernarg_segment_align: 8
    .kernarg_segment_size: 64
    .language:       OpenCL C
    .language_version:
      - 2
      - 0
    .max_flat_workgroup_size: 256
    .name:           _ZN7rocprim17ROCPRIM_400000_NS6detail17trampoline_kernelINS0_14default_configENS1_22reduce_config_selectorIjEEZNS1_11reduce_implILb1ES3_N6thrust23THRUST_200600_302600_NS6detail15normal_iteratorINS8_10device_ptrIjEEEEPjj9plus_mod3IjEEE10hipError_tPvRmT1_T2_T3_mT4_P12ihipStream_tbEUlT_E0_NS1_11comp_targetILNS1_3genE0ELNS1_11target_archE4294967295ELNS1_3gpuE0ELNS1_3repE0EEENS1_30default_config_static_selectorELNS0_4arch9wavefront6targetE1EEEvSK_
    .private_segment_fixed_size: 0
    .sgpr_count:     27
    .sgpr_spill_count: 0
    .symbol:         _ZN7rocprim17ROCPRIM_400000_NS6detail17trampoline_kernelINS0_14default_configENS1_22reduce_config_selectorIjEEZNS1_11reduce_implILb1ES3_N6thrust23THRUST_200600_302600_NS6detail15normal_iteratorINS8_10device_ptrIjEEEEPjj9plus_mod3IjEEE10hipError_tPvRmT1_T2_T3_mT4_P12ihipStream_tbEUlT_E0_NS1_11comp_targetILNS1_3genE0ELNS1_11target_archE4294967295ELNS1_3gpuE0ELNS1_3repE0EEENS1_30default_config_static_selectorELNS0_4arch9wavefront6targetE1EEEvSK_.kd
    .uniform_work_group_size: 1
    .uses_dynamic_stack: false
    .vgpr_count:     12
    .vgpr_spill_count: 0
    .wavefront_size: 64
  - .agpr_count:     0
    .args:
      - .offset:         0
        .size:           64
        .value_kind:     by_value
    .group_segment_fixed_size: 0
    .kernarg_segment_align: 8
    .kernarg_segment_size: 64
    .language:       OpenCL C
    .language_version:
      - 2
      - 0
    .max_flat_workgroup_size: 256
    .name:           _ZN7rocprim17ROCPRIM_400000_NS6detail17trampoline_kernelINS0_14default_configENS1_22reduce_config_selectorIjEEZNS1_11reduce_implILb1ES3_N6thrust23THRUST_200600_302600_NS6detail15normal_iteratorINS8_10device_ptrIjEEEEPjj9plus_mod3IjEEE10hipError_tPvRmT1_T2_T3_mT4_P12ihipStream_tbEUlT_E0_NS1_11comp_targetILNS1_3genE5ELNS1_11target_archE942ELNS1_3gpuE9ELNS1_3repE0EEENS1_30default_config_static_selectorELNS0_4arch9wavefront6targetE1EEEvSK_
    .private_segment_fixed_size: 0
    .sgpr_count:     6
    .sgpr_spill_count: 0
    .symbol:         _ZN7rocprim17ROCPRIM_400000_NS6detail17trampoline_kernelINS0_14default_configENS1_22reduce_config_selectorIjEEZNS1_11reduce_implILb1ES3_N6thrust23THRUST_200600_302600_NS6detail15normal_iteratorINS8_10device_ptrIjEEEEPjj9plus_mod3IjEEE10hipError_tPvRmT1_T2_T3_mT4_P12ihipStream_tbEUlT_E0_NS1_11comp_targetILNS1_3genE5ELNS1_11target_archE942ELNS1_3gpuE9ELNS1_3repE0EEENS1_30default_config_static_selectorELNS0_4arch9wavefront6targetE1EEEvSK_.kd
    .uniform_work_group_size: 1
    .uses_dynamic_stack: false
    .vgpr_count:     0
    .vgpr_spill_count: 0
    .wavefront_size: 64
  - .agpr_count:     0
    .args:
      - .offset:         0
        .size:           64
        .value_kind:     by_value
    .group_segment_fixed_size: 0
    .kernarg_segment_align: 8
    .kernarg_segment_size: 64
    .language:       OpenCL C
    .language_version:
      - 2
      - 0
    .max_flat_workgroup_size: 128
    .name:           _ZN7rocprim17ROCPRIM_400000_NS6detail17trampoline_kernelINS0_14default_configENS1_22reduce_config_selectorIjEEZNS1_11reduce_implILb1ES3_N6thrust23THRUST_200600_302600_NS6detail15normal_iteratorINS8_10device_ptrIjEEEEPjj9plus_mod3IjEEE10hipError_tPvRmT1_T2_T3_mT4_P12ihipStream_tbEUlT_E0_NS1_11comp_targetILNS1_3genE4ELNS1_11target_archE910ELNS1_3gpuE8ELNS1_3repE0EEENS1_30default_config_static_selectorELNS0_4arch9wavefront6targetE1EEEvSK_
    .private_segment_fixed_size: 0
    .sgpr_count:     6
    .sgpr_spill_count: 0
    .symbol:         _ZN7rocprim17ROCPRIM_400000_NS6detail17trampoline_kernelINS0_14default_configENS1_22reduce_config_selectorIjEEZNS1_11reduce_implILb1ES3_N6thrust23THRUST_200600_302600_NS6detail15normal_iteratorINS8_10device_ptrIjEEEEPjj9plus_mod3IjEEE10hipError_tPvRmT1_T2_T3_mT4_P12ihipStream_tbEUlT_E0_NS1_11comp_targetILNS1_3genE4ELNS1_11target_archE910ELNS1_3gpuE8ELNS1_3repE0EEENS1_30default_config_static_selectorELNS0_4arch9wavefront6targetE1EEEvSK_.kd
    .uniform_work_group_size: 1
    .uses_dynamic_stack: false
    .vgpr_count:     0
    .vgpr_spill_count: 0
    .wavefront_size: 64
  - .agpr_count:     0
    .args:
      - .offset:         0
        .size:           64
        .value_kind:     by_value
    .group_segment_fixed_size: 0
    .kernarg_segment_align: 8
    .kernarg_segment_size: 64
    .language:       OpenCL C
    .language_version:
      - 2
      - 0
    .max_flat_workgroup_size: 256
    .name:           _ZN7rocprim17ROCPRIM_400000_NS6detail17trampoline_kernelINS0_14default_configENS1_22reduce_config_selectorIjEEZNS1_11reduce_implILb1ES3_N6thrust23THRUST_200600_302600_NS6detail15normal_iteratorINS8_10device_ptrIjEEEEPjj9plus_mod3IjEEE10hipError_tPvRmT1_T2_T3_mT4_P12ihipStream_tbEUlT_E0_NS1_11comp_targetILNS1_3genE3ELNS1_11target_archE908ELNS1_3gpuE7ELNS1_3repE0EEENS1_30default_config_static_selectorELNS0_4arch9wavefront6targetE1EEEvSK_
    .private_segment_fixed_size: 0
    .sgpr_count:     6
    .sgpr_spill_count: 0
    .symbol:         _ZN7rocprim17ROCPRIM_400000_NS6detail17trampoline_kernelINS0_14default_configENS1_22reduce_config_selectorIjEEZNS1_11reduce_implILb1ES3_N6thrust23THRUST_200600_302600_NS6detail15normal_iteratorINS8_10device_ptrIjEEEEPjj9plus_mod3IjEEE10hipError_tPvRmT1_T2_T3_mT4_P12ihipStream_tbEUlT_E0_NS1_11comp_targetILNS1_3genE3ELNS1_11target_archE908ELNS1_3gpuE7ELNS1_3repE0EEENS1_30default_config_static_selectorELNS0_4arch9wavefront6targetE1EEEvSK_.kd
    .uniform_work_group_size: 1
    .uses_dynamic_stack: false
    .vgpr_count:     0
    .vgpr_spill_count: 0
    .wavefront_size: 64
  - .agpr_count:     0
    .args:
      - .offset:         0
        .size:           64
        .value_kind:     by_value
    .group_segment_fixed_size: 0
    .kernarg_segment_align: 8
    .kernarg_segment_size: 64
    .language:       OpenCL C
    .language_version:
      - 2
      - 0
    .max_flat_workgroup_size: 256
    .name:           _ZN7rocprim17ROCPRIM_400000_NS6detail17trampoline_kernelINS0_14default_configENS1_22reduce_config_selectorIjEEZNS1_11reduce_implILb1ES3_N6thrust23THRUST_200600_302600_NS6detail15normal_iteratorINS8_10device_ptrIjEEEEPjj9plus_mod3IjEEE10hipError_tPvRmT1_T2_T3_mT4_P12ihipStream_tbEUlT_E0_NS1_11comp_targetILNS1_3genE2ELNS1_11target_archE906ELNS1_3gpuE6ELNS1_3repE0EEENS1_30default_config_static_selectorELNS0_4arch9wavefront6targetE1EEEvSK_
    .private_segment_fixed_size: 0
    .sgpr_count:     6
    .sgpr_spill_count: 0
    .symbol:         _ZN7rocprim17ROCPRIM_400000_NS6detail17trampoline_kernelINS0_14default_configENS1_22reduce_config_selectorIjEEZNS1_11reduce_implILb1ES3_N6thrust23THRUST_200600_302600_NS6detail15normal_iteratorINS8_10device_ptrIjEEEEPjj9plus_mod3IjEEE10hipError_tPvRmT1_T2_T3_mT4_P12ihipStream_tbEUlT_E0_NS1_11comp_targetILNS1_3genE2ELNS1_11target_archE906ELNS1_3gpuE6ELNS1_3repE0EEENS1_30default_config_static_selectorELNS0_4arch9wavefront6targetE1EEEvSK_.kd
    .uniform_work_group_size: 1
    .uses_dynamic_stack: false
    .vgpr_count:     0
    .vgpr_spill_count: 0
    .wavefront_size: 64
  - .agpr_count:     0
    .args:
      - .offset:         0
        .size:           64
        .value_kind:     by_value
    .group_segment_fixed_size: 0
    .kernarg_segment_align: 8
    .kernarg_segment_size: 64
    .language:       OpenCL C
    .language_version:
      - 2
      - 0
    .max_flat_workgroup_size: 256
    .name:           _ZN7rocprim17ROCPRIM_400000_NS6detail17trampoline_kernelINS0_14default_configENS1_22reduce_config_selectorIjEEZNS1_11reduce_implILb1ES3_N6thrust23THRUST_200600_302600_NS6detail15normal_iteratorINS8_10device_ptrIjEEEEPjj9plus_mod3IjEEE10hipError_tPvRmT1_T2_T3_mT4_P12ihipStream_tbEUlT_E0_NS1_11comp_targetILNS1_3genE10ELNS1_11target_archE1201ELNS1_3gpuE5ELNS1_3repE0EEENS1_30default_config_static_selectorELNS0_4arch9wavefront6targetE1EEEvSK_
    .private_segment_fixed_size: 0
    .sgpr_count:     6
    .sgpr_spill_count: 0
    .symbol:         _ZN7rocprim17ROCPRIM_400000_NS6detail17trampoline_kernelINS0_14default_configENS1_22reduce_config_selectorIjEEZNS1_11reduce_implILb1ES3_N6thrust23THRUST_200600_302600_NS6detail15normal_iteratorINS8_10device_ptrIjEEEEPjj9plus_mod3IjEEE10hipError_tPvRmT1_T2_T3_mT4_P12ihipStream_tbEUlT_E0_NS1_11comp_targetILNS1_3genE10ELNS1_11target_archE1201ELNS1_3gpuE5ELNS1_3repE0EEENS1_30default_config_static_selectorELNS0_4arch9wavefront6targetE1EEEvSK_.kd
    .uniform_work_group_size: 1
    .uses_dynamic_stack: false
    .vgpr_count:     0
    .vgpr_spill_count: 0
    .wavefront_size: 64
  - .agpr_count:     0
    .args:
      - .offset:         0
        .size:           64
        .value_kind:     by_value
    .group_segment_fixed_size: 0
    .kernarg_segment_align: 8
    .kernarg_segment_size: 64
    .language:       OpenCL C
    .language_version:
      - 2
      - 0
    .max_flat_workgroup_size: 256
    .name:           _ZN7rocprim17ROCPRIM_400000_NS6detail17trampoline_kernelINS0_14default_configENS1_22reduce_config_selectorIjEEZNS1_11reduce_implILb1ES3_N6thrust23THRUST_200600_302600_NS6detail15normal_iteratorINS8_10device_ptrIjEEEEPjj9plus_mod3IjEEE10hipError_tPvRmT1_T2_T3_mT4_P12ihipStream_tbEUlT_E0_NS1_11comp_targetILNS1_3genE10ELNS1_11target_archE1200ELNS1_3gpuE4ELNS1_3repE0EEENS1_30default_config_static_selectorELNS0_4arch9wavefront6targetE1EEEvSK_
    .private_segment_fixed_size: 0
    .sgpr_count:     6
    .sgpr_spill_count: 0
    .symbol:         _ZN7rocprim17ROCPRIM_400000_NS6detail17trampoline_kernelINS0_14default_configENS1_22reduce_config_selectorIjEEZNS1_11reduce_implILb1ES3_N6thrust23THRUST_200600_302600_NS6detail15normal_iteratorINS8_10device_ptrIjEEEEPjj9plus_mod3IjEEE10hipError_tPvRmT1_T2_T3_mT4_P12ihipStream_tbEUlT_E0_NS1_11comp_targetILNS1_3genE10ELNS1_11target_archE1200ELNS1_3gpuE4ELNS1_3repE0EEENS1_30default_config_static_selectorELNS0_4arch9wavefront6targetE1EEEvSK_.kd
    .uniform_work_group_size: 1
    .uses_dynamic_stack: false
    .vgpr_count:     0
    .vgpr_spill_count: 0
    .wavefront_size: 64
  - .agpr_count:     0
    .args:
      - .offset:         0
        .size:           64
        .value_kind:     by_value
    .group_segment_fixed_size: 0
    .kernarg_segment_align: 8
    .kernarg_segment_size: 64
    .language:       OpenCL C
    .language_version:
      - 2
      - 0
    .max_flat_workgroup_size: 256
    .name:           _ZN7rocprim17ROCPRIM_400000_NS6detail17trampoline_kernelINS0_14default_configENS1_22reduce_config_selectorIjEEZNS1_11reduce_implILb1ES3_N6thrust23THRUST_200600_302600_NS6detail15normal_iteratorINS8_10device_ptrIjEEEEPjj9plus_mod3IjEEE10hipError_tPvRmT1_T2_T3_mT4_P12ihipStream_tbEUlT_E0_NS1_11comp_targetILNS1_3genE9ELNS1_11target_archE1100ELNS1_3gpuE3ELNS1_3repE0EEENS1_30default_config_static_selectorELNS0_4arch9wavefront6targetE1EEEvSK_
    .private_segment_fixed_size: 0
    .sgpr_count:     6
    .sgpr_spill_count: 0
    .symbol:         _ZN7rocprim17ROCPRIM_400000_NS6detail17trampoline_kernelINS0_14default_configENS1_22reduce_config_selectorIjEEZNS1_11reduce_implILb1ES3_N6thrust23THRUST_200600_302600_NS6detail15normal_iteratorINS8_10device_ptrIjEEEEPjj9plus_mod3IjEEE10hipError_tPvRmT1_T2_T3_mT4_P12ihipStream_tbEUlT_E0_NS1_11comp_targetILNS1_3genE9ELNS1_11target_archE1100ELNS1_3gpuE3ELNS1_3repE0EEENS1_30default_config_static_selectorELNS0_4arch9wavefront6targetE1EEEvSK_.kd
    .uniform_work_group_size: 1
    .uses_dynamic_stack: false
    .vgpr_count:     0
    .vgpr_spill_count: 0
    .wavefront_size: 64
  - .agpr_count:     0
    .args:
      - .offset:         0
        .size:           64
        .value_kind:     by_value
    .group_segment_fixed_size: 0
    .kernarg_segment_align: 8
    .kernarg_segment_size: 64
    .language:       OpenCL C
    .language_version:
      - 2
      - 0
    .max_flat_workgroup_size: 256
    .name:           _ZN7rocprim17ROCPRIM_400000_NS6detail17trampoline_kernelINS0_14default_configENS1_22reduce_config_selectorIjEEZNS1_11reduce_implILb1ES3_N6thrust23THRUST_200600_302600_NS6detail15normal_iteratorINS8_10device_ptrIjEEEEPjj9plus_mod3IjEEE10hipError_tPvRmT1_T2_T3_mT4_P12ihipStream_tbEUlT_E0_NS1_11comp_targetILNS1_3genE8ELNS1_11target_archE1030ELNS1_3gpuE2ELNS1_3repE0EEENS1_30default_config_static_selectorELNS0_4arch9wavefront6targetE1EEEvSK_
    .private_segment_fixed_size: 0
    .sgpr_count:     6
    .sgpr_spill_count: 0
    .symbol:         _ZN7rocprim17ROCPRIM_400000_NS6detail17trampoline_kernelINS0_14default_configENS1_22reduce_config_selectorIjEEZNS1_11reduce_implILb1ES3_N6thrust23THRUST_200600_302600_NS6detail15normal_iteratorINS8_10device_ptrIjEEEEPjj9plus_mod3IjEEE10hipError_tPvRmT1_T2_T3_mT4_P12ihipStream_tbEUlT_E0_NS1_11comp_targetILNS1_3genE8ELNS1_11target_archE1030ELNS1_3gpuE2ELNS1_3repE0EEENS1_30default_config_static_selectorELNS0_4arch9wavefront6targetE1EEEvSK_.kd
    .uniform_work_group_size: 1
    .uses_dynamic_stack: false
    .vgpr_count:     0
    .vgpr_spill_count: 0
    .wavefront_size: 64
  - .agpr_count:     0
    .args:
      - .offset:         0
        .size:           48
        .value_kind:     by_value
    .group_segment_fixed_size: 112
    .kernarg_segment_align: 8
    .kernarg_segment_size: 48
    .language:       OpenCL C
    .language_version:
      - 2
      - 0
    .max_flat_workgroup_size: 256
    .name:           _ZN7rocprim17ROCPRIM_400000_NS6detail17trampoline_kernelINS0_14default_configENS1_22reduce_config_selectorIjEEZNS1_11reduce_implILb1ES3_N6thrust23THRUST_200600_302600_NS6detail15normal_iteratorINS8_10device_ptrIjEEEEPjj9plus_mod3IjEEE10hipError_tPvRmT1_T2_T3_mT4_P12ihipStream_tbEUlT_E1_NS1_11comp_targetILNS1_3genE0ELNS1_11target_archE4294967295ELNS1_3gpuE0ELNS1_3repE0EEENS1_30default_config_static_selectorELNS0_4arch9wavefront6targetE1EEEvSK_
    .private_segment_fixed_size: 0
    .sgpr_count:     88
    .sgpr_spill_count: 0
    .symbol:         _ZN7rocprim17ROCPRIM_400000_NS6detail17trampoline_kernelINS0_14default_configENS1_22reduce_config_selectorIjEEZNS1_11reduce_implILb1ES3_N6thrust23THRUST_200600_302600_NS6detail15normal_iteratorINS8_10device_ptrIjEEEEPjj9plus_mod3IjEEE10hipError_tPvRmT1_T2_T3_mT4_P12ihipStream_tbEUlT_E1_NS1_11comp_targetILNS1_3genE0ELNS1_11target_archE4294967295ELNS1_3gpuE0ELNS1_3repE0EEENS1_30default_config_static_selectorELNS0_4arch9wavefront6targetE1EEEvSK_.kd
    .uniform_work_group_size: 1
    .uses_dynamic_stack: false
    .vgpr_count:     36
    .vgpr_spill_count: 0
    .wavefront_size: 64
  - .agpr_count:     0
    .args:
      - .offset:         0
        .size:           48
        .value_kind:     by_value
    .group_segment_fixed_size: 0
    .kernarg_segment_align: 8
    .kernarg_segment_size: 48
    .language:       OpenCL C
    .language_version:
      - 2
      - 0
    .max_flat_workgroup_size: 256
    .name:           _ZN7rocprim17ROCPRIM_400000_NS6detail17trampoline_kernelINS0_14default_configENS1_22reduce_config_selectorIjEEZNS1_11reduce_implILb1ES3_N6thrust23THRUST_200600_302600_NS6detail15normal_iteratorINS8_10device_ptrIjEEEEPjj9plus_mod3IjEEE10hipError_tPvRmT1_T2_T3_mT4_P12ihipStream_tbEUlT_E1_NS1_11comp_targetILNS1_3genE5ELNS1_11target_archE942ELNS1_3gpuE9ELNS1_3repE0EEENS1_30default_config_static_selectorELNS0_4arch9wavefront6targetE1EEEvSK_
    .private_segment_fixed_size: 0
    .sgpr_count:     6
    .sgpr_spill_count: 0
    .symbol:         _ZN7rocprim17ROCPRIM_400000_NS6detail17trampoline_kernelINS0_14default_configENS1_22reduce_config_selectorIjEEZNS1_11reduce_implILb1ES3_N6thrust23THRUST_200600_302600_NS6detail15normal_iteratorINS8_10device_ptrIjEEEEPjj9plus_mod3IjEEE10hipError_tPvRmT1_T2_T3_mT4_P12ihipStream_tbEUlT_E1_NS1_11comp_targetILNS1_3genE5ELNS1_11target_archE942ELNS1_3gpuE9ELNS1_3repE0EEENS1_30default_config_static_selectorELNS0_4arch9wavefront6targetE1EEEvSK_.kd
    .uniform_work_group_size: 1
    .uses_dynamic_stack: false
    .vgpr_count:     0
    .vgpr_spill_count: 0
    .wavefront_size: 64
  - .agpr_count:     0
    .args:
      - .offset:         0
        .size:           48
        .value_kind:     by_value
    .group_segment_fixed_size: 0
    .kernarg_segment_align: 8
    .kernarg_segment_size: 48
    .language:       OpenCL C
    .language_version:
      - 2
      - 0
    .max_flat_workgroup_size: 128
    .name:           _ZN7rocprim17ROCPRIM_400000_NS6detail17trampoline_kernelINS0_14default_configENS1_22reduce_config_selectorIjEEZNS1_11reduce_implILb1ES3_N6thrust23THRUST_200600_302600_NS6detail15normal_iteratorINS8_10device_ptrIjEEEEPjj9plus_mod3IjEEE10hipError_tPvRmT1_T2_T3_mT4_P12ihipStream_tbEUlT_E1_NS1_11comp_targetILNS1_3genE4ELNS1_11target_archE910ELNS1_3gpuE8ELNS1_3repE0EEENS1_30default_config_static_selectorELNS0_4arch9wavefront6targetE1EEEvSK_
    .private_segment_fixed_size: 0
    .sgpr_count:     6
    .sgpr_spill_count: 0
    .symbol:         _ZN7rocprim17ROCPRIM_400000_NS6detail17trampoline_kernelINS0_14default_configENS1_22reduce_config_selectorIjEEZNS1_11reduce_implILb1ES3_N6thrust23THRUST_200600_302600_NS6detail15normal_iteratorINS8_10device_ptrIjEEEEPjj9plus_mod3IjEEE10hipError_tPvRmT1_T2_T3_mT4_P12ihipStream_tbEUlT_E1_NS1_11comp_targetILNS1_3genE4ELNS1_11target_archE910ELNS1_3gpuE8ELNS1_3repE0EEENS1_30default_config_static_selectorELNS0_4arch9wavefront6targetE1EEEvSK_.kd
    .uniform_work_group_size: 1
    .uses_dynamic_stack: false
    .vgpr_count:     0
    .vgpr_spill_count: 0
    .wavefront_size: 64
  - .agpr_count:     0
    .args:
      - .offset:         0
        .size:           48
        .value_kind:     by_value
    .group_segment_fixed_size: 0
    .kernarg_segment_align: 8
    .kernarg_segment_size: 48
    .language:       OpenCL C
    .language_version:
      - 2
      - 0
    .max_flat_workgroup_size: 256
    .name:           _ZN7rocprim17ROCPRIM_400000_NS6detail17trampoline_kernelINS0_14default_configENS1_22reduce_config_selectorIjEEZNS1_11reduce_implILb1ES3_N6thrust23THRUST_200600_302600_NS6detail15normal_iteratorINS8_10device_ptrIjEEEEPjj9plus_mod3IjEEE10hipError_tPvRmT1_T2_T3_mT4_P12ihipStream_tbEUlT_E1_NS1_11comp_targetILNS1_3genE3ELNS1_11target_archE908ELNS1_3gpuE7ELNS1_3repE0EEENS1_30default_config_static_selectorELNS0_4arch9wavefront6targetE1EEEvSK_
    .private_segment_fixed_size: 0
    .sgpr_count:     6
    .sgpr_spill_count: 0
    .symbol:         _ZN7rocprim17ROCPRIM_400000_NS6detail17trampoline_kernelINS0_14default_configENS1_22reduce_config_selectorIjEEZNS1_11reduce_implILb1ES3_N6thrust23THRUST_200600_302600_NS6detail15normal_iteratorINS8_10device_ptrIjEEEEPjj9plus_mod3IjEEE10hipError_tPvRmT1_T2_T3_mT4_P12ihipStream_tbEUlT_E1_NS1_11comp_targetILNS1_3genE3ELNS1_11target_archE908ELNS1_3gpuE7ELNS1_3repE0EEENS1_30default_config_static_selectorELNS0_4arch9wavefront6targetE1EEEvSK_.kd
    .uniform_work_group_size: 1
    .uses_dynamic_stack: false
    .vgpr_count:     0
    .vgpr_spill_count: 0
    .wavefront_size: 64
  - .agpr_count:     0
    .args:
      - .offset:         0
        .size:           48
        .value_kind:     by_value
    .group_segment_fixed_size: 0
    .kernarg_segment_align: 8
    .kernarg_segment_size: 48
    .language:       OpenCL C
    .language_version:
      - 2
      - 0
    .max_flat_workgroup_size: 256
    .name:           _ZN7rocprim17ROCPRIM_400000_NS6detail17trampoline_kernelINS0_14default_configENS1_22reduce_config_selectorIjEEZNS1_11reduce_implILb1ES3_N6thrust23THRUST_200600_302600_NS6detail15normal_iteratorINS8_10device_ptrIjEEEEPjj9plus_mod3IjEEE10hipError_tPvRmT1_T2_T3_mT4_P12ihipStream_tbEUlT_E1_NS1_11comp_targetILNS1_3genE2ELNS1_11target_archE906ELNS1_3gpuE6ELNS1_3repE0EEENS1_30default_config_static_selectorELNS0_4arch9wavefront6targetE1EEEvSK_
    .private_segment_fixed_size: 0
    .sgpr_count:     6
    .sgpr_spill_count: 0
    .symbol:         _ZN7rocprim17ROCPRIM_400000_NS6detail17trampoline_kernelINS0_14default_configENS1_22reduce_config_selectorIjEEZNS1_11reduce_implILb1ES3_N6thrust23THRUST_200600_302600_NS6detail15normal_iteratorINS8_10device_ptrIjEEEEPjj9plus_mod3IjEEE10hipError_tPvRmT1_T2_T3_mT4_P12ihipStream_tbEUlT_E1_NS1_11comp_targetILNS1_3genE2ELNS1_11target_archE906ELNS1_3gpuE6ELNS1_3repE0EEENS1_30default_config_static_selectorELNS0_4arch9wavefront6targetE1EEEvSK_.kd
    .uniform_work_group_size: 1
    .uses_dynamic_stack: false
    .vgpr_count:     0
    .vgpr_spill_count: 0
    .wavefront_size: 64
  - .agpr_count:     0
    .args:
      - .offset:         0
        .size:           48
        .value_kind:     by_value
    .group_segment_fixed_size: 0
    .kernarg_segment_align: 8
    .kernarg_segment_size: 48
    .language:       OpenCL C
    .language_version:
      - 2
      - 0
    .max_flat_workgroup_size: 256
    .name:           _ZN7rocprim17ROCPRIM_400000_NS6detail17trampoline_kernelINS0_14default_configENS1_22reduce_config_selectorIjEEZNS1_11reduce_implILb1ES3_N6thrust23THRUST_200600_302600_NS6detail15normal_iteratorINS8_10device_ptrIjEEEEPjj9plus_mod3IjEEE10hipError_tPvRmT1_T2_T3_mT4_P12ihipStream_tbEUlT_E1_NS1_11comp_targetILNS1_3genE10ELNS1_11target_archE1201ELNS1_3gpuE5ELNS1_3repE0EEENS1_30default_config_static_selectorELNS0_4arch9wavefront6targetE1EEEvSK_
    .private_segment_fixed_size: 0
    .sgpr_count:     6
    .sgpr_spill_count: 0
    .symbol:         _ZN7rocprim17ROCPRIM_400000_NS6detail17trampoline_kernelINS0_14default_configENS1_22reduce_config_selectorIjEEZNS1_11reduce_implILb1ES3_N6thrust23THRUST_200600_302600_NS6detail15normal_iteratorINS8_10device_ptrIjEEEEPjj9plus_mod3IjEEE10hipError_tPvRmT1_T2_T3_mT4_P12ihipStream_tbEUlT_E1_NS1_11comp_targetILNS1_3genE10ELNS1_11target_archE1201ELNS1_3gpuE5ELNS1_3repE0EEENS1_30default_config_static_selectorELNS0_4arch9wavefront6targetE1EEEvSK_.kd
    .uniform_work_group_size: 1
    .uses_dynamic_stack: false
    .vgpr_count:     0
    .vgpr_spill_count: 0
    .wavefront_size: 64
  - .agpr_count:     0
    .args:
      - .offset:         0
        .size:           48
        .value_kind:     by_value
    .group_segment_fixed_size: 0
    .kernarg_segment_align: 8
    .kernarg_segment_size: 48
    .language:       OpenCL C
    .language_version:
      - 2
      - 0
    .max_flat_workgroup_size: 256
    .name:           _ZN7rocprim17ROCPRIM_400000_NS6detail17trampoline_kernelINS0_14default_configENS1_22reduce_config_selectorIjEEZNS1_11reduce_implILb1ES3_N6thrust23THRUST_200600_302600_NS6detail15normal_iteratorINS8_10device_ptrIjEEEEPjj9plus_mod3IjEEE10hipError_tPvRmT1_T2_T3_mT4_P12ihipStream_tbEUlT_E1_NS1_11comp_targetILNS1_3genE10ELNS1_11target_archE1200ELNS1_3gpuE4ELNS1_3repE0EEENS1_30default_config_static_selectorELNS0_4arch9wavefront6targetE1EEEvSK_
    .private_segment_fixed_size: 0
    .sgpr_count:     6
    .sgpr_spill_count: 0
    .symbol:         _ZN7rocprim17ROCPRIM_400000_NS6detail17trampoline_kernelINS0_14default_configENS1_22reduce_config_selectorIjEEZNS1_11reduce_implILb1ES3_N6thrust23THRUST_200600_302600_NS6detail15normal_iteratorINS8_10device_ptrIjEEEEPjj9plus_mod3IjEEE10hipError_tPvRmT1_T2_T3_mT4_P12ihipStream_tbEUlT_E1_NS1_11comp_targetILNS1_3genE10ELNS1_11target_archE1200ELNS1_3gpuE4ELNS1_3repE0EEENS1_30default_config_static_selectorELNS0_4arch9wavefront6targetE1EEEvSK_.kd
    .uniform_work_group_size: 1
    .uses_dynamic_stack: false
    .vgpr_count:     0
    .vgpr_spill_count: 0
    .wavefront_size: 64
  - .agpr_count:     0
    .args:
      - .offset:         0
        .size:           48
        .value_kind:     by_value
    .group_segment_fixed_size: 0
    .kernarg_segment_align: 8
    .kernarg_segment_size: 48
    .language:       OpenCL C
    .language_version:
      - 2
      - 0
    .max_flat_workgroup_size: 256
    .name:           _ZN7rocprim17ROCPRIM_400000_NS6detail17trampoline_kernelINS0_14default_configENS1_22reduce_config_selectorIjEEZNS1_11reduce_implILb1ES3_N6thrust23THRUST_200600_302600_NS6detail15normal_iteratorINS8_10device_ptrIjEEEEPjj9plus_mod3IjEEE10hipError_tPvRmT1_T2_T3_mT4_P12ihipStream_tbEUlT_E1_NS1_11comp_targetILNS1_3genE9ELNS1_11target_archE1100ELNS1_3gpuE3ELNS1_3repE0EEENS1_30default_config_static_selectorELNS0_4arch9wavefront6targetE1EEEvSK_
    .private_segment_fixed_size: 0
    .sgpr_count:     6
    .sgpr_spill_count: 0
    .symbol:         _ZN7rocprim17ROCPRIM_400000_NS6detail17trampoline_kernelINS0_14default_configENS1_22reduce_config_selectorIjEEZNS1_11reduce_implILb1ES3_N6thrust23THRUST_200600_302600_NS6detail15normal_iteratorINS8_10device_ptrIjEEEEPjj9plus_mod3IjEEE10hipError_tPvRmT1_T2_T3_mT4_P12ihipStream_tbEUlT_E1_NS1_11comp_targetILNS1_3genE9ELNS1_11target_archE1100ELNS1_3gpuE3ELNS1_3repE0EEENS1_30default_config_static_selectorELNS0_4arch9wavefront6targetE1EEEvSK_.kd
    .uniform_work_group_size: 1
    .uses_dynamic_stack: false
    .vgpr_count:     0
    .vgpr_spill_count: 0
    .wavefront_size: 64
  - .agpr_count:     0
    .args:
      - .offset:         0
        .size:           48
        .value_kind:     by_value
    .group_segment_fixed_size: 0
    .kernarg_segment_align: 8
    .kernarg_segment_size: 48
    .language:       OpenCL C
    .language_version:
      - 2
      - 0
    .max_flat_workgroup_size: 256
    .name:           _ZN7rocprim17ROCPRIM_400000_NS6detail17trampoline_kernelINS0_14default_configENS1_22reduce_config_selectorIjEEZNS1_11reduce_implILb1ES3_N6thrust23THRUST_200600_302600_NS6detail15normal_iteratorINS8_10device_ptrIjEEEEPjj9plus_mod3IjEEE10hipError_tPvRmT1_T2_T3_mT4_P12ihipStream_tbEUlT_E1_NS1_11comp_targetILNS1_3genE8ELNS1_11target_archE1030ELNS1_3gpuE2ELNS1_3repE0EEENS1_30default_config_static_selectorELNS0_4arch9wavefront6targetE1EEEvSK_
    .private_segment_fixed_size: 0
    .sgpr_count:     6
    .sgpr_spill_count: 0
    .symbol:         _ZN7rocprim17ROCPRIM_400000_NS6detail17trampoline_kernelINS0_14default_configENS1_22reduce_config_selectorIjEEZNS1_11reduce_implILb1ES3_N6thrust23THRUST_200600_302600_NS6detail15normal_iteratorINS8_10device_ptrIjEEEEPjj9plus_mod3IjEEE10hipError_tPvRmT1_T2_T3_mT4_P12ihipStream_tbEUlT_E1_NS1_11comp_targetILNS1_3genE8ELNS1_11target_archE1030ELNS1_3gpuE2ELNS1_3repE0EEENS1_30default_config_static_selectorELNS0_4arch9wavefront6targetE1EEEvSK_.kd
    .uniform_work_group_size: 1
    .uses_dynamic_stack: false
    .vgpr_count:     0
    .vgpr_spill_count: 0
    .wavefront_size: 64
  - .agpr_count:     0
    .args:
      - .offset:         0
        .size:           64
        .value_kind:     by_value
    .group_segment_fixed_size: 8
    .kernarg_segment_align: 8
    .kernarg_segment_size: 64
    .language:       OpenCL C
    .language_version:
      - 2
      - 0
    .max_flat_workgroup_size: 128
    .name:           _ZN7rocprim17ROCPRIM_400000_NS6detail17trampoline_kernelINS0_14default_configENS1_22reduce_config_selectorItEEZNS1_11reduce_implILb1ES3_PtS7_t9plus_mod3ItEEE10hipError_tPvRmT1_T2_T3_mT4_P12ihipStream_tbEUlT_E0_NS1_11comp_targetILNS1_3genE0ELNS1_11target_archE4294967295ELNS1_3gpuE0ELNS1_3repE0EEENS1_30default_config_static_selectorELNS0_4arch9wavefront6targetE1EEEvSD_
    .private_segment_fixed_size: 0
    .sgpr_count:     37
    .sgpr_spill_count: 0
    .symbol:         _ZN7rocprim17ROCPRIM_400000_NS6detail17trampoline_kernelINS0_14default_configENS1_22reduce_config_selectorItEEZNS1_11reduce_implILb1ES3_PtS7_t9plus_mod3ItEEE10hipError_tPvRmT1_T2_T3_mT4_P12ihipStream_tbEUlT_E0_NS1_11comp_targetILNS1_3genE0ELNS1_11target_archE4294967295ELNS1_3gpuE0ELNS1_3repE0EEENS1_30default_config_static_selectorELNS0_4arch9wavefront6targetE1EEEvSD_.kd
    .uniform_work_group_size: 1
    .uses_dynamic_stack: false
    .vgpr_count:     14
    .vgpr_spill_count: 0
    .wavefront_size: 64
  - .agpr_count:     0
    .args:
      - .offset:         0
        .size:           64
        .value_kind:     by_value
    .group_segment_fixed_size: 0
    .kernarg_segment_align: 8
    .kernarg_segment_size: 64
    .language:       OpenCL C
    .language_version:
      - 2
      - 0
    .max_flat_workgroup_size: 256
    .name:           _ZN7rocprim17ROCPRIM_400000_NS6detail17trampoline_kernelINS0_14default_configENS1_22reduce_config_selectorItEEZNS1_11reduce_implILb1ES3_PtS7_t9plus_mod3ItEEE10hipError_tPvRmT1_T2_T3_mT4_P12ihipStream_tbEUlT_E0_NS1_11comp_targetILNS1_3genE5ELNS1_11target_archE942ELNS1_3gpuE9ELNS1_3repE0EEENS1_30default_config_static_selectorELNS0_4arch9wavefront6targetE1EEEvSD_
    .private_segment_fixed_size: 0
    .sgpr_count:     6
    .sgpr_spill_count: 0
    .symbol:         _ZN7rocprim17ROCPRIM_400000_NS6detail17trampoline_kernelINS0_14default_configENS1_22reduce_config_selectorItEEZNS1_11reduce_implILb1ES3_PtS7_t9plus_mod3ItEEE10hipError_tPvRmT1_T2_T3_mT4_P12ihipStream_tbEUlT_E0_NS1_11comp_targetILNS1_3genE5ELNS1_11target_archE942ELNS1_3gpuE9ELNS1_3repE0EEENS1_30default_config_static_selectorELNS0_4arch9wavefront6targetE1EEEvSD_.kd
    .uniform_work_group_size: 1
    .uses_dynamic_stack: false
    .vgpr_count:     0
    .vgpr_spill_count: 0
    .wavefront_size: 64
  - .agpr_count:     0
    .args:
      - .offset:         0
        .size:           64
        .value_kind:     by_value
    .group_segment_fixed_size: 0
    .kernarg_segment_align: 8
    .kernarg_segment_size: 64
    .language:       OpenCL C
    .language_version:
      - 2
      - 0
    .max_flat_workgroup_size: 64
    .name:           _ZN7rocprim17ROCPRIM_400000_NS6detail17trampoline_kernelINS0_14default_configENS1_22reduce_config_selectorItEEZNS1_11reduce_implILb1ES3_PtS7_t9plus_mod3ItEEE10hipError_tPvRmT1_T2_T3_mT4_P12ihipStream_tbEUlT_E0_NS1_11comp_targetILNS1_3genE4ELNS1_11target_archE910ELNS1_3gpuE8ELNS1_3repE0EEENS1_30default_config_static_selectorELNS0_4arch9wavefront6targetE1EEEvSD_
    .private_segment_fixed_size: 0
    .sgpr_count:     6
    .sgpr_spill_count: 0
    .symbol:         _ZN7rocprim17ROCPRIM_400000_NS6detail17trampoline_kernelINS0_14default_configENS1_22reduce_config_selectorItEEZNS1_11reduce_implILb1ES3_PtS7_t9plus_mod3ItEEE10hipError_tPvRmT1_T2_T3_mT4_P12ihipStream_tbEUlT_E0_NS1_11comp_targetILNS1_3genE4ELNS1_11target_archE910ELNS1_3gpuE8ELNS1_3repE0EEENS1_30default_config_static_selectorELNS0_4arch9wavefront6targetE1EEEvSD_.kd
    .uniform_work_group_size: 1
    .uses_dynamic_stack: false
    .vgpr_count:     0
    .vgpr_spill_count: 0
    .wavefront_size: 64
  - .agpr_count:     0
    .args:
      - .offset:         0
        .size:           64
        .value_kind:     by_value
    .group_segment_fixed_size: 0
    .kernarg_segment_align: 8
    .kernarg_segment_size: 64
    .language:       OpenCL C
    .language_version:
      - 2
      - 0
    .max_flat_workgroup_size: 128
    .name:           _ZN7rocprim17ROCPRIM_400000_NS6detail17trampoline_kernelINS0_14default_configENS1_22reduce_config_selectorItEEZNS1_11reduce_implILb1ES3_PtS7_t9plus_mod3ItEEE10hipError_tPvRmT1_T2_T3_mT4_P12ihipStream_tbEUlT_E0_NS1_11comp_targetILNS1_3genE3ELNS1_11target_archE908ELNS1_3gpuE7ELNS1_3repE0EEENS1_30default_config_static_selectorELNS0_4arch9wavefront6targetE1EEEvSD_
    .private_segment_fixed_size: 0
    .sgpr_count:     6
    .sgpr_spill_count: 0
    .symbol:         _ZN7rocprim17ROCPRIM_400000_NS6detail17trampoline_kernelINS0_14default_configENS1_22reduce_config_selectorItEEZNS1_11reduce_implILb1ES3_PtS7_t9plus_mod3ItEEE10hipError_tPvRmT1_T2_T3_mT4_P12ihipStream_tbEUlT_E0_NS1_11comp_targetILNS1_3genE3ELNS1_11target_archE908ELNS1_3gpuE7ELNS1_3repE0EEENS1_30default_config_static_selectorELNS0_4arch9wavefront6targetE1EEEvSD_.kd
    .uniform_work_group_size: 1
    .uses_dynamic_stack: false
    .vgpr_count:     0
    .vgpr_spill_count: 0
    .wavefront_size: 64
  - .agpr_count:     0
    .args:
      - .offset:         0
        .size:           64
        .value_kind:     by_value
    .group_segment_fixed_size: 0
    .kernarg_segment_align: 8
    .kernarg_segment_size: 64
    .language:       OpenCL C
    .language_version:
      - 2
      - 0
    .max_flat_workgroup_size: 256
    .name:           _ZN7rocprim17ROCPRIM_400000_NS6detail17trampoline_kernelINS0_14default_configENS1_22reduce_config_selectorItEEZNS1_11reduce_implILb1ES3_PtS7_t9plus_mod3ItEEE10hipError_tPvRmT1_T2_T3_mT4_P12ihipStream_tbEUlT_E0_NS1_11comp_targetILNS1_3genE2ELNS1_11target_archE906ELNS1_3gpuE6ELNS1_3repE0EEENS1_30default_config_static_selectorELNS0_4arch9wavefront6targetE1EEEvSD_
    .private_segment_fixed_size: 0
    .sgpr_count:     6
    .sgpr_spill_count: 0
    .symbol:         _ZN7rocprim17ROCPRIM_400000_NS6detail17trampoline_kernelINS0_14default_configENS1_22reduce_config_selectorItEEZNS1_11reduce_implILb1ES3_PtS7_t9plus_mod3ItEEE10hipError_tPvRmT1_T2_T3_mT4_P12ihipStream_tbEUlT_E0_NS1_11comp_targetILNS1_3genE2ELNS1_11target_archE906ELNS1_3gpuE6ELNS1_3repE0EEENS1_30default_config_static_selectorELNS0_4arch9wavefront6targetE1EEEvSD_.kd
    .uniform_work_group_size: 1
    .uses_dynamic_stack: false
    .vgpr_count:     0
    .vgpr_spill_count: 0
    .wavefront_size: 64
  - .agpr_count:     0
    .args:
      - .offset:         0
        .size:           64
        .value_kind:     by_value
    .group_segment_fixed_size: 0
    .kernarg_segment_align: 8
    .kernarg_segment_size: 64
    .language:       OpenCL C
    .language_version:
      - 2
      - 0
    .max_flat_workgroup_size: 256
    .name:           _ZN7rocprim17ROCPRIM_400000_NS6detail17trampoline_kernelINS0_14default_configENS1_22reduce_config_selectorItEEZNS1_11reduce_implILb1ES3_PtS7_t9plus_mod3ItEEE10hipError_tPvRmT1_T2_T3_mT4_P12ihipStream_tbEUlT_E0_NS1_11comp_targetILNS1_3genE10ELNS1_11target_archE1201ELNS1_3gpuE5ELNS1_3repE0EEENS1_30default_config_static_selectorELNS0_4arch9wavefront6targetE1EEEvSD_
    .private_segment_fixed_size: 0
    .sgpr_count:     6
    .sgpr_spill_count: 0
    .symbol:         _ZN7rocprim17ROCPRIM_400000_NS6detail17trampoline_kernelINS0_14default_configENS1_22reduce_config_selectorItEEZNS1_11reduce_implILb1ES3_PtS7_t9plus_mod3ItEEE10hipError_tPvRmT1_T2_T3_mT4_P12ihipStream_tbEUlT_E0_NS1_11comp_targetILNS1_3genE10ELNS1_11target_archE1201ELNS1_3gpuE5ELNS1_3repE0EEENS1_30default_config_static_selectorELNS0_4arch9wavefront6targetE1EEEvSD_.kd
    .uniform_work_group_size: 1
    .uses_dynamic_stack: false
    .vgpr_count:     0
    .vgpr_spill_count: 0
    .wavefront_size: 64
  - .agpr_count:     0
    .args:
      - .offset:         0
        .size:           64
        .value_kind:     by_value
    .group_segment_fixed_size: 0
    .kernarg_segment_align: 8
    .kernarg_segment_size: 64
    .language:       OpenCL C
    .language_version:
      - 2
      - 0
    .max_flat_workgroup_size: 256
    .name:           _ZN7rocprim17ROCPRIM_400000_NS6detail17trampoline_kernelINS0_14default_configENS1_22reduce_config_selectorItEEZNS1_11reduce_implILb1ES3_PtS7_t9plus_mod3ItEEE10hipError_tPvRmT1_T2_T3_mT4_P12ihipStream_tbEUlT_E0_NS1_11comp_targetILNS1_3genE10ELNS1_11target_archE1200ELNS1_3gpuE4ELNS1_3repE0EEENS1_30default_config_static_selectorELNS0_4arch9wavefront6targetE1EEEvSD_
    .private_segment_fixed_size: 0
    .sgpr_count:     6
    .sgpr_spill_count: 0
    .symbol:         _ZN7rocprim17ROCPRIM_400000_NS6detail17trampoline_kernelINS0_14default_configENS1_22reduce_config_selectorItEEZNS1_11reduce_implILb1ES3_PtS7_t9plus_mod3ItEEE10hipError_tPvRmT1_T2_T3_mT4_P12ihipStream_tbEUlT_E0_NS1_11comp_targetILNS1_3genE10ELNS1_11target_archE1200ELNS1_3gpuE4ELNS1_3repE0EEENS1_30default_config_static_selectorELNS0_4arch9wavefront6targetE1EEEvSD_.kd
    .uniform_work_group_size: 1
    .uses_dynamic_stack: false
    .vgpr_count:     0
    .vgpr_spill_count: 0
    .wavefront_size: 64
  - .agpr_count:     0
    .args:
      - .offset:         0
        .size:           64
        .value_kind:     by_value
    .group_segment_fixed_size: 0
    .kernarg_segment_align: 8
    .kernarg_segment_size: 64
    .language:       OpenCL C
    .language_version:
      - 2
      - 0
    .max_flat_workgroup_size: 256
    .name:           _ZN7rocprim17ROCPRIM_400000_NS6detail17trampoline_kernelINS0_14default_configENS1_22reduce_config_selectorItEEZNS1_11reduce_implILb1ES3_PtS7_t9plus_mod3ItEEE10hipError_tPvRmT1_T2_T3_mT4_P12ihipStream_tbEUlT_E0_NS1_11comp_targetILNS1_3genE9ELNS1_11target_archE1100ELNS1_3gpuE3ELNS1_3repE0EEENS1_30default_config_static_selectorELNS0_4arch9wavefront6targetE1EEEvSD_
    .private_segment_fixed_size: 0
    .sgpr_count:     6
    .sgpr_spill_count: 0
    .symbol:         _ZN7rocprim17ROCPRIM_400000_NS6detail17trampoline_kernelINS0_14default_configENS1_22reduce_config_selectorItEEZNS1_11reduce_implILb1ES3_PtS7_t9plus_mod3ItEEE10hipError_tPvRmT1_T2_T3_mT4_P12ihipStream_tbEUlT_E0_NS1_11comp_targetILNS1_3genE9ELNS1_11target_archE1100ELNS1_3gpuE3ELNS1_3repE0EEENS1_30default_config_static_selectorELNS0_4arch9wavefront6targetE1EEEvSD_.kd
    .uniform_work_group_size: 1
    .uses_dynamic_stack: false
    .vgpr_count:     0
    .vgpr_spill_count: 0
    .wavefront_size: 64
  - .agpr_count:     0
    .args:
      - .offset:         0
        .size:           64
        .value_kind:     by_value
    .group_segment_fixed_size: 0
    .kernarg_segment_align: 8
    .kernarg_segment_size: 64
    .language:       OpenCL C
    .language_version:
      - 2
      - 0
    .max_flat_workgroup_size: 256
    .name:           _ZN7rocprim17ROCPRIM_400000_NS6detail17trampoline_kernelINS0_14default_configENS1_22reduce_config_selectorItEEZNS1_11reduce_implILb1ES3_PtS7_t9plus_mod3ItEEE10hipError_tPvRmT1_T2_T3_mT4_P12ihipStream_tbEUlT_E0_NS1_11comp_targetILNS1_3genE8ELNS1_11target_archE1030ELNS1_3gpuE2ELNS1_3repE0EEENS1_30default_config_static_selectorELNS0_4arch9wavefront6targetE1EEEvSD_
    .private_segment_fixed_size: 0
    .sgpr_count:     6
    .sgpr_spill_count: 0
    .symbol:         _ZN7rocprim17ROCPRIM_400000_NS6detail17trampoline_kernelINS0_14default_configENS1_22reduce_config_selectorItEEZNS1_11reduce_implILb1ES3_PtS7_t9plus_mod3ItEEE10hipError_tPvRmT1_T2_T3_mT4_P12ihipStream_tbEUlT_E0_NS1_11comp_targetILNS1_3genE8ELNS1_11target_archE1030ELNS1_3gpuE2ELNS1_3repE0EEENS1_30default_config_static_selectorELNS0_4arch9wavefront6targetE1EEEvSD_.kd
    .uniform_work_group_size: 1
    .uses_dynamic_stack: false
    .vgpr_count:     0
    .vgpr_spill_count: 0
    .wavefront_size: 64
  - .agpr_count:     0
    .args:
      - .offset:         0
        .size:           48
        .value_kind:     by_value
    .group_segment_fixed_size: 32
    .kernarg_segment_align: 8
    .kernarg_segment_size: 48
    .language:       OpenCL C
    .language_version:
      - 2
      - 0
    .max_flat_workgroup_size: 128
    .name:           _ZN7rocprim17ROCPRIM_400000_NS6detail17trampoline_kernelINS0_14default_configENS1_22reduce_config_selectorItEEZNS1_11reduce_implILb1ES3_PtS7_t9plus_mod3ItEEE10hipError_tPvRmT1_T2_T3_mT4_P12ihipStream_tbEUlT_E1_NS1_11comp_targetILNS1_3genE0ELNS1_11target_archE4294967295ELNS1_3gpuE0ELNS1_3repE0EEENS1_30default_config_static_selectorELNS0_4arch9wavefront6targetE1EEEvSD_
    .private_segment_fixed_size: 0
    .sgpr_count:     106
    .sgpr_spill_count: 46
    .symbol:         _ZN7rocprim17ROCPRIM_400000_NS6detail17trampoline_kernelINS0_14default_configENS1_22reduce_config_selectorItEEZNS1_11reduce_implILb1ES3_PtS7_t9plus_mod3ItEEE10hipError_tPvRmT1_T2_T3_mT4_P12ihipStream_tbEUlT_E1_NS1_11comp_targetILNS1_3genE0ELNS1_11target_archE4294967295ELNS1_3gpuE0ELNS1_3repE0EEENS1_30default_config_static_selectorELNS0_4arch9wavefront6targetE1EEEvSD_.kd
    .uniform_work_group_size: 1
    .uses_dynamic_stack: false
    .vgpr_count:     39
    .vgpr_spill_count: 0
    .wavefront_size: 64
  - .agpr_count:     0
    .args:
      - .offset:         0
        .size:           48
        .value_kind:     by_value
    .group_segment_fixed_size: 0
    .kernarg_segment_align: 8
    .kernarg_segment_size: 48
    .language:       OpenCL C
    .language_version:
      - 2
      - 0
    .max_flat_workgroup_size: 256
    .name:           _ZN7rocprim17ROCPRIM_400000_NS6detail17trampoline_kernelINS0_14default_configENS1_22reduce_config_selectorItEEZNS1_11reduce_implILb1ES3_PtS7_t9plus_mod3ItEEE10hipError_tPvRmT1_T2_T3_mT4_P12ihipStream_tbEUlT_E1_NS1_11comp_targetILNS1_3genE5ELNS1_11target_archE942ELNS1_3gpuE9ELNS1_3repE0EEENS1_30default_config_static_selectorELNS0_4arch9wavefront6targetE1EEEvSD_
    .private_segment_fixed_size: 0
    .sgpr_count:     6
    .sgpr_spill_count: 0
    .symbol:         _ZN7rocprim17ROCPRIM_400000_NS6detail17trampoline_kernelINS0_14default_configENS1_22reduce_config_selectorItEEZNS1_11reduce_implILb1ES3_PtS7_t9plus_mod3ItEEE10hipError_tPvRmT1_T2_T3_mT4_P12ihipStream_tbEUlT_E1_NS1_11comp_targetILNS1_3genE5ELNS1_11target_archE942ELNS1_3gpuE9ELNS1_3repE0EEENS1_30default_config_static_selectorELNS0_4arch9wavefront6targetE1EEEvSD_.kd
    .uniform_work_group_size: 1
    .uses_dynamic_stack: false
    .vgpr_count:     0
    .vgpr_spill_count: 0
    .wavefront_size: 64
  - .agpr_count:     0
    .args:
      - .offset:         0
        .size:           48
        .value_kind:     by_value
    .group_segment_fixed_size: 0
    .kernarg_segment_align: 8
    .kernarg_segment_size: 48
    .language:       OpenCL C
    .language_version:
      - 2
      - 0
    .max_flat_workgroup_size: 64
    .name:           _ZN7rocprim17ROCPRIM_400000_NS6detail17trampoline_kernelINS0_14default_configENS1_22reduce_config_selectorItEEZNS1_11reduce_implILb1ES3_PtS7_t9plus_mod3ItEEE10hipError_tPvRmT1_T2_T3_mT4_P12ihipStream_tbEUlT_E1_NS1_11comp_targetILNS1_3genE4ELNS1_11target_archE910ELNS1_3gpuE8ELNS1_3repE0EEENS1_30default_config_static_selectorELNS0_4arch9wavefront6targetE1EEEvSD_
    .private_segment_fixed_size: 0
    .sgpr_count:     6
    .sgpr_spill_count: 0
    .symbol:         _ZN7rocprim17ROCPRIM_400000_NS6detail17trampoline_kernelINS0_14default_configENS1_22reduce_config_selectorItEEZNS1_11reduce_implILb1ES3_PtS7_t9plus_mod3ItEEE10hipError_tPvRmT1_T2_T3_mT4_P12ihipStream_tbEUlT_E1_NS1_11comp_targetILNS1_3genE4ELNS1_11target_archE910ELNS1_3gpuE8ELNS1_3repE0EEENS1_30default_config_static_selectorELNS0_4arch9wavefront6targetE1EEEvSD_.kd
    .uniform_work_group_size: 1
    .uses_dynamic_stack: false
    .vgpr_count:     0
    .vgpr_spill_count: 0
    .wavefront_size: 64
  - .agpr_count:     0
    .args:
      - .offset:         0
        .size:           48
        .value_kind:     by_value
    .group_segment_fixed_size: 0
    .kernarg_segment_align: 8
    .kernarg_segment_size: 48
    .language:       OpenCL C
    .language_version:
      - 2
      - 0
    .max_flat_workgroup_size: 128
    .name:           _ZN7rocprim17ROCPRIM_400000_NS6detail17trampoline_kernelINS0_14default_configENS1_22reduce_config_selectorItEEZNS1_11reduce_implILb1ES3_PtS7_t9plus_mod3ItEEE10hipError_tPvRmT1_T2_T3_mT4_P12ihipStream_tbEUlT_E1_NS1_11comp_targetILNS1_3genE3ELNS1_11target_archE908ELNS1_3gpuE7ELNS1_3repE0EEENS1_30default_config_static_selectorELNS0_4arch9wavefront6targetE1EEEvSD_
    .private_segment_fixed_size: 0
    .sgpr_count:     6
    .sgpr_spill_count: 0
    .symbol:         _ZN7rocprim17ROCPRIM_400000_NS6detail17trampoline_kernelINS0_14default_configENS1_22reduce_config_selectorItEEZNS1_11reduce_implILb1ES3_PtS7_t9plus_mod3ItEEE10hipError_tPvRmT1_T2_T3_mT4_P12ihipStream_tbEUlT_E1_NS1_11comp_targetILNS1_3genE3ELNS1_11target_archE908ELNS1_3gpuE7ELNS1_3repE0EEENS1_30default_config_static_selectorELNS0_4arch9wavefront6targetE1EEEvSD_.kd
    .uniform_work_group_size: 1
    .uses_dynamic_stack: false
    .vgpr_count:     0
    .vgpr_spill_count: 0
    .wavefront_size: 64
  - .agpr_count:     0
    .args:
      - .offset:         0
        .size:           48
        .value_kind:     by_value
    .group_segment_fixed_size: 0
    .kernarg_segment_align: 8
    .kernarg_segment_size: 48
    .language:       OpenCL C
    .language_version:
      - 2
      - 0
    .max_flat_workgroup_size: 256
    .name:           _ZN7rocprim17ROCPRIM_400000_NS6detail17trampoline_kernelINS0_14default_configENS1_22reduce_config_selectorItEEZNS1_11reduce_implILb1ES3_PtS7_t9plus_mod3ItEEE10hipError_tPvRmT1_T2_T3_mT4_P12ihipStream_tbEUlT_E1_NS1_11comp_targetILNS1_3genE2ELNS1_11target_archE906ELNS1_3gpuE6ELNS1_3repE0EEENS1_30default_config_static_selectorELNS0_4arch9wavefront6targetE1EEEvSD_
    .private_segment_fixed_size: 0
    .sgpr_count:     6
    .sgpr_spill_count: 0
    .symbol:         _ZN7rocprim17ROCPRIM_400000_NS6detail17trampoline_kernelINS0_14default_configENS1_22reduce_config_selectorItEEZNS1_11reduce_implILb1ES3_PtS7_t9plus_mod3ItEEE10hipError_tPvRmT1_T2_T3_mT4_P12ihipStream_tbEUlT_E1_NS1_11comp_targetILNS1_3genE2ELNS1_11target_archE906ELNS1_3gpuE6ELNS1_3repE0EEENS1_30default_config_static_selectorELNS0_4arch9wavefront6targetE1EEEvSD_.kd
    .uniform_work_group_size: 1
    .uses_dynamic_stack: false
    .vgpr_count:     0
    .vgpr_spill_count: 0
    .wavefront_size: 64
  - .agpr_count:     0
    .args:
      - .offset:         0
        .size:           48
        .value_kind:     by_value
    .group_segment_fixed_size: 0
    .kernarg_segment_align: 8
    .kernarg_segment_size: 48
    .language:       OpenCL C
    .language_version:
      - 2
      - 0
    .max_flat_workgroup_size: 256
    .name:           _ZN7rocprim17ROCPRIM_400000_NS6detail17trampoline_kernelINS0_14default_configENS1_22reduce_config_selectorItEEZNS1_11reduce_implILb1ES3_PtS7_t9plus_mod3ItEEE10hipError_tPvRmT1_T2_T3_mT4_P12ihipStream_tbEUlT_E1_NS1_11comp_targetILNS1_3genE10ELNS1_11target_archE1201ELNS1_3gpuE5ELNS1_3repE0EEENS1_30default_config_static_selectorELNS0_4arch9wavefront6targetE1EEEvSD_
    .private_segment_fixed_size: 0
    .sgpr_count:     6
    .sgpr_spill_count: 0
    .symbol:         _ZN7rocprim17ROCPRIM_400000_NS6detail17trampoline_kernelINS0_14default_configENS1_22reduce_config_selectorItEEZNS1_11reduce_implILb1ES3_PtS7_t9plus_mod3ItEEE10hipError_tPvRmT1_T2_T3_mT4_P12ihipStream_tbEUlT_E1_NS1_11comp_targetILNS1_3genE10ELNS1_11target_archE1201ELNS1_3gpuE5ELNS1_3repE0EEENS1_30default_config_static_selectorELNS0_4arch9wavefront6targetE1EEEvSD_.kd
    .uniform_work_group_size: 1
    .uses_dynamic_stack: false
    .vgpr_count:     0
    .vgpr_spill_count: 0
    .wavefront_size: 64
  - .agpr_count:     0
    .args:
      - .offset:         0
        .size:           48
        .value_kind:     by_value
    .group_segment_fixed_size: 0
    .kernarg_segment_align: 8
    .kernarg_segment_size: 48
    .language:       OpenCL C
    .language_version:
      - 2
      - 0
    .max_flat_workgroup_size: 256
    .name:           _ZN7rocprim17ROCPRIM_400000_NS6detail17trampoline_kernelINS0_14default_configENS1_22reduce_config_selectorItEEZNS1_11reduce_implILb1ES3_PtS7_t9plus_mod3ItEEE10hipError_tPvRmT1_T2_T3_mT4_P12ihipStream_tbEUlT_E1_NS1_11comp_targetILNS1_3genE10ELNS1_11target_archE1200ELNS1_3gpuE4ELNS1_3repE0EEENS1_30default_config_static_selectorELNS0_4arch9wavefront6targetE1EEEvSD_
    .private_segment_fixed_size: 0
    .sgpr_count:     6
    .sgpr_spill_count: 0
    .symbol:         _ZN7rocprim17ROCPRIM_400000_NS6detail17trampoline_kernelINS0_14default_configENS1_22reduce_config_selectorItEEZNS1_11reduce_implILb1ES3_PtS7_t9plus_mod3ItEEE10hipError_tPvRmT1_T2_T3_mT4_P12ihipStream_tbEUlT_E1_NS1_11comp_targetILNS1_3genE10ELNS1_11target_archE1200ELNS1_3gpuE4ELNS1_3repE0EEENS1_30default_config_static_selectorELNS0_4arch9wavefront6targetE1EEEvSD_.kd
    .uniform_work_group_size: 1
    .uses_dynamic_stack: false
    .vgpr_count:     0
    .vgpr_spill_count: 0
    .wavefront_size: 64
  - .agpr_count:     0
    .args:
      - .offset:         0
        .size:           48
        .value_kind:     by_value
    .group_segment_fixed_size: 0
    .kernarg_segment_align: 8
    .kernarg_segment_size: 48
    .language:       OpenCL C
    .language_version:
      - 2
      - 0
    .max_flat_workgroup_size: 256
    .name:           _ZN7rocprim17ROCPRIM_400000_NS6detail17trampoline_kernelINS0_14default_configENS1_22reduce_config_selectorItEEZNS1_11reduce_implILb1ES3_PtS7_t9plus_mod3ItEEE10hipError_tPvRmT1_T2_T3_mT4_P12ihipStream_tbEUlT_E1_NS1_11comp_targetILNS1_3genE9ELNS1_11target_archE1100ELNS1_3gpuE3ELNS1_3repE0EEENS1_30default_config_static_selectorELNS0_4arch9wavefront6targetE1EEEvSD_
    .private_segment_fixed_size: 0
    .sgpr_count:     6
    .sgpr_spill_count: 0
    .symbol:         _ZN7rocprim17ROCPRIM_400000_NS6detail17trampoline_kernelINS0_14default_configENS1_22reduce_config_selectorItEEZNS1_11reduce_implILb1ES3_PtS7_t9plus_mod3ItEEE10hipError_tPvRmT1_T2_T3_mT4_P12ihipStream_tbEUlT_E1_NS1_11comp_targetILNS1_3genE9ELNS1_11target_archE1100ELNS1_3gpuE3ELNS1_3repE0EEENS1_30default_config_static_selectorELNS0_4arch9wavefront6targetE1EEEvSD_.kd
    .uniform_work_group_size: 1
    .uses_dynamic_stack: false
    .vgpr_count:     0
    .vgpr_spill_count: 0
    .wavefront_size: 64
  - .agpr_count:     0
    .args:
      - .offset:         0
        .size:           48
        .value_kind:     by_value
    .group_segment_fixed_size: 0
    .kernarg_segment_align: 8
    .kernarg_segment_size: 48
    .language:       OpenCL C
    .language_version:
      - 2
      - 0
    .max_flat_workgroup_size: 256
    .name:           _ZN7rocprim17ROCPRIM_400000_NS6detail17trampoline_kernelINS0_14default_configENS1_22reduce_config_selectorItEEZNS1_11reduce_implILb1ES3_PtS7_t9plus_mod3ItEEE10hipError_tPvRmT1_T2_T3_mT4_P12ihipStream_tbEUlT_E1_NS1_11comp_targetILNS1_3genE8ELNS1_11target_archE1030ELNS1_3gpuE2ELNS1_3repE0EEENS1_30default_config_static_selectorELNS0_4arch9wavefront6targetE1EEEvSD_
    .private_segment_fixed_size: 0
    .sgpr_count:     6
    .sgpr_spill_count: 0
    .symbol:         _ZN7rocprim17ROCPRIM_400000_NS6detail17trampoline_kernelINS0_14default_configENS1_22reduce_config_selectorItEEZNS1_11reduce_implILb1ES3_PtS7_t9plus_mod3ItEEE10hipError_tPvRmT1_T2_T3_mT4_P12ihipStream_tbEUlT_E1_NS1_11comp_targetILNS1_3genE8ELNS1_11target_archE1030ELNS1_3gpuE2ELNS1_3repE0EEENS1_30default_config_static_selectorELNS0_4arch9wavefront6targetE1EEEvSD_.kd
    .uniform_work_group_size: 1
    .uses_dynamic_stack: false
    .vgpr_count:     0
    .vgpr_spill_count: 0
    .wavefront_size: 64
  - .agpr_count:     0
    .args:
      - .offset:         0
        .size:           64
        .value_kind:     by_value
    .group_segment_fixed_size: 8
    .kernarg_segment_align: 8
    .kernarg_segment_size: 64
    .language:       OpenCL C
    .language_version:
      - 2
      - 0
    .max_flat_workgroup_size: 128
    .name:           _ZN7rocprim17ROCPRIM_400000_NS6detail17trampoline_kernelINS0_14default_configENS1_22reduce_config_selectorItEEZNS1_11reduce_implILb1ES3_N6thrust23THRUST_200600_302600_NS6detail15normal_iteratorINS8_10device_ptrItEEEEPtt9plus_mod3ItEEE10hipError_tPvRmT1_T2_T3_mT4_P12ihipStream_tbEUlT_E0_NS1_11comp_targetILNS1_3genE0ELNS1_11target_archE4294967295ELNS1_3gpuE0ELNS1_3repE0EEENS1_30default_config_static_selectorELNS0_4arch9wavefront6targetE1EEEvSK_
    .private_segment_fixed_size: 0
    .sgpr_count:     36
    .sgpr_spill_count: 0
    .symbol:         _ZN7rocprim17ROCPRIM_400000_NS6detail17trampoline_kernelINS0_14default_configENS1_22reduce_config_selectorItEEZNS1_11reduce_implILb1ES3_N6thrust23THRUST_200600_302600_NS6detail15normal_iteratorINS8_10device_ptrItEEEEPtt9plus_mod3ItEEE10hipError_tPvRmT1_T2_T3_mT4_P12ihipStream_tbEUlT_E0_NS1_11comp_targetILNS1_3genE0ELNS1_11target_archE4294967295ELNS1_3gpuE0ELNS1_3repE0EEENS1_30default_config_static_selectorELNS0_4arch9wavefront6targetE1EEEvSK_.kd
    .uniform_work_group_size: 1
    .uses_dynamic_stack: false
    .vgpr_count:     16
    .vgpr_spill_count: 0
    .wavefront_size: 64
  - .agpr_count:     0
    .args:
      - .offset:         0
        .size:           64
        .value_kind:     by_value
    .group_segment_fixed_size: 0
    .kernarg_segment_align: 8
    .kernarg_segment_size: 64
    .language:       OpenCL C
    .language_version:
      - 2
      - 0
    .max_flat_workgroup_size: 256
    .name:           _ZN7rocprim17ROCPRIM_400000_NS6detail17trampoline_kernelINS0_14default_configENS1_22reduce_config_selectorItEEZNS1_11reduce_implILb1ES3_N6thrust23THRUST_200600_302600_NS6detail15normal_iteratorINS8_10device_ptrItEEEEPtt9plus_mod3ItEEE10hipError_tPvRmT1_T2_T3_mT4_P12ihipStream_tbEUlT_E0_NS1_11comp_targetILNS1_3genE5ELNS1_11target_archE942ELNS1_3gpuE9ELNS1_3repE0EEENS1_30default_config_static_selectorELNS0_4arch9wavefront6targetE1EEEvSK_
    .private_segment_fixed_size: 0
    .sgpr_count:     6
    .sgpr_spill_count: 0
    .symbol:         _ZN7rocprim17ROCPRIM_400000_NS6detail17trampoline_kernelINS0_14default_configENS1_22reduce_config_selectorItEEZNS1_11reduce_implILb1ES3_N6thrust23THRUST_200600_302600_NS6detail15normal_iteratorINS8_10device_ptrItEEEEPtt9plus_mod3ItEEE10hipError_tPvRmT1_T2_T3_mT4_P12ihipStream_tbEUlT_E0_NS1_11comp_targetILNS1_3genE5ELNS1_11target_archE942ELNS1_3gpuE9ELNS1_3repE0EEENS1_30default_config_static_selectorELNS0_4arch9wavefront6targetE1EEEvSK_.kd
    .uniform_work_group_size: 1
    .uses_dynamic_stack: false
    .vgpr_count:     0
    .vgpr_spill_count: 0
    .wavefront_size: 64
  - .agpr_count:     0
    .args:
      - .offset:         0
        .size:           64
        .value_kind:     by_value
    .group_segment_fixed_size: 0
    .kernarg_segment_align: 8
    .kernarg_segment_size: 64
    .language:       OpenCL C
    .language_version:
      - 2
      - 0
    .max_flat_workgroup_size: 64
    .name:           _ZN7rocprim17ROCPRIM_400000_NS6detail17trampoline_kernelINS0_14default_configENS1_22reduce_config_selectorItEEZNS1_11reduce_implILb1ES3_N6thrust23THRUST_200600_302600_NS6detail15normal_iteratorINS8_10device_ptrItEEEEPtt9plus_mod3ItEEE10hipError_tPvRmT1_T2_T3_mT4_P12ihipStream_tbEUlT_E0_NS1_11comp_targetILNS1_3genE4ELNS1_11target_archE910ELNS1_3gpuE8ELNS1_3repE0EEENS1_30default_config_static_selectorELNS0_4arch9wavefront6targetE1EEEvSK_
    .private_segment_fixed_size: 0
    .sgpr_count:     6
    .sgpr_spill_count: 0
    .symbol:         _ZN7rocprim17ROCPRIM_400000_NS6detail17trampoline_kernelINS0_14default_configENS1_22reduce_config_selectorItEEZNS1_11reduce_implILb1ES3_N6thrust23THRUST_200600_302600_NS6detail15normal_iteratorINS8_10device_ptrItEEEEPtt9plus_mod3ItEEE10hipError_tPvRmT1_T2_T3_mT4_P12ihipStream_tbEUlT_E0_NS1_11comp_targetILNS1_3genE4ELNS1_11target_archE910ELNS1_3gpuE8ELNS1_3repE0EEENS1_30default_config_static_selectorELNS0_4arch9wavefront6targetE1EEEvSK_.kd
    .uniform_work_group_size: 1
    .uses_dynamic_stack: false
    .vgpr_count:     0
    .vgpr_spill_count: 0
    .wavefront_size: 64
  - .agpr_count:     0
    .args:
      - .offset:         0
        .size:           64
        .value_kind:     by_value
    .group_segment_fixed_size: 0
    .kernarg_segment_align: 8
    .kernarg_segment_size: 64
    .language:       OpenCL C
    .language_version:
      - 2
      - 0
    .max_flat_workgroup_size: 128
    .name:           _ZN7rocprim17ROCPRIM_400000_NS6detail17trampoline_kernelINS0_14default_configENS1_22reduce_config_selectorItEEZNS1_11reduce_implILb1ES3_N6thrust23THRUST_200600_302600_NS6detail15normal_iteratorINS8_10device_ptrItEEEEPtt9plus_mod3ItEEE10hipError_tPvRmT1_T2_T3_mT4_P12ihipStream_tbEUlT_E0_NS1_11comp_targetILNS1_3genE3ELNS1_11target_archE908ELNS1_3gpuE7ELNS1_3repE0EEENS1_30default_config_static_selectorELNS0_4arch9wavefront6targetE1EEEvSK_
    .private_segment_fixed_size: 0
    .sgpr_count:     6
    .sgpr_spill_count: 0
    .symbol:         _ZN7rocprim17ROCPRIM_400000_NS6detail17trampoline_kernelINS0_14default_configENS1_22reduce_config_selectorItEEZNS1_11reduce_implILb1ES3_N6thrust23THRUST_200600_302600_NS6detail15normal_iteratorINS8_10device_ptrItEEEEPtt9plus_mod3ItEEE10hipError_tPvRmT1_T2_T3_mT4_P12ihipStream_tbEUlT_E0_NS1_11comp_targetILNS1_3genE3ELNS1_11target_archE908ELNS1_3gpuE7ELNS1_3repE0EEENS1_30default_config_static_selectorELNS0_4arch9wavefront6targetE1EEEvSK_.kd
    .uniform_work_group_size: 1
    .uses_dynamic_stack: false
    .vgpr_count:     0
    .vgpr_spill_count: 0
    .wavefront_size: 64
  - .agpr_count:     0
    .args:
      - .offset:         0
        .size:           64
        .value_kind:     by_value
    .group_segment_fixed_size: 0
    .kernarg_segment_align: 8
    .kernarg_segment_size: 64
    .language:       OpenCL C
    .language_version:
      - 2
      - 0
    .max_flat_workgroup_size: 256
    .name:           _ZN7rocprim17ROCPRIM_400000_NS6detail17trampoline_kernelINS0_14default_configENS1_22reduce_config_selectorItEEZNS1_11reduce_implILb1ES3_N6thrust23THRUST_200600_302600_NS6detail15normal_iteratorINS8_10device_ptrItEEEEPtt9plus_mod3ItEEE10hipError_tPvRmT1_T2_T3_mT4_P12ihipStream_tbEUlT_E0_NS1_11comp_targetILNS1_3genE2ELNS1_11target_archE906ELNS1_3gpuE6ELNS1_3repE0EEENS1_30default_config_static_selectorELNS0_4arch9wavefront6targetE1EEEvSK_
    .private_segment_fixed_size: 0
    .sgpr_count:     6
    .sgpr_spill_count: 0
    .symbol:         _ZN7rocprim17ROCPRIM_400000_NS6detail17trampoline_kernelINS0_14default_configENS1_22reduce_config_selectorItEEZNS1_11reduce_implILb1ES3_N6thrust23THRUST_200600_302600_NS6detail15normal_iteratorINS8_10device_ptrItEEEEPtt9plus_mod3ItEEE10hipError_tPvRmT1_T2_T3_mT4_P12ihipStream_tbEUlT_E0_NS1_11comp_targetILNS1_3genE2ELNS1_11target_archE906ELNS1_3gpuE6ELNS1_3repE0EEENS1_30default_config_static_selectorELNS0_4arch9wavefront6targetE1EEEvSK_.kd
    .uniform_work_group_size: 1
    .uses_dynamic_stack: false
    .vgpr_count:     0
    .vgpr_spill_count: 0
    .wavefront_size: 64
  - .agpr_count:     0
    .args:
      - .offset:         0
        .size:           64
        .value_kind:     by_value
    .group_segment_fixed_size: 0
    .kernarg_segment_align: 8
    .kernarg_segment_size: 64
    .language:       OpenCL C
    .language_version:
      - 2
      - 0
    .max_flat_workgroup_size: 256
    .name:           _ZN7rocprim17ROCPRIM_400000_NS6detail17trampoline_kernelINS0_14default_configENS1_22reduce_config_selectorItEEZNS1_11reduce_implILb1ES3_N6thrust23THRUST_200600_302600_NS6detail15normal_iteratorINS8_10device_ptrItEEEEPtt9plus_mod3ItEEE10hipError_tPvRmT1_T2_T3_mT4_P12ihipStream_tbEUlT_E0_NS1_11comp_targetILNS1_3genE10ELNS1_11target_archE1201ELNS1_3gpuE5ELNS1_3repE0EEENS1_30default_config_static_selectorELNS0_4arch9wavefront6targetE1EEEvSK_
    .private_segment_fixed_size: 0
    .sgpr_count:     6
    .sgpr_spill_count: 0
    .symbol:         _ZN7rocprim17ROCPRIM_400000_NS6detail17trampoline_kernelINS0_14default_configENS1_22reduce_config_selectorItEEZNS1_11reduce_implILb1ES3_N6thrust23THRUST_200600_302600_NS6detail15normal_iteratorINS8_10device_ptrItEEEEPtt9plus_mod3ItEEE10hipError_tPvRmT1_T2_T3_mT4_P12ihipStream_tbEUlT_E0_NS1_11comp_targetILNS1_3genE10ELNS1_11target_archE1201ELNS1_3gpuE5ELNS1_3repE0EEENS1_30default_config_static_selectorELNS0_4arch9wavefront6targetE1EEEvSK_.kd
    .uniform_work_group_size: 1
    .uses_dynamic_stack: false
    .vgpr_count:     0
    .vgpr_spill_count: 0
    .wavefront_size: 64
  - .agpr_count:     0
    .args:
      - .offset:         0
        .size:           64
        .value_kind:     by_value
    .group_segment_fixed_size: 0
    .kernarg_segment_align: 8
    .kernarg_segment_size: 64
    .language:       OpenCL C
    .language_version:
      - 2
      - 0
    .max_flat_workgroup_size: 256
    .name:           _ZN7rocprim17ROCPRIM_400000_NS6detail17trampoline_kernelINS0_14default_configENS1_22reduce_config_selectorItEEZNS1_11reduce_implILb1ES3_N6thrust23THRUST_200600_302600_NS6detail15normal_iteratorINS8_10device_ptrItEEEEPtt9plus_mod3ItEEE10hipError_tPvRmT1_T2_T3_mT4_P12ihipStream_tbEUlT_E0_NS1_11comp_targetILNS1_3genE10ELNS1_11target_archE1200ELNS1_3gpuE4ELNS1_3repE0EEENS1_30default_config_static_selectorELNS0_4arch9wavefront6targetE1EEEvSK_
    .private_segment_fixed_size: 0
    .sgpr_count:     6
    .sgpr_spill_count: 0
    .symbol:         _ZN7rocprim17ROCPRIM_400000_NS6detail17trampoline_kernelINS0_14default_configENS1_22reduce_config_selectorItEEZNS1_11reduce_implILb1ES3_N6thrust23THRUST_200600_302600_NS6detail15normal_iteratorINS8_10device_ptrItEEEEPtt9plus_mod3ItEEE10hipError_tPvRmT1_T2_T3_mT4_P12ihipStream_tbEUlT_E0_NS1_11comp_targetILNS1_3genE10ELNS1_11target_archE1200ELNS1_3gpuE4ELNS1_3repE0EEENS1_30default_config_static_selectorELNS0_4arch9wavefront6targetE1EEEvSK_.kd
    .uniform_work_group_size: 1
    .uses_dynamic_stack: false
    .vgpr_count:     0
    .vgpr_spill_count: 0
    .wavefront_size: 64
  - .agpr_count:     0
    .args:
      - .offset:         0
        .size:           64
        .value_kind:     by_value
    .group_segment_fixed_size: 0
    .kernarg_segment_align: 8
    .kernarg_segment_size: 64
    .language:       OpenCL C
    .language_version:
      - 2
      - 0
    .max_flat_workgroup_size: 256
    .name:           _ZN7rocprim17ROCPRIM_400000_NS6detail17trampoline_kernelINS0_14default_configENS1_22reduce_config_selectorItEEZNS1_11reduce_implILb1ES3_N6thrust23THRUST_200600_302600_NS6detail15normal_iteratorINS8_10device_ptrItEEEEPtt9plus_mod3ItEEE10hipError_tPvRmT1_T2_T3_mT4_P12ihipStream_tbEUlT_E0_NS1_11comp_targetILNS1_3genE9ELNS1_11target_archE1100ELNS1_3gpuE3ELNS1_3repE0EEENS1_30default_config_static_selectorELNS0_4arch9wavefront6targetE1EEEvSK_
    .private_segment_fixed_size: 0
    .sgpr_count:     6
    .sgpr_spill_count: 0
    .symbol:         _ZN7rocprim17ROCPRIM_400000_NS6detail17trampoline_kernelINS0_14default_configENS1_22reduce_config_selectorItEEZNS1_11reduce_implILb1ES3_N6thrust23THRUST_200600_302600_NS6detail15normal_iteratorINS8_10device_ptrItEEEEPtt9plus_mod3ItEEE10hipError_tPvRmT1_T2_T3_mT4_P12ihipStream_tbEUlT_E0_NS1_11comp_targetILNS1_3genE9ELNS1_11target_archE1100ELNS1_3gpuE3ELNS1_3repE0EEENS1_30default_config_static_selectorELNS0_4arch9wavefront6targetE1EEEvSK_.kd
    .uniform_work_group_size: 1
    .uses_dynamic_stack: false
    .vgpr_count:     0
    .vgpr_spill_count: 0
    .wavefront_size: 64
  - .agpr_count:     0
    .args:
      - .offset:         0
        .size:           64
        .value_kind:     by_value
    .group_segment_fixed_size: 0
    .kernarg_segment_align: 8
    .kernarg_segment_size: 64
    .language:       OpenCL C
    .language_version:
      - 2
      - 0
    .max_flat_workgroup_size: 256
    .name:           _ZN7rocprim17ROCPRIM_400000_NS6detail17trampoline_kernelINS0_14default_configENS1_22reduce_config_selectorItEEZNS1_11reduce_implILb1ES3_N6thrust23THRUST_200600_302600_NS6detail15normal_iteratorINS8_10device_ptrItEEEEPtt9plus_mod3ItEEE10hipError_tPvRmT1_T2_T3_mT4_P12ihipStream_tbEUlT_E0_NS1_11comp_targetILNS1_3genE8ELNS1_11target_archE1030ELNS1_3gpuE2ELNS1_3repE0EEENS1_30default_config_static_selectorELNS0_4arch9wavefront6targetE1EEEvSK_
    .private_segment_fixed_size: 0
    .sgpr_count:     6
    .sgpr_spill_count: 0
    .symbol:         _ZN7rocprim17ROCPRIM_400000_NS6detail17trampoline_kernelINS0_14default_configENS1_22reduce_config_selectorItEEZNS1_11reduce_implILb1ES3_N6thrust23THRUST_200600_302600_NS6detail15normal_iteratorINS8_10device_ptrItEEEEPtt9plus_mod3ItEEE10hipError_tPvRmT1_T2_T3_mT4_P12ihipStream_tbEUlT_E0_NS1_11comp_targetILNS1_3genE8ELNS1_11target_archE1030ELNS1_3gpuE2ELNS1_3repE0EEENS1_30default_config_static_selectorELNS0_4arch9wavefront6targetE1EEEvSK_.kd
    .uniform_work_group_size: 1
    .uses_dynamic_stack: false
    .vgpr_count:     0
    .vgpr_spill_count: 0
    .wavefront_size: 64
  - .agpr_count:     0
    .args:
      - .offset:         0
        .size:           48
        .value_kind:     by_value
    .group_segment_fixed_size: 32
    .kernarg_segment_align: 8
    .kernarg_segment_size: 48
    .language:       OpenCL C
    .language_version:
      - 2
      - 0
    .max_flat_workgroup_size: 128
    .name:           _ZN7rocprim17ROCPRIM_400000_NS6detail17trampoline_kernelINS0_14default_configENS1_22reduce_config_selectorItEEZNS1_11reduce_implILb1ES3_N6thrust23THRUST_200600_302600_NS6detail15normal_iteratorINS8_10device_ptrItEEEEPtt9plus_mod3ItEEE10hipError_tPvRmT1_T2_T3_mT4_P12ihipStream_tbEUlT_E1_NS1_11comp_targetILNS1_3genE0ELNS1_11target_archE4294967295ELNS1_3gpuE0ELNS1_3repE0EEENS1_30default_config_static_selectorELNS0_4arch9wavefront6targetE1EEEvSK_
    .private_segment_fixed_size: 0
    .sgpr_count:     106
    .sgpr_spill_count: 46
    .symbol:         _ZN7rocprim17ROCPRIM_400000_NS6detail17trampoline_kernelINS0_14default_configENS1_22reduce_config_selectorItEEZNS1_11reduce_implILb1ES3_N6thrust23THRUST_200600_302600_NS6detail15normal_iteratorINS8_10device_ptrItEEEEPtt9plus_mod3ItEEE10hipError_tPvRmT1_T2_T3_mT4_P12ihipStream_tbEUlT_E1_NS1_11comp_targetILNS1_3genE0ELNS1_11target_archE4294967295ELNS1_3gpuE0ELNS1_3repE0EEENS1_30default_config_static_selectorELNS0_4arch9wavefront6targetE1EEEvSK_.kd
    .uniform_work_group_size: 1
    .uses_dynamic_stack: false
    .vgpr_count:     39
    .vgpr_spill_count: 0
    .wavefront_size: 64
  - .agpr_count:     0
    .args:
      - .offset:         0
        .size:           48
        .value_kind:     by_value
    .group_segment_fixed_size: 0
    .kernarg_segment_align: 8
    .kernarg_segment_size: 48
    .language:       OpenCL C
    .language_version:
      - 2
      - 0
    .max_flat_workgroup_size: 256
    .name:           _ZN7rocprim17ROCPRIM_400000_NS6detail17trampoline_kernelINS0_14default_configENS1_22reduce_config_selectorItEEZNS1_11reduce_implILb1ES3_N6thrust23THRUST_200600_302600_NS6detail15normal_iteratorINS8_10device_ptrItEEEEPtt9plus_mod3ItEEE10hipError_tPvRmT1_T2_T3_mT4_P12ihipStream_tbEUlT_E1_NS1_11comp_targetILNS1_3genE5ELNS1_11target_archE942ELNS1_3gpuE9ELNS1_3repE0EEENS1_30default_config_static_selectorELNS0_4arch9wavefront6targetE1EEEvSK_
    .private_segment_fixed_size: 0
    .sgpr_count:     6
    .sgpr_spill_count: 0
    .symbol:         _ZN7rocprim17ROCPRIM_400000_NS6detail17trampoline_kernelINS0_14default_configENS1_22reduce_config_selectorItEEZNS1_11reduce_implILb1ES3_N6thrust23THRUST_200600_302600_NS6detail15normal_iteratorINS8_10device_ptrItEEEEPtt9plus_mod3ItEEE10hipError_tPvRmT1_T2_T3_mT4_P12ihipStream_tbEUlT_E1_NS1_11comp_targetILNS1_3genE5ELNS1_11target_archE942ELNS1_3gpuE9ELNS1_3repE0EEENS1_30default_config_static_selectorELNS0_4arch9wavefront6targetE1EEEvSK_.kd
    .uniform_work_group_size: 1
    .uses_dynamic_stack: false
    .vgpr_count:     0
    .vgpr_spill_count: 0
    .wavefront_size: 64
  - .agpr_count:     0
    .args:
      - .offset:         0
        .size:           48
        .value_kind:     by_value
    .group_segment_fixed_size: 0
    .kernarg_segment_align: 8
    .kernarg_segment_size: 48
    .language:       OpenCL C
    .language_version:
      - 2
      - 0
    .max_flat_workgroup_size: 64
    .name:           _ZN7rocprim17ROCPRIM_400000_NS6detail17trampoline_kernelINS0_14default_configENS1_22reduce_config_selectorItEEZNS1_11reduce_implILb1ES3_N6thrust23THRUST_200600_302600_NS6detail15normal_iteratorINS8_10device_ptrItEEEEPtt9plus_mod3ItEEE10hipError_tPvRmT1_T2_T3_mT4_P12ihipStream_tbEUlT_E1_NS1_11comp_targetILNS1_3genE4ELNS1_11target_archE910ELNS1_3gpuE8ELNS1_3repE0EEENS1_30default_config_static_selectorELNS0_4arch9wavefront6targetE1EEEvSK_
    .private_segment_fixed_size: 0
    .sgpr_count:     6
    .sgpr_spill_count: 0
    .symbol:         _ZN7rocprim17ROCPRIM_400000_NS6detail17trampoline_kernelINS0_14default_configENS1_22reduce_config_selectorItEEZNS1_11reduce_implILb1ES3_N6thrust23THRUST_200600_302600_NS6detail15normal_iteratorINS8_10device_ptrItEEEEPtt9plus_mod3ItEEE10hipError_tPvRmT1_T2_T3_mT4_P12ihipStream_tbEUlT_E1_NS1_11comp_targetILNS1_3genE4ELNS1_11target_archE910ELNS1_3gpuE8ELNS1_3repE0EEENS1_30default_config_static_selectorELNS0_4arch9wavefront6targetE1EEEvSK_.kd
    .uniform_work_group_size: 1
    .uses_dynamic_stack: false
    .vgpr_count:     0
    .vgpr_spill_count: 0
    .wavefront_size: 64
  - .agpr_count:     0
    .args:
      - .offset:         0
        .size:           48
        .value_kind:     by_value
    .group_segment_fixed_size: 0
    .kernarg_segment_align: 8
    .kernarg_segment_size: 48
    .language:       OpenCL C
    .language_version:
      - 2
      - 0
    .max_flat_workgroup_size: 128
    .name:           _ZN7rocprim17ROCPRIM_400000_NS6detail17trampoline_kernelINS0_14default_configENS1_22reduce_config_selectorItEEZNS1_11reduce_implILb1ES3_N6thrust23THRUST_200600_302600_NS6detail15normal_iteratorINS8_10device_ptrItEEEEPtt9plus_mod3ItEEE10hipError_tPvRmT1_T2_T3_mT4_P12ihipStream_tbEUlT_E1_NS1_11comp_targetILNS1_3genE3ELNS1_11target_archE908ELNS1_3gpuE7ELNS1_3repE0EEENS1_30default_config_static_selectorELNS0_4arch9wavefront6targetE1EEEvSK_
    .private_segment_fixed_size: 0
    .sgpr_count:     6
    .sgpr_spill_count: 0
    .symbol:         _ZN7rocprim17ROCPRIM_400000_NS6detail17trampoline_kernelINS0_14default_configENS1_22reduce_config_selectorItEEZNS1_11reduce_implILb1ES3_N6thrust23THRUST_200600_302600_NS6detail15normal_iteratorINS8_10device_ptrItEEEEPtt9plus_mod3ItEEE10hipError_tPvRmT1_T2_T3_mT4_P12ihipStream_tbEUlT_E1_NS1_11comp_targetILNS1_3genE3ELNS1_11target_archE908ELNS1_3gpuE7ELNS1_3repE0EEENS1_30default_config_static_selectorELNS0_4arch9wavefront6targetE1EEEvSK_.kd
    .uniform_work_group_size: 1
    .uses_dynamic_stack: false
    .vgpr_count:     0
    .vgpr_spill_count: 0
    .wavefront_size: 64
  - .agpr_count:     0
    .args:
      - .offset:         0
        .size:           48
        .value_kind:     by_value
    .group_segment_fixed_size: 0
    .kernarg_segment_align: 8
    .kernarg_segment_size: 48
    .language:       OpenCL C
    .language_version:
      - 2
      - 0
    .max_flat_workgroup_size: 256
    .name:           _ZN7rocprim17ROCPRIM_400000_NS6detail17trampoline_kernelINS0_14default_configENS1_22reduce_config_selectorItEEZNS1_11reduce_implILb1ES3_N6thrust23THRUST_200600_302600_NS6detail15normal_iteratorINS8_10device_ptrItEEEEPtt9plus_mod3ItEEE10hipError_tPvRmT1_T2_T3_mT4_P12ihipStream_tbEUlT_E1_NS1_11comp_targetILNS1_3genE2ELNS1_11target_archE906ELNS1_3gpuE6ELNS1_3repE0EEENS1_30default_config_static_selectorELNS0_4arch9wavefront6targetE1EEEvSK_
    .private_segment_fixed_size: 0
    .sgpr_count:     6
    .sgpr_spill_count: 0
    .symbol:         _ZN7rocprim17ROCPRIM_400000_NS6detail17trampoline_kernelINS0_14default_configENS1_22reduce_config_selectorItEEZNS1_11reduce_implILb1ES3_N6thrust23THRUST_200600_302600_NS6detail15normal_iteratorINS8_10device_ptrItEEEEPtt9plus_mod3ItEEE10hipError_tPvRmT1_T2_T3_mT4_P12ihipStream_tbEUlT_E1_NS1_11comp_targetILNS1_3genE2ELNS1_11target_archE906ELNS1_3gpuE6ELNS1_3repE0EEENS1_30default_config_static_selectorELNS0_4arch9wavefront6targetE1EEEvSK_.kd
    .uniform_work_group_size: 1
    .uses_dynamic_stack: false
    .vgpr_count:     0
    .vgpr_spill_count: 0
    .wavefront_size: 64
  - .agpr_count:     0
    .args:
      - .offset:         0
        .size:           48
        .value_kind:     by_value
    .group_segment_fixed_size: 0
    .kernarg_segment_align: 8
    .kernarg_segment_size: 48
    .language:       OpenCL C
    .language_version:
      - 2
      - 0
    .max_flat_workgroup_size: 256
    .name:           _ZN7rocprim17ROCPRIM_400000_NS6detail17trampoline_kernelINS0_14default_configENS1_22reduce_config_selectorItEEZNS1_11reduce_implILb1ES3_N6thrust23THRUST_200600_302600_NS6detail15normal_iteratorINS8_10device_ptrItEEEEPtt9plus_mod3ItEEE10hipError_tPvRmT1_T2_T3_mT4_P12ihipStream_tbEUlT_E1_NS1_11comp_targetILNS1_3genE10ELNS1_11target_archE1201ELNS1_3gpuE5ELNS1_3repE0EEENS1_30default_config_static_selectorELNS0_4arch9wavefront6targetE1EEEvSK_
    .private_segment_fixed_size: 0
    .sgpr_count:     6
    .sgpr_spill_count: 0
    .symbol:         _ZN7rocprim17ROCPRIM_400000_NS6detail17trampoline_kernelINS0_14default_configENS1_22reduce_config_selectorItEEZNS1_11reduce_implILb1ES3_N6thrust23THRUST_200600_302600_NS6detail15normal_iteratorINS8_10device_ptrItEEEEPtt9plus_mod3ItEEE10hipError_tPvRmT1_T2_T3_mT4_P12ihipStream_tbEUlT_E1_NS1_11comp_targetILNS1_3genE10ELNS1_11target_archE1201ELNS1_3gpuE5ELNS1_3repE0EEENS1_30default_config_static_selectorELNS0_4arch9wavefront6targetE1EEEvSK_.kd
    .uniform_work_group_size: 1
    .uses_dynamic_stack: false
    .vgpr_count:     0
    .vgpr_spill_count: 0
    .wavefront_size: 64
  - .agpr_count:     0
    .args:
      - .offset:         0
        .size:           48
        .value_kind:     by_value
    .group_segment_fixed_size: 0
    .kernarg_segment_align: 8
    .kernarg_segment_size: 48
    .language:       OpenCL C
    .language_version:
      - 2
      - 0
    .max_flat_workgroup_size: 256
    .name:           _ZN7rocprim17ROCPRIM_400000_NS6detail17trampoline_kernelINS0_14default_configENS1_22reduce_config_selectorItEEZNS1_11reduce_implILb1ES3_N6thrust23THRUST_200600_302600_NS6detail15normal_iteratorINS8_10device_ptrItEEEEPtt9plus_mod3ItEEE10hipError_tPvRmT1_T2_T3_mT4_P12ihipStream_tbEUlT_E1_NS1_11comp_targetILNS1_3genE10ELNS1_11target_archE1200ELNS1_3gpuE4ELNS1_3repE0EEENS1_30default_config_static_selectorELNS0_4arch9wavefront6targetE1EEEvSK_
    .private_segment_fixed_size: 0
    .sgpr_count:     6
    .sgpr_spill_count: 0
    .symbol:         _ZN7rocprim17ROCPRIM_400000_NS6detail17trampoline_kernelINS0_14default_configENS1_22reduce_config_selectorItEEZNS1_11reduce_implILb1ES3_N6thrust23THRUST_200600_302600_NS6detail15normal_iteratorINS8_10device_ptrItEEEEPtt9plus_mod3ItEEE10hipError_tPvRmT1_T2_T3_mT4_P12ihipStream_tbEUlT_E1_NS1_11comp_targetILNS1_3genE10ELNS1_11target_archE1200ELNS1_3gpuE4ELNS1_3repE0EEENS1_30default_config_static_selectorELNS0_4arch9wavefront6targetE1EEEvSK_.kd
    .uniform_work_group_size: 1
    .uses_dynamic_stack: false
    .vgpr_count:     0
    .vgpr_spill_count: 0
    .wavefront_size: 64
  - .agpr_count:     0
    .args:
      - .offset:         0
        .size:           48
        .value_kind:     by_value
    .group_segment_fixed_size: 0
    .kernarg_segment_align: 8
    .kernarg_segment_size: 48
    .language:       OpenCL C
    .language_version:
      - 2
      - 0
    .max_flat_workgroup_size: 256
    .name:           _ZN7rocprim17ROCPRIM_400000_NS6detail17trampoline_kernelINS0_14default_configENS1_22reduce_config_selectorItEEZNS1_11reduce_implILb1ES3_N6thrust23THRUST_200600_302600_NS6detail15normal_iteratorINS8_10device_ptrItEEEEPtt9plus_mod3ItEEE10hipError_tPvRmT1_T2_T3_mT4_P12ihipStream_tbEUlT_E1_NS1_11comp_targetILNS1_3genE9ELNS1_11target_archE1100ELNS1_3gpuE3ELNS1_3repE0EEENS1_30default_config_static_selectorELNS0_4arch9wavefront6targetE1EEEvSK_
    .private_segment_fixed_size: 0
    .sgpr_count:     6
    .sgpr_spill_count: 0
    .symbol:         _ZN7rocprim17ROCPRIM_400000_NS6detail17trampoline_kernelINS0_14default_configENS1_22reduce_config_selectorItEEZNS1_11reduce_implILb1ES3_N6thrust23THRUST_200600_302600_NS6detail15normal_iteratorINS8_10device_ptrItEEEEPtt9plus_mod3ItEEE10hipError_tPvRmT1_T2_T3_mT4_P12ihipStream_tbEUlT_E1_NS1_11comp_targetILNS1_3genE9ELNS1_11target_archE1100ELNS1_3gpuE3ELNS1_3repE0EEENS1_30default_config_static_selectorELNS0_4arch9wavefront6targetE1EEEvSK_.kd
    .uniform_work_group_size: 1
    .uses_dynamic_stack: false
    .vgpr_count:     0
    .vgpr_spill_count: 0
    .wavefront_size: 64
  - .agpr_count:     0
    .args:
      - .offset:         0
        .size:           48
        .value_kind:     by_value
    .group_segment_fixed_size: 0
    .kernarg_segment_align: 8
    .kernarg_segment_size: 48
    .language:       OpenCL C
    .language_version:
      - 2
      - 0
    .max_flat_workgroup_size: 256
    .name:           _ZN7rocprim17ROCPRIM_400000_NS6detail17trampoline_kernelINS0_14default_configENS1_22reduce_config_selectorItEEZNS1_11reduce_implILb1ES3_N6thrust23THRUST_200600_302600_NS6detail15normal_iteratorINS8_10device_ptrItEEEEPtt9plus_mod3ItEEE10hipError_tPvRmT1_T2_T3_mT4_P12ihipStream_tbEUlT_E1_NS1_11comp_targetILNS1_3genE8ELNS1_11target_archE1030ELNS1_3gpuE2ELNS1_3repE0EEENS1_30default_config_static_selectorELNS0_4arch9wavefront6targetE1EEEvSK_
    .private_segment_fixed_size: 0
    .sgpr_count:     6
    .sgpr_spill_count: 0
    .symbol:         _ZN7rocprim17ROCPRIM_400000_NS6detail17trampoline_kernelINS0_14default_configENS1_22reduce_config_selectorItEEZNS1_11reduce_implILb1ES3_N6thrust23THRUST_200600_302600_NS6detail15normal_iteratorINS8_10device_ptrItEEEEPtt9plus_mod3ItEEE10hipError_tPvRmT1_T2_T3_mT4_P12ihipStream_tbEUlT_E1_NS1_11comp_targetILNS1_3genE8ELNS1_11target_archE1030ELNS1_3gpuE2ELNS1_3repE0EEENS1_30default_config_static_selectorELNS0_4arch9wavefront6targetE1EEEvSK_.kd
    .uniform_work_group_size: 1
    .uses_dynamic_stack: false
    .vgpr_count:     0
    .vgpr_spill_count: 0
    .wavefront_size: 64
  - .agpr_count:     0
    .args:
      - .offset:         0
        .size:           64
        .value_kind:     by_value
    .group_segment_fixed_size: 64
    .kernarg_segment_align: 8
    .kernarg_segment_size: 64
    .language:       OpenCL C
    .language_version:
      - 2
      - 0
    .max_flat_workgroup_size: 256
    .name:           _ZN7rocprim17ROCPRIM_400000_NS6detail17trampoline_kernelINS0_14default_configENS1_22reduce_config_selectorIxEEZNS1_11reduce_implILb1ES3_PxS7_x9plus_mod3IxEEE10hipError_tPvRmT1_T2_T3_mT4_P12ihipStream_tbEUlT_E0_NS1_11comp_targetILNS1_3genE0ELNS1_11target_archE4294967295ELNS1_3gpuE0ELNS1_3repE0EEENS1_30default_config_static_selectorELNS0_4arch9wavefront6targetE1EEEvSD_
    .private_segment_fixed_size: 0
    .sgpr_count:     58
    .sgpr_spill_count: 0
    .symbol:         _ZN7rocprim17ROCPRIM_400000_NS6detail17trampoline_kernelINS0_14default_configENS1_22reduce_config_selectorIxEEZNS1_11reduce_implILb1ES3_PxS7_x9plus_mod3IxEEE10hipError_tPvRmT1_T2_T3_mT4_P12ihipStream_tbEUlT_E0_NS1_11comp_targetILNS1_3genE0ELNS1_11target_archE4294967295ELNS1_3gpuE0ELNS1_3repE0EEENS1_30default_config_static_selectorELNS0_4arch9wavefront6targetE1EEEvSD_.kd
    .uniform_work_group_size: 1
    .uses_dynamic_stack: false
    .vgpr_count:     68
    .vgpr_spill_count: 0
    .wavefront_size: 64
  - .agpr_count:     0
    .args:
      - .offset:         0
        .size:           64
        .value_kind:     by_value
    .group_segment_fixed_size: 0
    .kernarg_segment_align: 8
    .kernarg_segment_size: 64
    .language:       OpenCL C
    .language_version:
      - 2
      - 0
    .max_flat_workgroup_size: 256
    .name:           _ZN7rocprim17ROCPRIM_400000_NS6detail17trampoline_kernelINS0_14default_configENS1_22reduce_config_selectorIxEEZNS1_11reduce_implILb1ES3_PxS7_x9plus_mod3IxEEE10hipError_tPvRmT1_T2_T3_mT4_P12ihipStream_tbEUlT_E0_NS1_11comp_targetILNS1_3genE5ELNS1_11target_archE942ELNS1_3gpuE9ELNS1_3repE0EEENS1_30default_config_static_selectorELNS0_4arch9wavefront6targetE1EEEvSD_
    .private_segment_fixed_size: 0
    .sgpr_count:     6
    .sgpr_spill_count: 0
    .symbol:         _ZN7rocprim17ROCPRIM_400000_NS6detail17trampoline_kernelINS0_14default_configENS1_22reduce_config_selectorIxEEZNS1_11reduce_implILb1ES3_PxS7_x9plus_mod3IxEEE10hipError_tPvRmT1_T2_T3_mT4_P12ihipStream_tbEUlT_E0_NS1_11comp_targetILNS1_3genE5ELNS1_11target_archE942ELNS1_3gpuE9ELNS1_3repE0EEENS1_30default_config_static_selectorELNS0_4arch9wavefront6targetE1EEEvSD_.kd
    .uniform_work_group_size: 1
    .uses_dynamic_stack: false
    .vgpr_count:     0
    .vgpr_spill_count: 0
    .wavefront_size: 64
  - .agpr_count:     0
    .args:
      - .offset:         0
        .size:           64
        .value_kind:     by_value
    .group_segment_fixed_size: 0
    .kernarg_segment_align: 8
    .kernarg_segment_size: 64
    .language:       OpenCL C
    .language_version:
      - 2
      - 0
    .max_flat_workgroup_size: 256
    .name:           _ZN7rocprim17ROCPRIM_400000_NS6detail17trampoline_kernelINS0_14default_configENS1_22reduce_config_selectorIxEEZNS1_11reduce_implILb1ES3_PxS7_x9plus_mod3IxEEE10hipError_tPvRmT1_T2_T3_mT4_P12ihipStream_tbEUlT_E0_NS1_11comp_targetILNS1_3genE4ELNS1_11target_archE910ELNS1_3gpuE8ELNS1_3repE0EEENS1_30default_config_static_selectorELNS0_4arch9wavefront6targetE1EEEvSD_
    .private_segment_fixed_size: 0
    .sgpr_count:     6
    .sgpr_spill_count: 0
    .symbol:         _ZN7rocprim17ROCPRIM_400000_NS6detail17trampoline_kernelINS0_14default_configENS1_22reduce_config_selectorIxEEZNS1_11reduce_implILb1ES3_PxS7_x9plus_mod3IxEEE10hipError_tPvRmT1_T2_T3_mT4_P12ihipStream_tbEUlT_E0_NS1_11comp_targetILNS1_3genE4ELNS1_11target_archE910ELNS1_3gpuE8ELNS1_3repE0EEENS1_30default_config_static_selectorELNS0_4arch9wavefront6targetE1EEEvSD_.kd
    .uniform_work_group_size: 1
    .uses_dynamic_stack: false
    .vgpr_count:     0
    .vgpr_spill_count: 0
    .wavefront_size: 64
  - .agpr_count:     0
    .args:
      - .offset:         0
        .size:           64
        .value_kind:     by_value
    .group_segment_fixed_size: 0
    .kernarg_segment_align: 8
    .kernarg_segment_size: 64
    .language:       OpenCL C
    .language_version:
      - 2
      - 0
    .max_flat_workgroup_size: 256
    .name:           _ZN7rocprim17ROCPRIM_400000_NS6detail17trampoline_kernelINS0_14default_configENS1_22reduce_config_selectorIxEEZNS1_11reduce_implILb1ES3_PxS7_x9plus_mod3IxEEE10hipError_tPvRmT1_T2_T3_mT4_P12ihipStream_tbEUlT_E0_NS1_11comp_targetILNS1_3genE3ELNS1_11target_archE908ELNS1_3gpuE7ELNS1_3repE0EEENS1_30default_config_static_selectorELNS0_4arch9wavefront6targetE1EEEvSD_
    .private_segment_fixed_size: 0
    .sgpr_count:     6
    .sgpr_spill_count: 0
    .symbol:         _ZN7rocprim17ROCPRIM_400000_NS6detail17trampoline_kernelINS0_14default_configENS1_22reduce_config_selectorIxEEZNS1_11reduce_implILb1ES3_PxS7_x9plus_mod3IxEEE10hipError_tPvRmT1_T2_T3_mT4_P12ihipStream_tbEUlT_E0_NS1_11comp_targetILNS1_3genE3ELNS1_11target_archE908ELNS1_3gpuE7ELNS1_3repE0EEENS1_30default_config_static_selectorELNS0_4arch9wavefront6targetE1EEEvSD_.kd
    .uniform_work_group_size: 1
    .uses_dynamic_stack: false
    .vgpr_count:     0
    .vgpr_spill_count: 0
    .wavefront_size: 64
  - .agpr_count:     0
    .args:
      - .offset:         0
        .size:           64
        .value_kind:     by_value
    .group_segment_fixed_size: 0
    .kernarg_segment_align: 8
    .kernarg_segment_size: 64
    .language:       OpenCL C
    .language_version:
      - 2
      - 0
    .max_flat_workgroup_size: 256
    .name:           _ZN7rocprim17ROCPRIM_400000_NS6detail17trampoline_kernelINS0_14default_configENS1_22reduce_config_selectorIxEEZNS1_11reduce_implILb1ES3_PxS7_x9plus_mod3IxEEE10hipError_tPvRmT1_T2_T3_mT4_P12ihipStream_tbEUlT_E0_NS1_11comp_targetILNS1_3genE2ELNS1_11target_archE906ELNS1_3gpuE6ELNS1_3repE0EEENS1_30default_config_static_selectorELNS0_4arch9wavefront6targetE1EEEvSD_
    .private_segment_fixed_size: 0
    .sgpr_count:     6
    .sgpr_spill_count: 0
    .symbol:         _ZN7rocprim17ROCPRIM_400000_NS6detail17trampoline_kernelINS0_14default_configENS1_22reduce_config_selectorIxEEZNS1_11reduce_implILb1ES3_PxS7_x9plus_mod3IxEEE10hipError_tPvRmT1_T2_T3_mT4_P12ihipStream_tbEUlT_E0_NS1_11comp_targetILNS1_3genE2ELNS1_11target_archE906ELNS1_3gpuE6ELNS1_3repE0EEENS1_30default_config_static_selectorELNS0_4arch9wavefront6targetE1EEEvSD_.kd
    .uniform_work_group_size: 1
    .uses_dynamic_stack: false
    .vgpr_count:     0
    .vgpr_spill_count: 0
    .wavefront_size: 64
  - .agpr_count:     0
    .args:
      - .offset:         0
        .size:           64
        .value_kind:     by_value
    .group_segment_fixed_size: 0
    .kernarg_segment_align: 8
    .kernarg_segment_size: 64
    .language:       OpenCL C
    .language_version:
      - 2
      - 0
    .max_flat_workgroup_size: 256
    .name:           _ZN7rocprim17ROCPRIM_400000_NS6detail17trampoline_kernelINS0_14default_configENS1_22reduce_config_selectorIxEEZNS1_11reduce_implILb1ES3_PxS7_x9plus_mod3IxEEE10hipError_tPvRmT1_T2_T3_mT4_P12ihipStream_tbEUlT_E0_NS1_11comp_targetILNS1_3genE10ELNS1_11target_archE1201ELNS1_3gpuE5ELNS1_3repE0EEENS1_30default_config_static_selectorELNS0_4arch9wavefront6targetE1EEEvSD_
    .private_segment_fixed_size: 0
    .sgpr_count:     6
    .sgpr_spill_count: 0
    .symbol:         _ZN7rocprim17ROCPRIM_400000_NS6detail17trampoline_kernelINS0_14default_configENS1_22reduce_config_selectorIxEEZNS1_11reduce_implILb1ES3_PxS7_x9plus_mod3IxEEE10hipError_tPvRmT1_T2_T3_mT4_P12ihipStream_tbEUlT_E0_NS1_11comp_targetILNS1_3genE10ELNS1_11target_archE1201ELNS1_3gpuE5ELNS1_3repE0EEENS1_30default_config_static_selectorELNS0_4arch9wavefront6targetE1EEEvSD_.kd
    .uniform_work_group_size: 1
    .uses_dynamic_stack: false
    .vgpr_count:     0
    .vgpr_spill_count: 0
    .wavefront_size: 64
  - .agpr_count:     0
    .args:
      - .offset:         0
        .size:           64
        .value_kind:     by_value
    .group_segment_fixed_size: 0
    .kernarg_segment_align: 8
    .kernarg_segment_size: 64
    .language:       OpenCL C
    .language_version:
      - 2
      - 0
    .max_flat_workgroup_size: 256
    .name:           _ZN7rocprim17ROCPRIM_400000_NS6detail17trampoline_kernelINS0_14default_configENS1_22reduce_config_selectorIxEEZNS1_11reduce_implILb1ES3_PxS7_x9plus_mod3IxEEE10hipError_tPvRmT1_T2_T3_mT4_P12ihipStream_tbEUlT_E0_NS1_11comp_targetILNS1_3genE10ELNS1_11target_archE1200ELNS1_3gpuE4ELNS1_3repE0EEENS1_30default_config_static_selectorELNS0_4arch9wavefront6targetE1EEEvSD_
    .private_segment_fixed_size: 0
    .sgpr_count:     6
    .sgpr_spill_count: 0
    .symbol:         _ZN7rocprim17ROCPRIM_400000_NS6detail17trampoline_kernelINS0_14default_configENS1_22reduce_config_selectorIxEEZNS1_11reduce_implILb1ES3_PxS7_x9plus_mod3IxEEE10hipError_tPvRmT1_T2_T3_mT4_P12ihipStream_tbEUlT_E0_NS1_11comp_targetILNS1_3genE10ELNS1_11target_archE1200ELNS1_3gpuE4ELNS1_3repE0EEENS1_30default_config_static_selectorELNS0_4arch9wavefront6targetE1EEEvSD_.kd
    .uniform_work_group_size: 1
    .uses_dynamic_stack: false
    .vgpr_count:     0
    .vgpr_spill_count: 0
    .wavefront_size: 64
  - .agpr_count:     0
    .args:
      - .offset:         0
        .size:           64
        .value_kind:     by_value
    .group_segment_fixed_size: 0
    .kernarg_segment_align: 8
    .kernarg_segment_size: 64
    .language:       OpenCL C
    .language_version:
      - 2
      - 0
    .max_flat_workgroup_size: 256
    .name:           _ZN7rocprim17ROCPRIM_400000_NS6detail17trampoline_kernelINS0_14default_configENS1_22reduce_config_selectorIxEEZNS1_11reduce_implILb1ES3_PxS7_x9plus_mod3IxEEE10hipError_tPvRmT1_T2_T3_mT4_P12ihipStream_tbEUlT_E0_NS1_11comp_targetILNS1_3genE9ELNS1_11target_archE1100ELNS1_3gpuE3ELNS1_3repE0EEENS1_30default_config_static_selectorELNS0_4arch9wavefront6targetE1EEEvSD_
    .private_segment_fixed_size: 0
    .sgpr_count:     6
    .sgpr_spill_count: 0
    .symbol:         _ZN7rocprim17ROCPRIM_400000_NS6detail17trampoline_kernelINS0_14default_configENS1_22reduce_config_selectorIxEEZNS1_11reduce_implILb1ES3_PxS7_x9plus_mod3IxEEE10hipError_tPvRmT1_T2_T3_mT4_P12ihipStream_tbEUlT_E0_NS1_11comp_targetILNS1_3genE9ELNS1_11target_archE1100ELNS1_3gpuE3ELNS1_3repE0EEENS1_30default_config_static_selectorELNS0_4arch9wavefront6targetE1EEEvSD_.kd
    .uniform_work_group_size: 1
    .uses_dynamic_stack: false
    .vgpr_count:     0
    .vgpr_spill_count: 0
    .wavefront_size: 64
  - .agpr_count:     0
    .args:
      - .offset:         0
        .size:           64
        .value_kind:     by_value
    .group_segment_fixed_size: 0
    .kernarg_segment_align: 8
    .kernarg_segment_size: 64
    .language:       OpenCL C
    .language_version:
      - 2
      - 0
    .max_flat_workgroup_size: 256
    .name:           _ZN7rocprim17ROCPRIM_400000_NS6detail17trampoline_kernelINS0_14default_configENS1_22reduce_config_selectorIxEEZNS1_11reduce_implILb1ES3_PxS7_x9plus_mod3IxEEE10hipError_tPvRmT1_T2_T3_mT4_P12ihipStream_tbEUlT_E0_NS1_11comp_targetILNS1_3genE8ELNS1_11target_archE1030ELNS1_3gpuE2ELNS1_3repE0EEENS1_30default_config_static_selectorELNS0_4arch9wavefront6targetE1EEEvSD_
    .private_segment_fixed_size: 0
    .sgpr_count:     6
    .sgpr_spill_count: 0
    .symbol:         _ZN7rocprim17ROCPRIM_400000_NS6detail17trampoline_kernelINS0_14default_configENS1_22reduce_config_selectorIxEEZNS1_11reduce_implILb1ES3_PxS7_x9plus_mod3IxEEE10hipError_tPvRmT1_T2_T3_mT4_P12ihipStream_tbEUlT_E0_NS1_11comp_targetILNS1_3genE8ELNS1_11target_archE1030ELNS1_3gpuE2ELNS1_3repE0EEENS1_30default_config_static_selectorELNS0_4arch9wavefront6targetE1EEEvSD_.kd
    .uniform_work_group_size: 1
    .uses_dynamic_stack: false
    .vgpr_count:     0
    .vgpr_spill_count: 0
    .wavefront_size: 64
  - .agpr_count:     0
    .args:
      - .offset:         0
        .size:           48
        .value_kind:     by_value
    .group_segment_fixed_size: 192
    .kernarg_segment_align: 8
    .kernarg_segment_size: 48
    .language:       OpenCL C
    .language_version:
      - 2
      - 0
    .max_flat_workgroup_size: 256
    .name:           _ZN7rocprim17ROCPRIM_400000_NS6detail17trampoline_kernelINS0_14default_configENS1_22reduce_config_selectorIxEEZNS1_11reduce_implILb1ES3_PxS7_x9plus_mod3IxEEE10hipError_tPvRmT1_T2_T3_mT4_P12ihipStream_tbEUlT_E1_NS1_11comp_targetILNS1_3genE0ELNS1_11target_archE4294967295ELNS1_3gpuE0ELNS1_3repE0EEENS1_30default_config_static_selectorELNS0_4arch9wavefront6targetE1EEEvSD_
    .private_segment_fixed_size: 0
    .sgpr_count:     57
    .sgpr_spill_count: 0
    .symbol:         _ZN7rocprim17ROCPRIM_400000_NS6detail17trampoline_kernelINS0_14default_configENS1_22reduce_config_selectorIxEEZNS1_11reduce_implILb1ES3_PxS7_x9plus_mod3IxEEE10hipError_tPvRmT1_T2_T3_mT4_P12ihipStream_tbEUlT_E1_NS1_11comp_targetILNS1_3genE0ELNS1_11target_archE4294967295ELNS1_3gpuE0ELNS1_3repE0EEENS1_30default_config_static_selectorELNS0_4arch9wavefront6targetE1EEEvSD_.kd
    .uniform_work_group_size: 1
    .uses_dynamic_stack: false
    .vgpr_count:     36
    .vgpr_spill_count: 0
    .wavefront_size: 64
  - .agpr_count:     0
    .args:
      - .offset:         0
        .size:           48
        .value_kind:     by_value
    .group_segment_fixed_size: 0
    .kernarg_segment_align: 8
    .kernarg_segment_size: 48
    .language:       OpenCL C
    .language_version:
      - 2
      - 0
    .max_flat_workgroup_size: 256
    .name:           _ZN7rocprim17ROCPRIM_400000_NS6detail17trampoline_kernelINS0_14default_configENS1_22reduce_config_selectorIxEEZNS1_11reduce_implILb1ES3_PxS7_x9plus_mod3IxEEE10hipError_tPvRmT1_T2_T3_mT4_P12ihipStream_tbEUlT_E1_NS1_11comp_targetILNS1_3genE5ELNS1_11target_archE942ELNS1_3gpuE9ELNS1_3repE0EEENS1_30default_config_static_selectorELNS0_4arch9wavefront6targetE1EEEvSD_
    .private_segment_fixed_size: 0
    .sgpr_count:     6
    .sgpr_spill_count: 0
    .symbol:         _ZN7rocprim17ROCPRIM_400000_NS6detail17trampoline_kernelINS0_14default_configENS1_22reduce_config_selectorIxEEZNS1_11reduce_implILb1ES3_PxS7_x9plus_mod3IxEEE10hipError_tPvRmT1_T2_T3_mT4_P12ihipStream_tbEUlT_E1_NS1_11comp_targetILNS1_3genE5ELNS1_11target_archE942ELNS1_3gpuE9ELNS1_3repE0EEENS1_30default_config_static_selectorELNS0_4arch9wavefront6targetE1EEEvSD_.kd
    .uniform_work_group_size: 1
    .uses_dynamic_stack: false
    .vgpr_count:     0
    .vgpr_spill_count: 0
    .wavefront_size: 64
  - .agpr_count:     0
    .args:
      - .offset:         0
        .size:           48
        .value_kind:     by_value
    .group_segment_fixed_size: 0
    .kernarg_segment_align: 8
    .kernarg_segment_size: 48
    .language:       OpenCL C
    .language_version:
      - 2
      - 0
    .max_flat_workgroup_size: 256
    .name:           _ZN7rocprim17ROCPRIM_400000_NS6detail17trampoline_kernelINS0_14default_configENS1_22reduce_config_selectorIxEEZNS1_11reduce_implILb1ES3_PxS7_x9plus_mod3IxEEE10hipError_tPvRmT1_T2_T3_mT4_P12ihipStream_tbEUlT_E1_NS1_11comp_targetILNS1_3genE4ELNS1_11target_archE910ELNS1_3gpuE8ELNS1_3repE0EEENS1_30default_config_static_selectorELNS0_4arch9wavefront6targetE1EEEvSD_
    .private_segment_fixed_size: 0
    .sgpr_count:     6
    .sgpr_spill_count: 0
    .symbol:         _ZN7rocprim17ROCPRIM_400000_NS6detail17trampoline_kernelINS0_14default_configENS1_22reduce_config_selectorIxEEZNS1_11reduce_implILb1ES3_PxS7_x9plus_mod3IxEEE10hipError_tPvRmT1_T2_T3_mT4_P12ihipStream_tbEUlT_E1_NS1_11comp_targetILNS1_3genE4ELNS1_11target_archE910ELNS1_3gpuE8ELNS1_3repE0EEENS1_30default_config_static_selectorELNS0_4arch9wavefront6targetE1EEEvSD_.kd
    .uniform_work_group_size: 1
    .uses_dynamic_stack: false
    .vgpr_count:     0
    .vgpr_spill_count: 0
    .wavefront_size: 64
  - .agpr_count:     0
    .args:
      - .offset:         0
        .size:           48
        .value_kind:     by_value
    .group_segment_fixed_size: 0
    .kernarg_segment_align: 8
    .kernarg_segment_size: 48
    .language:       OpenCL C
    .language_version:
      - 2
      - 0
    .max_flat_workgroup_size: 256
    .name:           _ZN7rocprim17ROCPRIM_400000_NS6detail17trampoline_kernelINS0_14default_configENS1_22reduce_config_selectorIxEEZNS1_11reduce_implILb1ES3_PxS7_x9plus_mod3IxEEE10hipError_tPvRmT1_T2_T3_mT4_P12ihipStream_tbEUlT_E1_NS1_11comp_targetILNS1_3genE3ELNS1_11target_archE908ELNS1_3gpuE7ELNS1_3repE0EEENS1_30default_config_static_selectorELNS0_4arch9wavefront6targetE1EEEvSD_
    .private_segment_fixed_size: 0
    .sgpr_count:     6
    .sgpr_spill_count: 0
    .symbol:         _ZN7rocprim17ROCPRIM_400000_NS6detail17trampoline_kernelINS0_14default_configENS1_22reduce_config_selectorIxEEZNS1_11reduce_implILb1ES3_PxS7_x9plus_mod3IxEEE10hipError_tPvRmT1_T2_T3_mT4_P12ihipStream_tbEUlT_E1_NS1_11comp_targetILNS1_3genE3ELNS1_11target_archE908ELNS1_3gpuE7ELNS1_3repE0EEENS1_30default_config_static_selectorELNS0_4arch9wavefront6targetE1EEEvSD_.kd
    .uniform_work_group_size: 1
    .uses_dynamic_stack: false
    .vgpr_count:     0
    .vgpr_spill_count: 0
    .wavefront_size: 64
  - .agpr_count:     0
    .args:
      - .offset:         0
        .size:           48
        .value_kind:     by_value
    .group_segment_fixed_size: 0
    .kernarg_segment_align: 8
    .kernarg_segment_size: 48
    .language:       OpenCL C
    .language_version:
      - 2
      - 0
    .max_flat_workgroup_size: 256
    .name:           _ZN7rocprim17ROCPRIM_400000_NS6detail17trampoline_kernelINS0_14default_configENS1_22reduce_config_selectorIxEEZNS1_11reduce_implILb1ES3_PxS7_x9plus_mod3IxEEE10hipError_tPvRmT1_T2_T3_mT4_P12ihipStream_tbEUlT_E1_NS1_11comp_targetILNS1_3genE2ELNS1_11target_archE906ELNS1_3gpuE6ELNS1_3repE0EEENS1_30default_config_static_selectorELNS0_4arch9wavefront6targetE1EEEvSD_
    .private_segment_fixed_size: 0
    .sgpr_count:     6
    .sgpr_spill_count: 0
    .symbol:         _ZN7rocprim17ROCPRIM_400000_NS6detail17trampoline_kernelINS0_14default_configENS1_22reduce_config_selectorIxEEZNS1_11reduce_implILb1ES3_PxS7_x9plus_mod3IxEEE10hipError_tPvRmT1_T2_T3_mT4_P12ihipStream_tbEUlT_E1_NS1_11comp_targetILNS1_3genE2ELNS1_11target_archE906ELNS1_3gpuE6ELNS1_3repE0EEENS1_30default_config_static_selectorELNS0_4arch9wavefront6targetE1EEEvSD_.kd
    .uniform_work_group_size: 1
    .uses_dynamic_stack: false
    .vgpr_count:     0
    .vgpr_spill_count: 0
    .wavefront_size: 64
  - .agpr_count:     0
    .args:
      - .offset:         0
        .size:           48
        .value_kind:     by_value
    .group_segment_fixed_size: 0
    .kernarg_segment_align: 8
    .kernarg_segment_size: 48
    .language:       OpenCL C
    .language_version:
      - 2
      - 0
    .max_flat_workgroup_size: 256
    .name:           _ZN7rocprim17ROCPRIM_400000_NS6detail17trampoline_kernelINS0_14default_configENS1_22reduce_config_selectorIxEEZNS1_11reduce_implILb1ES3_PxS7_x9plus_mod3IxEEE10hipError_tPvRmT1_T2_T3_mT4_P12ihipStream_tbEUlT_E1_NS1_11comp_targetILNS1_3genE10ELNS1_11target_archE1201ELNS1_3gpuE5ELNS1_3repE0EEENS1_30default_config_static_selectorELNS0_4arch9wavefront6targetE1EEEvSD_
    .private_segment_fixed_size: 0
    .sgpr_count:     6
    .sgpr_spill_count: 0
    .symbol:         _ZN7rocprim17ROCPRIM_400000_NS6detail17trampoline_kernelINS0_14default_configENS1_22reduce_config_selectorIxEEZNS1_11reduce_implILb1ES3_PxS7_x9plus_mod3IxEEE10hipError_tPvRmT1_T2_T3_mT4_P12ihipStream_tbEUlT_E1_NS1_11comp_targetILNS1_3genE10ELNS1_11target_archE1201ELNS1_3gpuE5ELNS1_3repE0EEENS1_30default_config_static_selectorELNS0_4arch9wavefront6targetE1EEEvSD_.kd
    .uniform_work_group_size: 1
    .uses_dynamic_stack: false
    .vgpr_count:     0
    .vgpr_spill_count: 0
    .wavefront_size: 64
  - .agpr_count:     0
    .args:
      - .offset:         0
        .size:           48
        .value_kind:     by_value
    .group_segment_fixed_size: 0
    .kernarg_segment_align: 8
    .kernarg_segment_size: 48
    .language:       OpenCL C
    .language_version:
      - 2
      - 0
    .max_flat_workgroup_size: 256
    .name:           _ZN7rocprim17ROCPRIM_400000_NS6detail17trampoline_kernelINS0_14default_configENS1_22reduce_config_selectorIxEEZNS1_11reduce_implILb1ES3_PxS7_x9plus_mod3IxEEE10hipError_tPvRmT1_T2_T3_mT4_P12ihipStream_tbEUlT_E1_NS1_11comp_targetILNS1_3genE10ELNS1_11target_archE1200ELNS1_3gpuE4ELNS1_3repE0EEENS1_30default_config_static_selectorELNS0_4arch9wavefront6targetE1EEEvSD_
    .private_segment_fixed_size: 0
    .sgpr_count:     6
    .sgpr_spill_count: 0
    .symbol:         _ZN7rocprim17ROCPRIM_400000_NS6detail17trampoline_kernelINS0_14default_configENS1_22reduce_config_selectorIxEEZNS1_11reduce_implILb1ES3_PxS7_x9plus_mod3IxEEE10hipError_tPvRmT1_T2_T3_mT4_P12ihipStream_tbEUlT_E1_NS1_11comp_targetILNS1_3genE10ELNS1_11target_archE1200ELNS1_3gpuE4ELNS1_3repE0EEENS1_30default_config_static_selectorELNS0_4arch9wavefront6targetE1EEEvSD_.kd
    .uniform_work_group_size: 1
    .uses_dynamic_stack: false
    .vgpr_count:     0
    .vgpr_spill_count: 0
    .wavefront_size: 64
  - .agpr_count:     0
    .args:
      - .offset:         0
        .size:           48
        .value_kind:     by_value
    .group_segment_fixed_size: 0
    .kernarg_segment_align: 8
    .kernarg_segment_size: 48
    .language:       OpenCL C
    .language_version:
      - 2
      - 0
    .max_flat_workgroup_size: 256
    .name:           _ZN7rocprim17ROCPRIM_400000_NS6detail17trampoline_kernelINS0_14default_configENS1_22reduce_config_selectorIxEEZNS1_11reduce_implILb1ES3_PxS7_x9plus_mod3IxEEE10hipError_tPvRmT1_T2_T3_mT4_P12ihipStream_tbEUlT_E1_NS1_11comp_targetILNS1_3genE9ELNS1_11target_archE1100ELNS1_3gpuE3ELNS1_3repE0EEENS1_30default_config_static_selectorELNS0_4arch9wavefront6targetE1EEEvSD_
    .private_segment_fixed_size: 0
    .sgpr_count:     6
    .sgpr_spill_count: 0
    .symbol:         _ZN7rocprim17ROCPRIM_400000_NS6detail17trampoline_kernelINS0_14default_configENS1_22reduce_config_selectorIxEEZNS1_11reduce_implILb1ES3_PxS7_x9plus_mod3IxEEE10hipError_tPvRmT1_T2_T3_mT4_P12ihipStream_tbEUlT_E1_NS1_11comp_targetILNS1_3genE9ELNS1_11target_archE1100ELNS1_3gpuE3ELNS1_3repE0EEENS1_30default_config_static_selectorELNS0_4arch9wavefront6targetE1EEEvSD_.kd
    .uniform_work_group_size: 1
    .uses_dynamic_stack: false
    .vgpr_count:     0
    .vgpr_spill_count: 0
    .wavefront_size: 64
  - .agpr_count:     0
    .args:
      - .offset:         0
        .size:           48
        .value_kind:     by_value
    .group_segment_fixed_size: 0
    .kernarg_segment_align: 8
    .kernarg_segment_size: 48
    .language:       OpenCL C
    .language_version:
      - 2
      - 0
    .max_flat_workgroup_size: 256
    .name:           _ZN7rocprim17ROCPRIM_400000_NS6detail17trampoline_kernelINS0_14default_configENS1_22reduce_config_selectorIxEEZNS1_11reduce_implILb1ES3_PxS7_x9plus_mod3IxEEE10hipError_tPvRmT1_T2_T3_mT4_P12ihipStream_tbEUlT_E1_NS1_11comp_targetILNS1_3genE8ELNS1_11target_archE1030ELNS1_3gpuE2ELNS1_3repE0EEENS1_30default_config_static_selectorELNS0_4arch9wavefront6targetE1EEEvSD_
    .private_segment_fixed_size: 0
    .sgpr_count:     6
    .sgpr_spill_count: 0
    .symbol:         _ZN7rocprim17ROCPRIM_400000_NS6detail17trampoline_kernelINS0_14default_configENS1_22reduce_config_selectorIxEEZNS1_11reduce_implILb1ES3_PxS7_x9plus_mod3IxEEE10hipError_tPvRmT1_T2_T3_mT4_P12ihipStream_tbEUlT_E1_NS1_11comp_targetILNS1_3genE8ELNS1_11target_archE1030ELNS1_3gpuE2ELNS1_3repE0EEENS1_30default_config_static_selectorELNS0_4arch9wavefront6targetE1EEEvSD_.kd
    .uniform_work_group_size: 1
    .uses_dynamic_stack: false
    .vgpr_count:     0
    .vgpr_spill_count: 0
    .wavefront_size: 64
  - .agpr_count:     0
    .args:
      - .offset:         0
        .size:           64
        .value_kind:     by_value
    .group_segment_fixed_size: 64
    .kernarg_segment_align: 8
    .kernarg_segment_size: 64
    .language:       OpenCL C
    .language_version:
      - 2
      - 0
    .max_flat_workgroup_size: 256
    .name:           _ZN7rocprim17ROCPRIM_400000_NS6detail17trampoline_kernelINS0_14default_configENS1_22reduce_config_selectorIxEEZNS1_11reduce_implILb1ES3_N6thrust23THRUST_200600_302600_NS6detail15normal_iteratorINS8_10device_ptrIxEEEEPxx9plus_mod3IxEEE10hipError_tPvRmT1_T2_T3_mT4_P12ihipStream_tbEUlT_E0_NS1_11comp_targetILNS1_3genE0ELNS1_11target_archE4294967295ELNS1_3gpuE0ELNS1_3repE0EEENS1_30default_config_static_selectorELNS0_4arch9wavefront6targetE1EEEvSK_
    .private_segment_fixed_size: 0
    .sgpr_count:     58
    .sgpr_spill_count: 0
    .symbol:         _ZN7rocprim17ROCPRIM_400000_NS6detail17trampoline_kernelINS0_14default_configENS1_22reduce_config_selectorIxEEZNS1_11reduce_implILb1ES3_N6thrust23THRUST_200600_302600_NS6detail15normal_iteratorINS8_10device_ptrIxEEEEPxx9plus_mod3IxEEE10hipError_tPvRmT1_T2_T3_mT4_P12ihipStream_tbEUlT_E0_NS1_11comp_targetILNS1_3genE0ELNS1_11target_archE4294967295ELNS1_3gpuE0ELNS1_3repE0EEENS1_30default_config_static_selectorELNS0_4arch9wavefront6targetE1EEEvSK_.kd
    .uniform_work_group_size: 1
    .uses_dynamic_stack: false
    .vgpr_count:     68
    .vgpr_spill_count: 0
    .wavefront_size: 64
  - .agpr_count:     0
    .args:
      - .offset:         0
        .size:           64
        .value_kind:     by_value
    .group_segment_fixed_size: 0
    .kernarg_segment_align: 8
    .kernarg_segment_size: 64
    .language:       OpenCL C
    .language_version:
      - 2
      - 0
    .max_flat_workgroup_size: 256
    .name:           _ZN7rocprim17ROCPRIM_400000_NS6detail17trampoline_kernelINS0_14default_configENS1_22reduce_config_selectorIxEEZNS1_11reduce_implILb1ES3_N6thrust23THRUST_200600_302600_NS6detail15normal_iteratorINS8_10device_ptrIxEEEEPxx9plus_mod3IxEEE10hipError_tPvRmT1_T2_T3_mT4_P12ihipStream_tbEUlT_E0_NS1_11comp_targetILNS1_3genE5ELNS1_11target_archE942ELNS1_3gpuE9ELNS1_3repE0EEENS1_30default_config_static_selectorELNS0_4arch9wavefront6targetE1EEEvSK_
    .private_segment_fixed_size: 0
    .sgpr_count:     6
    .sgpr_spill_count: 0
    .symbol:         _ZN7rocprim17ROCPRIM_400000_NS6detail17trampoline_kernelINS0_14default_configENS1_22reduce_config_selectorIxEEZNS1_11reduce_implILb1ES3_N6thrust23THRUST_200600_302600_NS6detail15normal_iteratorINS8_10device_ptrIxEEEEPxx9plus_mod3IxEEE10hipError_tPvRmT1_T2_T3_mT4_P12ihipStream_tbEUlT_E0_NS1_11comp_targetILNS1_3genE5ELNS1_11target_archE942ELNS1_3gpuE9ELNS1_3repE0EEENS1_30default_config_static_selectorELNS0_4arch9wavefront6targetE1EEEvSK_.kd
    .uniform_work_group_size: 1
    .uses_dynamic_stack: false
    .vgpr_count:     0
    .vgpr_spill_count: 0
    .wavefront_size: 64
  - .agpr_count:     0
    .args:
      - .offset:         0
        .size:           64
        .value_kind:     by_value
    .group_segment_fixed_size: 0
    .kernarg_segment_align: 8
    .kernarg_segment_size: 64
    .language:       OpenCL C
    .language_version:
      - 2
      - 0
    .max_flat_workgroup_size: 256
    .name:           _ZN7rocprim17ROCPRIM_400000_NS6detail17trampoline_kernelINS0_14default_configENS1_22reduce_config_selectorIxEEZNS1_11reduce_implILb1ES3_N6thrust23THRUST_200600_302600_NS6detail15normal_iteratorINS8_10device_ptrIxEEEEPxx9plus_mod3IxEEE10hipError_tPvRmT1_T2_T3_mT4_P12ihipStream_tbEUlT_E0_NS1_11comp_targetILNS1_3genE4ELNS1_11target_archE910ELNS1_3gpuE8ELNS1_3repE0EEENS1_30default_config_static_selectorELNS0_4arch9wavefront6targetE1EEEvSK_
    .private_segment_fixed_size: 0
    .sgpr_count:     6
    .sgpr_spill_count: 0
    .symbol:         _ZN7rocprim17ROCPRIM_400000_NS6detail17trampoline_kernelINS0_14default_configENS1_22reduce_config_selectorIxEEZNS1_11reduce_implILb1ES3_N6thrust23THRUST_200600_302600_NS6detail15normal_iteratorINS8_10device_ptrIxEEEEPxx9plus_mod3IxEEE10hipError_tPvRmT1_T2_T3_mT4_P12ihipStream_tbEUlT_E0_NS1_11comp_targetILNS1_3genE4ELNS1_11target_archE910ELNS1_3gpuE8ELNS1_3repE0EEENS1_30default_config_static_selectorELNS0_4arch9wavefront6targetE1EEEvSK_.kd
    .uniform_work_group_size: 1
    .uses_dynamic_stack: false
    .vgpr_count:     0
    .vgpr_spill_count: 0
    .wavefront_size: 64
  - .agpr_count:     0
    .args:
      - .offset:         0
        .size:           64
        .value_kind:     by_value
    .group_segment_fixed_size: 0
    .kernarg_segment_align: 8
    .kernarg_segment_size: 64
    .language:       OpenCL C
    .language_version:
      - 2
      - 0
    .max_flat_workgroup_size: 256
    .name:           _ZN7rocprim17ROCPRIM_400000_NS6detail17trampoline_kernelINS0_14default_configENS1_22reduce_config_selectorIxEEZNS1_11reduce_implILb1ES3_N6thrust23THRUST_200600_302600_NS6detail15normal_iteratorINS8_10device_ptrIxEEEEPxx9plus_mod3IxEEE10hipError_tPvRmT1_T2_T3_mT4_P12ihipStream_tbEUlT_E0_NS1_11comp_targetILNS1_3genE3ELNS1_11target_archE908ELNS1_3gpuE7ELNS1_3repE0EEENS1_30default_config_static_selectorELNS0_4arch9wavefront6targetE1EEEvSK_
    .private_segment_fixed_size: 0
    .sgpr_count:     6
    .sgpr_spill_count: 0
    .symbol:         _ZN7rocprim17ROCPRIM_400000_NS6detail17trampoline_kernelINS0_14default_configENS1_22reduce_config_selectorIxEEZNS1_11reduce_implILb1ES3_N6thrust23THRUST_200600_302600_NS6detail15normal_iteratorINS8_10device_ptrIxEEEEPxx9plus_mod3IxEEE10hipError_tPvRmT1_T2_T3_mT4_P12ihipStream_tbEUlT_E0_NS1_11comp_targetILNS1_3genE3ELNS1_11target_archE908ELNS1_3gpuE7ELNS1_3repE0EEENS1_30default_config_static_selectorELNS0_4arch9wavefront6targetE1EEEvSK_.kd
    .uniform_work_group_size: 1
    .uses_dynamic_stack: false
    .vgpr_count:     0
    .vgpr_spill_count: 0
    .wavefront_size: 64
  - .agpr_count:     0
    .args:
      - .offset:         0
        .size:           64
        .value_kind:     by_value
    .group_segment_fixed_size: 0
    .kernarg_segment_align: 8
    .kernarg_segment_size: 64
    .language:       OpenCL C
    .language_version:
      - 2
      - 0
    .max_flat_workgroup_size: 256
    .name:           _ZN7rocprim17ROCPRIM_400000_NS6detail17trampoline_kernelINS0_14default_configENS1_22reduce_config_selectorIxEEZNS1_11reduce_implILb1ES3_N6thrust23THRUST_200600_302600_NS6detail15normal_iteratorINS8_10device_ptrIxEEEEPxx9plus_mod3IxEEE10hipError_tPvRmT1_T2_T3_mT4_P12ihipStream_tbEUlT_E0_NS1_11comp_targetILNS1_3genE2ELNS1_11target_archE906ELNS1_3gpuE6ELNS1_3repE0EEENS1_30default_config_static_selectorELNS0_4arch9wavefront6targetE1EEEvSK_
    .private_segment_fixed_size: 0
    .sgpr_count:     6
    .sgpr_spill_count: 0
    .symbol:         _ZN7rocprim17ROCPRIM_400000_NS6detail17trampoline_kernelINS0_14default_configENS1_22reduce_config_selectorIxEEZNS1_11reduce_implILb1ES3_N6thrust23THRUST_200600_302600_NS6detail15normal_iteratorINS8_10device_ptrIxEEEEPxx9plus_mod3IxEEE10hipError_tPvRmT1_T2_T3_mT4_P12ihipStream_tbEUlT_E0_NS1_11comp_targetILNS1_3genE2ELNS1_11target_archE906ELNS1_3gpuE6ELNS1_3repE0EEENS1_30default_config_static_selectorELNS0_4arch9wavefront6targetE1EEEvSK_.kd
    .uniform_work_group_size: 1
    .uses_dynamic_stack: false
    .vgpr_count:     0
    .vgpr_spill_count: 0
    .wavefront_size: 64
  - .agpr_count:     0
    .args:
      - .offset:         0
        .size:           64
        .value_kind:     by_value
    .group_segment_fixed_size: 0
    .kernarg_segment_align: 8
    .kernarg_segment_size: 64
    .language:       OpenCL C
    .language_version:
      - 2
      - 0
    .max_flat_workgroup_size: 256
    .name:           _ZN7rocprim17ROCPRIM_400000_NS6detail17trampoline_kernelINS0_14default_configENS1_22reduce_config_selectorIxEEZNS1_11reduce_implILb1ES3_N6thrust23THRUST_200600_302600_NS6detail15normal_iteratorINS8_10device_ptrIxEEEEPxx9plus_mod3IxEEE10hipError_tPvRmT1_T2_T3_mT4_P12ihipStream_tbEUlT_E0_NS1_11comp_targetILNS1_3genE10ELNS1_11target_archE1201ELNS1_3gpuE5ELNS1_3repE0EEENS1_30default_config_static_selectorELNS0_4arch9wavefront6targetE1EEEvSK_
    .private_segment_fixed_size: 0
    .sgpr_count:     6
    .sgpr_spill_count: 0
    .symbol:         _ZN7rocprim17ROCPRIM_400000_NS6detail17trampoline_kernelINS0_14default_configENS1_22reduce_config_selectorIxEEZNS1_11reduce_implILb1ES3_N6thrust23THRUST_200600_302600_NS6detail15normal_iteratorINS8_10device_ptrIxEEEEPxx9plus_mod3IxEEE10hipError_tPvRmT1_T2_T3_mT4_P12ihipStream_tbEUlT_E0_NS1_11comp_targetILNS1_3genE10ELNS1_11target_archE1201ELNS1_3gpuE5ELNS1_3repE0EEENS1_30default_config_static_selectorELNS0_4arch9wavefront6targetE1EEEvSK_.kd
    .uniform_work_group_size: 1
    .uses_dynamic_stack: false
    .vgpr_count:     0
    .vgpr_spill_count: 0
    .wavefront_size: 64
  - .agpr_count:     0
    .args:
      - .offset:         0
        .size:           64
        .value_kind:     by_value
    .group_segment_fixed_size: 0
    .kernarg_segment_align: 8
    .kernarg_segment_size: 64
    .language:       OpenCL C
    .language_version:
      - 2
      - 0
    .max_flat_workgroup_size: 256
    .name:           _ZN7rocprim17ROCPRIM_400000_NS6detail17trampoline_kernelINS0_14default_configENS1_22reduce_config_selectorIxEEZNS1_11reduce_implILb1ES3_N6thrust23THRUST_200600_302600_NS6detail15normal_iteratorINS8_10device_ptrIxEEEEPxx9plus_mod3IxEEE10hipError_tPvRmT1_T2_T3_mT4_P12ihipStream_tbEUlT_E0_NS1_11comp_targetILNS1_3genE10ELNS1_11target_archE1200ELNS1_3gpuE4ELNS1_3repE0EEENS1_30default_config_static_selectorELNS0_4arch9wavefront6targetE1EEEvSK_
    .private_segment_fixed_size: 0
    .sgpr_count:     6
    .sgpr_spill_count: 0
    .symbol:         _ZN7rocprim17ROCPRIM_400000_NS6detail17trampoline_kernelINS0_14default_configENS1_22reduce_config_selectorIxEEZNS1_11reduce_implILb1ES3_N6thrust23THRUST_200600_302600_NS6detail15normal_iteratorINS8_10device_ptrIxEEEEPxx9plus_mod3IxEEE10hipError_tPvRmT1_T2_T3_mT4_P12ihipStream_tbEUlT_E0_NS1_11comp_targetILNS1_3genE10ELNS1_11target_archE1200ELNS1_3gpuE4ELNS1_3repE0EEENS1_30default_config_static_selectorELNS0_4arch9wavefront6targetE1EEEvSK_.kd
    .uniform_work_group_size: 1
    .uses_dynamic_stack: false
    .vgpr_count:     0
    .vgpr_spill_count: 0
    .wavefront_size: 64
  - .agpr_count:     0
    .args:
      - .offset:         0
        .size:           64
        .value_kind:     by_value
    .group_segment_fixed_size: 0
    .kernarg_segment_align: 8
    .kernarg_segment_size: 64
    .language:       OpenCL C
    .language_version:
      - 2
      - 0
    .max_flat_workgroup_size: 256
    .name:           _ZN7rocprim17ROCPRIM_400000_NS6detail17trampoline_kernelINS0_14default_configENS1_22reduce_config_selectorIxEEZNS1_11reduce_implILb1ES3_N6thrust23THRUST_200600_302600_NS6detail15normal_iteratorINS8_10device_ptrIxEEEEPxx9plus_mod3IxEEE10hipError_tPvRmT1_T2_T3_mT4_P12ihipStream_tbEUlT_E0_NS1_11comp_targetILNS1_3genE9ELNS1_11target_archE1100ELNS1_3gpuE3ELNS1_3repE0EEENS1_30default_config_static_selectorELNS0_4arch9wavefront6targetE1EEEvSK_
    .private_segment_fixed_size: 0
    .sgpr_count:     6
    .sgpr_spill_count: 0
    .symbol:         _ZN7rocprim17ROCPRIM_400000_NS6detail17trampoline_kernelINS0_14default_configENS1_22reduce_config_selectorIxEEZNS1_11reduce_implILb1ES3_N6thrust23THRUST_200600_302600_NS6detail15normal_iteratorINS8_10device_ptrIxEEEEPxx9plus_mod3IxEEE10hipError_tPvRmT1_T2_T3_mT4_P12ihipStream_tbEUlT_E0_NS1_11comp_targetILNS1_3genE9ELNS1_11target_archE1100ELNS1_3gpuE3ELNS1_3repE0EEENS1_30default_config_static_selectorELNS0_4arch9wavefront6targetE1EEEvSK_.kd
    .uniform_work_group_size: 1
    .uses_dynamic_stack: false
    .vgpr_count:     0
    .vgpr_spill_count: 0
    .wavefront_size: 64
  - .agpr_count:     0
    .args:
      - .offset:         0
        .size:           64
        .value_kind:     by_value
    .group_segment_fixed_size: 0
    .kernarg_segment_align: 8
    .kernarg_segment_size: 64
    .language:       OpenCL C
    .language_version:
      - 2
      - 0
    .max_flat_workgroup_size: 256
    .name:           _ZN7rocprim17ROCPRIM_400000_NS6detail17trampoline_kernelINS0_14default_configENS1_22reduce_config_selectorIxEEZNS1_11reduce_implILb1ES3_N6thrust23THRUST_200600_302600_NS6detail15normal_iteratorINS8_10device_ptrIxEEEEPxx9plus_mod3IxEEE10hipError_tPvRmT1_T2_T3_mT4_P12ihipStream_tbEUlT_E0_NS1_11comp_targetILNS1_3genE8ELNS1_11target_archE1030ELNS1_3gpuE2ELNS1_3repE0EEENS1_30default_config_static_selectorELNS0_4arch9wavefront6targetE1EEEvSK_
    .private_segment_fixed_size: 0
    .sgpr_count:     6
    .sgpr_spill_count: 0
    .symbol:         _ZN7rocprim17ROCPRIM_400000_NS6detail17trampoline_kernelINS0_14default_configENS1_22reduce_config_selectorIxEEZNS1_11reduce_implILb1ES3_N6thrust23THRUST_200600_302600_NS6detail15normal_iteratorINS8_10device_ptrIxEEEEPxx9plus_mod3IxEEE10hipError_tPvRmT1_T2_T3_mT4_P12ihipStream_tbEUlT_E0_NS1_11comp_targetILNS1_3genE8ELNS1_11target_archE1030ELNS1_3gpuE2ELNS1_3repE0EEENS1_30default_config_static_selectorELNS0_4arch9wavefront6targetE1EEEvSK_.kd
    .uniform_work_group_size: 1
    .uses_dynamic_stack: false
    .vgpr_count:     0
    .vgpr_spill_count: 0
    .wavefront_size: 64
  - .agpr_count:     0
    .args:
      - .offset:         0
        .size:           48
        .value_kind:     by_value
    .group_segment_fixed_size: 192
    .kernarg_segment_align: 8
    .kernarg_segment_size: 48
    .language:       OpenCL C
    .language_version:
      - 2
      - 0
    .max_flat_workgroup_size: 256
    .name:           _ZN7rocprim17ROCPRIM_400000_NS6detail17trampoline_kernelINS0_14default_configENS1_22reduce_config_selectorIxEEZNS1_11reduce_implILb1ES3_N6thrust23THRUST_200600_302600_NS6detail15normal_iteratorINS8_10device_ptrIxEEEEPxx9plus_mod3IxEEE10hipError_tPvRmT1_T2_T3_mT4_P12ihipStream_tbEUlT_E1_NS1_11comp_targetILNS1_3genE0ELNS1_11target_archE4294967295ELNS1_3gpuE0ELNS1_3repE0EEENS1_30default_config_static_selectorELNS0_4arch9wavefront6targetE1EEEvSK_
    .private_segment_fixed_size: 0
    .sgpr_count:     57
    .sgpr_spill_count: 0
    .symbol:         _ZN7rocprim17ROCPRIM_400000_NS6detail17trampoline_kernelINS0_14default_configENS1_22reduce_config_selectorIxEEZNS1_11reduce_implILb1ES3_N6thrust23THRUST_200600_302600_NS6detail15normal_iteratorINS8_10device_ptrIxEEEEPxx9plus_mod3IxEEE10hipError_tPvRmT1_T2_T3_mT4_P12ihipStream_tbEUlT_E1_NS1_11comp_targetILNS1_3genE0ELNS1_11target_archE4294967295ELNS1_3gpuE0ELNS1_3repE0EEENS1_30default_config_static_selectorELNS0_4arch9wavefront6targetE1EEEvSK_.kd
    .uniform_work_group_size: 1
    .uses_dynamic_stack: false
    .vgpr_count:     36
    .vgpr_spill_count: 0
    .wavefront_size: 64
  - .agpr_count:     0
    .args:
      - .offset:         0
        .size:           48
        .value_kind:     by_value
    .group_segment_fixed_size: 0
    .kernarg_segment_align: 8
    .kernarg_segment_size: 48
    .language:       OpenCL C
    .language_version:
      - 2
      - 0
    .max_flat_workgroup_size: 256
    .name:           _ZN7rocprim17ROCPRIM_400000_NS6detail17trampoline_kernelINS0_14default_configENS1_22reduce_config_selectorIxEEZNS1_11reduce_implILb1ES3_N6thrust23THRUST_200600_302600_NS6detail15normal_iteratorINS8_10device_ptrIxEEEEPxx9plus_mod3IxEEE10hipError_tPvRmT1_T2_T3_mT4_P12ihipStream_tbEUlT_E1_NS1_11comp_targetILNS1_3genE5ELNS1_11target_archE942ELNS1_3gpuE9ELNS1_3repE0EEENS1_30default_config_static_selectorELNS0_4arch9wavefront6targetE1EEEvSK_
    .private_segment_fixed_size: 0
    .sgpr_count:     6
    .sgpr_spill_count: 0
    .symbol:         _ZN7rocprim17ROCPRIM_400000_NS6detail17trampoline_kernelINS0_14default_configENS1_22reduce_config_selectorIxEEZNS1_11reduce_implILb1ES3_N6thrust23THRUST_200600_302600_NS6detail15normal_iteratorINS8_10device_ptrIxEEEEPxx9plus_mod3IxEEE10hipError_tPvRmT1_T2_T3_mT4_P12ihipStream_tbEUlT_E1_NS1_11comp_targetILNS1_3genE5ELNS1_11target_archE942ELNS1_3gpuE9ELNS1_3repE0EEENS1_30default_config_static_selectorELNS0_4arch9wavefront6targetE1EEEvSK_.kd
    .uniform_work_group_size: 1
    .uses_dynamic_stack: false
    .vgpr_count:     0
    .vgpr_spill_count: 0
    .wavefront_size: 64
  - .agpr_count:     0
    .args:
      - .offset:         0
        .size:           48
        .value_kind:     by_value
    .group_segment_fixed_size: 0
    .kernarg_segment_align: 8
    .kernarg_segment_size: 48
    .language:       OpenCL C
    .language_version:
      - 2
      - 0
    .max_flat_workgroup_size: 256
    .name:           _ZN7rocprim17ROCPRIM_400000_NS6detail17trampoline_kernelINS0_14default_configENS1_22reduce_config_selectorIxEEZNS1_11reduce_implILb1ES3_N6thrust23THRUST_200600_302600_NS6detail15normal_iteratorINS8_10device_ptrIxEEEEPxx9plus_mod3IxEEE10hipError_tPvRmT1_T2_T3_mT4_P12ihipStream_tbEUlT_E1_NS1_11comp_targetILNS1_3genE4ELNS1_11target_archE910ELNS1_3gpuE8ELNS1_3repE0EEENS1_30default_config_static_selectorELNS0_4arch9wavefront6targetE1EEEvSK_
    .private_segment_fixed_size: 0
    .sgpr_count:     6
    .sgpr_spill_count: 0
    .symbol:         _ZN7rocprim17ROCPRIM_400000_NS6detail17trampoline_kernelINS0_14default_configENS1_22reduce_config_selectorIxEEZNS1_11reduce_implILb1ES3_N6thrust23THRUST_200600_302600_NS6detail15normal_iteratorINS8_10device_ptrIxEEEEPxx9plus_mod3IxEEE10hipError_tPvRmT1_T2_T3_mT4_P12ihipStream_tbEUlT_E1_NS1_11comp_targetILNS1_3genE4ELNS1_11target_archE910ELNS1_3gpuE8ELNS1_3repE0EEENS1_30default_config_static_selectorELNS0_4arch9wavefront6targetE1EEEvSK_.kd
    .uniform_work_group_size: 1
    .uses_dynamic_stack: false
    .vgpr_count:     0
    .vgpr_spill_count: 0
    .wavefront_size: 64
  - .agpr_count:     0
    .args:
      - .offset:         0
        .size:           48
        .value_kind:     by_value
    .group_segment_fixed_size: 0
    .kernarg_segment_align: 8
    .kernarg_segment_size: 48
    .language:       OpenCL C
    .language_version:
      - 2
      - 0
    .max_flat_workgroup_size: 256
    .name:           _ZN7rocprim17ROCPRIM_400000_NS6detail17trampoline_kernelINS0_14default_configENS1_22reduce_config_selectorIxEEZNS1_11reduce_implILb1ES3_N6thrust23THRUST_200600_302600_NS6detail15normal_iteratorINS8_10device_ptrIxEEEEPxx9plus_mod3IxEEE10hipError_tPvRmT1_T2_T3_mT4_P12ihipStream_tbEUlT_E1_NS1_11comp_targetILNS1_3genE3ELNS1_11target_archE908ELNS1_3gpuE7ELNS1_3repE0EEENS1_30default_config_static_selectorELNS0_4arch9wavefront6targetE1EEEvSK_
    .private_segment_fixed_size: 0
    .sgpr_count:     6
    .sgpr_spill_count: 0
    .symbol:         _ZN7rocprim17ROCPRIM_400000_NS6detail17trampoline_kernelINS0_14default_configENS1_22reduce_config_selectorIxEEZNS1_11reduce_implILb1ES3_N6thrust23THRUST_200600_302600_NS6detail15normal_iteratorINS8_10device_ptrIxEEEEPxx9plus_mod3IxEEE10hipError_tPvRmT1_T2_T3_mT4_P12ihipStream_tbEUlT_E1_NS1_11comp_targetILNS1_3genE3ELNS1_11target_archE908ELNS1_3gpuE7ELNS1_3repE0EEENS1_30default_config_static_selectorELNS0_4arch9wavefront6targetE1EEEvSK_.kd
    .uniform_work_group_size: 1
    .uses_dynamic_stack: false
    .vgpr_count:     0
    .vgpr_spill_count: 0
    .wavefront_size: 64
  - .agpr_count:     0
    .args:
      - .offset:         0
        .size:           48
        .value_kind:     by_value
    .group_segment_fixed_size: 0
    .kernarg_segment_align: 8
    .kernarg_segment_size: 48
    .language:       OpenCL C
    .language_version:
      - 2
      - 0
    .max_flat_workgroup_size: 256
    .name:           _ZN7rocprim17ROCPRIM_400000_NS6detail17trampoline_kernelINS0_14default_configENS1_22reduce_config_selectorIxEEZNS1_11reduce_implILb1ES3_N6thrust23THRUST_200600_302600_NS6detail15normal_iteratorINS8_10device_ptrIxEEEEPxx9plus_mod3IxEEE10hipError_tPvRmT1_T2_T3_mT4_P12ihipStream_tbEUlT_E1_NS1_11comp_targetILNS1_3genE2ELNS1_11target_archE906ELNS1_3gpuE6ELNS1_3repE0EEENS1_30default_config_static_selectorELNS0_4arch9wavefront6targetE1EEEvSK_
    .private_segment_fixed_size: 0
    .sgpr_count:     6
    .sgpr_spill_count: 0
    .symbol:         _ZN7rocprim17ROCPRIM_400000_NS6detail17trampoline_kernelINS0_14default_configENS1_22reduce_config_selectorIxEEZNS1_11reduce_implILb1ES3_N6thrust23THRUST_200600_302600_NS6detail15normal_iteratorINS8_10device_ptrIxEEEEPxx9plus_mod3IxEEE10hipError_tPvRmT1_T2_T3_mT4_P12ihipStream_tbEUlT_E1_NS1_11comp_targetILNS1_3genE2ELNS1_11target_archE906ELNS1_3gpuE6ELNS1_3repE0EEENS1_30default_config_static_selectorELNS0_4arch9wavefront6targetE1EEEvSK_.kd
    .uniform_work_group_size: 1
    .uses_dynamic_stack: false
    .vgpr_count:     0
    .vgpr_spill_count: 0
    .wavefront_size: 64
  - .agpr_count:     0
    .args:
      - .offset:         0
        .size:           48
        .value_kind:     by_value
    .group_segment_fixed_size: 0
    .kernarg_segment_align: 8
    .kernarg_segment_size: 48
    .language:       OpenCL C
    .language_version:
      - 2
      - 0
    .max_flat_workgroup_size: 256
    .name:           _ZN7rocprim17ROCPRIM_400000_NS6detail17trampoline_kernelINS0_14default_configENS1_22reduce_config_selectorIxEEZNS1_11reduce_implILb1ES3_N6thrust23THRUST_200600_302600_NS6detail15normal_iteratorINS8_10device_ptrIxEEEEPxx9plus_mod3IxEEE10hipError_tPvRmT1_T2_T3_mT4_P12ihipStream_tbEUlT_E1_NS1_11comp_targetILNS1_3genE10ELNS1_11target_archE1201ELNS1_3gpuE5ELNS1_3repE0EEENS1_30default_config_static_selectorELNS0_4arch9wavefront6targetE1EEEvSK_
    .private_segment_fixed_size: 0
    .sgpr_count:     6
    .sgpr_spill_count: 0
    .symbol:         _ZN7rocprim17ROCPRIM_400000_NS6detail17trampoline_kernelINS0_14default_configENS1_22reduce_config_selectorIxEEZNS1_11reduce_implILb1ES3_N6thrust23THRUST_200600_302600_NS6detail15normal_iteratorINS8_10device_ptrIxEEEEPxx9plus_mod3IxEEE10hipError_tPvRmT1_T2_T3_mT4_P12ihipStream_tbEUlT_E1_NS1_11comp_targetILNS1_3genE10ELNS1_11target_archE1201ELNS1_3gpuE5ELNS1_3repE0EEENS1_30default_config_static_selectorELNS0_4arch9wavefront6targetE1EEEvSK_.kd
    .uniform_work_group_size: 1
    .uses_dynamic_stack: false
    .vgpr_count:     0
    .vgpr_spill_count: 0
    .wavefront_size: 64
  - .agpr_count:     0
    .args:
      - .offset:         0
        .size:           48
        .value_kind:     by_value
    .group_segment_fixed_size: 0
    .kernarg_segment_align: 8
    .kernarg_segment_size: 48
    .language:       OpenCL C
    .language_version:
      - 2
      - 0
    .max_flat_workgroup_size: 256
    .name:           _ZN7rocprim17ROCPRIM_400000_NS6detail17trampoline_kernelINS0_14default_configENS1_22reduce_config_selectorIxEEZNS1_11reduce_implILb1ES3_N6thrust23THRUST_200600_302600_NS6detail15normal_iteratorINS8_10device_ptrIxEEEEPxx9plus_mod3IxEEE10hipError_tPvRmT1_T2_T3_mT4_P12ihipStream_tbEUlT_E1_NS1_11comp_targetILNS1_3genE10ELNS1_11target_archE1200ELNS1_3gpuE4ELNS1_3repE0EEENS1_30default_config_static_selectorELNS0_4arch9wavefront6targetE1EEEvSK_
    .private_segment_fixed_size: 0
    .sgpr_count:     6
    .sgpr_spill_count: 0
    .symbol:         _ZN7rocprim17ROCPRIM_400000_NS6detail17trampoline_kernelINS0_14default_configENS1_22reduce_config_selectorIxEEZNS1_11reduce_implILb1ES3_N6thrust23THRUST_200600_302600_NS6detail15normal_iteratorINS8_10device_ptrIxEEEEPxx9plus_mod3IxEEE10hipError_tPvRmT1_T2_T3_mT4_P12ihipStream_tbEUlT_E1_NS1_11comp_targetILNS1_3genE10ELNS1_11target_archE1200ELNS1_3gpuE4ELNS1_3repE0EEENS1_30default_config_static_selectorELNS0_4arch9wavefront6targetE1EEEvSK_.kd
    .uniform_work_group_size: 1
    .uses_dynamic_stack: false
    .vgpr_count:     0
    .vgpr_spill_count: 0
    .wavefront_size: 64
  - .agpr_count:     0
    .args:
      - .offset:         0
        .size:           48
        .value_kind:     by_value
    .group_segment_fixed_size: 0
    .kernarg_segment_align: 8
    .kernarg_segment_size: 48
    .language:       OpenCL C
    .language_version:
      - 2
      - 0
    .max_flat_workgroup_size: 256
    .name:           _ZN7rocprim17ROCPRIM_400000_NS6detail17trampoline_kernelINS0_14default_configENS1_22reduce_config_selectorIxEEZNS1_11reduce_implILb1ES3_N6thrust23THRUST_200600_302600_NS6detail15normal_iteratorINS8_10device_ptrIxEEEEPxx9plus_mod3IxEEE10hipError_tPvRmT1_T2_T3_mT4_P12ihipStream_tbEUlT_E1_NS1_11comp_targetILNS1_3genE9ELNS1_11target_archE1100ELNS1_3gpuE3ELNS1_3repE0EEENS1_30default_config_static_selectorELNS0_4arch9wavefront6targetE1EEEvSK_
    .private_segment_fixed_size: 0
    .sgpr_count:     6
    .sgpr_spill_count: 0
    .symbol:         _ZN7rocprim17ROCPRIM_400000_NS6detail17trampoline_kernelINS0_14default_configENS1_22reduce_config_selectorIxEEZNS1_11reduce_implILb1ES3_N6thrust23THRUST_200600_302600_NS6detail15normal_iteratorINS8_10device_ptrIxEEEEPxx9plus_mod3IxEEE10hipError_tPvRmT1_T2_T3_mT4_P12ihipStream_tbEUlT_E1_NS1_11comp_targetILNS1_3genE9ELNS1_11target_archE1100ELNS1_3gpuE3ELNS1_3repE0EEENS1_30default_config_static_selectorELNS0_4arch9wavefront6targetE1EEEvSK_.kd
    .uniform_work_group_size: 1
    .uses_dynamic_stack: false
    .vgpr_count:     0
    .vgpr_spill_count: 0
    .wavefront_size: 64
  - .agpr_count:     0
    .args:
      - .offset:         0
        .size:           48
        .value_kind:     by_value
    .group_segment_fixed_size: 0
    .kernarg_segment_align: 8
    .kernarg_segment_size: 48
    .language:       OpenCL C
    .language_version:
      - 2
      - 0
    .max_flat_workgroup_size: 256
    .name:           _ZN7rocprim17ROCPRIM_400000_NS6detail17trampoline_kernelINS0_14default_configENS1_22reduce_config_selectorIxEEZNS1_11reduce_implILb1ES3_N6thrust23THRUST_200600_302600_NS6detail15normal_iteratorINS8_10device_ptrIxEEEEPxx9plus_mod3IxEEE10hipError_tPvRmT1_T2_T3_mT4_P12ihipStream_tbEUlT_E1_NS1_11comp_targetILNS1_3genE8ELNS1_11target_archE1030ELNS1_3gpuE2ELNS1_3repE0EEENS1_30default_config_static_selectorELNS0_4arch9wavefront6targetE1EEEvSK_
    .private_segment_fixed_size: 0
    .sgpr_count:     6
    .sgpr_spill_count: 0
    .symbol:         _ZN7rocprim17ROCPRIM_400000_NS6detail17trampoline_kernelINS0_14default_configENS1_22reduce_config_selectorIxEEZNS1_11reduce_implILb1ES3_N6thrust23THRUST_200600_302600_NS6detail15normal_iteratorINS8_10device_ptrIxEEEEPxx9plus_mod3IxEEE10hipError_tPvRmT1_T2_T3_mT4_P12ihipStream_tbEUlT_E1_NS1_11comp_targetILNS1_3genE8ELNS1_11target_archE1030ELNS1_3gpuE2ELNS1_3repE0EEENS1_30default_config_static_selectorELNS0_4arch9wavefront6targetE1EEEvSK_.kd
    .uniform_work_group_size: 1
    .uses_dynamic_stack: false
    .vgpr_count:     0
    .vgpr_spill_count: 0
    .wavefront_size: 64
  - .agpr_count:     0
    .args:
      - .offset:         0
        .size:           64
        .value_kind:     by_value
    .group_segment_fixed_size: 32
    .kernarg_segment_align: 8
    .kernarg_segment_size: 64
    .language:       OpenCL C
    .language_version:
      - 2
      - 0
    .max_flat_workgroup_size: 256
    .name:           _ZN7rocprim17ROCPRIM_400000_NS6detail17trampoline_kernelINS0_14default_configENS1_22reduce_config_selectorIiEEZNS1_11reduce_implILb1ES3_PiS7_i9plus_mod3IiEEE10hipError_tPvRmT1_T2_T3_mT4_P12ihipStream_tbEUlT_E0_NS1_11comp_targetILNS1_3genE0ELNS1_11target_archE4294967295ELNS1_3gpuE0ELNS1_3repE0EEENS1_30default_config_static_selectorELNS0_4arch9wavefront6targetE1EEEvSD_
    .private_segment_fixed_size: 0
    .sgpr_count:     27
    .sgpr_spill_count: 0
    .symbol:         _ZN7rocprim17ROCPRIM_400000_NS6detail17trampoline_kernelINS0_14default_configENS1_22reduce_config_selectorIiEEZNS1_11reduce_implILb1ES3_PiS7_i9plus_mod3IiEEE10hipError_tPvRmT1_T2_T3_mT4_P12ihipStream_tbEUlT_E0_NS1_11comp_targetILNS1_3genE0ELNS1_11target_archE4294967295ELNS1_3gpuE0ELNS1_3repE0EEENS1_30default_config_static_selectorELNS0_4arch9wavefront6targetE1EEEvSD_.kd
    .uniform_work_group_size: 1
    .uses_dynamic_stack: false
    .vgpr_count:     12
    .vgpr_spill_count: 0
    .wavefront_size: 64
  - .agpr_count:     0
    .args:
      - .offset:         0
        .size:           64
        .value_kind:     by_value
    .group_segment_fixed_size: 0
    .kernarg_segment_align: 8
    .kernarg_segment_size: 64
    .language:       OpenCL C
    .language_version:
      - 2
      - 0
    .max_flat_workgroup_size: 256
    .name:           _ZN7rocprim17ROCPRIM_400000_NS6detail17trampoline_kernelINS0_14default_configENS1_22reduce_config_selectorIiEEZNS1_11reduce_implILb1ES3_PiS7_i9plus_mod3IiEEE10hipError_tPvRmT1_T2_T3_mT4_P12ihipStream_tbEUlT_E0_NS1_11comp_targetILNS1_3genE5ELNS1_11target_archE942ELNS1_3gpuE9ELNS1_3repE0EEENS1_30default_config_static_selectorELNS0_4arch9wavefront6targetE1EEEvSD_
    .private_segment_fixed_size: 0
    .sgpr_count:     6
    .sgpr_spill_count: 0
    .symbol:         _ZN7rocprim17ROCPRIM_400000_NS6detail17trampoline_kernelINS0_14default_configENS1_22reduce_config_selectorIiEEZNS1_11reduce_implILb1ES3_PiS7_i9plus_mod3IiEEE10hipError_tPvRmT1_T2_T3_mT4_P12ihipStream_tbEUlT_E0_NS1_11comp_targetILNS1_3genE5ELNS1_11target_archE942ELNS1_3gpuE9ELNS1_3repE0EEENS1_30default_config_static_selectorELNS0_4arch9wavefront6targetE1EEEvSD_.kd
    .uniform_work_group_size: 1
    .uses_dynamic_stack: false
    .vgpr_count:     0
    .vgpr_spill_count: 0
    .wavefront_size: 64
  - .agpr_count:     0
    .args:
      - .offset:         0
        .size:           64
        .value_kind:     by_value
    .group_segment_fixed_size: 0
    .kernarg_segment_align: 8
    .kernarg_segment_size: 64
    .language:       OpenCL C
    .language_version:
      - 2
      - 0
    .max_flat_workgroup_size: 128
    .name:           _ZN7rocprim17ROCPRIM_400000_NS6detail17trampoline_kernelINS0_14default_configENS1_22reduce_config_selectorIiEEZNS1_11reduce_implILb1ES3_PiS7_i9plus_mod3IiEEE10hipError_tPvRmT1_T2_T3_mT4_P12ihipStream_tbEUlT_E0_NS1_11comp_targetILNS1_3genE4ELNS1_11target_archE910ELNS1_3gpuE8ELNS1_3repE0EEENS1_30default_config_static_selectorELNS0_4arch9wavefront6targetE1EEEvSD_
    .private_segment_fixed_size: 0
    .sgpr_count:     6
    .sgpr_spill_count: 0
    .symbol:         _ZN7rocprim17ROCPRIM_400000_NS6detail17trampoline_kernelINS0_14default_configENS1_22reduce_config_selectorIiEEZNS1_11reduce_implILb1ES3_PiS7_i9plus_mod3IiEEE10hipError_tPvRmT1_T2_T3_mT4_P12ihipStream_tbEUlT_E0_NS1_11comp_targetILNS1_3genE4ELNS1_11target_archE910ELNS1_3gpuE8ELNS1_3repE0EEENS1_30default_config_static_selectorELNS0_4arch9wavefront6targetE1EEEvSD_.kd
    .uniform_work_group_size: 1
    .uses_dynamic_stack: false
    .vgpr_count:     0
    .vgpr_spill_count: 0
    .wavefront_size: 64
  - .agpr_count:     0
    .args:
      - .offset:         0
        .size:           64
        .value_kind:     by_value
    .group_segment_fixed_size: 0
    .kernarg_segment_align: 8
    .kernarg_segment_size: 64
    .language:       OpenCL C
    .language_version:
      - 2
      - 0
    .max_flat_workgroup_size: 256
    .name:           _ZN7rocprim17ROCPRIM_400000_NS6detail17trampoline_kernelINS0_14default_configENS1_22reduce_config_selectorIiEEZNS1_11reduce_implILb1ES3_PiS7_i9plus_mod3IiEEE10hipError_tPvRmT1_T2_T3_mT4_P12ihipStream_tbEUlT_E0_NS1_11comp_targetILNS1_3genE3ELNS1_11target_archE908ELNS1_3gpuE7ELNS1_3repE0EEENS1_30default_config_static_selectorELNS0_4arch9wavefront6targetE1EEEvSD_
    .private_segment_fixed_size: 0
    .sgpr_count:     6
    .sgpr_spill_count: 0
    .symbol:         _ZN7rocprim17ROCPRIM_400000_NS6detail17trampoline_kernelINS0_14default_configENS1_22reduce_config_selectorIiEEZNS1_11reduce_implILb1ES3_PiS7_i9plus_mod3IiEEE10hipError_tPvRmT1_T2_T3_mT4_P12ihipStream_tbEUlT_E0_NS1_11comp_targetILNS1_3genE3ELNS1_11target_archE908ELNS1_3gpuE7ELNS1_3repE0EEENS1_30default_config_static_selectorELNS0_4arch9wavefront6targetE1EEEvSD_.kd
    .uniform_work_group_size: 1
    .uses_dynamic_stack: false
    .vgpr_count:     0
    .vgpr_spill_count: 0
    .wavefront_size: 64
  - .agpr_count:     0
    .args:
      - .offset:         0
        .size:           64
        .value_kind:     by_value
    .group_segment_fixed_size: 0
    .kernarg_segment_align: 8
    .kernarg_segment_size: 64
    .language:       OpenCL C
    .language_version:
      - 2
      - 0
    .max_flat_workgroup_size: 256
    .name:           _ZN7rocprim17ROCPRIM_400000_NS6detail17trampoline_kernelINS0_14default_configENS1_22reduce_config_selectorIiEEZNS1_11reduce_implILb1ES3_PiS7_i9plus_mod3IiEEE10hipError_tPvRmT1_T2_T3_mT4_P12ihipStream_tbEUlT_E0_NS1_11comp_targetILNS1_3genE2ELNS1_11target_archE906ELNS1_3gpuE6ELNS1_3repE0EEENS1_30default_config_static_selectorELNS0_4arch9wavefront6targetE1EEEvSD_
    .private_segment_fixed_size: 0
    .sgpr_count:     6
    .sgpr_spill_count: 0
    .symbol:         _ZN7rocprim17ROCPRIM_400000_NS6detail17trampoline_kernelINS0_14default_configENS1_22reduce_config_selectorIiEEZNS1_11reduce_implILb1ES3_PiS7_i9plus_mod3IiEEE10hipError_tPvRmT1_T2_T3_mT4_P12ihipStream_tbEUlT_E0_NS1_11comp_targetILNS1_3genE2ELNS1_11target_archE906ELNS1_3gpuE6ELNS1_3repE0EEENS1_30default_config_static_selectorELNS0_4arch9wavefront6targetE1EEEvSD_.kd
    .uniform_work_group_size: 1
    .uses_dynamic_stack: false
    .vgpr_count:     0
    .vgpr_spill_count: 0
    .wavefront_size: 64
  - .agpr_count:     0
    .args:
      - .offset:         0
        .size:           64
        .value_kind:     by_value
    .group_segment_fixed_size: 0
    .kernarg_segment_align: 8
    .kernarg_segment_size: 64
    .language:       OpenCL C
    .language_version:
      - 2
      - 0
    .max_flat_workgroup_size: 256
    .name:           _ZN7rocprim17ROCPRIM_400000_NS6detail17trampoline_kernelINS0_14default_configENS1_22reduce_config_selectorIiEEZNS1_11reduce_implILb1ES3_PiS7_i9plus_mod3IiEEE10hipError_tPvRmT1_T2_T3_mT4_P12ihipStream_tbEUlT_E0_NS1_11comp_targetILNS1_3genE10ELNS1_11target_archE1201ELNS1_3gpuE5ELNS1_3repE0EEENS1_30default_config_static_selectorELNS0_4arch9wavefront6targetE1EEEvSD_
    .private_segment_fixed_size: 0
    .sgpr_count:     6
    .sgpr_spill_count: 0
    .symbol:         _ZN7rocprim17ROCPRIM_400000_NS6detail17trampoline_kernelINS0_14default_configENS1_22reduce_config_selectorIiEEZNS1_11reduce_implILb1ES3_PiS7_i9plus_mod3IiEEE10hipError_tPvRmT1_T2_T3_mT4_P12ihipStream_tbEUlT_E0_NS1_11comp_targetILNS1_3genE10ELNS1_11target_archE1201ELNS1_3gpuE5ELNS1_3repE0EEENS1_30default_config_static_selectorELNS0_4arch9wavefront6targetE1EEEvSD_.kd
    .uniform_work_group_size: 1
    .uses_dynamic_stack: false
    .vgpr_count:     0
    .vgpr_spill_count: 0
    .wavefront_size: 64
  - .agpr_count:     0
    .args:
      - .offset:         0
        .size:           64
        .value_kind:     by_value
    .group_segment_fixed_size: 0
    .kernarg_segment_align: 8
    .kernarg_segment_size: 64
    .language:       OpenCL C
    .language_version:
      - 2
      - 0
    .max_flat_workgroup_size: 256
    .name:           _ZN7rocprim17ROCPRIM_400000_NS6detail17trampoline_kernelINS0_14default_configENS1_22reduce_config_selectorIiEEZNS1_11reduce_implILb1ES3_PiS7_i9plus_mod3IiEEE10hipError_tPvRmT1_T2_T3_mT4_P12ihipStream_tbEUlT_E0_NS1_11comp_targetILNS1_3genE10ELNS1_11target_archE1200ELNS1_3gpuE4ELNS1_3repE0EEENS1_30default_config_static_selectorELNS0_4arch9wavefront6targetE1EEEvSD_
    .private_segment_fixed_size: 0
    .sgpr_count:     6
    .sgpr_spill_count: 0
    .symbol:         _ZN7rocprim17ROCPRIM_400000_NS6detail17trampoline_kernelINS0_14default_configENS1_22reduce_config_selectorIiEEZNS1_11reduce_implILb1ES3_PiS7_i9plus_mod3IiEEE10hipError_tPvRmT1_T2_T3_mT4_P12ihipStream_tbEUlT_E0_NS1_11comp_targetILNS1_3genE10ELNS1_11target_archE1200ELNS1_3gpuE4ELNS1_3repE0EEENS1_30default_config_static_selectorELNS0_4arch9wavefront6targetE1EEEvSD_.kd
    .uniform_work_group_size: 1
    .uses_dynamic_stack: false
    .vgpr_count:     0
    .vgpr_spill_count: 0
    .wavefront_size: 64
  - .agpr_count:     0
    .args:
      - .offset:         0
        .size:           64
        .value_kind:     by_value
    .group_segment_fixed_size: 0
    .kernarg_segment_align: 8
    .kernarg_segment_size: 64
    .language:       OpenCL C
    .language_version:
      - 2
      - 0
    .max_flat_workgroup_size: 256
    .name:           _ZN7rocprim17ROCPRIM_400000_NS6detail17trampoline_kernelINS0_14default_configENS1_22reduce_config_selectorIiEEZNS1_11reduce_implILb1ES3_PiS7_i9plus_mod3IiEEE10hipError_tPvRmT1_T2_T3_mT4_P12ihipStream_tbEUlT_E0_NS1_11comp_targetILNS1_3genE9ELNS1_11target_archE1100ELNS1_3gpuE3ELNS1_3repE0EEENS1_30default_config_static_selectorELNS0_4arch9wavefront6targetE1EEEvSD_
    .private_segment_fixed_size: 0
    .sgpr_count:     6
    .sgpr_spill_count: 0
    .symbol:         _ZN7rocprim17ROCPRIM_400000_NS6detail17trampoline_kernelINS0_14default_configENS1_22reduce_config_selectorIiEEZNS1_11reduce_implILb1ES3_PiS7_i9plus_mod3IiEEE10hipError_tPvRmT1_T2_T3_mT4_P12ihipStream_tbEUlT_E0_NS1_11comp_targetILNS1_3genE9ELNS1_11target_archE1100ELNS1_3gpuE3ELNS1_3repE0EEENS1_30default_config_static_selectorELNS0_4arch9wavefront6targetE1EEEvSD_.kd
    .uniform_work_group_size: 1
    .uses_dynamic_stack: false
    .vgpr_count:     0
    .vgpr_spill_count: 0
    .wavefront_size: 64
  - .agpr_count:     0
    .args:
      - .offset:         0
        .size:           64
        .value_kind:     by_value
    .group_segment_fixed_size: 0
    .kernarg_segment_align: 8
    .kernarg_segment_size: 64
    .language:       OpenCL C
    .language_version:
      - 2
      - 0
    .max_flat_workgroup_size: 256
    .name:           _ZN7rocprim17ROCPRIM_400000_NS6detail17trampoline_kernelINS0_14default_configENS1_22reduce_config_selectorIiEEZNS1_11reduce_implILb1ES3_PiS7_i9plus_mod3IiEEE10hipError_tPvRmT1_T2_T3_mT4_P12ihipStream_tbEUlT_E0_NS1_11comp_targetILNS1_3genE8ELNS1_11target_archE1030ELNS1_3gpuE2ELNS1_3repE0EEENS1_30default_config_static_selectorELNS0_4arch9wavefront6targetE1EEEvSD_
    .private_segment_fixed_size: 0
    .sgpr_count:     6
    .sgpr_spill_count: 0
    .symbol:         _ZN7rocprim17ROCPRIM_400000_NS6detail17trampoline_kernelINS0_14default_configENS1_22reduce_config_selectorIiEEZNS1_11reduce_implILb1ES3_PiS7_i9plus_mod3IiEEE10hipError_tPvRmT1_T2_T3_mT4_P12ihipStream_tbEUlT_E0_NS1_11comp_targetILNS1_3genE8ELNS1_11target_archE1030ELNS1_3gpuE2ELNS1_3repE0EEENS1_30default_config_static_selectorELNS0_4arch9wavefront6targetE1EEEvSD_.kd
    .uniform_work_group_size: 1
    .uses_dynamic_stack: false
    .vgpr_count:     0
    .vgpr_spill_count: 0
    .wavefront_size: 64
  - .agpr_count:     0
    .args:
      - .offset:         0
        .size:           48
        .value_kind:     by_value
    .group_segment_fixed_size: 112
    .kernarg_segment_align: 8
    .kernarg_segment_size: 48
    .language:       OpenCL C
    .language_version:
      - 2
      - 0
    .max_flat_workgroup_size: 256
    .name:           _ZN7rocprim17ROCPRIM_400000_NS6detail17trampoline_kernelINS0_14default_configENS1_22reduce_config_selectorIiEEZNS1_11reduce_implILb1ES3_PiS7_i9plus_mod3IiEEE10hipError_tPvRmT1_T2_T3_mT4_P12ihipStream_tbEUlT_E1_NS1_11comp_targetILNS1_3genE0ELNS1_11target_archE4294967295ELNS1_3gpuE0ELNS1_3repE0EEENS1_30default_config_static_selectorELNS0_4arch9wavefront6targetE1EEEvSD_
    .private_segment_fixed_size: 0
    .sgpr_count:     88
    .sgpr_spill_count: 0
    .symbol:         _ZN7rocprim17ROCPRIM_400000_NS6detail17trampoline_kernelINS0_14default_configENS1_22reduce_config_selectorIiEEZNS1_11reduce_implILb1ES3_PiS7_i9plus_mod3IiEEE10hipError_tPvRmT1_T2_T3_mT4_P12ihipStream_tbEUlT_E1_NS1_11comp_targetILNS1_3genE0ELNS1_11target_archE4294967295ELNS1_3gpuE0ELNS1_3repE0EEENS1_30default_config_static_selectorELNS0_4arch9wavefront6targetE1EEEvSD_.kd
    .uniform_work_group_size: 1
    .uses_dynamic_stack: false
    .vgpr_count:     36
    .vgpr_spill_count: 0
    .wavefront_size: 64
  - .agpr_count:     0
    .args:
      - .offset:         0
        .size:           48
        .value_kind:     by_value
    .group_segment_fixed_size: 0
    .kernarg_segment_align: 8
    .kernarg_segment_size: 48
    .language:       OpenCL C
    .language_version:
      - 2
      - 0
    .max_flat_workgroup_size: 256
    .name:           _ZN7rocprim17ROCPRIM_400000_NS6detail17trampoline_kernelINS0_14default_configENS1_22reduce_config_selectorIiEEZNS1_11reduce_implILb1ES3_PiS7_i9plus_mod3IiEEE10hipError_tPvRmT1_T2_T3_mT4_P12ihipStream_tbEUlT_E1_NS1_11comp_targetILNS1_3genE5ELNS1_11target_archE942ELNS1_3gpuE9ELNS1_3repE0EEENS1_30default_config_static_selectorELNS0_4arch9wavefront6targetE1EEEvSD_
    .private_segment_fixed_size: 0
    .sgpr_count:     6
    .sgpr_spill_count: 0
    .symbol:         _ZN7rocprim17ROCPRIM_400000_NS6detail17trampoline_kernelINS0_14default_configENS1_22reduce_config_selectorIiEEZNS1_11reduce_implILb1ES3_PiS7_i9plus_mod3IiEEE10hipError_tPvRmT1_T2_T3_mT4_P12ihipStream_tbEUlT_E1_NS1_11comp_targetILNS1_3genE5ELNS1_11target_archE942ELNS1_3gpuE9ELNS1_3repE0EEENS1_30default_config_static_selectorELNS0_4arch9wavefront6targetE1EEEvSD_.kd
    .uniform_work_group_size: 1
    .uses_dynamic_stack: false
    .vgpr_count:     0
    .vgpr_spill_count: 0
    .wavefront_size: 64
  - .agpr_count:     0
    .args:
      - .offset:         0
        .size:           48
        .value_kind:     by_value
    .group_segment_fixed_size: 0
    .kernarg_segment_align: 8
    .kernarg_segment_size: 48
    .language:       OpenCL C
    .language_version:
      - 2
      - 0
    .max_flat_workgroup_size: 128
    .name:           _ZN7rocprim17ROCPRIM_400000_NS6detail17trampoline_kernelINS0_14default_configENS1_22reduce_config_selectorIiEEZNS1_11reduce_implILb1ES3_PiS7_i9plus_mod3IiEEE10hipError_tPvRmT1_T2_T3_mT4_P12ihipStream_tbEUlT_E1_NS1_11comp_targetILNS1_3genE4ELNS1_11target_archE910ELNS1_3gpuE8ELNS1_3repE0EEENS1_30default_config_static_selectorELNS0_4arch9wavefront6targetE1EEEvSD_
    .private_segment_fixed_size: 0
    .sgpr_count:     6
    .sgpr_spill_count: 0
    .symbol:         _ZN7rocprim17ROCPRIM_400000_NS6detail17trampoline_kernelINS0_14default_configENS1_22reduce_config_selectorIiEEZNS1_11reduce_implILb1ES3_PiS7_i9plus_mod3IiEEE10hipError_tPvRmT1_T2_T3_mT4_P12ihipStream_tbEUlT_E1_NS1_11comp_targetILNS1_3genE4ELNS1_11target_archE910ELNS1_3gpuE8ELNS1_3repE0EEENS1_30default_config_static_selectorELNS0_4arch9wavefront6targetE1EEEvSD_.kd
    .uniform_work_group_size: 1
    .uses_dynamic_stack: false
    .vgpr_count:     0
    .vgpr_spill_count: 0
    .wavefront_size: 64
  - .agpr_count:     0
    .args:
      - .offset:         0
        .size:           48
        .value_kind:     by_value
    .group_segment_fixed_size: 0
    .kernarg_segment_align: 8
    .kernarg_segment_size: 48
    .language:       OpenCL C
    .language_version:
      - 2
      - 0
    .max_flat_workgroup_size: 256
    .name:           _ZN7rocprim17ROCPRIM_400000_NS6detail17trampoline_kernelINS0_14default_configENS1_22reduce_config_selectorIiEEZNS1_11reduce_implILb1ES3_PiS7_i9plus_mod3IiEEE10hipError_tPvRmT1_T2_T3_mT4_P12ihipStream_tbEUlT_E1_NS1_11comp_targetILNS1_3genE3ELNS1_11target_archE908ELNS1_3gpuE7ELNS1_3repE0EEENS1_30default_config_static_selectorELNS0_4arch9wavefront6targetE1EEEvSD_
    .private_segment_fixed_size: 0
    .sgpr_count:     6
    .sgpr_spill_count: 0
    .symbol:         _ZN7rocprim17ROCPRIM_400000_NS6detail17trampoline_kernelINS0_14default_configENS1_22reduce_config_selectorIiEEZNS1_11reduce_implILb1ES3_PiS7_i9plus_mod3IiEEE10hipError_tPvRmT1_T2_T3_mT4_P12ihipStream_tbEUlT_E1_NS1_11comp_targetILNS1_3genE3ELNS1_11target_archE908ELNS1_3gpuE7ELNS1_3repE0EEENS1_30default_config_static_selectorELNS0_4arch9wavefront6targetE1EEEvSD_.kd
    .uniform_work_group_size: 1
    .uses_dynamic_stack: false
    .vgpr_count:     0
    .vgpr_spill_count: 0
    .wavefront_size: 64
  - .agpr_count:     0
    .args:
      - .offset:         0
        .size:           48
        .value_kind:     by_value
    .group_segment_fixed_size: 0
    .kernarg_segment_align: 8
    .kernarg_segment_size: 48
    .language:       OpenCL C
    .language_version:
      - 2
      - 0
    .max_flat_workgroup_size: 256
    .name:           _ZN7rocprim17ROCPRIM_400000_NS6detail17trampoline_kernelINS0_14default_configENS1_22reduce_config_selectorIiEEZNS1_11reduce_implILb1ES3_PiS7_i9plus_mod3IiEEE10hipError_tPvRmT1_T2_T3_mT4_P12ihipStream_tbEUlT_E1_NS1_11comp_targetILNS1_3genE2ELNS1_11target_archE906ELNS1_3gpuE6ELNS1_3repE0EEENS1_30default_config_static_selectorELNS0_4arch9wavefront6targetE1EEEvSD_
    .private_segment_fixed_size: 0
    .sgpr_count:     6
    .sgpr_spill_count: 0
    .symbol:         _ZN7rocprim17ROCPRIM_400000_NS6detail17trampoline_kernelINS0_14default_configENS1_22reduce_config_selectorIiEEZNS1_11reduce_implILb1ES3_PiS7_i9plus_mod3IiEEE10hipError_tPvRmT1_T2_T3_mT4_P12ihipStream_tbEUlT_E1_NS1_11comp_targetILNS1_3genE2ELNS1_11target_archE906ELNS1_3gpuE6ELNS1_3repE0EEENS1_30default_config_static_selectorELNS0_4arch9wavefront6targetE1EEEvSD_.kd
    .uniform_work_group_size: 1
    .uses_dynamic_stack: false
    .vgpr_count:     0
    .vgpr_spill_count: 0
    .wavefront_size: 64
  - .agpr_count:     0
    .args:
      - .offset:         0
        .size:           48
        .value_kind:     by_value
    .group_segment_fixed_size: 0
    .kernarg_segment_align: 8
    .kernarg_segment_size: 48
    .language:       OpenCL C
    .language_version:
      - 2
      - 0
    .max_flat_workgroup_size: 256
    .name:           _ZN7rocprim17ROCPRIM_400000_NS6detail17trampoline_kernelINS0_14default_configENS1_22reduce_config_selectorIiEEZNS1_11reduce_implILb1ES3_PiS7_i9plus_mod3IiEEE10hipError_tPvRmT1_T2_T3_mT4_P12ihipStream_tbEUlT_E1_NS1_11comp_targetILNS1_3genE10ELNS1_11target_archE1201ELNS1_3gpuE5ELNS1_3repE0EEENS1_30default_config_static_selectorELNS0_4arch9wavefront6targetE1EEEvSD_
    .private_segment_fixed_size: 0
    .sgpr_count:     6
    .sgpr_spill_count: 0
    .symbol:         _ZN7rocprim17ROCPRIM_400000_NS6detail17trampoline_kernelINS0_14default_configENS1_22reduce_config_selectorIiEEZNS1_11reduce_implILb1ES3_PiS7_i9plus_mod3IiEEE10hipError_tPvRmT1_T2_T3_mT4_P12ihipStream_tbEUlT_E1_NS1_11comp_targetILNS1_3genE10ELNS1_11target_archE1201ELNS1_3gpuE5ELNS1_3repE0EEENS1_30default_config_static_selectorELNS0_4arch9wavefront6targetE1EEEvSD_.kd
    .uniform_work_group_size: 1
    .uses_dynamic_stack: false
    .vgpr_count:     0
    .vgpr_spill_count: 0
    .wavefront_size: 64
  - .agpr_count:     0
    .args:
      - .offset:         0
        .size:           48
        .value_kind:     by_value
    .group_segment_fixed_size: 0
    .kernarg_segment_align: 8
    .kernarg_segment_size: 48
    .language:       OpenCL C
    .language_version:
      - 2
      - 0
    .max_flat_workgroup_size: 256
    .name:           _ZN7rocprim17ROCPRIM_400000_NS6detail17trampoline_kernelINS0_14default_configENS1_22reduce_config_selectorIiEEZNS1_11reduce_implILb1ES3_PiS7_i9plus_mod3IiEEE10hipError_tPvRmT1_T2_T3_mT4_P12ihipStream_tbEUlT_E1_NS1_11comp_targetILNS1_3genE10ELNS1_11target_archE1200ELNS1_3gpuE4ELNS1_3repE0EEENS1_30default_config_static_selectorELNS0_4arch9wavefront6targetE1EEEvSD_
    .private_segment_fixed_size: 0
    .sgpr_count:     6
    .sgpr_spill_count: 0
    .symbol:         _ZN7rocprim17ROCPRIM_400000_NS6detail17trampoline_kernelINS0_14default_configENS1_22reduce_config_selectorIiEEZNS1_11reduce_implILb1ES3_PiS7_i9plus_mod3IiEEE10hipError_tPvRmT1_T2_T3_mT4_P12ihipStream_tbEUlT_E1_NS1_11comp_targetILNS1_3genE10ELNS1_11target_archE1200ELNS1_3gpuE4ELNS1_3repE0EEENS1_30default_config_static_selectorELNS0_4arch9wavefront6targetE1EEEvSD_.kd
    .uniform_work_group_size: 1
    .uses_dynamic_stack: false
    .vgpr_count:     0
    .vgpr_spill_count: 0
    .wavefront_size: 64
  - .agpr_count:     0
    .args:
      - .offset:         0
        .size:           48
        .value_kind:     by_value
    .group_segment_fixed_size: 0
    .kernarg_segment_align: 8
    .kernarg_segment_size: 48
    .language:       OpenCL C
    .language_version:
      - 2
      - 0
    .max_flat_workgroup_size: 256
    .name:           _ZN7rocprim17ROCPRIM_400000_NS6detail17trampoline_kernelINS0_14default_configENS1_22reduce_config_selectorIiEEZNS1_11reduce_implILb1ES3_PiS7_i9plus_mod3IiEEE10hipError_tPvRmT1_T2_T3_mT4_P12ihipStream_tbEUlT_E1_NS1_11comp_targetILNS1_3genE9ELNS1_11target_archE1100ELNS1_3gpuE3ELNS1_3repE0EEENS1_30default_config_static_selectorELNS0_4arch9wavefront6targetE1EEEvSD_
    .private_segment_fixed_size: 0
    .sgpr_count:     6
    .sgpr_spill_count: 0
    .symbol:         _ZN7rocprim17ROCPRIM_400000_NS6detail17trampoline_kernelINS0_14default_configENS1_22reduce_config_selectorIiEEZNS1_11reduce_implILb1ES3_PiS7_i9plus_mod3IiEEE10hipError_tPvRmT1_T2_T3_mT4_P12ihipStream_tbEUlT_E1_NS1_11comp_targetILNS1_3genE9ELNS1_11target_archE1100ELNS1_3gpuE3ELNS1_3repE0EEENS1_30default_config_static_selectorELNS0_4arch9wavefront6targetE1EEEvSD_.kd
    .uniform_work_group_size: 1
    .uses_dynamic_stack: false
    .vgpr_count:     0
    .vgpr_spill_count: 0
    .wavefront_size: 64
  - .agpr_count:     0
    .args:
      - .offset:         0
        .size:           48
        .value_kind:     by_value
    .group_segment_fixed_size: 0
    .kernarg_segment_align: 8
    .kernarg_segment_size: 48
    .language:       OpenCL C
    .language_version:
      - 2
      - 0
    .max_flat_workgroup_size: 256
    .name:           _ZN7rocprim17ROCPRIM_400000_NS6detail17trampoline_kernelINS0_14default_configENS1_22reduce_config_selectorIiEEZNS1_11reduce_implILb1ES3_PiS7_i9plus_mod3IiEEE10hipError_tPvRmT1_T2_T3_mT4_P12ihipStream_tbEUlT_E1_NS1_11comp_targetILNS1_3genE8ELNS1_11target_archE1030ELNS1_3gpuE2ELNS1_3repE0EEENS1_30default_config_static_selectorELNS0_4arch9wavefront6targetE1EEEvSD_
    .private_segment_fixed_size: 0
    .sgpr_count:     6
    .sgpr_spill_count: 0
    .symbol:         _ZN7rocprim17ROCPRIM_400000_NS6detail17trampoline_kernelINS0_14default_configENS1_22reduce_config_selectorIiEEZNS1_11reduce_implILb1ES3_PiS7_i9plus_mod3IiEEE10hipError_tPvRmT1_T2_T3_mT4_P12ihipStream_tbEUlT_E1_NS1_11comp_targetILNS1_3genE8ELNS1_11target_archE1030ELNS1_3gpuE2ELNS1_3repE0EEENS1_30default_config_static_selectorELNS0_4arch9wavefront6targetE1EEEvSD_.kd
    .uniform_work_group_size: 1
    .uses_dynamic_stack: false
    .vgpr_count:     0
    .vgpr_spill_count: 0
    .wavefront_size: 64
  - .agpr_count:     0
    .args:
      - .offset:         0
        .size:           64
        .value_kind:     by_value
    .group_segment_fixed_size: 32
    .kernarg_segment_align: 8
    .kernarg_segment_size: 64
    .language:       OpenCL C
    .language_version:
      - 2
      - 0
    .max_flat_workgroup_size: 256
    .name:           _ZN7rocprim17ROCPRIM_400000_NS6detail17trampoline_kernelINS0_14default_configENS1_22reduce_config_selectorIiEEZNS1_11reduce_implILb1ES3_N6thrust23THRUST_200600_302600_NS6detail15normal_iteratorINS8_10device_ptrIiEEEEPii9plus_mod3IiEEE10hipError_tPvRmT1_T2_T3_mT4_P12ihipStream_tbEUlT_E0_NS1_11comp_targetILNS1_3genE0ELNS1_11target_archE4294967295ELNS1_3gpuE0ELNS1_3repE0EEENS1_30default_config_static_selectorELNS0_4arch9wavefront6targetE1EEEvSK_
    .private_segment_fixed_size: 0
    .sgpr_count:     27
    .sgpr_spill_count: 0
    .symbol:         _ZN7rocprim17ROCPRIM_400000_NS6detail17trampoline_kernelINS0_14default_configENS1_22reduce_config_selectorIiEEZNS1_11reduce_implILb1ES3_N6thrust23THRUST_200600_302600_NS6detail15normal_iteratorINS8_10device_ptrIiEEEEPii9plus_mod3IiEEE10hipError_tPvRmT1_T2_T3_mT4_P12ihipStream_tbEUlT_E0_NS1_11comp_targetILNS1_3genE0ELNS1_11target_archE4294967295ELNS1_3gpuE0ELNS1_3repE0EEENS1_30default_config_static_selectorELNS0_4arch9wavefront6targetE1EEEvSK_.kd
    .uniform_work_group_size: 1
    .uses_dynamic_stack: false
    .vgpr_count:     12
    .vgpr_spill_count: 0
    .wavefront_size: 64
  - .agpr_count:     0
    .args:
      - .offset:         0
        .size:           64
        .value_kind:     by_value
    .group_segment_fixed_size: 0
    .kernarg_segment_align: 8
    .kernarg_segment_size: 64
    .language:       OpenCL C
    .language_version:
      - 2
      - 0
    .max_flat_workgroup_size: 256
    .name:           _ZN7rocprim17ROCPRIM_400000_NS6detail17trampoline_kernelINS0_14default_configENS1_22reduce_config_selectorIiEEZNS1_11reduce_implILb1ES3_N6thrust23THRUST_200600_302600_NS6detail15normal_iteratorINS8_10device_ptrIiEEEEPii9plus_mod3IiEEE10hipError_tPvRmT1_T2_T3_mT4_P12ihipStream_tbEUlT_E0_NS1_11comp_targetILNS1_3genE5ELNS1_11target_archE942ELNS1_3gpuE9ELNS1_3repE0EEENS1_30default_config_static_selectorELNS0_4arch9wavefront6targetE1EEEvSK_
    .private_segment_fixed_size: 0
    .sgpr_count:     6
    .sgpr_spill_count: 0
    .symbol:         _ZN7rocprim17ROCPRIM_400000_NS6detail17trampoline_kernelINS0_14default_configENS1_22reduce_config_selectorIiEEZNS1_11reduce_implILb1ES3_N6thrust23THRUST_200600_302600_NS6detail15normal_iteratorINS8_10device_ptrIiEEEEPii9plus_mod3IiEEE10hipError_tPvRmT1_T2_T3_mT4_P12ihipStream_tbEUlT_E0_NS1_11comp_targetILNS1_3genE5ELNS1_11target_archE942ELNS1_3gpuE9ELNS1_3repE0EEENS1_30default_config_static_selectorELNS0_4arch9wavefront6targetE1EEEvSK_.kd
    .uniform_work_group_size: 1
    .uses_dynamic_stack: false
    .vgpr_count:     0
    .vgpr_spill_count: 0
    .wavefront_size: 64
  - .agpr_count:     0
    .args:
      - .offset:         0
        .size:           64
        .value_kind:     by_value
    .group_segment_fixed_size: 0
    .kernarg_segment_align: 8
    .kernarg_segment_size: 64
    .language:       OpenCL C
    .language_version:
      - 2
      - 0
    .max_flat_workgroup_size: 128
    .name:           _ZN7rocprim17ROCPRIM_400000_NS6detail17trampoline_kernelINS0_14default_configENS1_22reduce_config_selectorIiEEZNS1_11reduce_implILb1ES3_N6thrust23THRUST_200600_302600_NS6detail15normal_iteratorINS8_10device_ptrIiEEEEPii9plus_mod3IiEEE10hipError_tPvRmT1_T2_T3_mT4_P12ihipStream_tbEUlT_E0_NS1_11comp_targetILNS1_3genE4ELNS1_11target_archE910ELNS1_3gpuE8ELNS1_3repE0EEENS1_30default_config_static_selectorELNS0_4arch9wavefront6targetE1EEEvSK_
    .private_segment_fixed_size: 0
    .sgpr_count:     6
    .sgpr_spill_count: 0
    .symbol:         _ZN7rocprim17ROCPRIM_400000_NS6detail17trampoline_kernelINS0_14default_configENS1_22reduce_config_selectorIiEEZNS1_11reduce_implILb1ES3_N6thrust23THRUST_200600_302600_NS6detail15normal_iteratorINS8_10device_ptrIiEEEEPii9plus_mod3IiEEE10hipError_tPvRmT1_T2_T3_mT4_P12ihipStream_tbEUlT_E0_NS1_11comp_targetILNS1_3genE4ELNS1_11target_archE910ELNS1_3gpuE8ELNS1_3repE0EEENS1_30default_config_static_selectorELNS0_4arch9wavefront6targetE1EEEvSK_.kd
    .uniform_work_group_size: 1
    .uses_dynamic_stack: false
    .vgpr_count:     0
    .vgpr_spill_count: 0
    .wavefront_size: 64
  - .agpr_count:     0
    .args:
      - .offset:         0
        .size:           64
        .value_kind:     by_value
    .group_segment_fixed_size: 0
    .kernarg_segment_align: 8
    .kernarg_segment_size: 64
    .language:       OpenCL C
    .language_version:
      - 2
      - 0
    .max_flat_workgroup_size: 256
    .name:           _ZN7rocprim17ROCPRIM_400000_NS6detail17trampoline_kernelINS0_14default_configENS1_22reduce_config_selectorIiEEZNS1_11reduce_implILb1ES3_N6thrust23THRUST_200600_302600_NS6detail15normal_iteratorINS8_10device_ptrIiEEEEPii9plus_mod3IiEEE10hipError_tPvRmT1_T2_T3_mT4_P12ihipStream_tbEUlT_E0_NS1_11comp_targetILNS1_3genE3ELNS1_11target_archE908ELNS1_3gpuE7ELNS1_3repE0EEENS1_30default_config_static_selectorELNS0_4arch9wavefront6targetE1EEEvSK_
    .private_segment_fixed_size: 0
    .sgpr_count:     6
    .sgpr_spill_count: 0
    .symbol:         _ZN7rocprim17ROCPRIM_400000_NS6detail17trampoline_kernelINS0_14default_configENS1_22reduce_config_selectorIiEEZNS1_11reduce_implILb1ES3_N6thrust23THRUST_200600_302600_NS6detail15normal_iteratorINS8_10device_ptrIiEEEEPii9plus_mod3IiEEE10hipError_tPvRmT1_T2_T3_mT4_P12ihipStream_tbEUlT_E0_NS1_11comp_targetILNS1_3genE3ELNS1_11target_archE908ELNS1_3gpuE7ELNS1_3repE0EEENS1_30default_config_static_selectorELNS0_4arch9wavefront6targetE1EEEvSK_.kd
    .uniform_work_group_size: 1
    .uses_dynamic_stack: false
    .vgpr_count:     0
    .vgpr_spill_count: 0
    .wavefront_size: 64
  - .agpr_count:     0
    .args:
      - .offset:         0
        .size:           64
        .value_kind:     by_value
    .group_segment_fixed_size: 0
    .kernarg_segment_align: 8
    .kernarg_segment_size: 64
    .language:       OpenCL C
    .language_version:
      - 2
      - 0
    .max_flat_workgroup_size: 256
    .name:           _ZN7rocprim17ROCPRIM_400000_NS6detail17trampoline_kernelINS0_14default_configENS1_22reduce_config_selectorIiEEZNS1_11reduce_implILb1ES3_N6thrust23THRUST_200600_302600_NS6detail15normal_iteratorINS8_10device_ptrIiEEEEPii9plus_mod3IiEEE10hipError_tPvRmT1_T2_T3_mT4_P12ihipStream_tbEUlT_E0_NS1_11comp_targetILNS1_3genE2ELNS1_11target_archE906ELNS1_3gpuE6ELNS1_3repE0EEENS1_30default_config_static_selectorELNS0_4arch9wavefront6targetE1EEEvSK_
    .private_segment_fixed_size: 0
    .sgpr_count:     6
    .sgpr_spill_count: 0
    .symbol:         _ZN7rocprim17ROCPRIM_400000_NS6detail17trampoline_kernelINS0_14default_configENS1_22reduce_config_selectorIiEEZNS1_11reduce_implILb1ES3_N6thrust23THRUST_200600_302600_NS6detail15normal_iteratorINS8_10device_ptrIiEEEEPii9plus_mod3IiEEE10hipError_tPvRmT1_T2_T3_mT4_P12ihipStream_tbEUlT_E0_NS1_11comp_targetILNS1_3genE2ELNS1_11target_archE906ELNS1_3gpuE6ELNS1_3repE0EEENS1_30default_config_static_selectorELNS0_4arch9wavefront6targetE1EEEvSK_.kd
    .uniform_work_group_size: 1
    .uses_dynamic_stack: false
    .vgpr_count:     0
    .vgpr_spill_count: 0
    .wavefront_size: 64
  - .agpr_count:     0
    .args:
      - .offset:         0
        .size:           64
        .value_kind:     by_value
    .group_segment_fixed_size: 0
    .kernarg_segment_align: 8
    .kernarg_segment_size: 64
    .language:       OpenCL C
    .language_version:
      - 2
      - 0
    .max_flat_workgroup_size: 256
    .name:           _ZN7rocprim17ROCPRIM_400000_NS6detail17trampoline_kernelINS0_14default_configENS1_22reduce_config_selectorIiEEZNS1_11reduce_implILb1ES3_N6thrust23THRUST_200600_302600_NS6detail15normal_iteratorINS8_10device_ptrIiEEEEPii9plus_mod3IiEEE10hipError_tPvRmT1_T2_T3_mT4_P12ihipStream_tbEUlT_E0_NS1_11comp_targetILNS1_3genE10ELNS1_11target_archE1201ELNS1_3gpuE5ELNS1_3repE0EEENS1_30default_config_static_selectorELNS0_4arch9wavefront6targetE1EEEvSK_
    .private_segment_fixed_size: 0
    .sgpr_count:     6
    .sgpr_spill_count: 0
    .symbol:         _ZN7rocprim17ROCPRIM_400000_NS6detail17trampoline_kernelINS0_14default_configENS1_22reduce_config_selectorIiEEZNS1_11reduce_implILb1ES3_N6thrust23THRUST_200600_302600_NS6detail15normal_iteratorINS8_10device_ptrIiEEEEPii9plus_mod3IiEEE10hipError_tPvRmT1_T2_T3_mT4_P12ihipStream_tbEUlT_E0_NS1_11comp_targetILNS1_3genE10ELNS1_11target_archE1201ELNS1_3gpuE5ELNS1_3repE0EEENS1_30default_config_static_selectorELNS0_4arch9wavefront6targetE1EEEvSK_.kd
    .uniform_work_group_size: 1
    .uses_dynamic_stack: false
    .vgpr_count:     0
    .vgpr_spill_count: 0
    .wavefront_size: 64
  - .agpr_count:     0
    .args:
      - .offset:         0
        .size:           64
        .value_kind:     by_value
    .group_segment_fixed_size: 0
    .kernarg_segment_align: 8
    .kernarg_segment_size: 64
    .language:       OpenCL C
    .language_version:
      - 2
      - 0
    .max_flat_workgroup_size: 256
    .name:           _ZN7rocprim17ROCPRIM_400000_NS6detail17trampoline_kernelINS0_14default_configENS1_22reduce_config_selectorIiEEZNS1_11reduce_implILb1ES3_N6thrust23THRUST_200600_302600_NS6detail15normal_iteratorINS8_10device_ptrIiEEEEPii9plus_mod3IiEEE10hipError_tPvRmT1_T2_T3_mT4_P12ihipStream_tbEUlT_E0_NS1_11comp_targetILNS1_3genE10ELNS1_11target_archE1200ELNS1_3gpuE4ELNS1_3repE0EEENS1_30default_config_static_selectorELNS0_4arch9wavefront6targetE1EEEvSK_
    .private_segment_fixed_size: 0
    .sgpr_count:     6
    .sgpr_spill_count: 0
    .symbol:         _ZN7rocprim17ROCPRIM_400000_NS6detail17trampoline_kernelINS0_14default_configENS1_22reduce_config_selectorIiEEZNS1_11reduce_implILb1ES3_N6thrust23THRUST_200600_302600_NS6detail15normal_iteratorINS8_10device_ptrIiEEEEPii9plus_mod3IiEEE10hipError_tPvRmT1_T2_T3_mT4_P12ihipStream_tbEUlT_E0_NS1_11comp_targetILNS1_3genE10ELNS1_11target_archE1200ELNS1_3gpuE4ELNS1_3repE0EEENS1_30default_config_static_selectorELNS0_4arch9wavefront6targetE1EEEvSK_.kd
    .uniform_work_group_size: 1
    .uses_dynamic_stack: false
    .vgpr_count:     0
    .vgpr_spill_count: 0
    .wavefront_size: 64
  - .agpr_count:     0
    .args:
      - .offset:         0
        .size:           64
        .value_kind:     by_value
    .group_segment_fixed_size: 0
    .kernarg_segment_align: 8
    .kernarg_segment_size: 64
    .language:       OpenCL C
    .language_version:
      - 2
      - 0
    .max_flat_workgroup_size: 256
    .name:           _ZN7rocprim17ROCPRIM_400000_NS6detail17trampoline_kernelINS0_14default_configENS1_22reduce_config_selectorIiEEZNS1_11reduce_implILb1ES3_N6thrust23THRUST_200600_302600_NS6detail15normal_iteratorINS8_10device_ptrIiEEEEPii9plus_mod3IiEEE10hipError_tPvRmT1_T2_T3_mT4_P12ihipStream_tbEUlT_E0_NS1_11comp_targetILNS1_3genE9ELNS1_11target_archE1100ELNS1_3gpuE3ELNS1_3repE0EEENS1_30default_config_static_selectorELNS0_4arch9wavefront6targetE1EEEvSK_
    .private_segment_fixed_size: 0
    .sgpr_count:     6
    .sgpr_spill_count: 0
    .symbol:         _ZN7rocprim17ROCPRIM_400000_NS6detail17trampoline_kernelINS0_14default_configENS1_22reduce_config_selectorIiEEZNS1_11reduce_implILb1ES3_N6thrust23THRUST_200600_302600_NS6detail15normal_iteratorINS8_10device_ptrIiEEEEPii9plus_mod3IiEEE10hipError_tPvRmT1_T2_T3_mT4_P12ihipStream_tbEUlT_E0_NS1_11comp_targetILNS1_3genE9ELNS1_11target_archE1100ELNS1_3gpuE3ELNS1_3repE0EEENS1_30default_config_static_selectorELNS0_4arch9wavefront6targetE1EEEvSK_.kd
    .uniform_work_group_size: 1
    .uses_dynamic_stack: false
    .vgpr_count:     0
    .vgpr_spill_count: 0
    .wavefront_size: 64
  - .agpr_count:     0
    .args:
      - .offset:         0
        .size:           64
        .value_kind:     by_value
    .group_segment_fixed_size: 0
    .kernarg_segment_align: 8
    .kernarg_segment_size: 64
    .language:       OpenCL C
    .language_version:
      - 2
      - 0
    .max_flat_workgroup_size: 256
    .name:           _ZN7rocprim17ROCPRIM_400000_NS6detail17trampoline_kernelINS0_14default_configENS1_22reduce_config_selectorIiEEZNS1_11reduce_implILb1ES3_N6thrust23THRUST_200600_302600_NS6detail15normal_iteratorINS8_10device_ptrIiEEEEPii9plus_mod3IiEEE10hipError_tPvRmT1_T2_T3_mT4_P12ihipStream_tbEUlT_E0_NS1_11comp_targetILNS1_3genE8ELNS1_11target_archE1030ELNS1_3gpuE2ELNS1_3repE0EEENS1_30default_config_static_selectorELNS0_4arch9wavefront6targetE1EEEvSK_
    .private_segment_fixed_size: 0
    .sgpr_count:     6
    .sgpr_spill_count: 0
    .symbol:         _ZN7rocprim17ROCPRIM_400000_NS6detail17trampoline_kernelINS0_14default_configENS1_22reduce_config_selectorIiEEZNS1_11reduce_implILb1ES3_N6thrust23THRUST_200600_302600_NS6detail15normal_iteratorINS8_10device_ptrIiEEEEPii9plus_mod3IiEEE10hipError_tPvRmT1_T2_T3_mT4_P12ihipStream_tbEUlT_E0_NS1_11comp_targetILNS1_3genE8ELNS1_11target_archE1030ELNS1_3gpuE2ELNS1_3repE0EEENS1_30default_config_static_selectorELNS0_4arch9wavefront6targetE1EEEvSK_.kd
    .uniform_work_group_size: 1
    .uses_dynamic_stack: false
    .vgpr_count:     0
    .vgpr_spill_count: 0
    .wavefront_size: 64
  - .agpr_count:     0
    .args:
      - .offset:         0
        .size:           48
        .value_kind:     by_value
    .group_segment_fixed_size: 112
    .kernarg_segment_align: 8
    .kernarg_segment_size: 48
    .language:       OpenCL C
    .language_version:
      - 2
      - 0
    .max_flat_workgroup_size: 256
    .name:           _ZN7rocprim17ROCPRIM_400000_NS6detail17trampoline_kernelINS0_14default_configENS1_22reduce_config_selectorIiEEZNS1_11reduce_implILb1ES3_N6thrust23THRUST_200600_302600_NS6detail15normal_iteratorINS8_10device_ptrIiEEEEPii9plus_mod3IiEEE10hipError_tPvRmT1_T2_T3_mT4_P12ihipStream_tbEUlT_E1_NS1_11comp_targetILNS1_3genE0ELNS1_11target_archE4294967295ELNS1_3gpuE0ELNS1_3repE0EEENS1_30default_config_static_selectorELNS0_4arch9wavefront6targetE1EEEvSK_
    .private_segment_fixed_size: 0
    .sgpr_count:     88
    .sgpr_spill_count: 0
    .symbol:         _ZN7rocprim17ROCPRIM_400000_NS6detail17trampoline_kernelINS0_14default_configENS1_22reduce_config_selectorIiEEZNS1_11reduce_implILb1ES3_N6thrust23THRUST_200600_302600_NS6detail15normal_iteratorINS8_10device_ptrIiEEEEPii9plus_mod3IiEEE10hipError_tPvRmT1_T2_T3_mT4_P12ihipStream_tbEUlT_E1_NS1_11comp_targetILNS1_3genE0ELNS1_11target_archE4294967295ELNS1_3gpuE0ELNS1_3repE0EEENS1_30default_config_static_selectorELNS0_4arch9wavefront6targetE1EEEvSK_.kd
    .uniform_work_group_size: 1
    .uses_dynamic_stack: false
    .vgpr_count:     36
    .vgpr_spill_count: 0
    .wavefront_size: 64
  - .agpr_count:     0
    .args:
      - .offset:         0
        .size:           48
        .value_kind:     by_value
    .group_segment_fixed_size: 0
    .kernarg_segment_align: 8
    .kernarg_segment_size: 48
    .language:       OpenCL C
    .language_version:
      - 2
      - 0
    .max_flat_workgroup_size: 256
    .name:           _ZN7rocprim17ROCPRIM_400000_NS6detail17trampoline_kernelINS0_14default_configENS1_22reduce_config_selectorIiEEZNS1_11reduce_implILb1ES3_N6thrust23THRUST_200600_302600_NS6detail15normal_iteratorINS8_10device_ptrIiEEEEPii9plus_mod3IiEEE10hipError_tPvRmT1_T2_T3_mT4_P12ihipStream_tbEUlT_E1_NS1_11comp_targetILNS1_3genE5ELNS1_11target_archE942ELNS1_3gpuE9ELNS1_3repE0EEENS1_30default_config_static_selectorELNS0_4arch9wavefront6targetE1EEEvSK_
    .private_segment_fixed_size: 0
    .sgpr_count:     6
    .sgpr_spill_count: 0
    .symbol:         _ZN7rocprim17ROCPRIM_400000_NS6detail17trampoline_kernelINS0_14default_configENS1_22reduce_config_selectorIiEEZNS1_11reduce_implILb1ES3_N6thrust23THRUST_200600_302600_NS6detail15normal_iteratorINS8_10device_ptrIiEEEEPii9plus_mod3IiEEE10hipError_tPvRmT1_T2_T3_mT4_P12ihipStream_tbEUlT_E1_NS1_11comp_targetILNS1_3genE5ELNS1_11target_archE942ELNS1_3gpuE9ELNS1_3repE0EEENS1_30default_config_static_selectorELNS0_4arch9wavefront6targetE1EEEvSK_.kd
    .uniform_work_group_size: 1
    .uses_dynamic_stack: false
    .vgpr_count:     0
    .vgpr_spill_count: 0
    .wavefront_size: 64
  - .agpr_count:     0
    .args:
      - .offset:         0
        .size:           48
        .value_kind:     by_value
    .group_segment_fixed_size: 0
    .kernarg_segment_align: 8
    .kernarg_segment_size: 48
    .language:       OpenCL C
    .language_version:
      - 2
      - 0
    .max_flat_workgroup_size: 128
    .name:           _ZN7rocprim17ROCPRIM_400000_NS6detail17trampoline_kernelINS0_14default_configENS1_22reduce_config_selectorIiEEZNS1_11reduce_implILb1ES3_N6thrust23THRUST_200600_302600_NS6detail15normal_iteratorINS8_10device_ptrIiEEEEPii9plus_mod3IiEEE10hipError_tPvRmT1_T2_T3_mT4_P12ihipStream_tbEUlT_E1_NS1_11comp_targetILNS1_3genE4ELNS1_11target_archE910ELNS1_3gpuE8ELNS1_3repE0EEENS1_30default_config_static_selectorELNS0_4arch9wavefront6targetE1EEEvSK_
    .private_segment_fixed_size: 0
    .sgpr_count:     6
    .sgpr_spill_count: 0
    .symbol:         _ZN7rocprim17ROCPRIM_400000_NS6detail17trampoline_kernelINS0_14default_configENS1_22reduce_config_selectorIiEEZNS1_11reduce_implILb1ES3_N6thrust23THRUST_200600_302600_NS6detail15normal_iteratorINS8_10device_ptrIiEEEEPii9plus_mod3IiEEE10hipError_tPvRmT1_T2_T3_mT4_P12ihipStream_tbEUlT_E1_NS1_11comp_targetILNS1_3genE4ELNS1_11target_archE910ELNS1_3gpuE8ELNS1_3repE0EEENS1_30default_config_static_selectorELNS0_4arch9wavefront6targetE1EEEvSK_.kd
    .uniform_work_group_size: 1
    .uses_dynamic_stack: false
    .vgpr_count:     0
    .vgpr_spill_count: 0
    .wavefront_size: 64
  - .agpr_count:     0
    .args:
      - .offset:         0
        .size:           48
        .value_kind:     by_value
    .group_segment_fixed_size: 0
    .kernarg_segment_align: 8
    .kernarg_segment_size: 48
    .language:       OpenCL C
    .language_version:
      - 2
      - 0
    .max_flat_workgroup_size: 256
    .name:           _ZN7rocprim17ROCPRIM_400000_NS6detail17trampoline_kernelINS0_14default_configENS1_22reduce_config_selectorIiEEZNS1_11reduce_implILb1ES3_N6thrust23THRUST_200600_302600_NS6detail15normal_iteratorINS8_10device_ptrIiEEEEPii9plus_mod3IiEEE10hipError_tPvRmT1_T2_T3_mT4_P12ihipStream_tbEUlT_E1_NS1_11comp_targetILNS1_3genE3ELNS1_11target_archE908ELNS1_3gpuE7ELNS1_3repE0EEENS1_30default_config_static_selectorELNS0_4arch9wavefront6targetE1EEEvSK_
    .private_segment_fixed_size: 0
    .sgpr_count:     6
    .sgpr_spill_count: 0
    .symbol:         _ZN7rocprim17ROCPRIM_400000_NS6detail17trampoline_kernelINS0_14default_configENS1_22reduce_config_selectorIiEEZNS1_11reduce_implILb1ES3_N6thrust23THRUST_200600_302600_NS6detail15normal_iteratorINS8_10device_ptrIiEEEEPii9plus_mod3IiEEE10hipError_tPvRmT1_T2_T3_mT4_P12ihipStream_tbEUlT_E1_NS1_11comp_targetILNS1_3genE3ELNS1_11target_archE908ELNS1_3gpuE7ELNS1_3repE0EEENS1_30default_config_static_selectorELNS0_4arch9wavefront6targetE1EEEvSK_.kd
    .uniform_work_group_size: 1
    .uses_dynamic_stack: false
    .vgpr_count:     0
    .vgpr_spill_count: 0
    .wavefront_size: 64
  - .agpr_count:     0
    .args:
      - .offset:         0
        .size:           48
        .value_kind:     by_value
    .group_segment_fixed_size: 0
    .kernarg_segment_align: 8
    .kernarg_segment_size: 48
    .language:       OpenCL C
    .language_version:
      - 2
      - 0
    .max_flat_workgroup_size: 256
    .name:           _ZN7rocprim17ROCPRIM_400000_NS6detail17trampoline_kernelINS0_14default_configENS1_22reduce_config_selectorIiEEZNS1_11reduce_implILb1ES3_N6thrust23THRUST_200600_302600_NS6detail15normal_iteratorINS8_10device_ptrIiEEEEPii9plus_mod3IiEEE10hipError_tPvRmT1_T2_T3_mT4_P12ihipStream_tbEUlT_E1_NS1_11comp_targetILNS1_3genE2ELNS1_11target_archE906ELNS1_3gpuE6ELNS1_3repE0EEENS1_30default_config_static_selectorELNS0_4arch9wavefront6targetE1EEEvSK_
    .private_segment_fixed_size: 0
    .sgpr_count:     6
    .sgpr_spill_count: 0
    .symbol:         _ZN7rocprim17ROCPRIM_400000_NS6detail17trampoline_kernelINS0_14default_configENS1_22reduce_config_selectorIiEEZNS1_11reduce_implILb1ES3_N6thrust23THRUST_200600_302600_NS6detail15normal_iteratorINS8_10device_ptrIiEEEEPii9plus_mod3IiEEE10hipError_tPvRmT1_T2_T3_mT4_P12ihipStream_tbEUlT_E1_NS1_11comp_targetILNS1_3genE2ELNS1_11target_archE906ELNS1_3gpuE6ELNS1_3repE0EEENS1_30default_config_static_selectorELNS0_4arch9wavefront6targetE1EEEvSK_.kd
    .uniform_work_group_size: 1
    .uses_dynamic_stack: false
    .vgpr_count:     0
    .vgpr_spill_count: 0
    .wavefront_size: 64
  - .agpr_count:     0
    .args:
      - .offset:         0
        .size:           48
        .value_kind:     by_value
    .group_segment_fixed_size: 0
    .kernarg_segment_align: 8
    .kernarg_segment_size: 48
    .language:       OpenCL C
    .language_version:
      - 2
      - 0
    .max_flat_workgroup_size: 256
    .name:           _ZN7rocprim17ROCPRIM_400000_NS6detail17trampoline_kernelINS0_14default_configENS1_22reduce_config_selectorIiEEZNS1_11reduce_implILb1ES3_N6thrust23THRUST_200600_302600_NS6detail15normal_iteratorINS8_10device_ptrIiEEEEPii9plus_mod3IiEEE10hipError_tPvRmT1_T2_T3_mT4_P12ihipStream_tbEUlT_E1_NS1_11comp_targetILNS1_3genE10ELNS1_11target_archE1201ELNS1_3gpuE5ELNS1_3repE0EEENS1_30default_config_static_selectorELNS0_4arch9wavefront6targetE1EEEvSK_
    .private_segment_fixed_size: 0
    .sgpr_count:     6
    .sgpr_spill_count: 0
    .symbol:         _ZN7rocprim17ROCPRIM_400000_NS6detail17trampoline_kernelINS0_14default_configENS1_22reduce_config_selectorIiEEZNS1_11reduce_implILb1ES3_N6thrust23THRUST_200600_302600_NS6detail15normal_iteratorINS8_10device_ptrIiEEEEPii9plus_mod3IiEEE10hipError_tPvRmT1_T2_T3_mT4_P12ihipStream_tbEUlT_E1_NS1_11comp_targetILNS1_3genE10ELNS1_11target_archE1201ELNS1_3gpuE5ELNS1_3repE0EEENS1_30default_config_static_selectorELNS0_4arch9wavefront6targetE1EEEvSK_.kd
    .uniform_work_group_size: 1
    .uses_dynamic_stack: false
    .vgpr_count:     0
    .vgpr_spill_count: 0
    .wavefront_size: 64
  - .agpr_count:     0
    .args:
      - .offset:         0
        .size:           48
        .value_kind:     by_value
    .group_segment_fixed_size: 0
    .kernarg_segment_align: 8
    .kernarg_segment_size: 48
    .language:       OpenCL C
    .language_version:
      - 2
      - 0
    .max_flat_workgroup_size: 256
    .name:           _ZN7rocprim17ROCPRIM_400000_NS6detail17trampoline_kernelINS0_14default_configENS1_22reduce_config_selectorIiEEZNS1_11reduce_implILb1ES3_N6thrust23THRUST_200600_302600_NS6detail15normal_iteratorINS8_10device_ptrIiEEEEPii9plus_mod3IiEEE10hipError_tPvRmT1_T2_T3_mT4_P12ihipStream_tbEUlT_E1_NS1_11comp_targetILNS1_3genE10ELNS1_11target_archE1200ELNS1_3gpuE4ELNS1_3repE0EEENS1_30default_config_static_selectorELNS0_4arch9wavefront6targetE1EEEvSK_
    .private_segment_fixed_size: 0
    .sgpr_count:     6
    .sgpr_spill_count: 0
    .symbol:         _ZN7rocprim17ROCPRIM_400000_NS6detail17trampoline_kernelINS0_14default_configENS1_22reduce_config_selectorIiEEZNS1_11reduce_implILb1ES3_N6thrust23THRUST_200600_302600_NS6detail15normal_iteratorINS8_10device_ptrIiEEEEPii9plus_mod3IiEEE10hipError_tPvRmT1_T2_T3_mT4_P12ihipStream_tbEUlT_E1_NS1_11comp_targetILNS1_3genE10ELNS1_11target_archE1200ELNS1_3gpuE4ELNS1_3repE0EEENS1_30default_config_static_selectorELNS0_4arch9wavefront6targetE1EEEvSK_.kd
    .uniform_work_group_size: 1
    .uses_dynamic_stack: false
    .vgpr_count:     0
    .vgpr_spill_count: 0
    .wavefront_size: 64
  - .agpr_count:     0
    .args:
      - .offset:         0
        .size:           48
        .value_kind:     by_value
    .group_segment_fixed_size: 0
    .kernarg_segment_align: 8
    .kernarg_segment_size: 48
    .language:       OpenCL C
    .language_version:
      - 2
      - 0
    .max_flat_workgroup_size: 256
    .name:           _ZN7rocprim17ROCPRIM_400000_NS6detail17trampoline_kernelINS0_14default_configENS1_22reduce_config_selectorIiEEZNS1_11reduce_implILb1ES3_N6thrust23THRUST_200600_302600_NS6detail15normal_iteratorINS8_10device_ptrIiEEEEPii9plus_mod3IiEEE10hipError_tPvRmT1_T2_T3_mT4_P12ihipStream_tbEUlT_E1_NS1_11comp_targetILNS1_3genE9ELNS1_11target_archE1100ELNS1_3gpuE3ELNS1_3repE0EEENS1_30default_config_static_selectorELNS0_4arch9wavefront6targetE1EEEvSK_
    .private_segment_fixed_size: 0
    .sgpr_count:     6
    .sgpr_spill_count: 0
    .symbol:         _ZN7rocprim17ROCPRIM_400000_NS6detail17trampoline_kernelINS0_14default_configENS1_22reduce_config_selectorIiEEZNS1_11reduce_implILb1ES3_N6thrust23THRUST_200600_302600_NS6detail15normal_iteratorINS8_10device_ptrIiEEEEPii9plus_mod3IiEEE10hipError_tPvRmT1_T2_T3_mT4_P12ihipStream_tbEUlT_E1_NS1_11comp_targetILNS1_3genE9ELNS1_11target_archE1100ELNS1_3gpuE3ELNS1_3repE0EEENS1_30default_config_static_selectorELNS0_4arch9wavefront6targetE1EEEvSK_.kd
    .uniform_work_group_size: 1
    .uses_dynamic_stack: false
    .vgpr_count:     0
    .vgpr_spill_count: 0
    .wavefront_size: 64
  - .agpr_count:     0
    .args:
      - .offset:         0
        .size:           48
        .value_kind:     by_value
    .group_segment_fixed_size: 0
    .kernarg_segment_align: 8
    .kernarg_segment_size: 48
    .language:       OpenCL C
    .language_version:
      - 2
      - 0
    .max_flat_workgroup_size: 256
    .name:           _ZN7rocprim17ROCPRIM_400000_NS6detail17trampoline_kernelINS0_14default_configENS1_22reduce_config_selectorIiEEZNS1_11reduce_implILb1ES3_N6thrust23THRUST_200600_302600_NS6detail15normal_iteratorINS8_10device_ptrIiEEEEPii9plus_mod3IiEEE10hipError_tPvRmT1_T2_T3_mT4_P12ihipStream_tbEUlT_E1_NS1_11comp_targetILNS1_3genE8ELNS1_11target_archE1030ELNS1_3gpuE2ELNS1_3repE0EEENS1_30default_config_static_selectorELNS0_4arch9wavefront6targetE1EEEvSK_
    .private_segment_fixed_size: 0
    .sgpr_count:     6
    .sgpr_spill_count: 0
    .symbol:         _ZN7rocprim17ROCPRIM_400000_NS6detail17trampoline_kernelINS0_14default_configENS1_22reduce_config_selectorIiEEZNS1_11reduce_implILb1ES3_N6thrust23THRUST_200600_302600_NS6detail15normal_iteratorINS8_10device_ptrIiEEEEPii9plus_mod3IiEEE10hipError_tPvRmT1_T2_T3_mT4_P12ihipStream_tbEUlT_E1_NS1_11comp_targetILNS1_3genE8ELNS1_11target_archE1030ELNS1_3gpuE2ELNS1_3repE0EEENS1_30default_config_static_selectorELNS0_4arch9wavefront6targetE1EEEvSK_.kd
    .uniform_work_group_size: 1
    .uses_dynamic_stack: false
    .vgpr_count:     0
    .vgpr_spill_count: 0
    .wavefront_size: 64
  - .agpr_count:     0
    .args:
      - .offset:         0
        .size:           64
        .value_kind:     by_value
    .group_segment_fixed_size: 8
    .kernarg_segment_align: 8
    .kernarg_segment_size: 64
    .language:       OpenCL C
    .language_version:
      - 2
      - 0
    .max_flat_workgroup_size: 128
    .name:           _ZN7rocprim17ROCPRIM_400000_NS6detail17trampoline_kernelINS0_14default_configENS1_22reduce_config_selectorIsEEZNS1_11reduce_implILb1ES3_PsS7_s9plus_mod3IsEEE10hipError_tPvRmT1_T2_T3_mT4_P12ihipStream_tbEUlT_E0_NS1_11comp_targetILNS1_3genE0ELNS1_11target_archE4294967295ELNS1_3gpuE0ELNS1_3repE0EEENS1_30default_config_static_selectorELNS0_4arch9wavefront6targetE1EEEvSD_
    .private_segment_fixed_size: 0
    .sgpr_count:     36
    .sgpr_spill_count: 0
    .symbol:         _ZN7rocprim17ROCPRIM_400000_NS6detail17trampoline_kernelINS0_14default_configENS1_22reduce_config_selectorIsEEZNS1_11reduce_implILb1ES3_PsS7_s9plus_mod3IsEEE10hipError_tPvRmT1_T2_T3_mT4_P12ihipStream_tbEUlT_E0_NS1_11comp_targetILNS1_3genE0ELNS1_11target_archE4294967295ELNS1_3gpuE0ELNS1_3repE0EEENS1_30default_config_static_selectorELNS0_4arch9wavefront6targetE1EEEvSD_.kd
    .uniform_work_group_size: 1
    .uses_dynamic_stack: false
    .vgpr_count:     13
    .vgpr_spill_count: 0
    .wavefront_size: 64
  - .agpr_count:     0
    .args:
      - .offset:         0
        .size:           64
        .value_kind:     by_value
    .group_segment_fixed_size: 0
    .kernarg_segment_align: 8
    .kernarg_segment_size: 64
    .language:       OpenCL C
    .language_version:
      - 2
      - 0
    .max_flat_workgroup_size: 256
    .name:           _ZN7rocprim17ROCPRIM_400000_NS6detail17trampoline_kernelINS0_14default_configENS1_22reduce_config_selectorIsEEZNS1_11reduce_implILb1ES3_PsS7_s9plus_mod3IsEEE10hipError_tPvRmT1_T2_T3_mT4_P12ihipStream_tbEUlT_E0_NS1_11comp_targetILNS1_3genE5ELNS1_11target_archE942ELNS1_3gpuE9ELNS1_3repE0EEENS1_30default_config_static_selectorELNS0_4arch9wavefront6targetE1EEEvSD_
    .private_segment_fixed_size: 0
    .sgpr_count:     6
    .sgpr_spill_count: 0
    .symbol:         _ZN7rocprim17ROCPRIM_400000_NS6detail17trampoline_kernelINS0_14default_configENS1_22reduce_config_selectorIsEEZNS1_11reduce_implILb1ES3_PsS7_s9plus_mod3IsEEE10hipError_tPvRmT1_T2_T3_mT4_P12ihipStream_tbEUlT_E0_NS1_11comp_targetILNS1_3genE5ELNS1_11target_archE942ELNS1_3gpuE9ELNS1_3repE0EEENS1_30default_config_static_selectorELNS0_4arch9wavefront6targetE1EEEvSD_.kd
    .uniform_work_group_size: 1
    .uses_dynamic_stack: false
    .vgpr_count:     0
    .vgpr_spill_count: 0
    .wavefront_size: 64
  - .agpr_count:     0
    .args:
      - .offset:         0
        .size:           64
        .value_kind:     by_value
    .group_segment_fixed_size: 0
    .kernarg_segment_align: 8
    .kernarg_segment_size: 64
    .language:       OpenCL C
    .language_version:
      - 2
      - 0
    .max_flat_workgroup_size: 64
    .name:           _ZN7rocprim17ROCPRIM_400000_NS6detail17trampoline_kernelINS0_14default_configENS1_22reduce_config_selectorIsEEZNS1_11reduce_implILb1ES3_PsS7_s9plus_mod3IsEEE10hipError_tPvRmT1_T2_T3_mT4_P12ihipStream_tbEUlT_E0_NS1_11comp_targetILNS1_3genE4ELNS1_11target_archE910ELNS1_3gpuE8ELNS1_3repE0EEENS1_30default_config_static_selectorELNS0_4arch9wavefront6targetE1EEEvSD_
    .private_segment_fixed_size: 0
    .sgpr_count:     6
    .sgpr_spill_count: 0
    .symbol:         _ZN7rocprim17ROCPRIM_400000_NS6detail17trampoline_kernelINS0_14default_configENS1_22reduce_config_selectorIsEEZNS1_11reduce_implILb1ES3_PsS7_s9plus_mod3IsEEE10hipError_tPvRmT1_T2_T3_mT4_P12ihipStream_tbEUlT_E0_NS1_11comp_targetILNS1_3genE4ELNS1_11target_archE910ELNS1_3gpuE8ELNS1_3repE0EEENS1_30default_config_static_selectorELNS0_4arch9wavefront6targetE1EEEvSD_.kd
    .uniform_work_group_size: 1
    .uses_dynamic_stack: false
    .vgpr_count:     0
    .vgpr_spill_count: 0
    .wavefront_size: 64
  - .agpr_count:     0
    .args:
      - .offset:         0
        .size:           64
        .value_kind:     by_value
    .group_segment_fixed_size: 0
    .kernarg_segment_align: 8
    .kernarg_segment_size: 64
    .language:       OpenCL C
    .language_version:
      - 2
      - 0
    .max_flat_workgroup_size: 128
    .name:           _ZN7rocprim17ROCPRIM_400000_NS6detail17trampoline_kernelINS0_14default_configENS1_22reduce_config_selectorIsEEZNS1_11reduce_implILb1ES3_PsS7_s9plus_mod3IsEEE10hipError_tPvRmT1_T2_T3_mT4_P12ihipStream_tbEUlT_E0_NS1_11comp_targetILNS1_3genE3ELNS1_11target_archE908ELNS1_3gpuE7ELNS1_3repE0EEENS1_30default_config_static_selectorELNS0_4arch9wavefront6targetE1EEEvSD_
    .private_segment_fixed_size: 0
    .sgpr_count:     6
    .sgpr_spill_count: 0
    .symbol:         _ZN7rocprim17ROCPRIM_400000_NS6detail17trampoline_kernelINS0_14default_configENS1_22reduce_config_selectorIsEEZNS1_11reduce_implILb1ES3_PsS7_s9plus_mod3IsEEE10hipError_tPvRmT1_T2_T3_mT4_P12ihipStream_tbEUlT_E0_NS1_11comp_targetILNS1_3genE3ELNS1_11target_archE908ELNS1_3gpuE7ELNS1_3repE0EEENS1_30default_config_static_selectorELNS0_4arch9wavefront6targetE1EEEvSD_.kd
    .uniform_work_group_size: 1
    .uses_dynamic_stack: false
    .vgpr_count:     0
    .vgpr_spill_count: 0
    .wavefront_size: 64
  - .agpr_count:     0
    .args:
      - .offset:         0
        .size:           64
        .value_kind:     by_value
    .group_segment_fixed_size: 0
    .kernarg_segment_align: 8
    .kernarg_segment_size: 64
    .language:       OpenCL C
    .language_version:
      - 2
      - 0
    .max_flat_workgroup_size: 256
    .name:           _ZN7rocprim17ROCPRIM_400000_NS6detail17trampoline_kernelINS0_14default_configENS1_22reduce_config_selectorIsEEZNS1_11reduce_implILb1ES3_PsS7_s9plus_mod3IsEEE10hipError_tPvRmT1_T2_T3_mT4_P12ihipStream_tbEUlT_E0_NS1_11comp_targetILNS1_3genE2ELNS1_11target_archE906ELNS1_3gpuE6ELNS1_3repE0EEENS1_30default_config_static_selectorELNS0_4arch9wavefront6targetE1EEEvSD_
    .private_segment_fixed_size: 0
    .sgpr_count:     6
    .sgpr_spill_count: 0
    .symbol:         _ZN7rocprim17ROCPRIM_400000_NS6detail17trampoline_kernelINS0_14default_configENS1_22reduce_config_selectorIsEEZNS1_11reduce_implILb1ES3_PsS7_s9plus_mod3IsEEE10hipError_tPvRmT1_T2_T3_mT4_P12ihipStream_tbEUlT_E0_NS1_11comp_targetILNS1_3genE2ELNS1_11target_archE906ELNS1_3gpuE6ELNS1_3repE0EEENS1_30default_config_static_selectorELNS0_4arch9wavefront6targetE1EEEvSD_.kd
    .uniform_work_group_size: 1
    .uses_dynamic_stack: false
    .vgpr_count:     0
    .vgpr_spill_count: 0
    .wavefront_size: 64
  - .agpr_count:     0
    .args:
      - .offset:         0
        .size:           64
        .value_kind:     by_value
    .group_segment_fixed_size: 0
    .kernarg_segment_align: 8
    .kernarg_segment_size: 64
    .language:       OpenCL C
    .language_version:
      - 2
      - 0
    .max_flat_workgroup_size: 256
    .name:           _ZN7rocprim17ROCPRIM_400000_NS6detail17trampoline_kernelINS0_14default_configENS1_22reduce_config_selectorIsEEZNS1_11reduce_implILb1ES3_PsS7_s9plus_mod3IsEEE10hipError_tPvRmT1_T2_T3_mT4_P12ihipStream_tbEUlT_E0_NS1_11comp_targetILNS1_3genE10ELNS1_11target_archE1201ELNS1_3gpuE5ELNS1_3repE0EEENS1_30default_config_static_selectorELNS0_4arch9wavefront6targetE1EEEvSD_
    .private_segment_fixed_size: 0
    .sgpr_count:     6
    .sgpr_spill_count: 0
    .symbol:         _ZN7rocprim17ROCPRIM_400000_NS6detail17trampoline_kernelINS0_14default_configENS1_22reduce_config_selectorIsEEZNS1_11reduce_implILb1ES3_PsS7_s9plus_mod3IsEEE10hipError_tPvRmT1_T2_T3_mT4_P12ihipStream_tbEUlT_E0_NS1_11comp_targetILNS1_3genE10ELNS1_11target_archE1201ELNS1_3gpuE5ELNS1_3repE0EEENS1_30default_config_static_selectorELNS0_4arch9wavefront6targetE1EEEvSD_.kd
    .uniform_work_group_size: 1
    .uses_dynamic_stack: false
    .vgpr_count:     0
    .vgpr_spill_count: 0
    .wavefront_size: 64
  - .agpr_count:     0
    .args:
      - .offset:         0
        .size:           64
        .value_kind:     by_value
    .group_segment_fixed_size: 0
    .kernarg_segment_align: 8
    .kernarg_segment_size: 64
    .language:       OpenCL C
    .language_version:
      - 2
      - 0
    .max_flat_workgroup_size: 256
    .name:           _ZN7rocprim17ROCPRIM_400000_NS6detail17trampoline_kernelINS0_14default_configENS1_22reduce_config_selectorIsEEZNS1_11reduce_implILb1ES3_PsS7_s9plus_mod3IsEEE10hipError_tPvRmT1_T2_T3_mT4_P12ihipStream_tbEUlT_E0_NS1_11comp_targetILNS1_3genE10ELNS1_11target_archE1200ELNS1_3gpuE4ELNS1_3repE0EEENS1_30default_config_static_selectorELNS0_4arch9wavefront6targetE1EEEvSD_
    .private_segment_fixed_size: 0
    .sgpr_count:     6
    .sgpr_spill_count: 0
    .symbol:         _ZN7rocprim17ROCPRIM_400000_NS6detail17trampoline_kernelINS0_14default_configENS1_22reduce_config_selectorIsEEZNS1_11reduce_implILb1ES3_PsS7_s9plus_mod3IsEEE10hipError_tPvRmT1_T2_T3_mT4_P12ihipStream_tbEUlT_E0_NS1_11comp_targetILNS1_3genE10ELNS1_11target_archE1200ELNS1_3gpuE4ELNS1_3repE0EEENS1_30default_config_static_selectorELNS0_4arch9wavefront6targetE1EEEvSD_.kd
    .uniform_work_group_size: 1
    .uses_dynamic_stack: false
    .vgpr_count:     0
    .vgpr_spill_count: 0
    .wavefront_size: 64
  - .agpr_count:     0
    .args:
      - .offset:         0
        .size:           64
        .value_kind:     by_value
    .group_segment_fixed_size: 0
    .kernarg_segment_align: 8
    .kernarg_segment_size: 64
    .language:       OpenCL C
    .language_version:
      - 2
      - 0
    .max_flat_workgroup_size: 256
    .name:           _ZN7rocprim17ROCPRIM_400000_NS6detail17trampoline_kernelINS0_14default_configENS1_22reduce_config_selectorIsEEZNS1_11reduce_implILb1ES3_PsS7_s9plus_mod3IsEEE10hipError_tPvRmT1_T2_T3_mT4_P12ihipStream_tbEUlT_E0_NS1_11comp_targetILNS1_3genE9ELNS1_11target_archE1100ELNS1_3gpuE3ELNS1_3repE0EEENS1_30default_config_static_selectorELNS0_4arch9wavefront6targetE1EEEvSD_
    .private_segment_fixed_size: 0
    .sgpr_count:     6
    .sgpr_spill_count: 0
    .symbol:         _ZN7rocprim17ROCPRIM_400000_NS6detail17trampoline_kernelINS0_14default_configENS1_22reduce_config_selectorIsEEZNS1_11reduce_implILb1ES3_PsS7_s9plus_mod3IsEEE10hipError_tPvRmT1_T2_T3_mT4_P12ihipStream_tbEUlT_E0_NS1_11comp_targetILNS1_3genE9ELNS1_11target_archE1100ELNS1_3gpuE3ELNS1_3repE0EEENS1_30default_config_static_selectorELNS0_4arch9wavefront6targetE1EEEvSD_.kd
    .uniform_work_group_size: 1
    .uses_dynamic_stack: false
    .vgpr_count:     0
    .vgpr_spill_count: 0
    .wavefront_size: 64
  - .agpr_count:     0
    .args:
      - .offset:         0
        .size:           64
        .value_kind:     by_value
    .group_segment_fixed_size: 0
    .kernarg_segment_align: 8
    .kernarg_segment_size: 64
    .language:       OpenCL C
    .language_version:
      - 2
      - 0
    .max_flat_workgroup_size: 256
    .name:           _ZN7rocprim17ROCPRIM_400000_NS6detail17trampoline_kernelINS0_14default_configENS1_22reduce_config_selectorIsEEZNS1_11reduce_implILb1ES3_PsS7_s9plus_mod3IsEEE10hipError_tPvRmT1_T2_T3_mT4_P12ihipStream_tbEUlT_E0_NS1_11comp_targetILNS1_3genE8ELNS1_11target_archE1030ELNS1_3gpuE2ELNS1_3repE0EEENS1_30default_config_static_selectorELNS0_4arch9wavefront6targetE1EEEvSD_
    .private_segment_fixed_size: 0
    .sgpr_count:     6
    .sgpr_spill_count: 0
    .symbol:         _ZN7rocprim17ROCPRIM_400000_NS6detail17trampoline_kernelINS0_14default_configENS1_22reduce_config_selectorIsEEZNS1_11reduce_implILb1ES3_PsS7_s9plus_mod3IsEEE10hipError_tPvRmT1_T2_T3_mT4_P12ihipStream_tbEUlT_E0_NS1_11comp_targetILNS1_3genE8ELNS1_11target_archE1030ELNS1_3gpuE2ELNS1_3repE0EEENS1_30default_config_static_selectorELNS0_4arch9wavefront6targetE1EEEvSD_.kd
    .uniform_work_group_size: 1
    .uses_dynamic_stack: false
    .vgpr_count:     0
    .vgpr_spill_count: 0
    .wavefront_size: 64
  - .agpr_count:     0
    .args:
      - .offset:         0
        .size:           48
        .value_kind:     by_value
    .group_segment_fixed_size: 32
    .kernarg_segment_align: 8
    .kernarg_segment_size: 48
    .language:       OpenCL C
    .language_version:
      - 2
      - 0
    .max_flat_workgroup_size: 128
    .name:           _ZN7rocprim17ROCPRIM_400000_NS6detail17trampoline_kernelINS0_14default_configENS1_22reduce_config_selectorIsEEZNS1_11reduce_implILb1ES3_PsS7_s9plus_mod3IsEEE10hipError_tPvRmT1_T2_T3_mT4_P12ihipStream_tbEUlT_E1_NS1_11comp_targetILNS1_3genE0ELNS1_11target_archE4294967295ELNS1_3gpuE0ELNS1_3repE0EEENS1_30default_config_static_selectorELNS0_4arch9wavefront6targetE1EEEvSD_
    .private_segment_fixed_size: 0
    .sgpr_count:     106
    .sgpr_spill_count: 54
    .symbol:         _ZN7rocprim17ROCPRIM_400000_NS6detail17trampoline_kernelINS0_14default_configENS1_22reduce_config_selectorIsEEZNS1_11reduce_implILb1ES3_PsS7_s9plus_mod3IsEEE10hipError_tPvRmT1_T2_T3_mT4_P12ihipStream_tbEUlT_E1_NS1_11comp_targetILNS1_3genE0ELNS1_11target_archE4294967295ELNS1_3gpuE0ELNS1_3repE0EEENS1_30default_config_static_selectorELNS0_4arch9wavefront6targetE1EEEvSD_.kd
    .uniform_work_group_size: 1
    .uses_dynamic_stack: false
    .vgpr_count:     39
    .vgpr_spill_count: 0
    .wavefront_size: 64
  - .agpr_count:     0
    .args:
      - .offset:         0
        .size:           48
        .value_kind:     by_value
    .group_segment_fixed_size: 0
    .kernarg_segment_align: 8
    .kernarg_segment_size: 48
    .language:       OpenCL C
    .language_version:
      - 2
      - 0
    .max_flat_workgroup_size: 256
    .name:           _ZN7rocprim17ROCPRIM_400000_NS6detail17trampoline_kernelINS0_14default_configENS1_22reduce_config_selectorIsEEZNS1_11reduce_implILb1ES3_PsS7_s9plus_mod3IsEEE10hipError_tPvRmT1_T2_T3_mT4_P12ihipStream_tbEUlT_E1_NS1_11comp_targetILNS1_3genE5ELNS1_11target_archE942ELNS1_3gpuE9ELNS1_3repE0EEENS1_30default_config_static_selectorELNS0_4arch9wavefront6targetE1EEEvSD_
    .private_segment_fixed_size: 0
    .sgpr_count:     6
    .sgpr_spill_count: 0
    .symbol:         _ZN7rocprim17ROCPRIM_400000_NS6detail17trampoline_kernelINS0_14default_configENS1_22reduce_config_selectorIsEEZNS1_11reduce_implILb1ES3_PsS7_s9plus_mod3IsEEE10hipError_tPvRmT1_T2_T3_mT4_P12ihipStream_tbEUlT_E1_NS1_11comp_targetILNS1_3genE5ELNS1_11target_archE942ELNS1_3gpuE9ELNS1_3repE0EEENS1_30default_config_static_selectorELNS0_4arch9wavefront6targetE1EEEvSD_.kd
    .uniform_work_group_size: 1
    .uses_dynamic_stack: false
    .vgpr_count:     0
    .vgpr_spill_count: 0
    .wavefront_size: 64
  - .agpr_count:     0
    .args:
      - .offset:         0
        .size:           48
        .value_kind:     by_value
    .group_segment_fixed_size: 0
    .kernarg_segment_align: 8
    .kernarg_segment_size: 48
    .language:       OpenCL C
    .language_version:
      - 2
      - 0
    .max_flat_workgroup_size: 64
    .name:           _ZN7rocprim17ROCPRIM_400000_NS6detail17trampoline_kernelINS0_14default_configENS1_22reduce_config_selectorIsEEZNS1_11reduce_implILb1ES3_PsS7_s9plus_mod3IsEEE10hipError_tPvRmT1_T2_T3_mT4_P12ihipStream_tbEUlT_E1_NS1_11comp_targetILNS1_3genE4ELNS1_11target_archE910ELNS1_3gpuE8ELNS1_3repE0EEENS1_30default_config_static_selectorELNS0_4arch9wavefront6targetE1EEEvSD_
    .private_segment_fixed_size: 0
    .sgpr_count:     6
    .sgpr_spill_count: 0
    .symbol:         _ZN7rocprim17ROCPRIM_400000_NS6detail17trampoline_kernelINS0_14default_configENS1_22reduce_config_selectorIsEEZNS1_11reduce_implILb1ES3_PsS7_s9plus_mod3IsEEE10hipError_tPvRmT1_T2_T3_mT4_P12ihipStream_tbEUlT_E1_NS1_11comp_targetILNS1_3genE4ELNS1_11target_archE910ELNS1_3gpuE8ELNS1_3repE0EEENS1_30default_config_static_selectorELNS0_4arch9wavefront6targetE1EEEvSD_.kd
    .uniform_work_group_size: 1
    .uses_dynamic_stack: false
    .vgpr_count:     0
    .vgpr_spill_count: 0
    .wavefront_size: 64
  - .agpr_count:     0
    .args:
      - .offset:         0
        .size:           48
        .value_kind:     by_value
    .group_segment_fixed_size: 0
    .kernarg_segment_align: 8
    .kernarg_segment_size: 48
    .language:       OpenCL C
    .language_version:
      - 2
      - 0
    .max_flat_workgroup_size: 128
    .name:           _ZN7rocprim17ROCPRIM_400000_NS6detail17trampoline_kernelINS0_14default_configENS1_22reduce_config_selectorIsEEZNS1_11reduce_implILb1ES3_PsS7_s9plus_mod3IsEEE10hipError_tPvRmT1_T2_T3_mT4_P12ihipStream_tbEUlT_E1_NS1_11comp_targetILNS1_3genE3ELNS1_11target_archE908ELNS1_3gpuE7ELNS1_3repE0EEENS1_30default_config_static_selectorELNS0_4arch9wavefront6targetE1EEEvSD_
    .private_segment_fixed_size: 0
    .sgpr_count:     6
    .sgpr_spill_count: 0
    .symbol:         _ZN7rocprim17ROCPRIM_400000_NS6detail17trampoline_kernelINS0_14default_configENS1_22reduce_config_selectorIsEEZNS1_11reduce_implILb1ES3_PsS7_s9plus_mod3IsEEE10hipError_tPvRmT1_T2_T3_mT4_P12ihipStream_tbEUlT_E1_NS1_11comp_targetILNS1_3genE3ELNS1_11target_archE908ELNS1_3gpuE7ELNS1_3repE0EEENS1_30default_config_static_selectorELNS0_4arch9wavefront6targetE1EEEvSD_.kd
    .uniform_work_group_size: 1
    .uses_dynamic_stack: false
    .vgpr_count:     0
    .vgpr_spill_count: 0
    .wavefront_size: 64
  - .agpr_count:     0
    .args:
      - .offset:         0
        .size:           48
        .value_kind:     by_value
    .group_segment_fixed_size: 0
    .kernarg_segment_align: 8
    .kernarg_segment_size: 48
    .language:       OpenCL C
    .language_version:
      - 2
      - 0
    .max_flat_workgroup_size: 256
    .name:           _ZN7rocprim17ROCPRIM_400000_NS6detail17trampoline_kernelINS0_14default_configENS1_22reduce_config_selectorIsEEZNS1_11reduce_implILb1ES3_PsS7_s9plus_mod3IsEEE10hipError_tPvRmT1_T2_T3_mT4_P12ihipStream_tbEUlT_E1_NS1_11comp_targetILNS1_3genE2ELNS1_11target_archE906ELNS1_3gpuE6ELNS1_3repE0EEENS1_30default_config_static_selectorELNS0_4arch9wavefront6targetE1EEEvSD_
    .private_segment_fixed_size: 0
    .sgpr_count:     6
    .sgpr_spill_count: 0
    .symbol:         _ZN7rocprim17ROCPRIM_400000_NS6detail17trampoline_kernelINS0_14default_configENS1_22reduce_config_selectorIsEEZNS1_11reduce_implILb1ES3_PsS7_s9plus_mod3IsEEE10hipError_tPvRmT1_T2_T3_mT4_P12ihipStream_tbEUlT_E1_NS1_11comp_targetILNS1_3genE2ELNS1_11target_archE906ELNS1_3gpuE6ELNS1_3repE0EEENS1_30default_config_static_selectorELNS0_4arch9wavefront6targetE1EEEvSD_.kd
    .uniform_work_group_size: 1
    .uses_dynamic_stack: false
    .vgpr_count:     0
    .vgpr_spill_count: 0
    .wavefront_size: 64
  - .agpr_count:     0
    .args:
      - .offset:         0
        .size:           48
        .value_kind:     by_value
    .group_segment_fixed_size: 0
    .kernarg_segment_align: 8
    .kernarg_segment_size: 48
    .language:       OpenCL C
    .language_version:
      - 2
      - 0
    .max_flat_workgroup_size: 256
    .name:           _ZN7rocprim17ROCPRIM_400000_NS6detail17trampoline_kernelINS0_14default_configENS1_22reduce_config_selectorIsEEZNS1_11reduce_implILb1ES3_PsS7_s9plus_mod3IsEEE10hipError_tPvRmT1_T2_T3_mT4_P12ihipStream_tbEUlT_E1_NS1_11comp_targetILNS1_3genE10ELNS1_11target_archE1201ELNS1_3gpuE5ELNS1_3repE0EEENS1_30default_config_static_selectorELNS0_4arch9wavefront6targetE1EEEvSD_
    .private_segment_fixed_size: 0
    .sgpr_count:     6
    .sgpr_spill_count: 0
    .symbol:         _ZN7rocprim17ROCPRIM_400000_NS6detail17trampoline_kernelINS0_14default_configENS1_22reduce_config_selectorIsEEZNS1_11reduce_implILb1ES3_PsS7_s9plus_mod3IsEEE10hipError_tPvRmT1_T2_T3_mT4_P12ihipStream_tbEUlT_E1_NS1_11comp_targetILNS1_3genE10ELNS1_11target_archE1201ELNS1_3gpuE5ELNS1_3repE0EEENS1_30default_config_static_selectorELNS0_4arch9wavefront6targetE1EEEvSD_.kd
    .uniform_work_group_size: 1
    .uses_dynamic_stack: false
    .vgpr_count:     0
    .vgpr_spill_count: 0
    .wavefront_size: 64
  - .agpr_count:     0
    .args:
      - .offset:         0
        .size:           48
        .value_kind:     by_value
    .group_segment_fixed_size: 0
    .kernarg_segment_align: 8
    .kernarg_segment_size: 48
    .language:       OpenCL C
    .language_version:
      - 2
      - 0
    .max_flat_workgroup_size: 256
    .name:           _ZN7rocprim17ROCPRIM_400000_NS6detail17trampoline_kernelINS0_14default_configENS1_22reduce_config_selectorIsEEZNS1_11reduce_implILb1ES3_PsS7_s9plus_mod3IsEEE10hipError_tPvRmT1_T2_T3_mT4_P12ihipStream_tbEUlT_E1_NS1_11comp_targetILNS1_3genE10ELNS1_11target_archE1200ELNS1_3gpuE4ELNS1_3repE0EEENS1_30default_config_static_selectorELNS0_4arch9wavefront6targetE1EEEvSD_
    .private_segment_fixed_size: 0
    .sgpr_count:     6
    .sgpr_spill_count: 0
    .symbol:         _ZN7rocprim17ROCPRIM_400000_NS6detail17trampoline_kernelINS0_14default_configENS1_22reduce_config_selectorIsEEZNS1_11reduce_implILb1ES3_PsS7_s9plus_mod3IsEEE10hipError_tPvRmT1_T2_T3_mT4_P12ihipStream_tbEUlT_E1_NS1_11comp_targetILNS1_3genE10ELNS1_11target_archE1200ELNS1_3gpuE4ELNS1_3repE0EEENS1_30default_config_static_selectorELNS0_4arch9wavefront6targetE1EEEvSD_.kd
    .uniform_work_group_size: 1
    .uses_dynamic_stack: false
    .vgpr_count:     0
    .vgpr_spill_count: 0
    .wavefront_size: 64
  - .agpr_count:     0
    .args:
      - .offset:         0
        .size:           48
        .value_kind:     by_value
    .group_segment_fixed_size: 0
    .kernarg_segment_align: 8
    .kernarg_segment_size: 48
    .language:       OpenCL C
    .language_version:
      - 2
      - 0
    .max_flat_workgroup_size: 256
    .name:           _ZN7rocprim17ROCPRIM_400000_NS6detail17trampoline_kernelINS0_14default_configENS1_22reduce_config_selectorIsEEZNS1_11reduce_implILb1ES3_PsS7_s9plus_mod3IsEEE10hipError_tPvRmT1_T2_T3_mT4_P12ihipStream_tbEUlT_E1_NS1_11comp_targetILNS1_3genE9ELNS1_11target_archE1100ELNS1_3gpuE3ELNS1_3repE0EEENS1_30default_config_static_selectorELNS0_4arch9wavefront6targetE1EEEvSD_
    .private_segment_fixed_size: 0
    .sgpr_count:     6
    .sgpr_spill_count: 0
    .symbol:         _ZN7rocprim17ROCPRIM_400000_NS6detail17trampoline_kernelINS0_14default_configENS1_22reduce_config_selectorIsEEZNS1_11reduce_implILb1ES3_PsS7_s9plus_mod3IsEEE10hipError_tPvRmT1_T2_T3_mT4_P12ihipStream_tbEUlT_E1_NS1_11comp_targetILNS1_3genE9ELNS1_11target_archE1100ELNS1_3gpuE3ELNS1_3repE0EEENS1_30default_config_static_selectorELNS0_4arch9wavefront6targetE1EEEvSD_.kd
    .uniform_work_group_size: 1
    .uses_dynamic_stack: false
    .vgpr_count:     0
    .vgpr_spill_count: 0
    .wavefront_size: 64
  - .agpr_count:     0
    .args:
      - .offset:         0
        .size:           48
        .value_kind:     by_value
    .group_segment_fixed_size: 0
    .kernarg_segment_align: 8
    .kernarg_segment_size: 48
    .language:       OpenCL C
    .language_version:
      - 2
      - 0
    .max_flat_workgroup_size: 256
    .name:           _ZN7rocprim17ROCPRIM_400000_NS6detail17trampoline_kernelINS0_14default_configENS1_22reduce_config_selectorIsEEZNS1_11reduce_implILb1ES3_PsS7_s9plus_mod3IsEEE10hipError_tPvRmT1_T2_T3_mT4_P12ihipStream_tbEUlT_E1_NS1_11comp_targetILNS1_3genE8ELNS1_11target_archE1030ELNS1_3gpuE2ELNS1_3repE0EEENS1_30default_config_static_selectorELNS0_4arch9wavefront6targetE1EEEvSD_
    .private_segment_fixed_size: 0
    .sgpr_count:     6
    .sgpr_spill_count: 0
    .symbol:         _ZN7rocprim17ROCPRIM_400000_NS6detail17trampoline_kernelINS0_14default_configENS1_22reduce_config_selectorIsEEZNS1_11reduce_implILb1ES3_PsS7_s9plus_mod3IsEEE10hipError_tPvRmT1_T2_T3_mT4_P12ihipStream_tbEUlT_E1_NS1_11comp_targetILNS1_3genE8ELNS1_11target_archE1030ELNS1_3gpuE2ELNS1_3repE0EEENS1_30default_config_static_selectorELNS0_4arch9wavefront6targetE1EEEvSD_.kd
    .uniform_work_group_size: 1
    .uses_dynamic_stack: false
    .vgpr_count:     0
    .vgpr_spill_count: 0
    .wavefront_size: 64
  - .agpr_count:     0
    .args:
      - .offset:         0
        .size:           64
        .value_kind:     by_value
    .group_segment_fixed_size: 8
    .kernarg_segment_align: 8
    .kernarg_segment_size: 64
    .language:       OpenCL C
    .language_version:
      - 2
      - 0
    .max_flat_workgroup_size: 128
    .name:           _ZN7rocprim17ROCPRIM_400000_NS6detail17trampoline_kernelINS0_14default_configENS1_22reduce_config_selectorIsEEZNS1_11reduce_implILb1ES3_N6thrust23THRUST_200600_302600_NS6detail15normal_iteratorINS8_10device_ptrIsEEEEPss9plus_mod3IsEEE10hipError_tPvRmT1_T2_T3_mT4_P12ihipStream_tbEUlT_E0_NS1_11comp_targetILNS1_3genE0ELNS1_11target_archE4294967295ELNS1_3gpuE0ELNS1_3repE0EEENS1_30default_config_static_selectorELNS0_4arch9wavefront6targetE1EEEvSK_
    .private_segment_fixed_size: 0
    .sgpr_count:     35
    .sgpr_spill_count: 0
    .symbol:         _ZN7rocprim17ROCPRIM_400000_NS6detail17trampoline_kernelINS0_14default_configENS1_22reduce_config_selectorIsEEZNS1_11reduce_implILb1ES3_N6thrust23THRUST_200600_302600_NS6detail15normal_iteratorINS8_10device_ptrIsEEEEPss9plus_mod3IsEEE10hipError_tPvRmT1_T2_T3_mT4_P12ihipStream_tbEUlT_E0_NS1_11comp_targetILNS1_3genE0ELNS1_11target_archE4294967295ELNS1_3gpuE0ELNS1_3repE0EEENS1_30default_config_static_selectorELNS0_4arch9wavefront6targetE1EEEvSK_.kd
    .uniform_work_group_size: 1
    .uses_dynamic_stack: false
    .vgpr_count:     13
    .vgpr_spill_count: 0
    .wavefront_size: 64
  - .agpr_count:     0
    .args:
      - .offset:         0
        .size:           64
        .value_kind:     by_value
    .group_segment_fixed_size: 0
    .kernarg_segment_align: 8
    .kernarg_segment_size: 64
    .language:       OpenCL C
    .language_version:
      - 2
      - 0
    .max_flat_workgroup_size: 256
    .name:           _ZN7rocprim17ROCPRIM_400000_NS6detail17trampoline_kernelINS0_14default_configENS1_22reduce_config_selectorIsEEZNS1_11reduce_implILb1ES3_N6thrust23THRUST_200600_302600_NS6detail15normal_iteratorINS8_10device_ptrIsEEEEPss9plus_mod3IsEEE10hipError_tPvRmT1_T2_T3_mT4_P12ihipStream_tbEUlT_E0_NS1_11comp_targetILNS1_3genE5ELNS1_11target_archE942ELNS1_3gpuE9ELNS1_3repE0EEENS1_30default_config_static_selectorELNS0_4arch9wavefront6targetE1EEEvSK_
    .private_segment_fixed_size: 0
    .sgpr_count:     6
    .sgpr_spill_count: 0
    .symbol:         _ZN7rocprim17ROCPRIM_400000_NS6detail17trampoline_kernelINS0_14default_configENS1_22reduce_config_selectorIsEEZNS1_11reduce_implILb1ES3_N6thrust23THRUST_200600_302600_NS6detail15normal_iteratorINS8_10device_ptrIsEEEEPss9plus_mod3IsEEE10hipError_tPvRmT1_T2_T3_mT4_P12ihipStream_tbEUlT_E0_NS1_11comp_targetILNS1_3genE5ELNS1_11target_archE942ELNS1_3gpuE9ELNS1_3repE0EEENS1_30default_config_static_selectorELNS0_4arch9wavefront6targetE1EEEvSK_.kd
    .uniform_work_group_size: 1
    .uses_dynamic_stack: false
    .vgpr_count:     0
    .vgpr_spill_count: 0
    .wavefront_size: 64
  - .agpr_count:     0
    .args:
      - .offset:         0
        .size:           64
        .value_kind:     by_value
    .group_segment_fixed_size: 0
    .kernarg_segment_align: 8
    .kernarg_segment_size: 64
    .language:       OpenCL C
    .language_version:
      - 2
      - 0
    .max_flat_workgroup_size: 64
    .name:           _ZN7rocprim17ROCPRIM_400000_NS6detail17trampoline_kernelINS0_14default_configENS1_22reduce_config_selectorIsEEZNS1_11reduce_implILb1ES3_N6thrust23THRUST_200600_302600_NS6detail15normal_iteratorINS8_10device_ptrIsEEEEPss9plus_mod3IsEEE10hipError_tPvRmT1_T2_T3_mT4_P12ihipStream_tbEUlT_E0_NS1_11comp_targetILNS1_3genE4ELNS1_11target_archE910ELNS1_3gpuE8ELNS1_3repE0EEENS1_30default_config_static_selectorELNS0_4arch9wavefront6targetE1EEEvSK_
    .private_segment_fixed_size: 0
    .sgpr_count:     6
    .sgpr_spill_count: 0
    .symbol:         _ZN7rocprim17ROCPRIM_400000_NS6detail17trampoline_kernelINS0_14default_configENS1_22reduce_config_selectorIsEEZNS1_11reduce_implILb1ES3_N6thrust23THRUST_200600_302600_NS6detail15normal_iteratorINS8_10device_ptrIsEEEEPss9plus_mod3IsEEE10hipError_tPvRmT1_T2_T3_mT4_P12ihipStream_tbEUlT_E0_NS1_11comp_targetILNS1_3genE4ELNS1_11target_archE910ELNS1_3gpuE8ELNS1_3repE0EEENS1_30default_config_static_selectorELNS0_4arch9wavefront6targetE1EEEvSK_.kd
    .uniform_work_group_size: 1
    .uses_dynamic_stack: false
    .vgpr_count:     0
    .vgpr_spill_count: 0
    .wavefront_size: 64
  - .agpr_count:     0
    .args:
      - .offset:         0
        .size:           64
        .value_kind:     by_value
    .group_segment_fixed_size: 0
    .kernarg_segment_align: 8
    .kernarg_segment_size: 64
    .language:       OpenCL C
    .language_version:
      - 2
      - 0
    .max_flat_workgroup_size: 128
    .name:           _ZN7rocprim17ROCPRIM_400000_NS6detail17trampoline_kernelINS0_14default_configENS1_22reduce_config_selectorIsEEZNS1_11reduce_implILb1ES3_N6thrust23THRUST_200600_302600_NS6detail15normal_iteratorINS8_10device_ptrIsEEEEPss9plus_mod3IsEEE10hipError_tPvRmT1_T2_T3_mT4_P12ihipStream_tbEUlT_E0_NS1_11comp_targetILNS1_3genE3ELNS1_11target_archE908ELNS1_3gpuE7ELNS1_3repE0EEENS1_30default_config_static_selectorELNS0_4arch9wavefront6targetE1EEEvSK_
    .private_segment_fixed_size: 0
    .sgpr_count:     6
    .sgpr_spill_count: 0
    .symbol:         _ZN7rocprim17ROCPRIM_400000_NS6detail17trampoline_kernelINS0_14default_configENS1_22reduce_config_selectorIsEEZNS1_11reduce_implILb1ES3_N6thrust23THRUST_200600_302600_NS6detail15normal_iteratorINS8_10device_ptrIsEEEEPss9plus_mod3IsEEE10hipError_tPvRmT1_T2_T3_mT4_P12ihipStream_tbEUlT_E0_NS1_11comp_targetILNS1_3genE3ELNS1_11target_archE908ELNS1_3gpuE7ELNS1_3repE0EEENS1_30default_config_static_selectorELNS0_4arch9wavefront6targetE1EEEvSK_.kd
    .uniform_work_group_size: 1
    .uses_dynamic_stack: false
    .vgpr_count:     0
    .vgpr_spill_count: 0
    .wavefront_size: 64
  - .agpr_count:     0
    .args:
      - .offset:         0
        .size:           64
        .value_kind:     by_value
    .group_segment_fixed_size: 0
    .kernarg_segment_align: 8
    .kernarg_segment_size: 64
    .language:       OpenCL C
    .language_version:
      - 2
      - 0
    .max_flat_workgroup_size: 256
    .name:           _ZN7rocprim17ROCPRIM_400000_NS6detail17trampoline_kernelINS0_14default_configENS1_22reduce_config_selectorIsEEZNS1_11reduce_implILb1ES3_N6thrust23THRUST_200600_302600_NS6detail15normal_iteratorINS8_10device_ptrIsEEEEPss9plus_mod3IsEEE10hipError_tPvRmT1_T2_T3_mT4_P12ihipStream_tbEUlT_E0_NS1_11comp_targetILNS1_3genE2ELNS1_11target_archE906ELNS1_3gpuE6ELNS1_3repE0EEENS1_30default_config_static_selectorELNS0_4arch9wavefront6targetE1EEEvSK_
    .private_segment_fixed_size: 0
    .sgpr_count:     6
    .sgpr_spill_count: 0
    .symbol:         _ZN7rocprim17ROCPRIM_400000_NS6detail17trampoline_kernelINS0_14default_configENS1_22reduce_config_selectorIsEEZNS1_11reduce_implILb1ES3_N6thrust23THRUST_200600_302600_NS6detail15normal_iteratorINS8_10device_ptrIsEEEEPss9plus_mod3IsEEE10hipError_tPvRmT1_T2_T3_mT4_P12ihipStream_tbEUlT_E0_NS1_11comp_targetILNS1_3genE2ELNS1_11target_archE906ELNS1_3gpuE6ELNS1_3repE0EEENS1_30default_config_static_selectorELNS0_4arch9wavefront6targetE1EEEvSK_.kd
    .uniform_work_group_size: 1
    .uses_dynamic_stack: false
    .vgpr_count:     0
    .vgpr_spill_count: 0
    .wavefront_size: 64
  - .agpr_count:     0
    .args:
      - .offset:         0
        .size:           64
        .value_kind:     by_value
    .group_segment_fixed_size: 0
    .kernarg_segment_align: 8
    .kernarg_segment_size: 64
    .language:       OpenCL C
    .language_version:
      - 2
      - 0
    .max_flat_workgroup_size: 256
    .name:           _ZN7rocprim17ROCPRIM_400000_NS6detail17trampoline_kernelINS0_14default_configENS1_22reduce_config_selectorIsEEZNS1_11reduce_implILb1ES3_N6thrust23THRUST_200600_302600_NS6detail15normal_iteratorINS8_10device_ptrIsEEEEPss9plus_mod3IsEEE10hipError_tPvRmT1_T2_T3_mT4_P12ihipStream_tbEUlT_E0_NS1_11comp_targetILNS1_3genE10ELNS1_11target_archE1201ELNS1_3gpuE5ELNS1_3repE0EEENS1_30default_config_static_selectorELNS0_4arch9wavefront6targetE1EEEvSK_
    .private_segment_fixed_size: 0
    .sgpr_count:     6
    .sgpr_spill_count: 0
    .symbol:         _ZN7rocprim17ROCPRIM_400000_NS6detail17trampoline_kernelINS0_14default_configENS1_22reduce_config_selectorIsEEZNS1_11reduce_implILb1ES3_N6thrust23THRUST_200600_302600_NS6detail15normal_iteratorINS8_10device_ptrIsEEEEPss9plus_mod3IsEEE10hipError_tPvRmT1_T2_T3_mT4_P12ihipStream_tbEUlT_E0_NS1_11comp_targetILNS1_3genE10ELNS1_11target_archE1201ELNS1_3gpuE5ELNS1_3repE0EEENS1_30default_config_static_selectorELNS0_4arch9wavefront6targetE1EEEvSK_.kd
    .uniform_work_group_size: 1
    .uses_dynamic_stack: false
    .vgpr_count:     0
    .vgpr_spill_count: 0
    .wavefront_size: 64
  - .agpr_count:     0
    .args:
      - .offset:         0
        .size:           64
        .value_kind:     by_value
    .group_segment_fixed_size: 0
    .kernarg_segment_align: 8
    .kernarg_segment_size: 64
    .language:       OpenCL C
    .language_version:
      - 2
      - 0
    .max_flat_workgroup_size: 256
    .name:           _ZN7rocprim17ROCPRIM_400000_NS6detail17trampoline_kernelINS0_14default_configENS1_22reduce_config_selectorIsEEZNS1_11reduce_implILb1ES3_N6thrust23THRUST_200600_302600_NS6detail15normal_iteratorINS8_10device_ptrIsEEEEPss9plus_mod3IsEEE10hipError_tPvRmT1_T2_T3_mT4_P12ihipStream_tbEUlT_E0_NS1_11comp_targetILNS1_3genE10ELNS1_11target_archE1200ELNS1_3gpuE4ELNS1_3repE0EEENS1_30default_config_static_selectorELNS0_4arch9wavefront6targetE1EEEvSK_
    .private_segment_fixed_size: 0
    .sgpr_count:     6
    .sgpr_spill_count: 0
    .symbol:         _ZN7rocprim17ROCPRIM_400000_NS6detail17trampoline_kernelINS0_14default_configENS1_22reduce_config_selectorIsEEZNS1_11reduce_implILb1ES3_N6thrust23THRUST_200600_302600_NS6detail15normal_iteratorINS8_10device_ptrIsEEEEPss9plus_mod3IsEEE10hipError_tPvRmT1_T2_T3_mT4_P12ihipStream_tbEUlT_E0_NS1_11comp_targetILNS1_3genE10ELNS1_11target_archE1200ELNS1_3gpuE4ELNS1_3repE0EEENS1_30default_config_static_selectorELNS0_4arch9wavefront6targetE1EEEvSK_.kd
    .uniform_work_group_size: 1
    .uses_dynamic_stack: false
    .vgpr_count:     0
    .vgpr_spill_count: 0
    .wavefront_size: 64
  - .agpr_count:     0
    .args:
      - .offset:         0
        .size:           64
        .value_kind:     by_value
    .group_segment_fixed_size: 0
    .kernarg_segment_align: 8
    .kernarg_segment_size: 64
    .language:       OpenCL C
    .language_version:
      - 2
      - 0
    .max_flat_workgroup_size: 256
    .name:           _ZN7rocprim17ROCPRIM_400000_NS6detail17trampoline_kernelINS0_14default_configENS1_22reduce_config_selectorIsEEZNS1_11reduce_implILb1ES3_N6thrust23THRUST_200600_302600_NS6detail15normal_iteratorINS8_10device_ptrIsEEEEPss9plus_mod3IsEEE10hipError_tPvRmT1_T2_T3_mT4_P12ihipStream_tbEUlT_E0_NS1_11comp_targetILNS1_3genE9ELNS1_11target_archE1100ELNS1_3gpuE3ELNS1_3repE0EEENS1_30default_config_static_selectorELNS0_4arch9wavefront6targetE1EEEvSK_
    .private_segment_fixed_size: 0
    .sgpr_count:     6
    .sgpr_spill_count: 0
    .symbol:         _ZN7rocprim17ROCPRIM_400000_NS6detail17trampoline_kernelINS0_14default_configENS1_22reduce_config_selectorIsEEZNS1_11reduce_implILb1ES3_N6thrust23THRUST_200600_302600_NS6detail15normal_iteratorINS8_10device_ptrIsEEEEPss9plus_mod3IsEEE10hipError_tPvRmT1_T2_T3_mT4_P12ihipStream_tbEUlT_E0_NS1_11comp_targetILNS1_3genE9ELNS1_11target_archE1100ELNS1_3gpuE3ELNS1_3repE0EEENS1_30default_config_static_selectorELNS0_4arch9wavefront6targetE1EEEvSK_.kd
    .uniform_work_group_size: 1
    .uses_dynamic_stack: false
    .vgpr_count:     0
    .vgpr_spill_count: 0
    .wavefront_size: 64
  - .agpr_count:     0
    .args:
      - .offset:         0
        .size:           64
        .value_kind:     by_value
    .group_segment_fixed_size: 0
    .kernarg_segment_align: 8
    .kernarg_segment_size: 64
    .language:       OpenCL C
    .language_version:
      - 2
      - 0
    .max_flat_workgroup_size: 256
    .name:           _ZN7rocprim17ROCPRIM_400000_NS6detail17trampoline_kernelINS0_14default_configENS1_22reduce_config_selectorIsEEZNS1_11reduce_implILb1ES3_N6thrust23THRUST_200600_302600_NS6detail15normal_iteratorINS8_10device_ptrIsEEEEPss9plus_mod3IsEEE10hipError_tPvRmT1_T2_T3_mT4_P12ihipStream_tbEUlT_E0_NS1_11comp_targetILNS1_3genE8ELNS1_11target_archE1030ELNS1_3gpuE2ELNS1_3repE0EEENS1_30default_config_static_selectorELNS0_4arch9wavefront6targetE1EEEvSK_
    .private_segment_fixed_size: 0
    .sgpr_count:     6
    .sgpr_spill_count: 0
    .symbol:         _ZN7rocprim17ROCPRIM_400000_NS6detail17trampoline_kernelINS0_14default_configENS1_22reduce_config_selectorIsEEZNS1_11reduce_implILb1ES3_N6thrust23THRUST_200600_302600_NS6detail15normal_iteratorINS8_10device_ptrIsEEEEPss9plus_mod3IsEEE10hipError_tPvRmT1_T2_T3_mT4_P12ihipStream_tbEUlT_E0_NS1_11comp_targetILNS1_3genE8ELNS1_11target_archE1030ELNS1_3gpuE2ELNS1_3repE0EEENS1_30default_config_static_selectorELNS0_4arch9wavefront6targetE1EEEvSK_.kd
    .uniform_work_group_size: 1
    .uses_dynamic_stack: false
    .vgpr_count:     0
    .vgpr_spill_count: 0
    .wavefront_size: 64
  - .agpr_count:     0
    .args:
      - .offset:         0
        .size:           48
        .value_kind:     by_value
    .group_segment_fixed_size: 32
    .kernarg_segment_align: 8
    .kernarg_segment_size: 48
    .language:       OpenCL C
    .language_version:
      - 2
      - 0
    .max_flat_workgroup_size: 128
    .name:           _ZN7rocprim17ROCPRIM_400000_NS6detail17trampoline_kernelINS0_14default_configENS1_22reduce_config_selectorIsEEZNS1_11reduce_implILb1ES3_N6thrust23THRUST_200600_302600_NS6detail15normal_iteratorINS8_10device_ptrIsEEEEPss9plus_mod3IsEEE10hipError_tPvRmT1_T2_T3_mT4_P12ihipStream_tbEUlT_E1_NS1_11comp_targetILNS1_3genE0ELNS1_11target_archE4294967295ELNS1_3gpuE0ELNS1_3repE0EEENS1_30default_config_static_selectorELNS0_4arch9wavefront6targetE1EEEvSK_
    .private_segment_fixed_size: 0
    .sgpr_count:     106
    .sgpr_spill_count: 54
    .symbol:         _ZN7rocprim17ROCPRIM_400000_NS6detail17trampoline_kernelINS0_14default_configENS1_22reduce_config_selectorIsEEZNS1_11reduce_implILb1ES3_N6thrust23THRUST_200600_302600_NS6detail15normal_iteratorINS8_10device_ptrIsEEEEPss9plus_mod3IsEEE10hipError_tPvRmT1_T2_T3_mT4_P12ihipStream_tbEUlT_E1_NS1_11comp_targetILNS1_3genE0ELNS1_11target_archE4294967295ELNS1_3gpuE0ELNS1_3repE0EEENS1_30default_config_static_selectorELNS0_4arch9wavefront6targetE1EEEvSK_.kd
    .uniform_work_group_size: 1
    .uses_dynamic_stack: false
    .vgpr_count:     39
    .vgpr_spill_count: 0
    .wavefront_size: 64
  - .agpr_count:     0
    .args:
      - .offset:         0
        .size:           48
        .value_kind:     by_value
    .group_segment_fixed_size: 0
    .kernarg_segment_align: 8
    .kernarg_segment_size: 48
    .language:       OpenCL C
    .language_version:
      - 2
      - 0
    .max_flat_workgroup_size: 256
    .name:           _ZN7rocprim17ROCPRIM_400000_NS6detail17trampoline_kernelINS0_14default_configENS1_22reduce_config_selectorIsEEZNS1_11reduce_implILb1ES3_N6thrust23THRUST_200600_302600_NS6detail15normal_iteratorINS8_10device_ptrIsEEEEPss9plus_mod3IsEEE10hipError_tPvRmT1_T2_T3_mT4_P12ihipStream_tbEUlT_E1_NS1_11comp_targetILNS1_3genE5ELNS1_11target_archE942ELNS1_3gpuE9ELNS1_3repE0EEENS1_30default_config_static_selectorELNS0_4arch9wavefront6targetE1EEEvSK_
    .private_segment_fixed_size: 0
    .sgpr_count:     6
    .sgpr_spill_count: 0
    .symbol:         _ZN7rocprim17ROCPRIM_400000_NS6detail17trampoline_kernelINS0_14default_configENS1_22reduce_config_selectorIsEEZNS1_11reduce_implILb1ES3_N6thrust23THRUST_200600_302600_NS6detail15normal_iteratorINS8_10device_ptrIsEEEEPss9plus_mod3IsEEE10hipError_tPvRmT1_T2_T3_mT4_P12ihipStream_tbEUlT_E1_NS1_11comp_targetILNS1_3genE5ELNS1_11target_archE942ELNS1_3gpuE9ELNS1_3repE0EEENS1_30default_config_static_selectorELNS0_4arch9wavefront6targetE1EEEvSK_.kd
    .uniform_work_group_size: 1
    .uses_dynamic_stack: false
    .vgpr_count:     0
    .vgpr_spill_count: 0
    .wavefront_size: 64
  - .agpr_count:     0
    .args:
      - .offset:         0
        .size:           48
        .value_kind:     by_value
    .group_segment_fixed_size: 0
    .kernarg_segment_align: 8
    .kernarg_segment_size: 48
    .language:       OpenCL C
    .language_version:
      - 2
      - 0
    .max_flat_workgroup_size: 64
    .name:           _ZN7rocprim17ROCPRIM_400000_NS6detail17trampoline_kernelINS0_14default_configENS1_22reduce_config_selectorIsEEZNS1_11reduce_implILb1ES3_N6thrust23THRUST_200600_302600_NS6detail15normal_iteratorINS8_10device_ptrIsEEEEPss9plus_mod3IsEEE10hipError_tPvRmT1_T2_T3_mT4_P12ihipStream_tbEUlT_E1_NS1_11comp_targetILNS1_3genE4ELNS1_11target_archE910ELNS1_3gpuE8ELNS1_3repE0EEENS1_30default_config_static_selectorELNS0_4arch9wavefront6targetE1EEEvSK_
    .private_segment_fixed_size: 0
    .sgpr_count:     6
    .sgpr_spill_count: 0
    .symbol:         _ZN7rocprim17ROCPRIM_400000_NS6detail17trampoline_kernelINS0_14default_configENS1_22reduce_config_selectorIsEEZNS1_11reduce_implILb1ES3_N6thrust23THRUST_200600_302600_NS6detail15normal_iteratorINS8_10device_ptrIsEEEEPss9plus_mod3IsEEE10hipError_tPvRmT1_T2_T3_mT4_P12ihipStream_tbEUlT_E1_NS1_11comp_targetILNS1_3genE4ELNS1_11target_archE910ELNS1_3gpuE8ELNS1_3repE0EEENS1_30default_config_static_selectorELNS0_4arch9wavefront6targetE1EEEvSK_.kd
    .uniform_work_group_size: 1
    .uses_dynamic_stack: false
    .vgpr_count:     0
    .vgpr_spill_count: 0
    .wavefront_size: 64
  - .agpr_count:     0
    .args:
      - .offset:         0
        .size:           48
        .value_kind:     by_value
    .group_segment_fixed_size: 0
    .kernarg_segment_align: 8
    .kernarg_segment_size: 48
    .language:       OpenCL C
    .language_version:
      - 2
      - 0
    .max_flat_workgroup_size: 128
    .name:           _ZN7rocprim17ROCPRIM_400000_NS6detail17trampoline_kernelINS0_14default_configENS1_22reduce_config_selectorIsEEZNS1_11reduce_implILb1ES3_N6thrust23THRUST_200600_302600_NS6detail15normal_iteratorINS8_10device_ptrIsEEEEPss9plus_mod3IsEEE10hipError_tPvRmT1_T2_T3_mT4_P12ihipStream_tbEUlT_E1_NS1_11comp_targetILNS1_3genE3ELNS1_11target_archE908ELNS1_3gpuE7ELNS1_3repE0EEENS1_30default_config_static_selectorELNS0_4arch9wavefront6targetE1EEEvSK_
    .private_segment_fixed_size: 0
    .sgpr_count:     6
    .sgpr_spill_count: 0
    .symbol:         _ZN7rocprim17ROCPRIM_400000_NS6detail17trampoline_kernelINS0_14default_configENS1_22reduce_config_selectorIsEEZNS1_11reduce_implILb1ES3_N6thrust23THRUST_200600_302600_NS6detail15normal_iteratorINS8_10device_ptrIsEEEEPss9plus_mod3IsEEE10hipError_tPvRmT1_T2_T3_mT4_P12ihipStream_tbEUlT_E1_NS1_11comp_targetILNS1_3genE3ELNS1_11target_archE908ELNS1_3gpuE7ELNS1_3repE0EEENS1_30default_config_static_selectorELNS0_4arch9wavefront6targetE1EEEvSK_.kd
    .uniform_work_group_size: 1
    .uses_dynamic_stack: false
    .vgpr_count:     0
    .vgpr_spill_count: 0
    .wavefront_size: 64
  - .agpr_count:     0
    .args:
      - .offset:         0
        .size:           48
        .value_kind:     by_value
    .group_segment_fixed_size: 0
    .kernarg_segment_align: 8
    .kernarg_segment_size: 48
    .language:       OpenCL C
    .language_version:
      - 2
      - 0
    .max_flat_workgroup_size: 256
    .name:           _ZN7rocprim17ROCPRIM_400000_NS6detail17trampoline_kernelINS0_14default_configENS1_22reduce_config_selectorIsEEZNS1_11reduce_implILb1ES3_N6thrust23THRUST_200600_302600_NS6detail15normal_iteratorINS8_10device_ptrIsEEEEPss9plus_mod3IsEEE10hipError_tPvRmT1_T2_T3_mT4_P12ihipStream_tbEUlT_E1_NS1_11comp_targetILNS1_3genE2ELNS1_11target_archE906ELNS1_3gpuE6ELNS1_3repE0EEENS1_30default_config_static_selectorELNS0_4arch9wavefront6targetE1EEEvSK_
    .private_segment_fixed_size: 0
    .sgpr_count:     6
    .sgpr_spill_count: 0
    .symbol:         _ZN7rocprim17ROCPRIM_400000_NS6detail17trampoline_kernelINS0_14default_configENS1_22reduce_config_selectorIsEEZNS1_11reduce_implILb1ES3_N6thrust23THRUST_200600_302600_NS6detail15normal_iteratorINS8_10device_ptrIsEEEEPss9plus_mod3IsEEE10hipError_tPvRmT1_T2_T3_mT4_P12ihipStream_tbEUlT_E1_NS1_11comp_targetILNS1_3genE2ELNS1_11target_archE906ELNS1_3gpuE6ELNS1_3repE0EEENS1_30default_config_static_selectorELNS0_4arch9wavefront6targetE1EEEvSK_.kd
    .uniform_work_group_size: 1
    .uses_dynamic_stack: false
    .vgpr_count:     0
    .vgpr_spill_count: 0
    .wavefront_size: 64
  - .agpr_count:     0
    .args:
      - .offset:         0
        .size:           48
        .value_kind:     by_value
    .group_segment_fixed_size: 0
    .kernarg_segment_align: 8
    .kernarg_segment_size: 48
    .language:       OpenCL C
    .language_version:
      - 2
      - 0
    .max_flat_workgroup_size: 256
    .name:           _ZN7rocprim17ROCPRIM_400000_NS6detail17trampoline_kernelINS0_14default_configENS1_22reduce_config_selectorIsEEZNS1_11reduce_implILb1ES3_N6thrust23THRUST_200600_302600_NS6detail15normal_iteratorINS8_10device_ptrIsEEEEPss9plus_mod3IsEEE10hipError_tPvRmT1_T2_T3_mT4_P12ihipStream_tbEUlT_E1_NS1_11comp_targetILNS1_3genE10ELNS1_11target_archE1201ELNS1_3gpuE5ELNS1_3repE0EEENS1_30default_config_static_selectorELNS0_4arch9wavefront6targetE1EEEvSK_
    .private_segment_fixed_size: 0
    .sgpr_count:     6
    .sgpr_spill_count: 0
    .symbol:         _ZN7rocprim17ROCPRIM_400000_NS6detail17trampoline_kernelINS0_14default_configENS1_22reduce_config_selectorIsEEZNS1_11reduce_implILb1ES3_N6thrust23THRUST_200600_302600_NS6detail15normal_iteratorINS8_10device_ptrIsEEEEPss9plus_mod3IsEEE10hipError_tPvRmT1_T2_T3_mT4_P12ihipStream_tbEUlT_E1_NS1_11comp_targetILNS1_3genE10ELNS1_11target_archE1201ELNS1_3gpuE5ELNS1_3repE0EEENS1_30default_config_static_selectorELNS0_4arch9wavefront6targetE1EEEvSK_.kd
    .uniform_work_group_size: 1
    .uses_dynamic_stack: false
    .vgpr_count:     0
    .vgpr_spill_count: 0
    .wavefront_size: 64
  - .agpr_count:     0
    .args:
      - .offset:         0
        .size:           48
        .value_kind:     by_value
    .group_segment_fixed_size: 0
    .kernarg_segment_align: 8
    .kernarg_segment_size: 48
    .language:       OpenCL C
    .language_version:
      - 2
      - 0
    .max_flat_workgroup_size: 256
    .name:           _ZN7rocprim17ROCPRIM_400000_NS6detail17trampoline_kernelINS0_14default_configENS1_22reduce_config_selectorIsEEZNS1_11reduce_implILb1ES3_N6thrust23THRUST_200600_302600_NS6detail15normal_iteratorINS8_10device_ptrIsEEEEPss9plus_mod3IsEEE10hipError_tPvRmT1_T2_T3_mT4_P12ihipStream_tbEUlT_E1_NS1_11comp_targetILNS1_3genE10ELNS1_11target_archE1200ELNS1_3gpuE4ELNS1_3repE0EEENS1_30default_config_static_selectorELNS0_4arch9wavefront6targetE1EEEvSK_
    .private_segment_fixed_size: 0
    .sgpr_count:     6
    .sgpr_spill_count: 0
    .symbol:         _ZN7rocprim17ROCPRIM_400000_NS6detail17trampoline_kernelINS0_14default_configENS1_22reduce_config_selectorIsEEZNS1_11reduce_implILb1ES3_N6thrust23THRUST_200600_302600_NS6detail15normal_iteratorINS8_10device_ptrIsEEEEPss9plus_mod3IsEEE10hipError_tPvRmT1_T2_T3_mT4_P12ihipStream_tbEUlT_E1_NS1_11comp_targetILNS1_3genE10ELNS1_11target_archE1200ELNS1_3gpuE4ELNS1_3repE0EEENS1_30default_config_static_selectorELNS0_4arch9wavefront6targetE1EEEvSK_.kd
    .uniform_work_group_size: 1
    .uses_dynamic_stack: false
    .vgpr_count:     0
    .vgpr_spill_count: 0
    .wavefront_size: 64
  - .agpr_count:     0
    .args:
      - .offset:         0
        .size:           48
        .value_kind:     by_value
    .group_segment_fixed_size: 0
    .kernarg_segment_align: 8
    .kernarg_segment_size: 48
    .language:       OpenCL C
    .language_version:
      - 2
      - 0
    .max_flat_workgroup_size: 256
    .name:           _ZN7rocprim17ROCPRIM_400000_NS6detail17trampoline_kernelINS0_14default_configENS1_22reduce_config_selectorIsEEZNS1_11reduce_implILb1ES3_N6thrust23THRUST_200600_302600_NS6detail15normal_iteratorINS8_10device_ptrIsEEEEPss9plus_mod3IsEEE10hipError_tPvRmT1_T2_T3_mT4_P12ihipStream_tbEUlT_E1_NS1_11comp_targetILNS1_3genE9ELNS1_11target_archE1100ELNS1_3gpuE3ELNS1_3repE0EEENS1_30default_config_static_selectorELNS0_4arch9wavefront6targetE1EEEvSK_
    .private_segment_fixed_size: 0
    .sgpr_count:     6
    .sgpr_spill_count: 0
    .symbol:         _ZN7rocprim17ROCPRIM_400000_NS6detail17trampoline_kernelINS0_14default_configENS1_22reduce_config_selectorIsEEZNS1_11reduce_implILb1ES3_N6thrust23THRUST_200600_302600_NS6detail15normal_iteratorINS8_10device_ptrIsEEEEPss9plus_mod3IsEEE10hipError_tPvRmT1_T2_T3_mT4_P12ihipStream_tbEUlT_E1_NS1_11comp_targetILNS1_3genE9ELNS1_11target_archE1100ELNS1_3gpuE3ELNS1_3repE0EEENS1_30default_config_static_selectorELNS0_4arch9wavefront6targetE1EEEvSK_.kd
    .uniform_work_group_size: 1
    .uses_dynamic_stack: false
    .vgpr_count:     0
    .vgpr_spill_count: 0
    .wavefront_size: 64
  - .agpr_count:     0
    .args:
      - .offset:         0
        .size:           48
        .value_kind:     by_value
    .group_segment_fixed_size: 0
    .kernarg_segment_align: 8
    .kernarg_segment_size: 48
    .language:       OpenCL C
    .language_version:
      - 2
      - 0
    .max_flat_workgroup_size: 256
    .name:           _ZN7rocprim17ROCPRIM_400000_NS6detail17trampoline_kernelINS0_14default_configENS1_22reduce_config_selectorIsEEZNS1_11reduce_implILb1ES3_N6thrust23THRUST_200600_302600_NS6detail15normal_iteratorINS8_10device_ptrIsEEEEPss9plus_mod3IsEEE10hipError_tPvRmT1_T2_T3_mT4_P12ihipStream_tbEUlT_E1_NS1_11comp_targetILNS1_3genE8ELNS1_11target_archE1030ELNS1_3gpuE2ELNS1_3repE0EEENS1_30default_config_static_selectorELNS0_4arch9wavefront6targetE1EEEvSK_
    .private_segment_fixed_size: 0
    .sgpr_count:     6
    .sgpr_spill_count: 0
    .symbol:         _ZN7rocprim17ROCPRIM_400000_NS6detail17trampoline_kernelINS0_14default_configENS1_22reduce_config_selectorIsEEZNS1_11reduce_implILb1ES3_N6thrust23THRUST_200600_302600_NS6detail15normal_iteratorINS8_10device_ptrIsEEEEPss9plus_mod3IsEEE10hipError_tPvRmT1_T2_T3_mT4_P12ihipStream_tbEUlT_E1_NS1_11comp_targetILNS1_3genE8ELNS1_11target_archE1030ELNS1_3gpuE2ELNS1_3repE0EEENS1_30default_config_static_selectorELNS0_4arch9wavefront6targetE1EEEvSK_.kd
    .uniform_work_group_size: 1
    .uses_dynamic_stack: false
    .vgpr_count:     0
    .vgpr_spill_count: 0
    .wavefront_size: 64
  - .agpr_count:     0
    .args:
      - .offset:         0
        .size:           64
        .value_kind:     by_value
    .group_segment_fixed_size: 64
    .kernarg_segment_align: 8
    .kernarg_segment_size: 64
    .language:       OpenCL C
    .language_version:
      - 2
      - 0
    .max_flat_workgroup_size: 256
    .name:           _ZN7rocprim17ROCPRIM_400000_NS6detail17trampoline_kernelINS0_14default_configENS1_22reduce_config_selectorIdEEZNS1_11reduce_implILb1ES3_N6thrust23THRUST_200600_302600_NS17counting_iteratorIdNS8_11hip_rocprim3tagENS8_11use_defaultESC_EEPddNS8_4plusIdEEEE10hipError_tPvRmT1_T2_T3_mT4_P12ihipStream_tbEUlT_E0_NS1_11comp_targetILNS1_3genE0ELNS1_11target_archE4294967295ELNS1_3gpuE0ELNS1_3repE0EEENS1_30default_config_static_selectorELNS0_4arch9wavefront6targetE1EEEvSK_
    .private_segment_fixed_size: 0
    .sgpr_count:     54
    .sgpr_spill_count: 0
    .symbol:         _ZN7rocprim17ROCPRIM_400000_NS6detail17trampoline_kernelINS0_14default_configENS1_22reduce_config_selectorIdEEZNS1_11reduce_implILb1ES3_N6thrust23THRUST_200600_302600_NS17counting_iteratorIdNS8_11hip_rocprim3tagENS8_11use_defaultESC_EEPddNS8_4plusIdEEEE10hipError_tPvRmT1_T2_T3_mT4_P12ihipStream_tbEUlT_E0_NS1_11comp_targetILNS1_3genE0ELNS1_11target_archE4294967295ELNS1_3gpuE0ELNS1_3repE0EEENS1_30default_config_static_selectorELNS0_4arch9wavefront6targetE1EEEvSK_.kd
    .uniform_work_group_size: 1
    .uses_dynamic_stack: false
    .vgpr_count:     38
    .vgpr_spill_count: 0
    .wavefront_size: 64
  - .agpr_count:     0
    .args:
      - .offset:         0
        .size:           64
        .value_kind:     by_value
    .group_segment_fixed_size: 0
    .kernarg_segment_align: 8
    .kernarg_segment_size: 64
    .language:       OpenCL C
    .language_version:
      - 2
      - 0
    .max_flat_workgroup_size: 256
    .name:           _ZN7rocprim17ROCPRIM_400000_NS6detail17trampoline_kernelINS0_14default_configENS1_22reduce_config_selectorIdEEZNS1_11reduce_implILb1ES3_N6thrust23THRUST_200600_302600_NS17counting_iteratorIdNS8_11hip_rocprim3tagENS8_11use_defaultESC_EEPddNS8_4plusIdEEEE10hipError_tPvRmT1_T2_T3_mT4_P12ihipStream_tbEUlT_E0_NS1_11comp_targetILNS1_3genE5ELNS1_11target_archE942ELNS1_3gpuE9ELNS1_3repE0EEENS1_30default_config_static_selectorELNS0_4arch9wavefront6targetE1EEEvSK_
    .private_segment_fixed_size: 0
    .sgpr_count:     6
    .sgpr_spill_count: 0
    .symbol:         _ZN7rocprim17ROCPRIM_400000_NS6detail17trampoline_kernelINS0_14default_configENS1_22reduce_config_selectorIdEEZNS1_11reduce_implILb1ES3_N6thrust23THRUST_200600_302600_NS17counting_iteratorIdNS8_11hip_rocprim3tagENS8_11use_defaultESC_EEPddNS8_4plusIdEEEE10hipError_tPvRmT1_T2_T3_mT4_P12ihipStream_tbEUlT_E0_NS1_11comp_targetILNS1_3genE5ELNS1_11target_archE942ELNS1_3gpuE9ELNS1_3repE0EEENS1_30default_config_static_selectorELNS0_4arch9wavefront6targetE1EEEvSK_.kd
    .uniform_work_group_size: 1
    .uses_dynamic_stack: false
    .vgpr_count:     0
    .vgpr_spill_count: 0
    .wavefront_size: 64
  - .agpr_count:     0
    .args:
      - .offset:         0
        .size:           64
        .value_kind:     by_value
    .group_segment_fixed_size: 0
    .kernarg_segment_align: 8
    .kernarg_segment_size: 64
    .language:       OpenCL C
    .language_version:
      - 2
      - 0
    .max_flat_workgroup_size: 256
    .name:           _ZN7rocprim17ROCPRIM_400000_NS6detail17trampoline_kernelINS0_14default_configENS1_22reduce_config_selectorIdEEZNS1_11reduce_implILb1ES3_N6thrust23THRUST_200600_302600_NS17counting_iteratorIdNS8_11hip_rocprim3tagENS8_11use_defaultESC_EEPddNS8_4plusIdEEEE10hipError_tPvRmT1_T2_T3_mT4_P12ihipStream_tbEUlT_E0_NS1_11comp_targetILNS1_3genE4ELNS1_11target_archE910ELNS1_3gpuE8ELNS1_3repE0EEENS1_30default_config_static_selectorELNS0_4arch9wavefront6targetE1EEEvSK_
    .private_segment_fixed_size: 0
    .sgpr_count:     6
    .sgpr_spill_count: 0
    .symbol:         _ZN7rocprim17ROCPRIM_400000_NS6detail17trampoline_kernelINS0_14default_configENS1_22reduce_config_selectorIdEEZNS1_11reduce_implILb1ES3_N6thrust23THRUST_200600_302600_NS17counting_iteratorIdNS8_11hip_rocprim3tagENS8_11use_defaultESC_EEPddNS8_4plusIdEEEE10hipError_tPvRmT1_T2_T3_mT4_P12ihipStream_tbEUlT_E0_NS1_11comp_targetILNS1_3genE4ELNS1_11target_archE910ELNS1_3gpuE8ELNS1_3repE0EEENS1_30default_config_static_selectorELNS0_4arch9wavefront6targetE1EEEvSK_.kd
    .uniform_work_group_size: 1
    .uses_dynamic_stack: false
    .vgpr_count:     0
    .vgpr_spill_count: 0
    .wavefront_size: 64
  - .agpr_count:     0
    .args:
      - .offset:         0
        .size:           64
        .value_kind:     by_value
    .group_segment_fixed_size: 0
    .kernarg_segment_align: 8
    .kernarg_segment_size: 64
    .language:       OpenCL C
    .language_version:
      - 2
      - 0
    .max_flat_workgroup_size: 256
    .name:           _ZN7rocprim17ROCPRIM_400000_NS6detail17trampoline_kernelINS0_14default_configENS1_22reduce_config_selectorIdEEZNS1_11reduce_implILb1ES3_N6thrust23THRUST_200600_302600_NS17counting_iteratorIdNS8_11hip_rocprim3tagENS8_11use_defaultESC_EEPddNS8_4plusIdEEEE10hipError_tPvRmT1_T2_T3_mT4_P12ihipStream_tbEUlT_E0_NS1_11comp_targetILNS1_3genE3ELNS1_11target_archE908ELNS1_3gpuE7ELNS1_3repE0EEENS1_30default_config_static_selectorELNS0_4arch9wavefront6targetE1EEEvSK_
    .private_segment_fixed_size: 0
    .sgpr_count:     6
    .sgpr_spill_count: 0
    .symbol:         _ZN7rocprim17ROCPRIM_400000_NS6detail17trampoline_kernelINS0_14default_configENS1_22reduce_config_selectorIdEEZNS1_11reduce_implILb1ES3_N6thrust23THRUST_200600_302600_NS17counting_iteratorIdNS8_11hip_rocprim3tagENS8_11use_defaultESC_EEPddNS8_4plusIdEEEE10hipError_tPvRmT1_T2_T3_mT4_P12ihipStream_tbEUlT_E0_NS1_11comp_targetILNS1_3genE3ELNS1_11target_archE908ELNS1_3gpuE7ELNS1_3repE0EEENS1_30default_config_static_selectorELNS0_4arch9wavefront6targetE1EEEvSK_.kd
    .uniform_work_group_size: 1
    .uses_dynamic_stack: false
    .vgpr_count:     0
    .vgpr_spill_count: 0
    .wavefront_size: 64
  - .agpr_count:     0
    .args:
      - .offset:         0
        .size:           64
        .value_kind:     by_value
    .group_segment_fixed_size: 0
    .kernarg_segment_align: 8
    .kernarg_segment_size: 64
    .language:       OpenCL C
    .language_version:
      - 2
      - 0
    .max_flat_workgroup_size: 128
    .name:           _ZN7rocprim17ROCPRIM_400000_NS6detail17trampoline_kernelINS0_14default_configENS1_22reduce_config_selectorIdEEZNS1_11reduce_implILb1ES3_N6thrust23THRUST_200600_302600_NS17counting_iteratorIdNS8_11hip_rocprim3tagENS8_11use_defaultESC_EEPddNS8_4plusIdEEEE10hipError_tPvRmT1_T2_T3_mT4_P12ihipStream_tbEUlT_E0_NS1_11comp_targetILNS1_3genE2ELNS1_11target_archE906ELNS1_3gpuE6ELNS1_3repE0EEENS1_30default_config_static_selectorELNS0_4arch9wavefront6targetE1EEEvSK_
    .private_segment_fixed_size: 0
    .sgpr_count:     6
    .sgpr_spill_count: 0
    .symbol:         _ZN7rocprim17ROCPRIM_400000_NS6detail17trampoline_kernelINS0_14default_configENS1_22reduce_config_selectorIdEEZNS1_11reduce_implILb1ES3_N6thrust23THRUST_200600_302600_NS17counting_iteratorIdNS8_11hip_rocprim3tagENS8_11use_defaultESC_EEPddNS8_4plusIdEEEE10hipError_tPvRmT1_T2_T3_mT4_P12ihipStream_tbEUlT_E0_NS1_11comp_targetILNS1_3genE2ELNS1_11target_archE906ELNS1_3gpuE6ELNS1_3repE0EEENS1_30default_config_static_selectorELNS0_4arch9wavefront6targetE1EEEvSK_.kd
    .uniform_work_group_size: 1
    .uses_dynamic_stack: false
    .vgpr_count:     0
    .vgpr_spill_count: 0
    .wavefront_size: 64
  - .agpr_count:     0
    .args:
      - .offset:         0
        .size:           64
        .value_kind:     by_value
    .group_segment_fixed_size: 0
    .kernarg_segment_align: 8
    .kernarg_segment_size: 64
    .language:       OpenCL C
    .language_version:
      - 2
      - 0
    .max_flat_workgroup_size: 256
    .name:           _ZN7rocprim17ROCPRIM_400000_NS6detail17trampoline_kernelINS0_14default_configENS1_22reduce_config_selectorIdEEZNS1_11reduce_implILb1ES3_N6thrust23THRUST_200600_302600_NS17counting_iteratorIdNS8_11hip_rocprim3tagENS8_11use_defaultESC_EEPddNS8_4plusIdEEEE10hipError_tPvRmT1_T2_T3_mT4_P12ihipStream_tbEUlT_E0_NS1_11comp_targetILNS1_3genE10ELNS1_11target_archE1201ELNS1_3gpuE5ELNS1_3repE0EEENS1_30default_config_static_selectorELNS0_4arch9wavefront6targetE1EEEvSK_
    .private_segment_fixed_size: 0
    .sgpr_count:     6
    .sgpr_spill_count: 0
    .symbol:         _ZN7rocprim17ROCPRIM_400000_NS6detail17trampoline_kernelINS0_14default_configENS1_22reduce_config_selectorIdEEZNS1_11reduce_implILb1ES3_N6thrust23THRUST_200600_302600_NS17counting_iteratorIdNS8_11hip_rocprim3tagENS8_11use_defaultESC_EEPddNS8_4plusIdEEEE10hipError_tPvRmT1_T2_T3_mT4_P12ihipStream_tbEUlT_E0_NS1_11comp_targetILNS1_3genE10ELNS1_11target_archE1201ELNS1_3gpuE5ELNS1_3repE0EEENS1_30default_config_static_selectorELNS0_4arch9wavefront6targetE1EEEvSK_.kd
    .uniform_work_group_size: 1
    .uses_dynamic_stack: false
    .vgpr_count:     0
    .vgpr_spill_count: 0
    .wavefront_size: 64
  - .agpr_count:     0
    .args:
      - .offset:         0
        .size:           64
        .value_kind:     by_value
    .group_segment_fixed_size: 0
    .kernarg_segment_align: 8
    .kernarg_segment_size: 64
    .language:       OpenCL C
    .language_version:
      - 2
      - 0
    .max_flat_workgroup_size: 256
    .name:           _ZN7rocprim17ROCPRIM_400000_NS6detail17trampoline_kernelINS0_14default_configENS1_22reduce_config_selectorIdEEZNS1_11reduce_implILb1ES3_N6thrust23THRUST_200600_302600_NS17counting_iteratorIdNS8_11hip_rocprim3tagENS8_11use_defaultESC_EEPddNS8_4plusIdEEEE10hipError_tPvRmT1_T2_T3_mT4_P12ihipStream_tbEUlT_E0_NS1_11comp_targetILNS1_3genE10ELNS1_11target_archE1200ELNS1_3gpuE4ELNS1_3repE0EEENS1_30default_config_static_selectorELNS0_4arch9wavefront6targetE1EEEvSK_
    .private_segment_fixed_size: 0
    .sgpr_count:     6
    .sgpr_spill_count: 0
    .symbol:         _ZN7rocprim17ROCPRIM_400000_NS6detail17trampoline_kernelINS0_14default_configENS1_22reduce_config_selectorIdEEZNS1_11reduce_implILb1ES3_N6thrust23THRUST_200600_302600_NS17counting_iteratorIdNS8_11hip_rocprim3tagENS8_11use_defaultESC_EEPddNS8_4plusIdEEEE10hipError_tPvRmT1_T2_T3_mT4_P12ihipStream_tbEUlT_E0_NS1_11comp_targetILNS1_3genE10ELNS1_11target_archE1200ELNS1_3gpuE4ELNS1_3repE0EEENS1_30default_config_static_selectorELNS0_4arch9wavefront6targetE1EEEvSK_.kd
    .uniform_work_group_size: 1
    .uses_dynamic_stack: false
    .vgpr_count:     0
    .vgpr_spill_count: 0
    .wavefront_size: 64
  - .agpr_count:     0
    .args:
      - .offset:         0
        .size:           64
        .value_kind:     by_value
    .group_segment_fixed_size: 0
    .kernarg_segment_align: 8
    .kernarg_segment_size: 64
    .language:       OpenCL C
    .language_version:
      - 2
      - 0
    .max_flat_workgroup_size: 256
    .name:           _ZN7rocprim17ROCPRIM_400000_NS6detail17trampoline_kernelINS0_14default_configENS1_22reduce_config_selectorIdEEZNS1_11reduce_implILb1ES3_N6thrust23THRUST_200600_302600_NS17counting_iteratorIdNS8_11hip_rocprim3tagENS8_11use_defaultESC_EEPddNS8_4plusIdEEEE10hipError_tPvRmT1_T2_T3_mT4_P12ihipStream_tbEUlT_E0_NS1_11comp_targetILNS1_3genE9ELNS1_11target_archE1100ELNS1_3gpuE3ELNS1_3repE0EEENS1_30default_config_static_selectorELNS0_4arch9wavefront6targetE1EEEvSK_
    .private_segment_fixed_size: 0
    .sgpr_count:     6
    .sgpr_spill_count: 0
    .symbol:         _ZN7rocprim17ROCPRIM_400000_NS6detail17trampoline_kernelINS0_14default_configENS1_22reduce_config_selectorIdEEZNS1_11reduce_implILb1ES3_N6thrust23THRUST_200600_302600_NS17counting_iteratorIdNS8_11hip_rocprim3tagENS8_11use_defaultESC_EEPddNS8_4plusIdEEEE10hipError_tPvRmT1_T2_T3_mT4_P12ihipStream_tbEUlT_E0_NS1_11comp_targetILNS1_3genE9ELNS1_11target_archE1100ELNS1_3gpuE3ELNS1_3repE0EEENS1_30default_config_static_selectorELNS0_4arch9wavefront6targetE1EEEvSK_.kd
    .uniform_work_group_size: 1
    .uses_dynamic_stack: false
    .vgpr_count:     0
    .vgpr_spill_count: 0
    .wavefront_size: 64
  - .agpr_count:     0
    .args:
      - .offset:         0
        .size:           64
        .value_kind:     by_value
    .group_segment_fixed_size: 0
    .kernarg_segment_align: 8
    .kernarg_segment_size: 64
    .language:       OpenCL C
    .language_version:
      - 2
      - 0
    .max_flat_workgroup_size: 256
    .name:           _ZN7rocprim17ROCPRIM_400000_NS6detail17trampoline_kernelINS0_14default_configENS1_22reduce_config_selectorIdEEZNS1_11reduce_implILb1ES3_N6thrust23THRUST_200600_302600_NS17counting_iteratorIdNS8_11hip_rocprim3tagENS8_11use_defaultESC_EEPddNS8_4plusIdEEEE10hipError_tPvRmT1_T2_T3_mT4_P12ihipStream_tbEUlT_E0_NS1_11comp_targetILNS1_3genE8ELNS1_11target_archE1030ELNS1_3gpuE2ELNS1_3repE0EEENS1_30default_config_static_selectorELNS0_4arch9wavefront6targetE1EEEvSK_
    .private_segment_fixed_size: 0
    .sgpr_count:     6
    .sgpr_spill_count: 0
    .symbol:         _ZN7rocprim17ROCPRIM_400000_NS6detail17trampoline_kernelINS0_14default_configENS1_22reduce_config_selectorIdEEZNS1_11reduce_implILb1ES3_N6thrust23THRUST_200600_302600_NS17counting_iteratorIdNS8_11hip_rocprim3tagENS8_11use_defaultESC_EEPddNS8_4plusIdEEEE10hipError_tPvRmT1_T2_T3_mT4_P12ihipStream_tbEUlT_E0_NS1_11comp_targetILNS1_3genE8ELNS1_11target_archE1030ELNS1_3gpuE2ELNS1_3repE0EEENS1_30default_config_static_selectorELNS0_4arch9wavefront6targetE1EEEvSK_.kd
    .uniform_work_group_size: 1
    .uses_dynamic_stack: false
    .vgpr_count:     0
    .vgpr_spill_count: 0
    .wavefront_size: 64
  - .agpr_count:     0
    .args:
      - .offset:         0
        .size:           48
        .value_kind:     by_value
    .group_segment_fixed_size: 192
    .kernarg_segment_align: 8
    .kernarg_segment_size: 48
    .language:       OpenCL C
    .language_version:
      - 2
      - 0
    .max_flat_workgroup_size: 256
    .name:           _ZN7rocprim17ROCPRIM_400000_NS6detail17trampoline_kernelINS0_14default_configENS1_22reduce_config_selectorIdEEZNS1_11reduce_implILb1ES3_N6thrust23THRUST_200600_302600_NS17counting_iteratorIdNS8_11hip_rocprim3tagENS8_11use_defaultESC_EEPddNS8_4plusIdEEEE10hipError_tPvRmT1_T2_T3_mT4_P12ihipStream_tbEUlT_E1_NS1_11comp_targetILNS1_3genE0ELNS1_11target_archE4294967295ELNS1_3gpuE0ELNS1_3repE0EEENS1_30default_config_static_selectorELNS0_4arch9wavefront6targetE1EEEvSK_
    .private_segment_fixed_size: 0
    .sgpr_count:     50
    .sgpr_spill_count: 0
    .symbol:         _ZN7rocprim17ROCPRIM_400000_NS6detail17trampoline_kernelINS0_14default_configENS1_22reduce_config_selectorIdEEZNS1_11reduce_implILb1ES3_N6thrust23THRUST_200600_302600_NS17counting_iteratorIdNS8_11hip_rocprim3tagENS8_11use_defaultESC_EEPddNS8_4plusIdEEEE10hipError_tPvRmT1_T2_T3_mT4_P12ihipStream_tbEUlT_E1_NS1_11comp_targetILNS1_3genE0ELNS1_11target_archE4294967295ELNS1_3gpuE0ELNS1_3repE0EEENS1_30default_config_static_selectorELNS0_4arch9wavefront6targetE1EEEvSK_.kd
    .uniform_work_group_size: 1
    .uses_dynamic_stack: false
    .vgpr_count:     36
    .vgpr_spill_count: 0
    .wavefront_size: 64
  - .agpr_count:     0
    .args:
      - .offset:         0
        .size:           48
        .value_kind:     by_value
    .group_segment_fixed_size: 0
    .kernarg_segment_align: 8
    .kernarg_segment_size: 48
    .language:       OpenCL C
    .language_version:
      - 2
      - 0
    .max_flat_workgroup_size: 256
    .name:           _ZN7rocprim17ROCPRIM_400000_NS6detail17trampoline_kernelINS0_14default_configENS1_22reduce_config_selectorIdEEZNS1_11reduce_implILb1ES3_N6thrust23THRUST_200600_302600_NS17counting_iteratorIdNS8_11hip_rocprim3tagENS8_11use_defaultESC_EEPddNS8_4plusIdEEEE10hipError_tPvRmT1_T2_T3_mT4_P12ihipStream_tbEUlT_E1_NS1_11comp_targetILNS1_3genE5ELNS1_11target_archE942ELNS1_3gpuE9ELNS1_3repE0EEENS1_30default_config_static_selectorELNS0_4arch9wavefront6targetE1EEEvSK_
    .private_segment_fixed_size: 0
    .sgpr_count:     6
    .sgpr_spill_count: 0
    .symbol:         _ZN7rocprim17ROCPRIM_400000_NS6detail17trampoline_kernelINS0_14default_configENS1_22reduce_config_selectorIdEEZNS1_11reduce_implILb1ES3_N6thrust23THRUST_200600_302600_NS17counting_iteratorIdNS8_11hip_rocprim3tagENS8_11use_defaultESC_EEPddNS8_4plusIdEEEE10hipError_tPvRmT1_T2_T3_mT4_P12ihipStream_tbEUlT_E1_NS1_11comp_targetILNS1_3genE5ELNS1_11target_archE942ELNS1_3gpuE9ELNS1_3repE0EEENS1_30default_config_static_selectorELNS0_4arch9wavefront6targetE1EEEvSK_.kd
    .uniform_work_group_size: 1
    .uses_dynamic_stack: false
    .vgpr_count:     0
    .vgpr_spill_count: 0
    .wavefront_size: 64
  - .agpr_count:     0
    .args:
      - .offset:         0
        .size:           48
        .value_kind:     by_value
    .group_segment_fixed_size: 0
    .kernarg_segment_align: 8
    .kernarg_segment_size: 48
    .language:       OpenCL C
    .language_version:
      - 2
      - 0
    .max_flat_workgroup_size: 256
    .name:           _ZN7rocprim17ROCPRIM_400000_NS6detail17trampoline_kernelINS0_14default_configENS1_22reduce_config_selectorIdEEZNS1_11reduce_implILb1ES3_N6thrust23THRUST_200600_302600_NS17counting_iteratorIdNS8_11hip_rocprim3tagENS8_11use_defaultESC_EEPddNS8_4plusIdEEEE10hipError_tPvRmT1_T2_T3_mT4_P12ihipStream_tbEUlT_E1_NS1_11comp_targetILNS1_3genE4ELNS1_11target_archE910ELNS1_3gpuE8ELNS1_3repE0EEENS1_30default_config_static_selectorELNS0_4arch9wavefront6targetE1EEEvSK_
    .private_segment_fixed_size: 0
    .sgpr_count:     6
    .sgpr_spill_count: 0
    .symbol:         _ZN7rocprim17ROCPRIM_400000_NS6detail17trampoline_kernelINS0_14default_configENS1_22reduce_config_selectorIdEEZNS1_11reduce_implILb1ES3_N6thrust23THRUST_200600_302600_NS17counting_iteratorIdNS8_11hip_rocprim3tagENS8_11use_defaultESC_EEPddNS8_4plusIdEEEE10hipError_tPvRmT1_T2_T3_mT4_P12ihipStream_tbEUlT_E1_NS1_11comp_targetILNS1_3genE4ELNS1_11target_archE910ELNS1_3gpuE8ELNS1_3repE0EEENS1_30default_config_static_selectorELNS0_4arch9wavefront6targetE1EEEvSK_.kd
    .uniform_work_group_size: 1
    .uses_dynamic_stack: false
    .vgpr_count:     0
    .vgpr_spill_count: 0
    .wavefront_size: 64
  - .agpr_count:     0
    .args:
      - .offset:         0
        .size:           48
        .value_kind:     by_value
    .group_segment_fixed_size: 0
    .kernarg_segment_align: 8
    .kernarg_segment_size: 48
    .language:       OpenCL C
    .language_version:
      - 2
      - 0
    .max_flat_workgroup_size: 256
    .name:           _ZN7rocprim17ROCPRIM_400000_NS6detail17trampoline_kernelINS0_14default_configENS1_22reduce_config_selectorIdEEZNS1_11reduce_implILb1ES3_N6thrust23THRUST_200600_302600_NS17counting_iteratorIdNS8_11hip_rocprim3tagENS8_11use_defaultESC_EEPddNS8_4plusIdEEEE10hipError_tPvRmT1_T2_T3_mT4_P12ihipStream_tbEUlT_E1_NS1_11comp_targetILNS1_3genE3ELNS1_11target_archE908ELNS1_3gpuE7ELNS1_3repE0EEENS1_30default_config_static_selectorELNS0_4arch9wavefront6targetE1EEEvSK_
    .private_segment_fixed_size: 0
    .sgpr_count:     6
    .sgpr_spill_count: 0
    .symbol:         _ZN7rocprim17ROCPRIM_400000_NS6detail17trampoline_kernelINS0_14default_configENS1_22reduce_config_selectorIdEEZNS1_11reduce_implILb1ES3_N6thrust23THRUST_200600_302600_NS17counting_iteratorIdNS8_11hip_rocprim3tagENS8_11use_defaultESC_EEPddNS8_4plusIdEEEE10hipError_tPvRmT1_T2_T3_mT4_P12ihipStream_tbEUlT_E1_NS1_11comp_targetILNS1_3genE3ELNS1_11target_archE908ELNS1_3gpuE7ELNS1_3repE0EEENS1_30default_config_static_selectorELNS0_4arch9wavefront6targetE1EEEvSK_.kd
    .uniform_work_group_size: 1
    .uses_dynamic_stack: false
    .vgpr_count:     0
    .vgpr_spill_count: 0
    .wavefront_size: 64
  - .agpr_count:     0
    .args:
      - .offset:         0
        .size:           48
        .value_kind:     by_value
    .group_segment_fixed_size: 0
    .kernarg_segment_align: 8
    .kernarg_segment_size: 48
    .language:       OpenCL C
    .language_version:
      - 2
      - 0
    .max_flat_workgroup_size: 128
    .name:           _ZN7rocprim17ROCPRIM_400000_NS6detail17trampoline_kernelINS0_14default_configENS1_22reduce_config_selectorIdEEZNS1_11reduce_implILb1ES3_N6thrust23THRUST_200600_302600_NS17counting_iteratorIdNS8_11hip_rocprim3tagENS8_11use_defaultESC_EEPddNS8_4plusIdEEEE10hipError_tPvRmT1_T2_T3_mT4_P12ihipStream_tbEUlT_E1_NS1_11comp_targetILNS1_3genE2ELNS1_11target_archE906ELNS1_3gpuE6ELNS1_3repE0EEENS1_30default_config_static_selectorELNS0_4arch9wavefront6targetE1EEEvSK_
    .private_segment_fixed_size: 0
    .sgpr_count:     6
    .sgpr_spill_count: 0
    .symbol:         _ZN7rocprim17ROCPRIM_400000_NS6detail17trampoline_kernelINS0_14default_configENS1_22reduce_config_selectorIdEEZNS1_11reduce_implILb1ES3_N6thrust23THRUST_200600_302600_NS17counting_iteratorIdNS8_11hip_rocprim3tagENS8_11use_defaultESC_EEPddNS8_4plusIdEEEE10hipError_tPvRmT1_T2_T3_mT4_P12ihipStream_tbEUlT_E1_NS1_11comp_targetILNS1_3genE2ELNS1_11target_archE906ELNS1_3gpuE6ELNS1_3repE0EEENS1_30default_config_static_selectorELNS0_4arch9wavefront6targetE1EEEvSK_.kd
    .uniform_work_group_size: 1
    .uses_dynamic_stack: false
    .vgpr_count:     0
    .vgpr_spill_count: 0
    .wavefront_size: 64
  - .agpr_count:     0
    .args:
      - .offset:         0
        .size:           48
        .value_kind:     by_value
    .group_segment_fixed_size: 0
    .kernarg_segment_align: 8
    .kernarg_segment_size: 48
    .language:       OpenCL C
    .language_version:
      - 2
      - 0
    .max_flat_workgroup_size: 256
    .name:           _ZN7rocprim17ROCPRIM_400000_NS6detail17trampoline_kernelINS0_14default_configENS1_22reduce_config_selectorIdEEZNS1_11reduce_implILb1ES3_N6thrust23THRUST_200600_302600_NS17counting_iteratorIdNS8_11hip_rocprim3tagENS8_11use_defaultESC_EEPddNS8_4plusIdEEEE10hipError_tPvRmT1_T2_T3_mT4_P12ihipStream_tbEUlT_E1_NS1_11comp_targetILNS1_3genE10ELNS1_11target_archE1201ELNS1_3gpuE5ELNS1_3repE0EEENS1_30default_config_static_selectorELNS0_4arch9wavefront6targetE1EEEvSK_
    .private_segment_fixed_size: 0
    .sgpr_count:     6
    .sgpr_spill_count: 0
    .symbol:         _ZN7rocprim17ROCPRIM_400000_NS6detail17trampoline_kernelINS0_14default_configENS1_22reduce_config_selectorIdEEZNS1_11reduce_implILb1ES3_N6thrust23THRUST_200600_302600_NS17counting_iteratorIdNS8_11hip_rocprim3tagENS8_11use_defaultESC_EEPddNS8_4plusIdEEEE10hipError_tPvRmT1_T2_T3_mT4_P12ihipStream_tbEUlT_E1_NS1_11comp_targetILNS1_3genE10ELNS1_11target_archE1201ELNS1_3gpuE5ELNS1_3repE0EEENS1_30default_config_static_selectorELNS0_4arch9wavefront6targetE1EEEvSK_.kd
    .uniform_work_group_size: 1
    .uses_dynamic_stack: false
    .vgpr_count:     0
    .vgpr_spill_count: 0
    .wavefront_size: 64
  - .agpr_count:     0
    .args:
      - .offset:         0
        .size:           48
        .value_kind:     by_value
    .group_segment_fixed_size: 0
    .kernarg_segment_align: 8
    .kernarg_segment_size: 48
    .language:       OpenCL C
    .language_version:
      - 2
      - 0
    .max_flat_workgroup_size: 256
    .name:           _ZN7rocprim17ROCPRIM_400000_NS6detail17trampoline_kernelINS0_14default_configENS1_22reduce_config_selectorIdEEZNS1_11reduce_implILb1ES3_N6thrust23THRUST_200600_302600_NS17counting_iteratorIdNS8_11hip_rocprim3tagENS8_11use_defaultESC_EEPddNS8_4plusIdEEEE10hipError_tPvRmT1_T2_T3_mT4_P12ihipStream_tbEUlT_E1_NS1_11comp_targetILNS1_3genE10ELNS1_11target_archE1200ELNS1_3gpuE4ELNS1_3repE0EEENS1_30default_config_static_selectorELNS0_4arch9wavefront6targetE1EEEvSK_
    .private_segment_fixed_size: 0
    .sgpr_count:     6
    .sgpr_spill_count: 0
    .symbol:         _ZN7rocprim17ROCPRIM_400000_NS6detail17trampoline_kernelINS0_14default_configENS1_22reduce_config_selectorIdEEZNS1_11reduce_implILb1ES3_N6thrust23THRUST_200600_302600_NS17counting_iteratorIdNS8_11hip_rocprim3tagENS8_11use_defaultESC_EEPddNS8_4plusIdEEEE10hipError_tPvRmT1_T2_T3_mT4_P12ihipStream_tbEUlT_E1_NS1_11comp_targetILNS1_3genE10ELNS1_11target_archE1200ELNS1_3gpuE4ELNS1_3repE0EEENS1_30default_config_static_selectorELNS0_4arch9wavefront6targetE1EEEvSK_.kd
    .uniform_work_group_size: 1
    .uses_dynamic_stack: false
    .vgpr_count:     0
    .vgpr_spill_count: 0
    .wavefront_size: 64
  - .agpr_count:     0
    .args:
      - .offset:         0
        .size:           48
        .value_kind:     by_value
    .group_segment_fixed_size: 0
    .kernarg_segment_align: 8
    .kernarg_segment_size: 48
    .language:       OpenCL C
    .language_version:
      - 2
      - 0
    .max_flat_workgroup_size: 256
    .name:           _ZN7rocprim17ROCPRIM_400000_NS6detail17trampoline_kernelINS0_14default_configENS1_22reduce_config_selectorIdEEZNS1_11reduce_implILb1ES3_N6thrust23THRUST_200600_302600_NS17counting_iteratorIdNS8_11hip_rocprim3tagENS8_11use_defaultESC_EEPddNS8_4plusIdEEEE10hipError_tPvRmT1_T2_T3_mT4_P12ihipStream_tbEUlT_E1_NS1_11comp_targetILNS1_3genE9ELNS1_11target_archE1100ELNS1_3gpuE3ELNS1_3repE0EEENS1_30default_config_static_selectorELNS0_4arch9wavefront6targetE1EEEvSK_
    .private_segment_fixed_size: 0
    .sgpr_count:     6
    .sgpr_spill_count: 0
    .symbol:         _ZN7rocprim17ROCPRIM_400000_NS6detail17trampoline_kernelINS0_14default_configENS1_22reduce_config_selectorIdEEZNS1_11reduce_implILb1ES3_N6thrust23THRUST_200600_302600_NS17counting_iteratorIdNS8_11hip_rocprim3tagENS8_11use_defaultESC_EEPddNS8_4plusIdEEEE10hipError_tPvRmT1_T2_T3_mT4_P12ihipStream_tbEUlT_E1_NS1_11comp_targetILNS1_3genE9ELNS1_11target_archE1100ELNS1_3gpuE3ELNS1_3repE0EEENS1_30default_config_static_selectorELNS0_4arch9wavefront6targetE1EEEvSK_.kd
    .uniform_work_group_size: 1
    .uses_dynamic_stack: false
    .vgpr_count:     0
    .vgpr_spill_count: 0
    .wavefront_size: 64
  - .agpr_count:     0
    .args:
      - .offset:         0
        .size:           48
        .value_kind:     by_value
    .group_segment_fixed_size: 0
    .kernarg_segment_align: 8
    .kernarg_segment_size: 48
    .language:       OpenCL C
    .language_version:
      - 2
      - 0
    .max_flat_workgroup_size: 256
    .name:           _ZN7rocprim17ROCPRIM_400000_NS6detail17trampoline_kernelINS0_14default_configENS1_22reduce_config_selectorIdEEZNS1_11reduce_implILb1ES3_N6thrust23THRUST_200600_302600_NS17counting_iteratorIdNS8_11hip_rocprim3tagENS8_11use_defaultESC_EEPddNS8_4plusIdEEEE10hipError_tPvRmT1_T2_T3_mT4_P12ihipStream_tbEUlT_E1_NS1_11comp_targetILNS1_3genE8ELNS1_11target_archE1030ELNS1_3gpuE2ELNS1_3repE0EEENS1_30default_config_static_selectorELNS0_4arch9wavefront6targetE1EEEvSK_
    .private_segment_fixed_size: 0
    .sgpr_count:     6
    .sgpr_spill_count: 0
    .symbol:         _ZN7rocprim17ROCPRIM_400000_NS6detail17trampoline_kernelINS0_14default_configENS1_22reduce_config_selectorIdEEZNS1_11reduce_implILb1ES3_N6thrust23THRUST_200600_302600_NS17counting_iteratorIdNS8_11hip_rocprim3tagENS8_11use_defaultESC_EEPddNS8_4plusIdEEEE10hipError_tPvRmT1_T2_T3_mT4_P12ihipStream_tbEUlT_E1_NS1_11comp_targetILNS1_3genE8ELNS1_11target_archE1030ELNS1_3gpuE2ELNS1_3repE0EEENS1_30default_config_static_selectorELNS0_4arch9wavefront6targetE1EEEvSK_.kd
    .uniform_work_group_size: 1
    .uses_dynamic_stack: false
    .vgpr_count:     0
    .vgpr_spill_count: 0
    .wavefront_size: 64
  - .agpr_count:     0
    .args:
      - .offset:         0
        .size:           56
        .value_kind:     by_value
    .group_segment_fixed_size: 32
    .kernarg_segment_align: 8
    .kernarg_segment_size: 56
    .language:       OpenCL C
    .language_version:
      - 2
      - 0
    .max_flat_workgroup_size: 256
    .name:           _ZN7rocprim17ROCPRIM_400000_NS6detail17trampoline_kernelINS0_14default_configENS1_22reduce_config_selectorIfEEZNS1_11reduce_implILb1ES3_N6thrust23THRUST_200600_302600_NS17counting_iteratorIfNS8_11hip_rocprim3tagENS8_11use_defaultESC_EEPffNS8_4plusIfEEEE10hipError_tPvRmT1_T2_T3_mT4_P12ihipStream_tbEUlT_E0_NS1_11comp_targetILNS1_3genE0ELNS1_11target_archE4294967295ELNS1_3gpuE0ELNS1_3repE0EEENS1_30default_config_static_selectorELNS0_4arch9wavefront6targetE1EEEvSK_
    .private_segment_fixed_size: 0
    .sgpr_count:     22
    .sgpr_spill_count: 0
    .symbol:         _ZN7rocprim17ROCPRIM_400000_NS6detail17trampoline_kernelINS0_14default_configENS1_22reduce_config_selectorIfEEZNS1_11reduce_implILb1ES3_N6thrust23THRUST_200600_302600_NS17counting_iteratorIfNS8_11hip_rocprim3tagENS8_11use_defaultESC_EEPffNS8_4plusIfEEEE10hipError_tPvRmT1_T2_T3_mT4_P12ihipStream_tbEUlT_E0_NS1_11comp_targetILNS1_3genE0ELNS1_11target_archE4294967295ELNS1_3gpuE0ELNS1_3repE0EEENS1_30default_config_static_selectorELNS0_4arch9wavefront6targetE1EEEvSK_.kd
    .uniform_work_group_size: 1
    .uses_dynamic_stack: false
    .vgpr_count:     9
    .vgpr_spill_count: 0
    .wavefront_size: 64
  - .agpr_count:     0
    .args:
      - .offset:         0
        .size:           56
        .value_kind:     by_value
    .group_segment_fixed_size: 0
    .kernarg_segment_align: 8
    .kernarg_segment_size: 56
    .language:       OpenCL C
    .language_version:
      - 2
      - 0
    .max_flat_workgroup_size: 128
    .name:           _ZN7rocprim17ROCPRIM_400000_NS6detail17trampoline_kernelINS0_14default_configENS1_22reduce_config_selectorIfEEZNS1_11reduce_implILb1ES3_N6thrust23THRUST_200600_302600_NS17counting_iteratorIfNS8_11hip_rocprim3tagENS8_11use_defaultESC_EEPffNS8_4plusIfEEEE10hipError_tPvRmT1_T2_T3_mT4_P12ihipStream_tbEUlT_E0_NS1_11comp_targetILNS1_3genE5ELNS1_11target_archE942ELNS1_3gpuE9ELNS1_3repE0EEENS1_30default_config_static_selectorELNS0_4arch9wavefront6targetE1EEEvSK_
    .private_segment_fixed_size: 0
    .sgpr_count:     6
    .sgpr_spill_count: 0
    .symbol:         _ZN7rocprim17ROCPRIM_400000_NS6detail17trampoline_kernelINS0_14default_configENS1_22reduce_config_selectorIfEEZNS1_11reduce_implILb1ES3_N6thrust23THRUST_200600_302600_NS17counting_iteratorIfNS8_11hip_rocprim3tagENS8_11use_defaultESC_EEPffNS8_4plusIfEEEE10hipError_tPvRmT1_T2_T3_mT4_P12ihipStream_tbEUlT_E0_NS1_11comp_targetILNS1_3genE5ELNS1_11target_archE942ELNS1_3gpuE9ELNS1_3repE0EEENS1_30default_config_static_selectorELNS0_4arch9wavefront6targetE1EEEvSK_.kd
    .uniform_work_group_size: 1
    .uses_dynamic_stack: false
    .vgpr_count:     0
    .vgpr_spill_count: 0
    .wavefront_size: 64
  - .agpr_count:     0
    .args:
      - .offset:         0
        .size:           56
        .value_kind:     by_value
    .group_segment_fixed_size: 0
    .kernarg_segment_align: 8
    .kernarg_segment_size: 56
    .language:       OpenCL C
    .language_version:
      - 2
      - 0
    .max_flat_workgroup_size: 128
    .name:           _ZN7rocprim17ROCPRIM_400000_NS6detail17trampoline_kernelINS0_14default_configENS1_22reduce_config_selectorIfEEZNS1_11reduce_implILb1ES3_N6thrust23THRUST_200600_302600_NS17counting_iteratorIfNS8_11hip_rocprim3tagENS8_11use_defaultESC_EEPffNS8_4plusIfEEEE10hipError_tPvRmT1_T2_T3_mT4_P12ihipStream_tbEUlT_E0_NS1_11comp_targetILNS1_3genE4ELNS1_11target_archE910ELNS1_3gpuE8ELNS1_3repE0EEENS1_30default_config_static_selectorELNS0_4arch9wavefront6targetE1EEEvSK_
    .private_segment_fixed_size: 0
    .sgpr_count:     6
    .sgpr_spill_count: 0
    .symbol:         _ZN7rocprim17ROCPRIM_400000_NS6detail17trampoline_kernelINS0_14default_configENS1_22reduce_config_selectorIfEEZNS1_11reduce_implILb1ES3_N6thrust23THRUST_200600_302600_NS17counting_iteratorIfNS8_11hip_rocprim3tagENS8_11use_defaultESC_EEPffNS8_4plusIfEEEE10hipError_tPvRmT1_T2_T3_mT4_P12ihipStream_tbEUlT_E0_NS1_11comp_targetILNS1_3genE4ELNS1_11target_archE910ELNS1_3gpuE8ELNS1_3repE0EEENS1_30default_config_static_selectorELNS0_4arch9wavefront6targetE1EEEvSK_.kd
    .uniform_work_group_size: 1
    .uses_dynamic_stack: false
    .vgpr_count:     0
    .vgpr_spill_count: 0
    .wavefront_size: 64
  - .agpr_count:     0
    .args:
      - .offset:         0
        .size:           56
        .value_kind:     by_value
    .group_segment_fixed_size: 0
    .kernarg_segment_align: 8
    .kernarg_segment_size: 56
    .language:       OpenCL C
    .language_version:
      - 2
      - 0
    .max_flat_workgroup_size: 256
    .name:           _ZN7rocprim17ROCPRIM_400000_NS6detail17trampoline_kernelINS0_14default_configENS1_22reduce_config_selectorIfEEZNS1_11reduce_implILb1ES3_N6thrust23THRUST_200600_302600_NS17counting_iteratorIfNS8_11hip_rocprim3tagENS8_11use_defaultESC_EEPffNS8_4plusIfEEEE10hipError_tPvRmT1_T2_T3_mT4_P12ihipStream_tbEUlT_E0_NS1_11comp_targetILNS1_3genE3ELNS1_11target_archE908ELNS1_3gpuE7ELNS1_3repE0EEENS1_30default_config_static_selectorELNS0_4arch9wavefront6targetE1EEEvSK_
    .private_segment_fixed_size: 0
    .sgpr_count:     6
    .sgpr_spill_count: 0
    .symbol:         _ZN7rocprim17ROCPRIM_400000_NS6detail17trampoline_kernelINS0_14default_configENS1_22reduce_config_selectorIfEEZNS1_11reduce_implILb1ES3_N6thrust23THRUST_200600_302600_NS17counting_iteratorIfNS8_11hip_rocprim3tagENS8_11use_defaultESC_EEPffNS8_4plusIfEEEE10hipError_tPvRmT1_T2_T3_mT4_P12ihipStream_tbEUlT_E0_NS1_11comp_targetILNS1_3genE3ELNS1_11target_archE908ELNS1_3gpuE7ELNS1_3repE0EEENS1_30default_config_static_selectorELNS0_4arch9wavefront6targetE1EEEvSK_.kd
    .uniform_work_group_size: 1
    .uses_dynamic_stack: false
    .vgpr_count:     0
    .vgpr_spill_count: 0
    .wavefront_size: 64
  - .agpr_count:     0
    .args:
      - .offset:         0
        .size:           56
        .value_kind:     by_value
    .group_segment_fixed_size: 0
    .kernarg_segment_align: 8
    .kernarg_segment_size: 56
    .language:       OpenCL C
    .language_version:
      - 2
      - 0
    .max_flat_workgroup_size: 256
    .name:           _ZN7rocprim17ROCPRIM_400000_NS6detail17trampoline_kernelINS0_14default_configENS1_22reduce_config_selectorIfEEZNS1_11reduce_implILb1ES3_N6thrust23THRUST_200600_302600_NS17counting_iteratorIfNS8_11hip_rocprim3tagENS8_11use_defaultESC_EEPffNS8_4plusIfEEEE10hipError_tPvRmT1_T2_T3_mT4_P12ihipStream_tbEUlT_E0_NS1_11comp_targetILNS1_3genE2ELNS1_11target_archE906ELNS1_3gpuE6ELNS1_3repE0EEENS1_30default_config_static_selectorELNS0_4arch9wavefront6targetE1EEEvSK_
    .private_segment_fixed_size: 0
    .sgpr_count:     6
    .sgpr_spill_count: 0
    .symbol:         _ZN7rocprim17ROCPRIM_400000_NS6detail17trampoline_kernelINS0_14default_configENS1_22reduce_config_selectorIfEEZNS1_11reduce_implILb1ES3_N6thrust23THRUST_200600_302600_NS17counting_iteratorIfNS8_11hip_rocprim3tagENS8_11use_defaultESC_EEPffNS8_4plusIfEEEE10hipError_tPvRmT1_T2_T3_mT4_P12ihipStream_tbEUlT_E0_NS1_11comp_targetILNS1_3genE2ELNS1_11target_archE906ELNS1_3gpuE6ELNS1_3repE0EEENS1_30default_config_static_selectorELNS0_4arch9wavefront6targetE1EEEvSK_.kd
    .uniform_work_group_size: 1
    .uses_dynamic_stack: false
    .vgpr_count:     0
    .vgpr_spill_count: 0
    .wavefront_size: 64
  - .agpr_count:     0
    .args:
      - .offset:         0
        .size:           56
        .value_kind:     by_value
    .group_segment_fixed_size: 0
    .kernarg_segment_align: 8
    .kernarg_segment_size: 56
    .language:       OpenCL C
    .language_version:
      - 2
      - 0
    .max_flat_workgroup_size: 256
    .name:           _ZN7rocprim17ROCPRIM_400000_NS6detail17trampoline_kernelINS0_14default_configENS1_22reduce_config_selectorIfEEZNS1_11reduce_implILb1ES3_N6thrust23THRUST_200600_302600_NS17counting_iteratorIfNS8_11hip_rocprim3tagENS8_11use_defaultESC_EEPffNS8_4plusIfEEEE10hipError_tPvRmT1_T2_T3_mT4_P12ihipStream_tbEUlT_E0_NS1_11comp_targetILNS1_3genE10ELNS1_11target_archE1201ELNS1_3gpuE5ELNS1_3repE0EEENS1_30default_config_static_selectorELNS0_4arch9wavefront6targetE1EEEvSK_
    .private_segment_fixed_size: 0
    .sgpr_count:     6
    .sgpr_spill_count: 0
    .symbol:         _ZN7rocprim17ROCPRIM_400000_NS6detail17trampoline_kernelINS0_14default_configENS1_22reduce_config_selectorIfEEZNS1_11reduce_implILb1ES3_N6thrust23THRUST_200600_302600_NS17counting_iteratorIfNS8_11hip_rocprim3tagENS8_11use_defaultESC_EEPffNS8_4plusIfEEEE10hipError_tPvRmT1_T2_T3_mT4_P12ihipStream_tbEUlT_E0_NS1_11comp_targetILNS1_3genE10ELNS1_11target_archE1201ELNS1_3gpuE5ELNS1_3repE0EEENS1_30default_config_static_selectorELNS0_4arch9wavefront6targetE1EEEvSK_.kd
    .uniform_work_group_size: 1
    .uses_dynamic_stack: false
    .vgpr_count:     0
    .vgpr_spill_count: 0
    .wavefront_size: 64
  - .agpr_count:     0
    .args:
      - .offset:         0
        .size:           56
        .value_kind:     by_value
    .group_segment_fixed_size: 0
    .kernarg_segment_align: 8
    .kernarg_segment_size: 56
    .language:       OpenCL C
    .language_version:
      - 2
      - 0
    .max_flat_workgroup_size: 256
    .name:           _ZN7rocprim17ROCPRIM_400000_NS6detail17trampoline_kernelINS0_14default_configENS1_22reduce_config_selectorIfEEZNS1_11reduce_implILb1ES3_N6thrust23THRUST_200600_302600_NS17counting_iteratorIfNS8_11hip_rocprim3tagENS8_11use_defaultESC_EEPffNS8_4plusIfEEEE10hipError_tPvRmT1_T2_T3_mT4_P12ihipStream_tbEUlT_E0_NS1_11comp_targetILNS1_3genE10ELNS1_11target_archE1200ELNS1_3gpuE4ELNS1_3repE0EEENS1_30default_config_static_selectorELNS0_4arch9wavefront6targetE1EEEvSK_
    .private_segment_fixed_size: 0
    .sgpr_count:     6
    .sgpr_spill_count: 0
    .symbol:         _ZN7rocprim17ROCPRIM_400000_NS6detail17trampoline_kernelINS0_14default_configENS1_22reduce_config_selectorIfEEZNS1_11reduce_implILb1ES3_N6thrust23THRUST_200600_302600_NS17counting_iteratorIfNS8_11hip_rocprim3tagENS8_11use_defaultESC_EEPffNS8_4plusIfEEEE10hipError_tPvRmT1_T2_T3_mT4_P12ihipStream_tbEUlT_E0_NS1_11comp_targetILNS1_3genE10ELNS1_11target_archE1200ELNS1_3gpuE4ELNS1_3repE0EEENS1_30default_config_static_selectorELNS0_4arch9wavefront6targetE1EEEvSK_.kd
    .uniform_work_group_size: 1
    .uses_dynamic_stack: false
    .vgpr_count:     0
    .vgpr_spill_count: 0
    .wavefront_size: 64
  - .agpr_count:     0
    .args:
      - .offset:         0
        .size:           56
        .value_kind:     by_value
    .group_segment_fixed_size: 0
    .kernarg_segment_align: 8
    .kernarg_segment_size: 56
    .language:       OpenCL C
    .language_version:
      - 2
      - 0
    .max_flat_workgroup_size: 256
    .name:           _ZN7rocprim17ROCPRIM_400000_NS6detail17trampoline_kernelINS0_14default_configENS1_22reduce_config_selectorIfEEZNS1_11reduce_implILb1ES3_N6thrust23THRUST_200600_302600_NS17counting_iteratorIfNS8_11hip_rocprim3tagENS8_11use_defaultESC_EEPffNS8_4plusIfEEEE10hipError_tPvRmT1_T2_T3_mT4_P12ihipStream_tbEUlT_E0_NS1_11comp_targetILNS1_3genE9ELNS1_11target_archE1100ELNS1_3gpuE3ELNS1_3repE0EEENS1_30default_config_static_selectorELNS0_4arch9wavefront6targetE1EEEvSK_
    .private_segment_fixed_size: 0
    .sgpr_count:     6
    .sgpr_spill_count: 0
    .symbol:         _ZN7rocprim17ROCPRIM_400000_NS6detail17trampoline_kernelINS0_14default_configENS1_22reduce_config_selectorIfEEZNS1_11reduce_implILb1ES3_N6thrust23THRUST_200600_302600_NS17counting_iteratorIfNS8_11hip_rocprim3tagENS8_11use_defaultESC_EEPffNS8_4plusIfEEEE10hipError_tPvRmT1_T2_T3_mT4_P12ihipStream_tbEUlT_E0_NS1_11comp_targetILNS1_3genE9ELNS1_11target_archE1100ELNS1_3gpuE3ELNS1_3repE0EEENS1_30default_config_static_selectorELNS0_4arch9wavefront6targetE1EEEvSK_.kd
    .uniform_work_group_size: 1
    .uses_dynamic_stack: false
    .vgpr_count:     0
    .vgpr_spill_count: 0
    .wavefront_size: 64
  - .agpr_count:     0
    .args:
      - .offset:         0
        .size:           56
        .value_kind:     by_value
    .group_segment_fixed_size: 0
    .kernarg_segment_align: 8
    .kernarg_segment_size: 56
    .language:       OpenCL C
    .language_version:
      - 2
      - 0
    .max_flat_workgroup_size: 256
    .name:           _ZN7rocprim17ROCPRIM_400000_NS6detail17trampoline_kernelINS0_14default_configENS1_22reduce_config_selectorIfEEZNS1_11reduce_implILb1ES3_N6thrust23THRUST_200600_302600_NS17counting_iteratorIfNS8_11hip_rocprim3tagENS8_11use_defaultESC_EEPffNS8_4plusIfEEEE10hipError_tPvRmT1_T2_T3_mT4_P12ihipStream_tbEUlT_E0_NS1_11comp_targetILNS1_3genE8ELNS1_11target_archE1030ELNS1_3gpuE2ELNS1_3repE0EEENS1_30default_config_static_selectorELNS0_4arch9wavefront6targetE1EEEvSK_
    .private_segment_fixed_size: 0
    .sgpr_count:     6
    .sgpr_spill_count: 0
    .symbol:         _ZN7rocprim17ROCPRIM_400000_NS6detail17trampoline_kernelINS0_14default_configENS1_22reduce_config_selectorIfEEZNS1_11reduce_implILb1ES3_N6thrust23THRUST_200600_302600_NS17counting_iteratorIfNS8_11hip_rocprim3tagENS8_11use_defaultESC_EEPffNS8_4plusIfEEEE10hipError_tPvRmT1_T2_T3_mT4_P12ihipStream_tbEUlT_E0_NS1_11comp_targetILNS1_3genE8ELNS1_11target_archE1030ELNS1_3gpuE2ELNS1_3repE0EEENS1_30default_config_static_selectorELNS0_4arch9wavefront6targetE1EEEvSK_.kd
    .uniform_work_group_size: 1
    .uses_dynamic_stack: false
    .vgpr_count:     0
    .vgpr_spill_count: 0
    .wavefront_size: 64
  - .agpr_count:     0
    .args:
      - .offset:         0
        .size:           40
        .value_kind:     by_value
    .group_segment_fixed_size: 112
    .kernarg_segment_align: 8
    .kernarg_segment_size: 40
    .language:       OpenCL C
    .language_version:
      - 2
      - 0
    .max_flat_workgroup_size: 256
    .name:           _ZN7rocprim17ROCPRIM_400000_NS6detail17trampoline_kernelINS0_14default_configENS1_22reduce_config_selectorIfEEZNS1_11reduce_implILb1ES3_N6thrust23THRUST_200600_302600_NS17counting_iteratorIfNS8_11hip_rocprim3tagENS8_11use_defaultESC_EEPffNS8_4plusIfEEEE10hipError_tPvRmT1_T2_T3_mT4_P12ihipStream_tbEUlT_E1_NS1_11comp_targetILNS1_3genE0ELNS1_11target_archE4294967295ELNS1_3gpuE0ELNS1_3repE0EEENS1_30default_config_static_selectorELNS0_4arch9wavefront6targetE1EEEvSK_
    .private_segment_fixed_size: 0
    .sgpr_count:     80
    .sgpr_spill_count: 0
    .symbol:         _ZN7rocprim17ROCPRIM_400000_NS6detail17trampoline_kernelINS0_14default_configENS1_22reduce_config_selectorIfEEZNS1_11reduce_implILb1ES3_N6thrust23THRUST_200600_302600_NS17counting_iteratorIfNS8_11hip_rocprim3tagENS8_11use_defaultESC_EEPffNS8_4plusIfEEEE10hipError_tPvRmT1_T2_T3_mT4_P12ihipStream_tbEUlT_E1_NS1_11comp_targetILNS1_3genE0ELNS1_11target_archE4294967295ELNS1_3gpuE0ELNS1_3repE0EEENS1_30default_config_static_selectorELNS0_4arch9wavefront6targetE1EEEvSK_.kd
    .uniform_work_group_size: 1
    .uses_dynamic_stack: false
    .vgpr_count:     36
    .vgpr_spill_count: 0
    .wavefront_size: 64
  - .agpr_count:     0
    .args:
      - .offset:         0
        .size:           40
        .value_kind:     by_value
    .group_segment_fixed_size: 0
    .kernarg_segment_align: 8
    .kernarg_segment_size: 40
    .language:       OpenCL C
    .language_version:
      - 2
      - 0
    .max_flat_workgroup_size: 128
    .name:           _ZN7rocprim17ROCPRIM_400000_NS6detail17trampoline_kernelINS0_14default_configENS1_22reduce_config_selectorIfEEZNS1_11reduce_implILb1ES3_N6thrust23THRUST_200600_302600_NS17counting_iteratorIfNS8_11hip_rocprim3tagENS8_11use_defaultESC_EEPffNS8_4plusIfEEEE10hipError_tPvRmT1_T2_T3_mT4_P12ihipStream_tbEUlT_E1_NS1_11comp_targetILNS1_3genE5ELNS1_11target_archE942ELNS1_3gpuE9ELNS1_3repE0EEENS1_30default_config_static_selectorELNS0_4arch9wavefront6targetE1EEEvSK_
    .private_segment_fixed_size: 0
    .sgpr_count:     6
    .sgpr_spill_count: 0
    .symbol:         _ZN7rocprim17ROCPRIM_400000_NS6detail17trampoline_kernelINS0_14default_configENS1_22reduce_config_selectorIfEEZNS1_11reduce_implILb1ES3_N6thrust23THRUST_200600_302600_NS17counting_iteratorIfNS8_11hip_rocprim3tagENS8_11use_defaultESC_EEPffNS8_4plusIfEEEE10hipError_tPvRmT1_T2_T3_mT4_P12ihipStream_tbEUlT_E1_NS1_11comp_targetILNS1_3genE5ELNS1_11target_archE942ELNS1_3gpuE9ELNS1_3repE0EEENS1_30default_config_static_selectorELNS0_4arch9wavefront6targetE1EEEvSK_.kd
    .uniform_work_group_size: 1
    .uses_dynamic_stack: false
    .vgpr_count:     0
    .vgpr_spill_count: 0
    .wavefront_size: 64
  - .agpr_count:     0
    .args:
      - .offset:         0
        .size:           40
        .value_kind:     by_value
    .group_segment_fixed_size: 0
    .kernarg_segment_align: 8
    .kernarg_segment_size: 40
    .language:       OpenCL C
    .language_version:
      - 2
      - 0
    .max_flat_workgroup_size: 128
    .name:           _ZN7rocprim17ROCPRIM_400000_NS6detail17trampoline_kernelINS0_14default_configENS1_22reduce_config_selectorIfEEZNS1_11reduce_implILb1ES3_N6thrust23THRUST_200600_302600_NS17counting_iteratorIfNS8_11hip_rocprim3tagENS8_11use_defaultESC_EEPffNS8_4plusIfEEEE10hipError_tPvRmT1_T2_T3_mT4_P12ihipStream_tbEUlT_E1_NS1_11comp_targetILNS1_3genE4ELNS1_11target_archE910ELNS1_3gpuE8ELNS1_3repE0EEENS1_30default_config_static_selectorELNS0_4arch9wavefront6targetE1EEEvSK_
    .private_segment_fixed_size: 0
    .sgpr_count:     6
    .sgpr_spill_count: 0
    .symbol:         _ZN7rocprim17ROCPRIM_400000_NS6detail17trampoline_kernelINS0_14default_configENS1_22reduce_config_selectorIfEEZNS1_11reduce_implILb1ES3_N6thrust23THRUST_200600_302600_NS17counting_iteratorIfNS8_11hip_rocprim3tagENS8_11use_defaultESC_EEPffNS8_4plusIfEEEE10hipError_tPvRmT1_T2_T3_mT4_P12ihipStream_tbEUlT_E1_NS1_11comp_targetILNS1_3genE4ELNS1_11target_archE910ELNS1_3gpuE8ELNS1_3repE0EEENS1_30default_config_static_selectorELNS0_4arch9wavefront6targetE1EEEvSK_.kd
    .uniform_work_group_size: 1
    .uses_dynamic_stack: false
    .vgpr_count:     0
    .vgpr_spill_count: 0
    .wavefront_size: 64
  - .agpr_count:     0
    .args:
      - .offset:         0
        .size:           40
        .value_kind:     by_value
    .group_segment_fixed_size: 0
    .kernarg_segment_align: 8
    .kernarg_segment_size: 40
    .language:       OpenCL C
    .language_version:
      - 2
      - 0
    .max_flat_workgroup_size: 256
    .name:           _ZN7rocprim17ROCPRIM_400000_NS6detail17trampoline_kernelINS0_14default_configENS1_22reduce_config_selectorIfEEZNS1_11reduce_implILb1ES3_N6thrust23THRUST_200600_302600_NS17counting_iteratorIfNS8_11hip_rocprim3tagENS8_11use_defaultESC_EEPffNS8_4plusIfEEEE10hipError_tPvRmT1_T2_T3_mT4_P12ihipStream_tbEUlT_E1_NS1_11comp_targetILNS1_3genE3ELNS1_11target_archE908ELNS1_3gpuE7ELNS1_3repE0EEENS1_30default_config_static_selectorELNS0_4arch9wavefront6targetE1EEEvSK_
    .private_segment_fixed_size: 0
    .sgpr_count:     6
    .sgpr_spill_count: 0
    .symbol:         _ZN7rocprim17ROCPRIM_400000_NS6detail17trampoline_kernelINS0_14default_configENS1_22reduce_config_selectorIfEEZNS1_11reduce_implILb1ES3_N6thrust23THRUST_200600_302600_NS17counting_iteratorIfNS8_11hip_rocprim3tagENS8_11use_defaultESC_EEPffNS8_4plusIfEEEE10hipError_tPvRmT1_T2_T3_mT4_P12ihipStream_tbEUlT_E1_NS1_11comp_targetILNS1_3genE3ELNS1_11target_archE908ELNS1_3gpuE7ELNS1_3repE0EEENS1_30default_config_static_selectorELNS0_4arch9wavefront6targetE1EEEvSK_.kd
    .uniform_work_group_size: 1
    .uses_dynamic_stack: false
    .vgpr_count:     0
    .vgpr_spill_count: 0
    .wavefront_size: 64
  - .agpr_count:     0
    .args:
      - .offset:         0
        .size:           40
        .value_kind:     by_value
    .group_segment_fixed_size: 0
    .kernarg_segment_align: 8
    .kernarg_segment_size: 40
    .language:       OpenCL C
    .language_version:
      - 2
      - 0
    .max_flat_workgroup_size: 256
    .name:           _ZN7rocprim17ROCPRIM_400000_NS6detail17trampoline_kernelINS0_14default_configENS1_22reduce_config_selectorIfEEZNS1_11reduce_implILb1ES3_N6thrust23THRUST_200600_302600_NS17counting_iteratorIfNS8_11hip_rocprim3tagENS8_11use_defaultESC_EEPffNS8_4plusIfEEEE10hipError_tPvRmT1_T2_T3_mT4_P12ihipStream_tbEUlT_E1_NS1_11comp_targetILNS1_3genE2ELNS1_11target_archE906ELNS1_3gpuE6ELNS1_3repE0EEENS1_30default_config_static_selectorELNS0_4arch9wavefront6targetE1EEEvSK_
    .private_segment_fixed_size: 0
    .sgpr_count:     6
    .sgpr_spill_count: 0
    .symbol:         _ZN7rocprim17ROCPRIM_400000_NS6detail17trampoline_kernelINS0_14default_configENS1_22reduce_config_selectorIfEEZNS1_11reduce_implILb1ES3_N6thrust23THRUST_200600_302600_NS17counting_iteratorIfNS8_11hip_rocprim3tagENS8_11use_defaultESC_EEPffNS8_4plusIfEEEE10hipError_tPvRmT1_T2_T3_mT4_P12ihipStream_tbEUlT_E1_NS1_11comp_targetILNS1_3genE2ELNS1_11target_archE906ELNS1_3gpuE6ELNS1_3repE0EEENS1_30default_config_static_selectorELNS0_4arch9wavefront6targetE1EEEvSK_.kd
    .uniform_work_group_size: 1
    .uses_dynamic_stack: false
    .vgpr_count:     0
    .vgpr_spill_count: 0
    .wavefront_size: 64
  - .agpr_count:     0
    .args:
      - .offset:         0
        .size:           40
        .value_kind:     by_value
    .group_segment_fixed_size: 0
    .kernarg_segment_align: 8
    .kernarg_segment_size: 40
    .language:       OpenCL C
    .language_version:
      - 2
      - 0
    .max_flat_workgroup_size: 256
    .name:           _ZN7rocprim17ROCPRIM_400000_NS6detail17trampoline_kernelINS0_14default_configENS1_22reduce_config_selectorIfEEZNS1_11reduce_implILb1ES3_N6thrust23THRUST_200600_302600_NS17counting_iteratorIfNS8_11hip_rocprim3tagENS8_11use_defaultESC_EEPffNS8_4plusIfEEEE10hipError_tPvRmT1_T2_T3_mT4_P12ihipStream_tbEUlT_E1_NS1_11comp_targetILNS1_3genE10ELNS1_11target_archE1201ELNS1_3gpuE5ELNS1_3repE0EEENS1_30default_config_static_selectorELNS0_4arch9wavefront6targetE1EEEvSK_
    .private_segment_fixed_size: 0
    .sgpr_count:     6
    .sgpr_spill_count: 0
    .symbol:         _ZN7rocprim17ROCPRIM_400000_NS6detail17trampoline_kernelINS0_14default_configENS1_22reduce_config_selectorIfEEZNS1_11reduce_implILb1ES3_N6thrust23THRUST_200600_302600_NS17counting_iteratorIfNS8_11hip_rocprim3tagENS8_11use_defaultESC_EEPffNS8_4plusIfEEEE10hipError_tPvRmT1_T2_T3_mT4_P12ihipStream_tbEUlT_E1_NS1_11comp_targetILNS1_3genE10ELNS1_11target_archE1201ELNS1_3gpuE5ELNS1_3repE0EEENS1_30default_config_static_selectorELNS0_4arch9wavefront6targetE1EEEvSK_.kd
    .uniform_work_group_size: 1
    .uses_dynamic_stack: false
    .vgpr_count:     0
    .vgpr_spill_count: 0
    .wavefront_size: 64
  - .agpr_count:     0
    .args:
      - .offset:         0
        .size:           40
        .value_kind:     by_value
    .group_segment_fixed_size: 0
    .kernarg_segment_align: 8
    .kernarg_segment_size: 40
    .language:       OpenCL C
    .language_version:
      - 2
      - 0
    .max_flat_workgroup_size: 256
    .name:           _ZN7rocprim17ROCPRIM_400000_NS6detail17trampoline_kernelINS0_14default_configENS1_22reduce_config_selectorIfEEZNS1_11reduce_implILb1ES3_N6thrust23THRUST_200600_302600_NS17counting_iteratorIfNS8_11hip_rocprim3tagENS8_11use_defaultESC_EEPffNS8_4plusIfEEEE10hipError_tPvRmT1_T2_T3_mT4_P12ihipStream_tbEUlT_E1_NS1_11comp_targetILNS1_3genE10ELNS1_11target_archE1200ELNS1_3gpuE4ELNS1_3repE0EEENS1_30default_config_static_selectorELNS0_4arch9wavefront6targetE1EEEvSK_
    .private_segment_fixed_size: 0
    .sgpr_count:     6
    .sgpr_spill_count: 0
    .symbol:         _ZN7rocprim17ROCPRIM_400000_NS6detail17trampoline_kernelINS0_14default_configENS1_22reduce_config_selectorIfEEZNS1_11reduce_implILb1ES3_N6thrust23THRUST_200600_302600_NS17counting_iteratorIfNS8_11hip_rocprim3tagENS8_11use_defaultESC_EEPffNS8_4plusIfEEEE10hipError_tPvRmT1_T2_T3_mT4_P12ihipStream_tbEUlT_E1_NS1_11comp_targetILNS1_3genE10ELNS1_11target_archE1200ELNS1_3gpuE4ELNS1_3repE0EEENS1_30default_config_static_selectorELNS0_4arch9wavefront6targetE1EEEvSK_.kd
    .uniform_work_group_size: 1
    .uses_dynamic_stack: false
    .vgpr_count:     0
    .vgpr_spill_count: 0
    .wavefront_size: 64
  - .agpr_count:     0
    .args:
      - .offset:         0
        .size:           40
        .value_kind:     by_value
    .group_segment_fixed_size: 0
    .kernarg_segment_align: 8
    .kernarg_segment_size: 40
    .language:       OpenCL C
    .language_version:
      - 2
      - 0
    .max_flat_workgroup_size: 256
    .name:           _ZN7rocprim17ROCPRIM_400000_NS6detail17trampoline_kernelINS0_14default_configENS1_22reduce_config_selectorIfEEZNS1_11reduce_implILb1ES3_N6thrust23THRUST_200600_302600_NS17counting_iteratorIfNS8_11hip_rocprim3tagENS8_11use_defaultESC_EEPffNS8_4plusIfEEEE10hipError_tPvRmT1_T2_T3_mT4_P12ihipStream_tbEUlT_E1_NS1_11comp_targetILNS1_3genE9ELNS1_11target_archE1100ELNS1_3gpuE3ELNS1_3repE0EEENS1_30default_config_static_selectorELNS0_4arch9wavefront6targetE1EEEvSK_
    .private_segment_fixed_size: 0
    .sgpr_count:     6
    .sgpr_spill_count: 0
    .symbol:         _ZN7rocprim17ROCPRIM_400000_NS6detail17trampoline_kernelINS0_14default_configENS1_22reduce_config_selectorIfEEZNS1_11reduce_implILb1ES3_N6thrust23THRUST_200600_302600_NS17counting_iteratorIfNS8_11hip_rocprim3tagENS8_11use_defaultESC_EEPffNS8_4plusIfEEEE10hipError_tPvRmT1_T2_T3_mT4_P12ihipStream_tbEUlT_E1_NS1_11comp_targetILNS1_3genE9ELNS1_11target_archE1100ELNS1_3gpuE3ELNS1_3repE0EEENS1_30default_config_static_selectorELNS0_4arch9wavefront6targetE1EEEvSK_.kd
    .uniform_work_group_size: 1
    .uses_dynamic_stack: false
    .vgpr_count:     0
    .vgpr_spill_count: 0
    .wavefront_size: 64
  - .agpr_count:     0
    .args:
      - .offset:         0
        .size:           40
        .value_kind:     by_value
    .group_segment_fixed_size: 0
    .kernarg_segment_align: 8
    .kernarg_segment_size: 40
    .language:       OpenCL C
    .language_version:
      - 2
      - 0
    .max_flat_workgroup_size: 256
    .name:           _ZN7rocprim17ROCPRIM_400000_NS6detail17trampoline_kernelINS0_14default_configENS1_22reduce_config_selectorIfEEZNS1_11reduce_implILb1ES3_N6thrust23THRUST_200600_302600_NS17counting_iteratorIfNS8_11hip_rocprim3tagENS8_11use_defaultESC_EEPffNS8_4plusIfEEEE10hipError_tPvRmT1_T2_T3_mT4_P12ihipStream_tbEUlT_E1_NS1_11comp_targetILNS1_3genE8ELNS1_11target_archE1030ELNS1_3gpuE2ELNS1_3repE0EEENS1_30default_config_static_selectorELNS0_4arch9wavefront6targetE1EEEvSK_
    .private_segment_fixed_size: 0
    .sgpr_count:     6
    .sgpr_spill_count: 0
    .symbol:         _ZN7rocprim17ROCPRIM_400000_NS6detail17trampoline_kernelINS0_14default_configENS1_22reduce_config_selectorIfEEZNS1_11reduce_implILb1ES3_N6thrust23THRUST_200600_302600_NS17counting_iteratorIfNS8_11hip_rocprim3tagENS8_11use_defaultESC_EEPffNS8_4plusIfEEEE10hipError_tPvRmT1_T2_T3_mT4_P12ihipStream_tbEUlT_E1_NS1_11comp_targetILNS1_3genE8ELNS1_11target_archE1030ELNS1_3gpuE2ELNS1_3repE0EEENS1_30default_config_static_selectorELNS0_4arch9wavefront6targetE1EEEvSK_.kd
    .uniform_work_group_size: 1
    .uses_dynamic_stack: false
    .vgpr_count:     0
    .vgpr_spill_count: 0
    .wavefront_size: 64
  - .agpr_count:     0
    .args:
      - .offset:         0
        .size:           64
        .value_kind:     by_value
    .group_segment_fixed_size: 64
    .kernarg_segment_align: 8
    .kernarg_segment_size: 64
    .language:       OpenCL C
    .language_version:
      - 2
      - 0
    .max_flat_workgroup_size: 256
    .name:           _ZN7rocprim17ROCPRIM_400000_NS6detail17trampoline_kernelINS0_14default_configENS1_22reduce_config_selectorIyEEZNS1_11reduce_implILb1ES3_N6thrust23THRUST_200600_302600_NS17counting_iteratorIyNS8_11hip_rocprim3tagENS8_11use_defaultESC_EEPyyNS8_4plusIyEEEE10hipError_tPvRmT1_T2_T3_mT4_P12ihipStream_tbEUlT_E0_NS1_11comp_targetILNS1_3genE0ELNS1_11target_archE4294967295ELNS1_3gpuE0ELNS1_3repE0EEENS1_30default_config_static_selectorELNS0_4arch9wavefront6targetE1EEEvSK_
    .private_segment_fixed_size: 0
    .sgpr_count:     24
    .sgpr_spill_count: 0
    .symbol:         _ZN7rocprim17ROCPRIM_400000_NS6detail17trampoline_kernelINS0_14default_configENS1_22reduce_config_selectorIyEEZNS1_11reduce_implILb1ES3_N6thrust23THRUST_200600_302600_NS17counting_iteratorIyNS8_11hip_rocprim3tagENS8_11use_defaultESC_EEPyyNS8_4plusIyEEEE10hipError_tPvRmT1_T2_T3_mT4_P12ihipStream_tbEUlT_E0_NS1_11comp_targetILNS1_3genE0ELNS1_11target_archE4294967295ELNS1_3gpuE0ELNS1_3repE0EEENS1_30default_config_static_selectorELNS0_4arch9wavefront6targetE1EEEvSK_.kd
    .uniform_work_group_size: 1
    .uses_dynamic_stack: false
    .vgpr_count:     60
    .vgpr_spill_count: 0
    .wavefront_size: 64
  - .agpr_count:     0
    .args:
      - .offset:         0
        .size:           64
        .value_kind:     by_value
    .group_segment_fixed_size: 0
    .kernarg_segment_align: 8
    .kernarg_segment_size: 64
    .language:       OpenCL C
    .language_version:
      - 2
      - 0
    .max_flat_workgroup_size: 256
    .name:           _ZN7rocprim17ROCPRIM_400000_NS6detail17trampoline_kernelINS0_14default_configENS1_22reduce_config_selectorIyEEZNS1_11reduce_implILb1ES3_N6thrust23THRUST_200600_302600_NS17counting_iteratorIyNS8_11hip_rocprim3tagENS8_11use_defaultESC_EEPyyNS8_4plusIyEEEE10hipError_tPvRmT1_T2_T3_mT4_P12ihipStream_tbEUlT_E0_NS1_11comp_targetILNS1_3genE5ELNS1_11target_archE942ELNS1_3gpuE9ELNS1_3repE0EEENS1_30default_config_static_selectorELNS0_4arch9wavefront6targetE1EEEvSK_
    .private_segment_fixed_size: 0
    .sgpr_count:     6
    .sgpr_spill_count: 0
    .symbol:         _ZN7rocprim17ROCPRIM_400000_NS6detail17trampoline_kernelINS0_14default_configENS1_22reduce_config_selectorIyEEZNS1_11reduce_implILb1ES3_N6thrust23THRUST_200600_302600_NS17counting_iteratorIyNS8_11hip_rocprim3tagENS8_11use_defaultESC_EEPyyNS8_4plusIyEEEE10hipError_tPvRmT1_T2_T3_mT4_P12ihipStream_tbEUlT_E0_NS1_11comp_targetILNS1_3genE5ELNS1_11target_archE942ELNS1_3gpuE9ELNS1_3repE0EEENS1_30default_config_static_selectorELNS0_4arch9wavefront6targetE1EEEvSK_.kd
    .uniform_work_group_size: 1
    .uses_dynamic_stack: false
    .vgpr_count:     0
    .vgpr_spill_count: 0
    .wavefront_size: 64
  - .agpr_count:     0
    .args:
      - .offset:         0
        .size:           64
        .value_kind:     by_value
    .group_segment_fixed_size: 0
    .kernarg_segment_align: 8
    .kernarg_segment_size: 64
    .language:       OpenCL C
    .language_version:
      - 2
      - 0
    .max_flat_workgroup_size: 256
    .name:           _ZN7rocprim17ROCPRIM_400000_NS6detail17trampoline_kernelINS0_14default_configENS1_22reduce_config_selectorIyEEZNS1_11reduce_implILb1ES3_N6thrust23THRUST_200600_302600_NS17counting_iteratorIyNS8_11hip_rocprim3tagENS8_11use_defaultESC_EEPyyNS8_4plusIyEEEE10hipError_tPvRmT1_T2_T3_mT4_P12ihipStream_tbEUlT_E0_NS1_11comp_targetILNS1_3genE4ELNS1_11target_archE910ELNS1_3gpuE8ELNS1_3repE0EEENS1_30default_config_static_selectorELNS0_4arch9wavefront6targetE1EEEvSK_
    .private_segment_fixed_size: 0
    .sgpr_count:     6
    .sgpr_spill_count: 0
    .symbol:         _ZN7rocprim17ROCPRIM_400000_NS6detail17trampoline_kernelINS0_14default_configENS1_22reduce_config_selectorIyEEZNS1_11reduce_implILb1ES3_N6thrust23THRUST_200600_302600_NS17counting_iteratorIyNS8_11hip_rocprim3tagENS8_11use_defaultESC_EEPyyNS8_4plusIyEEEE10hipError_tPvRmT1_T2_T3_mT4_P12ihipStream_tbEUlT_E0_NS1_11comp_targetILNS1_3genE4ELNS1_11target_archE910ELNS1_3gpuE8ELNS1_3repE0EEENS1_30default_config_static_selectorELNS0_4arch9wavefront6targetE1EEEvSK_.kd
    .uniform_work_group_size: 1
    .uses_dynamic_stack: false
    .vgpr_count:     0
    .vgpr_spill_count: 0
    .wavefront_size: 64
  - .agpr_count:     0
    .args:
      - .offset:         0
        .size:           64
        .value_kind:     by_value
    .group_segment_fixed_size: 0
    .kernarg_segment_align: 8
    .kernarg_segment_size: 64
    .language:       OpenCL C
    .language_version:
      - 2
      - 0
    .max_flat_workgroup_size: 256
    .name:           _ZN7rocprim17ROCPRIM_400000_NS6detail17trampoline_kernelINS0_14default_configENS1_22reduce_config_selectorIyEEZNS1_11reduce_implILb1ES3_N6thrust23THRUST_200600_302600_NS17counting_iteratorIyNS8_11hip_rocprim3tagENS8_11use_defaultESC_EEPyyNS8_4plusIyEEEE10hipError_tPvRmT1_T2_T3_mT4_P12ihipStream_tbEUlT_E0_NS1_11comp_targetILNS1_3genE3ELNS1_11target_archE908ELNS1_3gpuE7ELNS1_3repE0EEENS1_30default_config_static_selectorELNS0_4arch9wavefront6targetE1EEEvSK_
    .private_segment_fixed_size: 0
    .sgpr_count:     6
    .sgpr_spill_count: 0
    .symbol:         _ZN7rocprim17ROCPRIM_400000_NS6detail17trampoline_kernelINS0_14default_configENS1_22reduce_config_selectorIyEEZNS1_11reduce_implILb1ES3_N6thrust23THRUST_200600_302600_NS17counting_iteratorIyNS8_11hip_rocprim3tagENS8_11use_defaultESC_EEPyyNS8_4plusIyEEEE10hipError_tPvRmT1_T2_T3_mT4_P12ihipStream_tbEUlT_E0_NS1_11comp_targetILNS1_3genE3ELNS1_11target_archE908ELNS1_3gpuE7ELNS1_3repE0EEENS1_30default_config_static_selectorELNS0_4arch9wavefront6targetE1EEEvSK_.kd
    .uniform_work_group_size: 1
    .uses_dynamic_stack: false
    .vgpr_count:     0
    .vgpr_spill_count: 0
    .wavefront_size: 64
  - .agpr_count:     0
    .args:
      - .offset:         0
        .size:           64
        .value_kind:     by_value
    .group_segment_fixed_size: 0
    .kernarg_segment_align: 8
    .kernarg_segment_size: 64
    .language:       OpenCL C
    .language_version:
      - 2
      - 0
    .max_flat_workgroup_size: 256
    .name:           _ZN7rocprim17ROCPRIM_400000_NS6detail17trampoline_kernelINS0_14default_configENS1_22reduce_config_selectorIyEEZNS1_11reduce_implILb1ES3_N6thrust23THRUST_200600_302600_NS17counting_iteratorIyNS8_11hip_rocprim3tagENS8_11use_defaultESC_EEPyyNS8_4plusIyEEEE10hipError_tPvRmT1_T2_T3_mT4_P12ihipStream_tbEUlT_E0_NS1_11comp_targetILNS1_3genE2ELNS1_11target_archE906ELNS1_3gpuE6ELNS1_3repE0EEENS1_30default_config_static_selectorELNS0_4arch9wavefront6targetE1EEEvSK_
    .private_segment_fixed_size: 0
    .sgpr_count:     6
    .sgpr_spill_count: 0
    .symbol:         _ZN7rocprim17ROCPRIM_400000_NS6detail17trampoline_kernelINS0_14default_configENS1_22reduce_config_selectorIyEEZNS1_11reduce_implILb1ES3_N6thrust23THRUST_200600_302600_NS17counting_iteratorIyNS8_11hip_rocprim3tagENS8_11use_defaultESC_EEPyyNS8_4plusIyEEEE10hipError_tPvRmT1_T2_T3_mT4_P12ihipStream_tbEUlT_E0_NS1_11comp_targetILNS1_3genE2ELNS1_11target_archE906ELNS1_3gpuE6ELNS1_3repE0EEENS1_30default_config_static_selectorELNS0_4arch9wavefront6targetE1EEEvSK_.kd
    .uniform_work_group_size: 1
    .uses_dynamic_stack: false
    .vgpr_count:     0
    .vgpr_spill_count: 0
    .wavefront_size: 64
  - .agpr_count:     0
    .args:
      - .offset:         0
        .size:           64
        .value_kind:     by_value
    .group_segment_fixed_size: 0
    .kernarg_segment_align: 8
    .kernarg_segment_size: 64
    .language:       OpenCL C
    .language_version:
      - 2
      - 0
    .max_flat_workgroup_size: 256
    .name:           _ZN7rocprim17ROCPRIM_400000_NS6detail17trampoline_kernelINS0_14default_configENS1_22reduce_config_selectorIyEEZNS1_11reduce_implILb1ES3_N6thrust23THRUST_200600_302600_NS17counting_iteratorIyNS8_11hip_rocprim3tagENS8_11use_defaultESC_EEPyyNS8_4plusIyEEEE10hipError_tPvRmT1_T2_T3_mT4_P12ihipStream_tbEUlT_E0_NS1_11comp_targetILNS1_3genE10ELNS1_11target_archE1201ELNS1_3gpuE5ELNS1_3repE0EEENS1_30default_config_static_selectorELNS0_4arch9wavefront6targetE1EEEvSK_
    .private_segment_fixed_size: 0
    .sgpr_count:     6
    .sgpr_spill_count: 0
    .symbol:         _ZN7rocprim17ROCPRIM_400000_NS6detail17trampoline_kernelINS0_14default_configENS1_22reduce_config_selectorIyEEZNS1_11reduce_implILb1ES3_N6thrust23THRUST_200600_302600_NS17counting_iteratorIyNS8_11hip_rocprim3tagENS8_11use_defaultESC_EEPyyNS8_4plusIyEEEE10hipError_tPvRmT1_T2_T3_mT4_P12ihipStream_tbEUlT_E0_NS1_11comp_targetILNS1_3genE10ELNS1_11target_archE1201ELNS1_3gpuE5ELNS1_3repE0EEENS1_30default_config_static_selectorELNS0_4arch9wavefront6targetE1EEEvSK_.kd
    .uniform_work_group_size: 1
    .uses_dynamic_stack: false
    .vgpr_count:     0
    .vgpr_spill_count: 0
    .wavefront_size: 64
  - .agpr_count:     0
    .args:
      - .offset:         0
        .size:           64
        .value_kind:     by_value
    .group_segment_fixed_size: 0
    .kernarg_segment_align: 8
    .kernarg_segment_size: 64
    .language:       OpenCL C
    .language_version:
      - 2
      - 0
    .max_flat_workgroup_size: 256
    .name:           _ZN7rocprim17ROCPRIM_400000_NS6detail17trampoline_kernelINS0_14default_configENS1_22reduce_config_selectorIyEEZNS1_11reduce_implILb1ES3_N6thrust23THRUST_200600_302600_NS17counting_iteratorIyNS8_11hip_rocprim3tagENS8_11use_defaultESC_EEPyyNS8_4plusIyEEEE10hipError_tPvRmT1_T2_T3_mT4_P12ihipStream_tbEUlT_E0_NS1_11comp_targetILNS1_3genE10ELNS1_11target_archE1200ELNS1_3gpuE4ELNS1_3repE0EEENS1_30default_config_static_selectorELNS0_4arch9wavefront6targetE1EEEvSK_
    .private_segment_fixed_size: 0
    .sgpr_count:     6
    .sgpr_spill_count: 0
    .symbol:         _ZN7rocprim17ROCPRIM_400000_NS6detail17trampoline_kernelINS0_14default_configENS1_22reduce_config_selectorIyEEZNS1_11reduce_implILb1ES3_N6thrust23THRUST_200600_302600_NS17counting_iteratorIyNS8_11hip_rocprim3tagENS8_11use_defaultESC_EEPyyNS8_4plusIyEEEE10hipError_tPvRmT1_T2_T3_mT4_P12ihipStream_tbEUlT_E0_NS1_11comp_targetILNS1_3genE10ELNS1_11target_archE1200ELNS1_3gpuE4ELNS1_3repE0EEENS1_30default_config_static_selectorELNS0_4arch9wavefront6targetE1EEEvSK_.kd
    .uniform_work_group_size: 1
    .uses_dynamic_stack: false
    .vgpr_count:     0
    .vgpr_spill_count: 0
    .wavefront_size: 64
  - .agpr_count:     0
    .args:
      - .offset:         0
        .size:           64
        .value_kind:     by_value
    .group_segment_fixed_size: 0
    .kernarg_segment_align: 8
    .kernarg_segment_size: 64
    .language:       OpenCL C
    .language_version:
      - 2
      - 0
    .max_flat_workgroup_size: 256
    .name:           _ZN7rocprim17ROCPRIM_400000_NS6detail17trampoline_kernelINS0_14default_configENS1_22reduce_config_selectorIyEEZNS1_11reduce_implILb1ES3_N6thrust23THRUST_200600_302600_NS17counting_iteratorIyNS8_11hip_rocprim3tagENS8_11use_defaultESC_EEPyyNS8_4plusIyEEEE10hipError_tPvRmT1_T2_T3_mT4_P12ihipStream_tbEUlT_E0_NS1_11comp_targetILNS1_3genE9ELNS1_11target_archE1100ELNS1_3gpuE3ELNS1_3repE0EEENS1_30default_config_static_selectorELNS0_4arch9wavefront6targetE1EEEvSK_
    .private_segment_fixed_size: 0
    .sgpr_count:     6
    .sgpr_spill_count: 0
    .symbol:         _ZN7rocprim17ROCPRIM_400000_NS6detail17trampoline_kernelINS0_14default_configENS1_22reduce_config_selectorIyEEZNS1_11reduce_implILb1ES3_N6thrust23THRUST_200600_302600_NS17counting_iteratorIyNS8_11hip_rocprim3tagENS8_11use_defaultESC_EEPyyNS8_4plusIyEEEE10hipError_tPvRmT1_T2_T3_mT4_P12ihipStream_tbEUlT_E0_NS1_11comp_targetILNS1_3genE9ELNS1_11target_archE1100ELNS1_3gpuE3ELNS1_3repE0EEENS1_30default_config_static_selectorELNS0_4arch9wavefront6targetE1EEEvSK_.kd
    .uniform_work_group_size: 1
    .uses_dynamic_stack: false
    .vgpr_count:     0
    .vgpr_spill_count: 0
    .wavefront_size: 64
  - .agpr_count:     0
    .args:
      - .offset:         0
        .size:           64
        .value_kind:     by_value
    .group_segment_fixed_size: 0
    .kernarg_segment_align: 8
    .kernarg_segment_size: 64
    .language:       OpenCL C
    .language_version:
      - 2
      - 0
    .max_flat_workgroup_size: 256
    .name:           _ZN7rocprim17ROCPRIM_400000_NS6detail17trampoline_kernelINS0_14default_configENS1_22reduce_config_selectorIyEEZNS1_11reduce_implILb1ES3_N6thrust23THRUST_200600_302600_NS17counting_iteratorIyNS8_11hip_rocprim3tagENS8_11use_defaultESC_EEPyyNS8_4plusIyEEEE10hipError_tPvRmT1_T2_T3_mT4_P12ihipStream_tbEUlT_E0_NS1_11comp_targetILNS1_3genE8ELNS1_11target_archE1030ELNS1_3gpuE2ELNS1_3repE0EEENS1_30default_config_static_selectorELNS0_4arch9wavefront6targetE1EEEvSK_
    .private_segment_fixed_size: 0
    .sgpr_count:     6
    .sgpr_spill_count: 0
    .symbol:         _ZN7rocprim17ROCPRIM_400000_NS6detail17trampoline_kernelINS0_14default_configENS1_22reduce_config_selectorIyEEZNS1_11reduce_implILb1ES3_N6thrust23THRUST_200600_302600_NS17counting_iteratorIyNS8_11hip_rocprim3tagENS8_11use_defaultESC_EEPyyNS8_4plusIyEEEE10hipError_tPvRmT1_T2_T3_mT4_P12ihipStream_tbEUlT_E0_NS1_11comp_targetILNS1_3genE8ELNS1_11target_archE1030ELNS1_3gpuE2ELNS1_3repE0EEENS1_30default_config_static_selectorELNS0_4arch9wavefront6targetE1EEEvSK_.kd
    .uniform_work_group_size: 1
    .uses_dynamic_stack: false
    .vgpr_count:     0
    .vgpr_spill_count: 0
    .wavefront_size: 64
  - .agpr_count:     0
    .args:
      - .offset:         0
        .size:           48
        .value_kind:     by_value
    .group_segment_fixed_size: 192
    .kernarg_segment_align: 8
    .kernarg_segment_size: 48
    .language:       OpenCL C
    .language_version:
      - 2
      - 0
    .max_flat_workgroup_size: 256
    .name:           _ZN7rocprim17ROCPRIM_400000_NS6detail17trampoline_kernelINS0_14default_configENS1_22reduce_config_selectorIyEEZNS1_11reduce_implILb1ES3_N6thrust23THRUST_200600_302600_NS17counting_iteratorIyNS8_11hip_rocprim3tagENS8_11use_defaultESC_EEPyyNS8_4plusIyEEEE10hipError_tPvRmT1_T2_T3_mT4_P12ihipStream_tbEUlT_E1_NS1_11comp_targetILNS1_3genE0ELNS1_11target_archE4294967295ELNS1_3gpuE0ELNS1_3repE0EEENS1_30default_config_static_selectorELNS0_4arch9wavefront6targetE1EEEvSK_
    .private_segment_fixed_size: 0
    .sgpr_count:     24
    .sgpr_spill_count: 0
    .symbol:         _ZN7rocprim17ROCPRIM_400000_NS6detail17trampoline_kernelINS0_14default_configENS1_22reduce_config_selectorIyEEZNS1_11reduce_implILb1ES3_N6thrust23THRUST_200600_302600_NS17counting_iteratorIyNS8_11hip_rocprim3tagENS8_11use_defaultESC_EEPyyNS8_4plusIyEEEE10hipError_tPvRmT1_T2_T3_mT4_P12ihipStream_tbEUlT_E1_NS1_11comp_targetILNS1_3genE0ELNS1_11target_archE4294967295ELNS1_3gpuE0ELNS1_3repE0EEENS1_30default_config_static_selectorELNS0_4arch9wavefront6targetE1EEEvSK_.kd
    .uniform_work_group_size: 1
    .uses_dynamic_stack: false
    .vgpr_count:     60
    .vgpr_spill_count: 0
    .wavefront_size: 64
  - .agpr_count:     0
    .args:
      - .offset:         0
        .size:           48
        .value_kind:     by_value
    .group_segment_fixed_size: 0
    .kernarg_segment_align: 8
    .kernarg_segment_size: 48
    .language:       OpenCL C
    .language_version:
      - 2
      - 0
    .max_flat_workgroup_size: 256
    .name:           _ZN7rocprim17ROCPRIM_400000_NS6detail17trampoline_kernelINS0_14default_configENS1_22reduce_config_selectorIyEEZNS1_11reduce_implILb1ES3_N6thrust23THRUST_200600_302600_NS17counting_iteratorIyNS8_11hip_rocprim3tagENS8_11use_defaultESC_EEPyyNS8_4plusIyEEEE10hipError_tPvRmT1_T2_T3_mT4_P12ihipStream_tbEUlT_E1_NS1_11comp_targetILNS1_3genE5ELNS1_11target_archE942ELNS1_3gpuE9ELNS1_3repE0EEENS1_30default_config_static_selectorELNS0_4arch9wavefront6targetE1EEEvSK_
    .private_segment_fixed_size: 0
    .sgpr_count:     6
    .sgpr_spill_count: 0
    .symbol:         _ZN7rocprim17ROCPRIM_400000_NS6detail17trampoline_kernelINS0_14default_configENS1_22reduce_config_selectorIyEEZNS1_11reduce_implILb1ES3_N6thrust23THRUST_200600_302600_NS17counting_iteratorIyNS8_11hip_rocprim3tagENS8_11use_defaultESC_EEPyyNS8_4plusIyEEEE10hipError_tPvRmT1_T2_T3_mT4_P12ihipStream_tbEUlT_E1_NS1_11comp_targetILNS1_3genE5ELNS1_11target_archE942ELNS1_3gpuE9ELNS1_3repE0EEENS1_30default_config_static_selectorELNS0_4arch9wavefront6targetE1EEEvSK_.kd
    .uniform_work_group_size: 1
    .uses_dynamic_stack: false
    .vgpr_count:     0
    .vgpr_spill_count: 0
    .wavefront_size: 64
  - .agpr_count:     0
    .args:
      - .offset:         0
        .size:           48
        .value_kind:     by_value
    .group_segment_fixed_size: 0
    .kernarg_segment_align: 8
    .kernarg_segment_size: 48
    .language:       OpenCL C
    .language_version:
      - 2
      - 0
    .max_flat_workgroup_size: 256
    .name:           _ZN7rocprim17ROCPRIM_400000_NS6detail17trampoline_kernelINS0_14default_configENS1_22reduce_config_selectorIyEEZNS1_11reduce_implILb1ES3_N6thrust23THRUST_200600_302600_NS17counting_iteratorIyNS8_11hip_rocprim3tagENS8_11use_defaultESC_EEPyyNS8_4plusIyEEEE10hipError_tPvRmT1_T2_T3_mT4_P12ihipStream_tbEUlT_E1_NS1_11comp_targetILNS1_3genE4ELNS1_11target_archE910ELNS1_3gpuE8ELNS1_3repE0EEENS1_30default_config_static_selectorELNS0_4arch9wavefront6targetE1EEEvSK_
    .private_segment_fixed_size: 0
    .sgpr_count:     6
    .sgpr_spill_count: 0
    .symbol:         _ZN7rocprim17ROCPRIM_400000_NS6detail17trampoline_kernelINS0_14default_configENS1_22reduce_config_selectorIyEEZNS1_11reduce_implILb1ES3_N6thrust23THRUST_200600_302600_NS17counting_iteratorIyNS8_11hip_rocprim3tagENS8_11use_defaultESC_EEPyyNS8_4plusIyEEEE10hipError_tPvRmT1_T2_T3_mT4_P12ihipStream_tbEUlT_E1_NS1_11comp_targetILNS1_3genE4ELNS1_11target_archE910ELNS1_3gpuE8ELNS1_3repE0EEENS1_30default_config_static_selectorELNS0_4arch9wavefront6targetE1EEEvSK_.kd
    .uniform_work_group_size: 1
    .uses_dynamic_stack: false
    .vgpr_count:     0
    .vgpr_spill_count: 0
    .wavefront_size: 64
  - .agpr_count:     0
    .args:
      - .offset:         0
        .size:           48
        .value_kind:     by_value
    .group_segment_fixed_size: 0
    .kernarg_segment_align: 8
    .kernarg_segment_size: 48
    .language:       OpenCL C
    .language_version:
      - 2
      - 0
    .max_flat_workgroup_size: 256
    .name:           _ZN7rocprim17ROCPRIM_400000_NS6detail17trampoline_kernelINS0_14default_configENS1_22reduce_config_selectorIyEEZNS1_11reduce_implILb1ES3_N6thrust23THRUST_200600_302600_NS17counting_iteratorIyNS8_11hip_rocprim3tagENS8_11use_defaultESC_EEPyyNS8_4plusIyEEEE10hipError_tPvRmT1_T2_T3_mT4_P12ihipStream_tbEUlT_E1_NS1_11comp_targetILNS1_3genE3ELNS1_11target_archE908ELNS1_3gpuE7ELNS1_3repE0EEENS1_30default_config_static_selectorELNS0_4arch9wavefront6targetE1EEEvSK_
    .private_segment_fixed_size: 0
    .sgpr_count:     6
    .sgpr_spill_count: 0
    .symbol:         _ZN7rocprim17ROCPRIM_400000_NS6detail17trampoline_kernelINS0_14default_configENS1_22reduce_config_selectorIyEEZNS1_11reduce_implILb1ES3_N6thrust23THRUST_200600_302600_NS17counting_iteratorIyNS8_11hip_rocprim3tagENS8_11use_defaultESC_EEPyyNS8_4plusIyEEEE10hipError_tPvRmT1_T2_T3_mT4_P12ihipStream_tbEUlT_E1_NS1_11comp_targetILNS1_3genE3ELNS1_11target_archE908ELNS1_3gpuE7ELNS1_3repE0EEENS1_30default_config_static_selectorELNS0_4arch9wavefront6targetE1EEEvSK_.kd
    .uniform_work_group_size: 1
    .uses_dynamic_stack: false
    .vgpr_count:     0
    .vgpr_spill_count: 0
    .wavefront_size: 64
  - .agpr_count:     0
    .args:
      - .offset:         0
        .size:           48
        .value_kind:     by_value
    .group_segment_fixed_size: 0
    .kernarg_segment_align: 8
    .kernarg_segment_size: 48
    .language:       OpenCL C
    .language_version:
      - 2
      - 0
    .max_flat_workgroup_size: 256
    .name:           _ZN7rocprim17ROCPRIM_400000_NS6detail17trampoline_kernelINS0_14default_configENS1_22reduce_config_selectorIyEEZNS1_11reduce_implILb1ES3_N6thrust23THRUST_200600_302600_NS17counting_iteratorIyNS8_11hip_rocprim3tagENS8_11use_defaultESC_EEPyyNS8_4plusIyEEEE10hipError_tPvRmT1_T2_T3_mT4_P12ihipStream_tbEUlT_E1_NS1_11comp_targetILNS1_3genE2ELNS1_11target_archE906ELNS1_3gpuE6ELNS1_3repE0EEENS1_30default_config_static_selectorELNS0_4arch9wavefront6targetE1EEEvSK_
    .private_segment_fixed_size: 0
    .sgpr_count:     6
    .sgpr_spill_count: 0
    .symbol:         _ZN7rocprim17ROCPRIM_400000_NS6detail17trampoline_kernelINS0_14default_configENS1_22reduce_config_selectorIyEEZNS1_11reduce_implILb1ES3_N6thrust23THRUST_200600_302600_NS17counting_iteratorIyNS8_11hip_rocprim3tagENS8_11use_defaultESC_EEPyyNS8_4plusIyEEEE10hipError_tPvRmT1_T2_T3_mT4_P12ihipStream_tbEUlT_E1_NS1_11comp_targetILNS1_3genE2ELNS1_11target_archE906ELNS1_3gpuE6ELNS1_3repE0EEENS1_30default_config_static_selectorELNS0_4arch9wavefront6targetE1EEEvSK_.kd
    .uniform_work_group_size: 1
    .uses_dynamic_stack: false
    .vgpr_count:     0
    .vgpr_spill_count: 0
    .wavefront_size: 64
  - .agpr_count:     0
    .args:
      - .offset:         0
        .size:           48
        .value_kind:     by_value
    .group_segment_fixed_size: 0
    .kernarg_segment_align: 8
    .kernarg_segment_size: 48
    .language:       OpenCL C
    .language_version:
      - 2
      - 0
    .max_flat_workgroup_size: 256
    .name:           _ZN7rocprim17ROCPRIM_400000_NS6detail17trampoline_kernelINS0_14default_configENS1_22reduce_config_selectorIyEEZNS1_11reduce_implILb1ES3_N6thrust23THRUST_200600_302600_NS17counting_iteratorIyNS8_11hip_rocprim3tagENS8_11use_defaultESC_EEPyyNS8_4plusIyEEEE10hipError_tPvRmT1_T2_T3_mT4_P12ihipStream_tbEUlT_E1_NS1_11comp_targetILNS1_3genE10ELNS1_11target_archE1201ELNS1_3gpuE5ELNS1_3repE0EEENS1_30default_config_static_selectorELNS0_4arch9wavefront6targetE1EEEvSK_
    .private_segment_fixed_size: 0
    .sgpr_count:     6
    .sgpr_spill_count: 0
    .symbol:         _ZN7rocprim17ROCPRIM_400000_NS6detail17trampoline_kernelINS0_14default_configENS1_22reduce_config_selectorIyEEZNS1_11reduce_implILb1ES3_N6thrust23THRUST_200600_302600_NS17counting_iteratorIyNS8_11hip_rocprim3tagENS8_11use_defaultESC_EEPyyNS8_4plusIyEEEE10hipError_tPvRmT1_T2_T3_mT4_P12ihipStream_tbEUlT_E1_NS1_11comp_targetILNS1_3genE10ELNS1_11target_archE1201ELNS1_3gpuE5ELNS1_3repE0EEENS1_30default_config_static_selectorELNS0_4arch9wavefront6targetE1EEEvSK_.kd
    .uniform_work_group_size: 1
    .uses_dynamic_stack: false
    .vgpr_count:     0
    .vgpr_spill_count: 0
    .wavefront_size: 64
  - .agpr_count:     0
    .args:
      - .offset:         0
        .size:           48
        .value_kind:     by_value
    .group_segment_fixed_size: 0
    .kernarg_segment_align: 8
    .kernarg_segment_size: 48
    .language:       OpenCL C
    .language_version:
      - 2
      - 0
    .max_flat_workgroup_size: 256
    .name:           _ZN7rocprim17ROCPRIM_400000_NS6detail17trampoline_kernelINS0_14default_configENS1_22reduce_config_selectorIyEEZNS1_11reduce_implILb1ES3_N6thrust23THRUST_200600_302600_NS17counting_iteratorIyNS8_11hip_rocprim3tagENS8_11use_defaultESC_EEPyyNS8_4plusIyEEEE10hipError_tPvRmT1_T2_T3_mT4_P12ihipStream_tbEUlT_E1_NS1_11comp_targetILNS1_3genE10ELNS1_11target_archE1200ELNS1_3gpuE4ELNS1_3repE0EEENS1_30default_config_static_selectorELNS0_4arch9wavefront6targetE1EEEvSK_
    .private_segment_fixed_size: 0
    .sgpr_count:     6
    .sgpr_spill_count: 0
    .symbol:         _ZN7rocprim17ROCPRIM_400000_NS6detail17trampoline_kernelINS0_14default_configENS1_22reduce_config_selectorIyEEZNS1_11reduce_implILb1ES3_N6thrust23THRUST_200600_302600_NS17counting_iteratorIyNS8_11hip_rocprim3tagENS8_11use_defaultESC_EEPyyNS8_4plusIyEEEE10hipError_tPvRmT1_T2_T3_mT4_P12ihipStream_tbEUlT_E1_NS1_11comp_targetILNS1_3genE10ELNS1_11target_archE1200ELNS1_3gpuE4ELNS1_3repE0EEENS1_30default_config_static_selectorELNS0_4arch9wavefront6targetE1EEEvSK_.kd
    .uniform_work_group_size: 1
    .uses_dynamic_stack: false
    .vgpr_count:     0
    .vgpr_spill_count: 0
    .wavefront_size: 64
  - .agpr_count:     0
    .args:
      - .offset:         0
        .size:           48
        .value_kind:     by_value
    .group_segment_fixed_size: 0
    .kernarg_segment_align: 8
    .kernarg_segment_size: 48
    .language:       OpenCL C
    .language_version:
      - 2
      - 0
    .max_flat_workgroup_size: 256
    .name:           _ZN7rocprim17ROCPRIM_400000_NS6detail17trampoline_kernelINS0_14default_configENS1_22reduce_config_selectorIyEEZNS1_11reduce_implILb1ES3_N6thrust23THRUST_200600_302600_NS17counting_iteratorIyNS8_11hip_rocprim3tagENS8_11use_defaultESC_EEPyyNS8_4plusIyEEEE10hipError_tPvRmT1_T2_T3_mT4_P12ihipStream_tbEUlT_E1_NS1_11comp_targetILNS1_3genE9ELNS1_11target_archE1100ELNS1_3gpuE3ELNS1_3repE0EEENS1_30default_config_static_selectorELNS0_4arch9wavefront6targetE1EEEvSK_
    .private_segment_fixed_size: 0
    .sgpr_count:     6
    .sgpr_spill_count: 0
    .symbol:         _ZN7rocprim17ROCPRIM_400000_NS6detail17trampoline_kernelINS0_14default_configENS1_22reduce_config_selectorIyEEZNS1_11reduce_implILb1ES3_N6thrust23THRUST_200600_302600_NS17counting_iteratorIyNS8_11hip_rocprim3tagENS8_11use_defaultESC_EEPyyNS8_4plusIyEEEE10hipError_tPvRmT1_T2_T3_mT4_P12ihipStream_tbEUlT_E1_NS1_11comp_targetILNS1_3genE9ELNS1_11target_archE1100ELNS1_3gpuE3ELNS1_3repE0EEENS1_30default_config_static_selectorELNS0_4arch9wavefront6targetE1EEEvSK_.kd
    .uniform_work_group_size: 1
    .uses_dynamic_stack: false
    .vgpr_count:     0
    .vgpr_spill_count: 0
    .wavefront_size: 64
  - .agpr_count:     0
    .args:
      - .offset:         0
        .size:           48
        .value_kind:     by_value
    .group_segment_fixed_size: 0
    .kernarg_segment_align: 8
    .kernarg_segment_size: 48
    .language:       OpenCL C
    .language_version:
      - 2
      - 0
    .max_flat_workgroup_size: 256
    .name:           _ZN7rocprim17ROCPRIM_400000_NS6detail17trampoline_kernelINS0_14default_configENS1_22reduce_config_selectorIyEEZNS1_11reduce_implILb1ES3_N6thrust23THRUST_200600_302600_NS17counting_iteratorIyNS8_11hip_rocprim3tagENS8_11use_defaultESC_EEPyyNS8_4plusIyEEEE10hipError_tPvRmT1_T2_T3_mT4_P12ihipStream_tbEUlT_E1_NS1_11comp_targetILNS1_3genE8ELNS1_11target_archE1030ELNS1_3gpuE2ELNS1_3repE0EEENS1_30default_config_static_selectorELNS0_4arch9wavefront6targetE1EEEvSK_
    .private_segment_fixed_size: 0
    .sgpr_count:     6
    .sgpr_spill_count: 0
    .symbol:         _ZN7rocprim17ROCPRIM_400000_NS6detail17trampoline_kernelINS0_14default_configENS1_22reduce_config_selectorIyEEZNS1_11reduce_implILb1ES3_N6thrust23THRUST_200600_302600_NS17counting_iteratorIyNS8_11hip_rocprim3tagENS8_11use_defaultESC_EEPyyNS8_4plusIyEEEE10hipError_tPvRmT1_T2_T3_mT4_P12ihipStream_tbEUlT_E1_NS1_11comp_targetILNS1_3genE8ELNS1_11target_archE1030ELNS1_3gpuE2ELNS1_3repE0EEENS1_30default_config_static_selectorELNS0_4arch9wavefront6targetE1EEEvSK_.kd
    .uniform_work_group_size: 1
    .uses_dynamic_stack: false
    .vgpr_count:     0
    .vgpr_spill_count: 0
    .wavefront_size: 64
  - .agpr_count:     0
    .args:
      - .offset:         0
        .size:           56
        .value_kind:     by_value
    .group_segment_fixed_size: 32
    .kernarg_segment_align: 8
    .kernarg_segment_size: 56
    .language:       OpenCL C
    .language_version:
      - 2
      - 0
    .max_flat_workgroup_size: 256
    .name:           _ZN7rocprim17ROCPRIM_400000_NS6detail17trampoline_kernelINS0_14default_configENS1_22reduce_config_selectorIjEEZNS1_11reduce_implILb1ES3_N6thrust23THRUST_200600_302600_NS17counting_iteratorIjNS8_11hip_rocprim3tagENS8_11use_defaultESC_EEPjjNS8_4plusIjEEEE10hipError_tPvRmT1_T2_T3_mT4_P12ihipStream_tbEUlT_E0_NS1_11comp_targetILNS1_3genE0ELNS1_11target_archE4294967295ELNS1_3gpuE0ELNS1_3repE0EEENS1_30default_config_static_selectorELNS0_4arch9wavefront6targetE1EEEvSK_
    .private_segment_fixed_size: 0
    .sgpr_count:     23
    .sgpr_spill_count: 0
    .symbol:         _ZN7rocprim17ROCPRIM_400000_NS6detail17trampoline_kernelINS0_14default_configENS1_22reduce_config_selectorIjEEZNS1_11reduce_implILb1ES3_N6thrust23THRUST_200600_302600_NS17counting_iteratorIjNS8_11hip_rocprim3tagENS8_11use_defaultESC_EEPjjNS8_4plusIjEEEE10hipError_tPvRmT1_T2_T3_mT4_P12ihipStream_tbEUlT_E0_NS1_11comp_targetILNS1_3genE0ELNS1_11target_archE4294967295ELNS1_3gpuE0ELNS1_3repE0EEENS1_30default_config_static_selectorELNS0_4arch9wavefront6targetE1EEEvSK_.kd
    .uniform_work_group_size: 1
    .uses_dynamic_stack: false
    .vgpr_count:     9
    .vgpr_spill_count: 0
    .wavefront_size: 64
  - .agpr_count:     0
    .args:
      - .offset:         0
        .size:           56
        .value_kind:     by_value
    .group_segment_fixed_size: 0
    .kernarg_segment_align: 8
    .kernarg_segment_size: 56
    .language:       OpenCL C
    .language_version:
      - 2
      - 0
    .max_flat_workgroup_size: 256
    .name:           _ZN7rocprim17ROCPRIM_400000_NS6detail17trampoline_kernelINS0_14default_configENS1_22reduce_config_selectorIjEEZNS1_11reduce_implILb1ES3_N6thrust23THRUST_200600_302600_NS17counting_iteratorIjNS8_11hip_rocprim3tagENS8_11use_defaultESC_EEPjjNS8_4plusIjEEEE10hipError_tPvRmT1_T2_T3_mT4_P12ihipStream_tbEUlT_E0_NS1_11comp_targetILNS1_3genE5ELNS1_11target_archE942ELNS1_3gpuE9ELNS1_3repE0EEENS1_30default_config_static_selectorELNS0_4arch9wavefront6targetE1EEEvSK_
    .private_segment_fixed_size: 0
    .sgpr_count:     6
    .sgpr_spill_count: 0
    .symbol:         _ZN7rocprim17ROCPRIM_400000_NS6detail17trampoline_kernelINS0_14default_configENS1_22reduce_config_selectorIjEEZNS1_11reduce_implILb1ES3_N6thrust23THRUST_200600_302600_NS17counting_iteratorIjNS8_11hip_rocprim3tagENS8_11use_defaultESC_EEPjjNS8_4plusIjEEEE10hipError_tPvRmT1_T2_T3_mT4_P12ihipStream_tbEUlT_E0_NS1_11comp_targetILNS1_3genE5ELNS1_11target_archE942ELNS1_3gpuE9ELNS1_3repE0EEENS1_30default_config_static_selectorELNS0_4arch9wavefront6targetE1EEEvSK_.kd
    .uniform_work_group_size: 1
    .uses_dynamic_stack: false
    .vgpr_count:     0
    .vgpr_spill_count: 0
    .wavefront_size: 64
  - .agpr_count:     0
    .args:
      - .offset:         0
        .size:           56
        .value_kind:     by_value
    .group_segment_fixed_size: 0
    .kernarg_segment_align: 8
    .kernarg_segment_size: 56
    .language:       OpenCL C
    .language_version:
      - 2
      - 0
    .max_flat_workgroup_size: 128
    .name:           _ZN7rocprim17ROCPRIM_400000_NS6detail17trampoline_kernelINS0_14default_configENS1_22reduce_config_selectorIjEEZNS1_11reduce_implILb1ES3_N6thrust23THRUST_200600_302600_NS17counting_iteratorIjNS8_11hip_rocprim3tagENS8_11use_defaultESC_EEPjjNS8_4plusIjEEEE10hipError_tPvRmT1_T2_T3_mT4_P12ihipStream_tbEUlT_E0_NS1_11comp_targetILNS1_3genE4ELNS1_11target_archE910ELNS1_3gpuE8ELNS1_3repE0EEENS1_30default_config_static_selectorELNS0_4arch9wavefront6targetE1EEEvSK_
    .private_segment_fixed_size: 0
    .sgpr_count:     6
    .sgpr_spill_count: 0
    .symbol:         _ZN7rocprim17ROCPRIM_400000_NS6detail17trampoline_kernelINS0_14default_configENS1_22reduce_config_selectorIjEEZNS1_11reduce_implILb1ES3_N6thrust23THRUST_200600_302600_NS17counting_iteratorIjNS8_11hip_rocprim3tagENS8_11use_defaultESC_EEPjjNS8_4plusIjEEEE10hipError_tPvRmT1_T2_T3_mT4_P12ihipStream_tbEUlT_E0_NS1_11comp_targetILNS1_3genE4ELNS1_11target_archE910ELNS1_3gpuE8ELNS1_3repE0EEENS1_30default_config_static_selectorELNS0_4arch9wavefront6targetE1EEEvSK_.kd
    .uniform_work_group_size: 1
    .uses_dynamic_stack: false
    .vgpr_count:     0
    .vgpr_spill_count: 0
    .wavefront_size: 64
  - .agpr_count:     0
    .args:
      - .offset:         0
        .size:           56
        .value_kind:     by_value
    .group_segment_fixed_size: 0
    .kernarg_segment_align: 8
    .kernarg_segment_size: 56
    .language:       OpenCL C
    .language_version:
      - 2
      - 0
    .max_flat_workgroup_size: 256
    .name:           _ZN7rocprim17ROCPRIM_400000_NS6detail17trampoline_kernelINS0_14default_configENS1_22reduce_config_selectorIjEEZNS1_11reduce_implILb1ES3_N6thrust23THRUST_200600_302600_NS17counting_iteratorIjNS8_11hip_rocprim3tagENS8_11use_defaultESC_EEPjjNS8_4plusIjEEEE10hipError_tPvRmT1_T2_T3_mT4_P12ihipStream_tbEUlT_E0_NS1_11comp_targetILNS1_3genE3ELNS1_11target_archE908ELNS1_3gpuE7ELNS1_3repE0EEENS1_30default_config_static_selectorELNS0_4arch9wavefront6targetE1EEEvSK_
    .private_segment_fixed_size: 0
    .sgpr_count:     6
    .sgpr_spill_count: 0
    .symbol:         _ZN7rocprim17ROCPRIM_400000_NS6detail17trampoline_kernelINS0_14default_configENS1_22reduce_config_selectorIjEEZNS1_11reduce_implILb1ES3_N6thrust23THRUST_200600_302600_NS17counting_iteratorIjNS8_11hip_rocprim3tagENS8_11use_defaultESC_EEPjjNS8_4plusIjEEEE10hipError_tPvRmT1_T2_T3_mT4_P12ihipStream_tbEUlT_E0_NS1_11comp_targetILNS1_3genE3ELNS1_11target_archE908ELNS1_3gpuE7ELNS1_3repE0EEENS1_30default_config_static_selectorELNS0_4arch9wavefront6targetE1EEEvSK_.kd
    .uniform_work_group_size: 1
    .uses_dynamic_stack: false
    .vgpr_count:     0
    .vgpr_spill_count: 0
    .wavefront_size: 64
  - .agpr_count:     0
    .args:
      - .offset:         0
        .size:           56
        .value_kind:     by_value
    .group_segment_fixed_size: 0
    .kernarg_segment_align: 8
    .kernarg_segment_size: 56
    .language:       OpenCL C
    .language_version:
      - 2
      - 0
    .max_flat_workgroup_size: 256
    .name:           _ZN7rocprim17ROCPRIM_400000_NS6detail17trampoline_kernelINS0_14default_configENS1_22reduce_config_selectorIjEEZNS1_11reduce_implILb1ES3_N6thrust23THRUST_200600_302600_NS17counting_iteratorIjNS8_11hip_rocprim3tagENS8_11use_defaultESC_EEPjjNS8_4plusIjEEEE10hipError_tPvRmT1_T2_T3_mT4_P12ihipStream_tbEUlT_E0_NS1_11comp_targetILNS1_3genE2ELNS1_11target_archE906ELNS1_3gpuE6ELNS1_3repE0EEENS1_30default_config_static_selectorELNS0_4arch9wavefront6targetE1EEEvSK_
    .private_segment_fixed_size: 0
    .sgpr_count:     6
    .sgpr_spill_count: 0
    .symbol:         _ZN7rocprim17ROCPRIM_400000_NS6detail17trampoline_kernelINS0_14default_configENS1_22reduce_config_selectorIjEEZNS1_11reduce_implILb1ES3_N6thrust23THRUST_200600_302600_NS17counting_iteratorIjNS8_11hip_rocprim3tagENS8_11use_defaultESC_EEPjjNS8_4plusIjEEEE10hipError_tPvRmT1_T2_T3_mT4_P12ihipStream_tbEUlT_E0_NS1_11comp_targetILNS1_3genE2ELNS1_11target_archE906ELNS1_3gpuE6ELNS1_3repE0EEENS1_30default_config_static_selectorELNS0_4arch9wavefront6targetE1EEEvSK_.kd
    .uniform_work_group_size: 1
    .uses_dynamic_stack: false
    .vgpr_count:     0
    .vgpr_spill_count: 0
    .wavefront_size: 64
  - .agpr_count:     0
    .args:
      - .offset:         0
        .size:           56
        .value_kind:     by_value
    .group_segment_fixed_size: 0
    .kernarg_segment_align: 8
    .kernarg_segment_size: 56
    .language:       OpenCL C
    .language_version:
      - 2
      - 0
    .max_flat_workgroup_size: 256
    .name:           _ZN7rocprim17ROCPRIM_400000_NS6detail17trampoline_kernelINS0_14default_configENS1_22reduce_config_selectorIjEEZNS1_11reduce_implILb1ES3_N6thrust23THRUST_200600_302600_NS17counting_iteratorIjNS8_11hip_rocprim3tagENS8_11use_defaultESC_EEPjjNS8_4plusIjEEEE10hipError_tPvRmT1_T2_T3_mT4_P12ihipStream_tbEUlT_E0_NS1_11comp_targetILNS1_3genE10ELNS1_11target_archE1201ELNS1_3gpuE5ELNS1_3repE0EEENS1_30default_config_static_selectorELNS0_4arch9wavefront6targetE1EEEvSK_
    .private_segment_fixed_size: 0
    .sgpr_count:     6
    .sgpr_spill_count: 0
    .symbol:         _ZN7rocprim17ROCPRIM_400000_NS6detail17trampoline_kernelINS0_14default_configENS1_22reduce_config_selectorIjEEZNS1_11reduce_implILb1ES3_N6thrust23THRUST_200600_302600_NS17counting_iteratorIjNS8_11hip_rocprim3tagENS8_11use_defaultESC_EEPjjNS8_4plusIjEEEE10hipError_tPvRmT1_T2_T3_mT4_P12ihipStream_tbEUlT_E0_NS1_11comp_targetILNS1_3genE10ELNS1_11target_archE1201ELNS1_3gpuE5ELNS1_3repE0EEENS1_30default_config_static_selectorELNS0_4arch9wavefront6targetE1EEEvSK_.kd
    .uniform_work_group_size: 1
    .uses_dynamic_stack: false
    .vgpr_count:     0
    .vgpr_spill_count: 0
    .wavefront_size: 64
  - .agpr_count:     0
    .args:
      - .offset:         0
        .size:           56
        .value_kind:     by_value
    .group_segment_fixed_size: 0
    .kernarg_segment_align: 8
    .kernarg_segment_size: 56
    .language:       OpenCL C
    .language_version:
      - 2
      - 0
    .max_flat_workgroup_size: 256
    .name:           _ZN7rocprim17ROCPRIM_400000_NS6detail17trampoline_kernelINS0_14default_configENS1_22reduce_config_selectorIjEEZNS1_11reduce_implILb1ES3_N6thrust23THRUST_200600_302600_NS17counting_iteratorIjNS8_11hip_rocprim3tagENS8_11use_defaultESC_EEPjjNS8_4plusIjEEEE10hipError_tPvRmT1_T2_T3_mT4_P12ihipStream_tbEUlT_E0_NS1_11comp_targetILNS1_3genE10ELNS1_11target_archE1200ELNS1_3gpuE4ELNS1_3repE0EEENS1_30default_config_static_selectorELNS0_4arch9wavefront6targetE1EEEvSK_
    .private_segment_fixed_size: 0
    .sgpr_count:     6
    .sgpr_spill_count: 0
    .symbol:         _ZN7rocprim17ROCPRIM_400000_NS6detail17trampoline_kernelINS0_14default_configENS1_22reduce_config_selectorIjEEZNS1_11reduce_implILb1ES3_N6thrust23THRUST_200600_302600_NS17counting_iteratorIjNS8_11hip_rocprim3tagENS8_11use_defaultESC_EEPjjNS8_4plusIjEEEE10hipError_tPvRmT1_T2_T3_mT4_P12ihipStream_tbEUlT_E0_NS1_11comp_targetILNS1_3genE10ELNS1_11target_archE1200ELNS1_3gpuE4ELNS1_3repE0EEENS1_30default_config_static_selectorELNS0_4arch9wavefront6targetE1EEEvSK_.kd
    .uniform_work_group_size: 1
    .uses_dynamic_stack: false
    .vgpr_count:     0
    .vgpr_spill_count: 0
    .wavefront_size: 64
  - .agpr_count:     0
    .args:
      - .offset:         0
        .size:           56
        .value_kind:     by_value
    .group_segment_fixed_size: 0
    .kernarg_segment_align: 8
    .kernarg_segment_size: 56
    .language:       OpenCL C
    .language_version:
      - 2
      - 0
    .max_flat_workgroup_size: 256
    .name:           _ZN7rocprim17ROCPRIM_400000_NS6detail17trampoline_kernelINS0_14default_configENS1_22reduce_config_selectorIjEEZNS1_11reduce_implILb1ES3_N6thrust23THRUST_200600_302600_NS17counting_iteratorIjNS8_11hip_rocprim3tagENS8_11use_defaultESC_EEPjjNS8_4plusIjEEEE10hipError_tPvRmT1_T2_T3_mT4_P12ihipStream_tbEUlT_E0_NS1_11comp_targetILNS1_3genE9ELNS1_11target_archE1100ELNS1_3gpuE3ELNS1_3repE0EEENS1_30default_config_static_selectorELNS0_4arch9wavefront6targetE1EEEvSK_
    .private_segment_fixed_size: 0
    .sgpr_count:     6
    .sgpr_spill_count: 0
    .symbol:         _ZN7rocprim17ROCPRIM_400000_NS6detail17trampoline_kernelINS0_14default_configENS1_22reduce_config_selectorIjEEZNS1_11reduce_implILb1ES3_N6thrust23THRUST_200600_302600_NS17counting_iteratorIjNS8_11hip_rocprim3tagENS8_11use_defaultESC_EEPjjNS8_4plusIjEEEE10hipError_tPvRmT1_T2_T3_mT4_P12ihipStream_tbEUlT_E0_NS1_11comp_targetILNS1_3genE9ELNS1_11target_archE1100ELNS1_3gpuE3ELNS1_3repE0EEENS1_30default_config_static_selectorELNS0_4arch9wavefront6targetE1EEEvSK_.kd
    .uniform_work_group_size: 1
    .uses_dynamic_stack: false
    .vgpr_count:     0
    .vgpr_spill_count: 0
    .wavefront_size: 64
  - .agpr_count:     0
    .args:
      - .offset:         0
        .size:           56
        .value_kind:     by_value
    .group_segment_fixed_size: 0
    .kernarg_segment_align: 8
    .kernarg_segment_size: 56
    .language:       OpenCL C
    .language_version:
      - 2
      - 0
    .max_flat_workgroup_size: 256
    .name:           _ZN7rocprim17ROCPRIM_400000_NS6detail17trampoline_kernelINS0_14default_configENS1_22reduce_config_selectorIjEEZNS1_11reduce_implILb1ES3_N6thrust23THRUST_200600_302600_NS17counting_iteratorIjNS8_11hip_rocprim3tagENS8_11use_defaultESC_EEPjjNS8_4plusIjEEEE10hipError_tPvRmT1_T2_T3_mT4_P12ihipStream_tbEUlT_E0_NS1_11comp_targetILNS1_3genE8ELNS1_11target_archE1030ELNS1_3gpuE2ELNS1_3repE0EEENS1_30default_config_static_selectorELNS0_4arch9wavefront6targetE1EEEvSK_
    .private_segment_fixed_size: 0
    .sgpr_count:     6
    .sgpr_spill_count: 0
    .symbol:         _ZN7rocprim17ROCPRIM_400000_NS6detail17trampoline_kernelINS0_14default_configENS1_22reduce_config_selectorIjEEZNS1_11reduce_implILb1ES3_N6thrust23THRUST_200600_302600_NS17counting_iteratorIjNS8_11hip_rocprim3tagENS8_11use_defaultESC_EEPjjNS8_4plusIjEEEE10hipError_tPvRmT1_T2_T3_mT4_P12ihipStream_tbEUlT_E0_NS1_11comp_targetILNS1_3genE8ELNS1_11target_archE1030ELNS1_3gpuE2ELNS1_3repE0EEENS1_30default_config_static_selectorELNS0_4arch9wavefront6targetE1EEEvSK_.kd
    .uniform_work_group_size: 1
    .uses_dynamic_stack: false
    .vgpr_count:     0
    .vgpr_spill_count: 0
    .wavefront_size: 64
  - .agpr_count:     0
    .args:
      - .offset:         0
        .size:           40
        .value_kind:     by_value
    .group_segment_fixed_size: 112
    .kernarg_segment_align: 8
    .kernarg_segment_size: 40
    .language:       OpenCL C
    .language_version:
      - 2
      - 0
    .max_flat_workgroup_size: 256
    .name:           _ZN7rocprim17ROCPRIM_400000_NS6detail17trampoline_kernelINS0_14default_configENS1_22reduce_config_selectorIjEEZNS1_11reduce_implILb1ES3_N6thrust23THRUST_200600_302600_NS17counting_iteratorIjNS8_11hip_rocprim3tagENS8_11use_defaultESC_EEPjjNS8_4plusIjEEEE10hipError_tPvRmT1_T2_T3_mT4_P12ihipStream_tbEUlT_E1_NS1_11comp_targetILNS1_3genE0ELNS1_11target_archE4294967295ELNS1_3gpuE0ELNS1_3repE0EEENS1_30default_config_static_selectorELNS0_4arch9wavefront6targetE1EEEvSK_
    .private_segment_fixed_size: 0
    .sgpr_count:     26
    .sgpr_spill_count: 0
    .symbol:         _ZN7rocprim17ROCPRIM_400000_NS6detail17trampoline_kernelINS0_14default_configENS1_22reduce_config_selectorIjEEZNS1_11reduce_implILb1ES3_N6thrust23THRUST_200600_302600_NS17counting_iteratorIjNS8_11hip_rocprim3tagENS8_11use_defaultESC_EEPjjNS8_4plusIjEEEE10hipError_tPvRmT1_T2_T3_mT4_P12ihipStream_tbEUlT_E1_NS1_11comp_targetILNS1_3genE0ELNS1_11target_archE4294967295ELNS1_3gpuE0ELNS1_3repE0EEENS1_30default_config_static_selectorELNS0_4arch9wavefront6targetE1EEEvSK_.kd
    .uniform_work_group_size: 1
    .uses_dynamic_stack: false
    .vgpr_count:     60
    .vgpr_spill_count: 0
    .wavefront_size: 64
  - .agpr_count:     0
    .args:
      - .offset:         0
        .size:           40
        .value_kind:     by_value
    .group_segment_fixed_size: 0
    .kernarg_segment_align: 8
    .kernarg_segment_size: 40
    .language:       OpenCL C
    .language_version:
      - 2
      - 0
    .max_flat_workgroup_size: 256
    .name:           _ZN7rocprim17ROCPRIM_400000_NS6detail17trampoline_kernelINS0_14default_configENS1_22reduce_config_selectorIjEEZNS1_11reduce_implILb1ES3_N6thrust23THRUST_200600_302600_NS17counting_iteratorIjNS8_11hip_rocprim3tagENS8_11use_defaultESC_EEPjjNS8_4plusIjEEEE10hipError_tPvRmT1_T2_T3_mT4_P12ihipStream_tbEUlT_E1_NS1_11comp_targetILNS1_3genE5ELNS1_11target_archE942ELNS1_3gpuE9ELNS1_3repE0EEENS1_30default_config_static_selectorELNS0_4arch9wavefront6targetE1EEEvSK_
    .private_segment_fixed_size: 0
    .sgpr_count:     6
    .sgpr_spill_count: 0
    .symbol:         _ZN7rocprim17ROCPRIM_400000_NS6detail17trampoline_kernelINS0_14default_configENS1_22reduce_config_selectorIjEEZNS1_11reduce_implILb1ES3_N6thrust23THRUST_200600_302600_NS17counting_iteratorIjNS8_11hip_rocprim3tagENS8_11use_defaultESC_EEPjjNS8_4plusIjEEEE10hipError_tPvRmT1_T2_T3_mT4_P12ihipStream_tbEUlT_E1_NS1_11comp_targetILNS1_3genE5ELNS1_11target_archE942ELNS1_3gpuE9ELNS1_3repE0EEENS1_30default_config_static_selectorELNS0_4arch9wavefront6targetE1EEEvSK_.kd
    .uniform_work_group_size: 1
    .uses_dynamic_stack: false
    .vgpr_count:     0
    .vgpr_spill_count: 0
    .wavefront_size: 64
  - .agpr_count:     0
    .args:
      - .offset:         0
        .size:           40
        .value_kind:     by_value
    .group_segment_fixed_size: 0
    .kernarg_segment_align: 8
    .kernarg_segment_size: 40
    .language:       OpenCL C
    .language_version:
      - 2
      - 0
    .max_flat_workgroup_size: 128
    .name:           _ZN7rocprim17ROCPRIM_400000_NS6detail17trampoline_kernelINS0_14default_configENS1_22reduce_config_selectorIjEEZNS1_11reduce_implILb1ES3_N6thrust23THRUST_200600_302600_NS17counting_iteratorIjNS8_11hip_rocprim3tagENS8_11use_defaultESC_EEPjjNS8_4plusIjEEEE10hipError_tPvRmT1_T2_T3_mT4_P12ihipStream_tbEUlT_E1_NS1_11comp_targetILNS1_3genE4ELNS1_11target_archE910ELNS1_3gpuE8ELNS1_3repE0EEENS1_30default_config_static_selectorELNS0_4arch9wavefront6targetE1EEEvSK_
    .private_segment_fixed_size: 0
    .sgpr_count:     6
    .sgpr_spill_count: 0
    .symbol:         _ZN7rocprim17ROCPRIM_400000_NS6detail17trampoline_kernelINS0_14default_configENS1_22reduce_config_selectorIjEEZNS1_11reduce_implILb1ES3_N6thrust23THRUST_200600_302600_NS17counting_iteratorIjNS8_11hip_rocprim3tagENS8_11use_defaultESC_EEPjjNS8_4plusIjEEEE10hipError_tPvRmT1_T2_T3_mT4_P12ihipStream_tbEUlT_E1_NS1_11comp_targetILNS1_3genE4ELNS1_11target_archE910ELNS1_3gpuE8ELNS1_3repE0EEENS1_30default_config_static_selectorELNS0_4arch9wavefront6targetE1EEEvSK_.kd
    .uniform_work_group_size: 1
    .uses_dynamic_stack: false
    .vgpr_count:     0
    .vgpr_spill_count: 0
    .wavefront_size: 64
  - .agpr_count:     0
    .args:
      - .offset:         0
        .size:           40
        .value_kind:     by_value
    .group_segment_fixed_size: 0
    .kernarg_segment_align: 8
    .kernarg_segment_size: 40
    .language:       OpenCL C
    .language_version:
      - 2
      - 0
    .max_flat_workgroup_size: 256
    .name:           _ZN7rocprim17ROCPRIM_400000_NS6detail17trampoline_kernelINS0_14default_configENS1_22reduce_config_selectorIjEEZNS1_11reduce_implILb1ES3_N6thrust23THRUST_200600_302600_NS17counting_iteratorIjNS8_11hip_rocprim3tagENS8_11use_defaultESC_EEPjjNS8_4plusIjEEEE10hipError_tPvRmT1_T2_T3_mT4_P12ihipStream_tbEUlT_E1_NS1_11comp_targetILNS1_3genE3ELNS1_11target_archE908ELNS1_3gpuE7ELNS1_3repE0EEENS1_30default_config_static_selectorELNS0_4arch9wavefront6targetE1EEEvSK_
    .private_segment_fixed_size: 0
    .sgpr_count:     6
    .sgpr_spill_count: 0
    .symbol:         _ZN7rocprim17ROCPRIM_400000_NS6detail17trampoline_kernelINS0_14default_configENS1_22reduce_config_selectorIjEEZNS1_11reduce_implILb1ES3_N6thrust23THRUST_200600_302600_NS17counting_iteratorIjNS8_11hip_rocprim3tagENS8_11use_defaultESC_EEPjjNS8_4plusIjEEEE10hipError_tPvRmT1_T2_T3_mT4_P12ihipStream_tbEUlT_E1_NS1_11comp_targetILNS1_3genE3ELNS1_11target_archE908ELNS1_3gpuE7ELNS1_3repE0EEENS1_30default_config_static_selectorELNS0_4arch9wavefront6targetE1EEEvSK_.kd
    .uniform_work_group_size: 1
    .uses_dynamic_stack: false
    .vgpr_count:     0
    .vgpr_spill_count: 0
    .wavefront_size: 64
  - .agpr_count:     0
    .args:
      - .offset:         0
        .size:           40
        .value_kind:     by_value
    .group_segment_fixed_size: 0
    .kernarg_segment_align: 8
    .kernarg_segment_size: 40
    .language:       OpenCL C
    .language_version:
      - 2
      - 0
    .max_flat_workgroup_size: 256
    .name:           _ZN7rocprim17ROCPRIM_400000_NS6detail17trampoline_kernelINS0_14default_configENS1_22reduce_config_selectorIjEEZNS1_11reduce_implILb1ES3_N6thrust23THRUST_200600_302600_NS17counting_iteratorIjNS8_11hip_rocprim3tagENS8_11use_defaultESC_EEPjjNS8_4plusIjEEEE10hipError_tPvRmT1_T2_T3_mT4_P12ihipStream_tbEUlT_E1_NS1_11comp_targetILNS1_3genE2ELNS1_11target_archE906ELNS1_3gpuE6ELNS1_3repE0EEENS1_30default_config_static_selectorELNS0_4arch9wavefront6targetE1EEEvSK_
    .private_segment_fixed_size: 0
    .sgpr_count:     6
    .sgpr_spill_count: 0
    .symbol:         _ZN7rocprim17ROCPRIM_400000_NS6detail17trampoline_kernelINS0_14default_configENS1_22reduce_config_selectorIjEEZNS1_11reduce_implILb1ES3_N6thrust23THRUST_200600_302600_NS17counting_iteratorIjNS8_11hip_rocprim3tagENS8_11use_defaultESC_EEPjjNS8_4plusIjEEEE10hipError_tPvRmT1_T2_T3_mT4_P12ihipStream_tbEUlT_E1_NS1_11comp_targetILNS1_3genE2ELNS1_11target_archE906ELNS1_3gpuE6ELNS1_3repE0EEENS1_30default_config_static_selectorELNS0_4arch9wavefront6targetE1EEEvSK_.kd
    .uniform_work_group_size: 1
    .uses_dynamic_stack: false
    .vgpr_count:     0
    .vgpr_spill_count: 0
    .wavefront_size: 64
  - .agpr_count:     0
    .args:
      - .offset:         0
        .size:           40
        .value_kind:     by_value
    .group_segment_fixed_size: 0
    .kernarg_segment_align: 8
    .kernarg_segment_size: 40
    .language:       OpenCL C
    .language_version:
      - 2
      - 0
    .max_flat_workgroup_size: 256
    .name:           _ZN7rocprim17ROCPRIM_400000_NS6detail17trampoline_kernelINS0_14default_configENS1_22reduce_config_selectorIjEEZNS1_11reduce_implILb1ES3_N6thrust23THRUST_200600_302600_NS17counting_iteratorIjNS8_11hip_rocprim3tagENS8_11use_defaultESC_EEPjjNS8_4plusIjEEEE10hipError_tPvRmT1_T2_T3_mT4_P12ihipStream_tbEUlT_E1_NS1_11comp_targetILNS1_3genE10ELNS1_11target_archE1201ELNS1_3gpuE5ELNS1_3repE0EEENS1_30default_config_static_selectorELNS0_4arch9wavefront6targetE1EEEvSK_
    .private_segment_fixed_size: 0
    .sgpr_count:     6
    .sgpr_spill_count: 0
    .symbol:         _ZN7rocprim17ROCPRIM_400000_NS6detail17trampoline_kernelINS0_14default_configENS1_22reduce_config_selectorIjEEZNS1_11reduce_implILb1ES3_N6thrust23THRUST_200600_302600_NS17counting_iteratorIjNS8_11hip_rocprim3tagENS8_11use_defaultESC_EEPjjNS8_4plusIjEEEE10hipError_tPvRmT1_T2_T3_mT4_P12ihipStream_tbEUlT_E1_NS1_11comp_targetILNS1_3genE10ELNS1_11target_archE1201ELNS1_3gpuE5ELNS1_3repE0EEENS1_30default_config_static_selectorELNS0_4arch9wavefront6targetE1EEEvSK_.kd
    .uniform_work_group_size: 1
    .uses_dynamic_stack: false
    .vgpr_count:     0
    .vgpr_spill_count: 0
    .wavefront_size: 64
  - .agpr_count:     0
    .args:
      - .offset:         0
        .size:           40
        .value_kind:     by_value
    .group_segment_fixed_size: 0
    .kernarg_segment_align: 8
    .kernarg_segment_size: 40
    .language:       OpenCL C
    .language_version:
      - 2
      - 0
    .max_flat_workgroup_size: 256
    .name:           _ZN7rocprim17ROCPRIM_400000_NS6detail17trampoline_kernelINS0_14default_configENS1_22reduce_config_selectorIjEEZNS1_11reduce_implILb1ES3_N6thrust23THRUST_200600_302600_NS17counting_iteratorIjNS8_11hip_rocprim3tagENS8_11use_defaultESC_EEPjjNS8_4plusIjEEEE10hipError_tPvRmT1_T2_T3_mT4_P12ihipStream_tbEUlT_E1_NS1_11comp_targetILNS1_3genE10ELNS1_11target_archE1200ELNS1_3gpuE4ELNS1_3repE0EEENS1_30default_config_static_selectorELNS0_4arch9wavefront6targetE1EEEvSK_
    .private_segment_fixed_size: 0
    .sgpr_count:     6
    .sgpr_spill_count: 0
    .symbol:         _ZN7rocprim17ROCPRIM_400000_NS6detail17trampoline_kernelINS0_14default_configENS1_22reduce_config_selectorIjEEZNS1_11reduce_implILb1ES3_N6thrust23THRUST_200600_302600_NS17counting_iteratorIjNS8_11hip_rocprim3tagENS8_11use_defaultESC_EEPjjNS8_4plusIjEEEE10hipError_tPvRmT1_T2_T3_mT4_P12ihipStream_tbEUlT_E1_NS1_11comp_targetILNS1_3genE10ELNS1_11target_archE1200ELNS1_3gpuE4ELNS1_3repE0EEENS1_30default_config_static_selectorELNS0_4arch9wavefront6targetE1EEEvSK_.kd
    .uniform_work_group_size: 1
    .uses_dynamic_stack: false
    .vgpr_count:     0
    .vgpr_spill_count: 0
    .wavefront_size: 64
  - .agpr_count:     0
    .args:
      - .offset:         0
        .size:           40
        .value_kind:     by_value
    .group_segment_fixed_size: 0
    .kernarg_segment_align: 8
    .kernarg_segment_size: 40
    .language:       OpenCL C
    .language_version:
      - 2
      - 0
    .max_flat_workgroup_size: 256
    .name:           _ZN7rocprim17ROCPRIM_400000_NS6detail17trampoline_kernelINS0_14default_configENS1_22reduce_config_selectorIjEEZNS1_11reduce_implILb1ES3_N6thrust23THRUST_200600_302600_NS17counting_iteratorIjNS8_11hip_rocprim3tagENS8_11use_defaultESC_EEPjjNS8_4plusIjEEEE10hipError_tPvRmT1_T2_T3_mT4_P12ihipStream_tbEUlT_E1_NS1_11comp_targetILNS1_3genE9ELNS1_11target_archE1100ELNS1_3gpuE3ELNS1_3repE0EEENS1_30default_config_static_selectorELNS0_4arch9wavefront6targetE1EEEvSK_
    .private_segment_fixed_size: 0
    .sgpr_count:     6
    .sgpr_spill_count: 0
    .symbol:         _ZN7rocprim17ROCPRIM_400000_NS6detail17trampoline_kernelINS0_14default_configENS1_22reduce_config_selectorIjEEZNS1_11reduce_implILb1ES3_N6thrust23THRUST_200600_302600_NS17counting_iteratorIjNS8_11hip_rocprim3tagENS8_11use_defaultESC_EEPjjNS8_4plusIjEEEE10hipError_tPvRmT1_T2_T3_mT4_P12ihipStream_tbEUlT_E1_NS1_11comp_targetILNS1_3genE9ELNS1_11target_archE1100ELNS1_3gpuE3ELNS1_3repE0EEENS1_30default_config_static_selectorELNS0_4arch9wavefront6targetE1EEEvSK_.kd
    .uniform_work_group_size: 1
    .uses_dynamic_stack: false
    .vgpr_count:     0
    .vgpr_spill_count: 0
    .wavefront_size: 64
  - .agpr_count:     0
    .args:
      - .offset:         0
        .size:           40
        .value_kind:     by_value
    .group_segment_fixed_size: 0
    .kernarg_segment_align: 8
    .kernarg_segment_size: 40
    .language:       OpenCL C
    .language_version:
      - 2
      - 0
    .max_flat_workgroup_size: 256
    .name:           _ZN7rocprim17ROCPRIM_400000_NS6detail17trampoline_kernelINS0_14default_configENS1_22reduce_config_selectorIjEEZNS1_11reduce_implILb1ES3_N6thrust23THRUST_200600_302600_NS17counting_iteratorIjNS8_11hip_rocprim3tagENS8_11use_defaultESC_EEPjjNS8_4plusIjEEEE10hipError_tPvRmT1_T2_T3_mT4_P12ihipStream_tbEUlT_E1_NS1_11comp_targetILNS1_3genE8ELNS1_11target_archE1030ELNS1_3gpuE2ELNS1_3repE0EEENS1_30default_config_static_selectorELNS0_4arch9wavefront6targetE1EEEvSK_
    .private_segment_fixed_size: 0
    .sgpr_count:     6
    .sgpr_spill_count: 0
    .symbol:         _ZN7rocprim17ROCPRIM_400000_NS6detail17trampoline_kernelINS0_14default_configENS1_22reduce_config_selectorIjEEZNS1_11reduce_implILb1ES3_N6thrust23THRUST_200600_302600_NS17counting_iteratorIjNS8_11hip_rocprim3tagENS8_11use_defaultESC_EEPjjNS8_4plusIjEEEE10hipError_tPvRmT1_T2_T3_mT4_P12ihipStream_tbEUlT_E1_NS1_11comp_targetILNS1_3genE8ELNS1_11target_archE1030ELNS1_3gpuE2ELNS1_3repE0EEENS1_30default_config_static_selectorELNS0_4arch9wavefront6targetE1EEEvSK_.kd
    .uniform_work_group_size: 1
    .uses_dynamic_stack: false
    .vgpr_count:     0
    .vgpr_spill_count: 0
    .wavefront_size: 64
  - .agpr_count:     0
    .args:
      - .offset:         0
        .size:           56
        .value_kind:     by_value
    .group_segment_fixed_size: 8
    .kernarg_segment_align: 8
    .kernarg_segment_size: 56
    .language:       OpenCL C
    .language_version:
      - 2
      - 0
    .max_flat_workgroup_size: 128
    .name:           _ZN7rocprim17ROCPRIM_400000_NS6detail17trampoline_kernelINS0_14default_configENS1_22reduce_config_selectorItEEZNS1_11reduce_implILb1ES3_N6thrust23THRUST_200600_302600_NS17counting_iteratorItNS8_11hip_rocprim3tagENS8_11use_defaultESC_EEPttNS8_4plusItEEEE10hipError_tPvRmT1_T2_T3_mT4_P12ihipStream_tbEUlT_E0_NS1_11comp_targetILNS1_3genE0ELNS1_11target_archE4294967295ELNS1_3gpuE0ELNS1_3repE0EEENS1_30default_config_static_selectorELNS0_4arch9wavefront6targetE1EEEvSK_
    .private_segment_fixed_size: 0
    .sgpr_count:     23
    .sgpr_spill_count: 0
    .symbol:         _ZN7rocprim17ROCPRIM_400000_NS6detail17trampoline_kernelINS0_14default_configENS1_22reduce_config_selectorItEEZNS1_11reduce_implILb1ES3_N6thrust23THRUST_200600_302600_NS17counting_iteratorItNS8_11hip_rocprim3tagENS8_11use_defaultESC_EEPttNS8_4plusItEEEE10hipError_tPvRmT1_T2_T3_mT4_P12ihipStream_tbEUlT_E0_NS1_11comp_targetILNS1_3genE0ELNS1_11target_archE4294967295ELNS1_3gpuE0ELNS1_3repE0EEENS1_30default_config_static_selectorELNS0_4arch9wavefront6targetE1EEEvSK_.kd
    .uniform_work_group_size: 1
    .uses_dynamic_stack: false
    .vgpr_count:     17
    .vgpr_spill_count: 0
    .wavefront_size: 64
  - .agpr_count:     0
    .args:
      - .offset:         0
        .size:           56
        .value_kind:     by_value
    .group_segment_fixed_size: 0
    .kernarg_segment_align: 8
    .kernarg_segment_size: 56
    .language:       OpenCL C
    .language_version:
      - 2
      - 0
    .max_flat_workgroup_size: 256
    .name:           _ZN7rocprim17ROCPRIM_400000_NS6detail17trampoline_kernelINS0_14default_configENS1_22reduce_config_selectorItEEZNS1_11reduce_implILb1ES3_N6thrust23THRUST_200600_302600_NS17counting_iteratorItNS8_11hip_rocprim3tagENS8_11use_defaultESC_EEPttNS8_4plusItEEEE10hipError_tPvRmT1_T2_T3_mT4_P12ihipStream_tbEUlT_E0_NS1_11comp_targetILNS1_3genE5ELNS1_11target_archE942ELNS1_3gpuE9ELNS1_3repE0EEENS1_30default_config_static_selectorELNS0_4arch9wavefront6targetE1EEEvSK_
    .private_segment_fixed_size: 0
    .sgpr_count:     6
    .sgpr_spill_count: 0
    .symbol:         _ZN7rocprim17ROCPRIM_400000_NS6detail17trampoline_kernelINS0_14default_configENS1_22reduce_config_selectorItEEZNS1_11reduce_implILb1ES3_N6thrust23THRUST_200600_302600_NS17counting_iteratorItNS8_11hip_rocprim3tagENS8_11use_defaultESC_EEPttNS8_4plusItEEEE10hipError_tPvRmT1_T2_T3_mT4_P12ihipStream_tbEUlT_E0_NS1_11comp_targetILNS1_3genE5ELNS1_11target_archE942ELNS1_3gpuE9ELNS1_3repE0EEENS1_30default_config_static_selectorELNS0_4arch9wavefront6targetE1EEEvSK_.kd
    .uniform_work_group_size: 1
    .uses_dynamic_stack: false
    .vgpr_count:     0
    .vgpr_spill_count: 0
    .wavefront_size: 64
  - .agpr_count:     0
    .args:
      - .offset:         0
        .size:           56
        .value_kind:     by_value
    .group_segment_fixed_size: 0
    .kernarg_segment_align: 8
    .kernarg_segment_size: 56
    .language:       OpenCL C
    .language_version:
      - 2
      - 0
    .max_flat_workgroup_size: 64
    .name:           _ZN7rocprim17ROCPRIM_400000_NS6detail17trampoline_kernelINS0_14default_configENS1_22reduce_config_selectorItEEZNS1_11reduce_implILb1ES3_N6thrust23THRUST_200600_302600_NS17counting_iteratorItNS8_11hip_rocprim3tagENS8_11use_defaultESC_EEPttNS8_4plusItEEEE10hipError_tPvRmT1_T2_T3_mT4_P12ihipStream_tbEUlT_E0_NS1_11comp_targetILNS1_3genE4ELNS1_11target_archE910ELNS1_3gpuE8ELNS1_3repE0EEENS1_30default_config_static_selectorELNS0_4arch9wavefront6targetE1EEEvSK_
    .private_segment_fixed_size: 0
    .sgpr_count:     6
    .sgpr_spill_count: 0
    .symbol:         _ZN7rocprim17ROCPRIM_400000_NS6detail17trampoline_kernelINS0_14default_configENS1_22reduce_config_selectorItEEZNS1_11reduce_implILb1ES3_N6thrust23THRUST_200600_302600_NS17counting_iteratorItNS8_11hip_rocprim3tagENS8_11use_defaultESC_EEPttNS8_4plusItEEEE10hipError_tPvRmT1_T2_T3_mT4_P12ihipStream_tbEUlT_E0_NS1_11comp_targetILNS1_3genE4ELNS1_11target_archE910ELNS1_3gpuE8ELNS1_3repE0EEENS1_30default_config_static_selectorELNS0_4arch9wavefront6targetE1EEEvSK_.kd
    .uniform_work_group_size: 1
    .uses_dynamic_stack: false
    .vgpr_count:     0
    .vgpr_spill_count: 0
    .wavefront_size: 64
  - .agpr_count:     0
    .args:
      - .offset:         0
        .size:           56
        .value_kind:     by_value
    .group_segment_fixed_size: 0
    .kernarg_segment_align: 8
    .kernarg_segment_size: 56
    .language:       OpenCL C
    .language_version:
      - 2
      - 0
    .max_flat_workgroup_size: 128
    .name:           _ZN7rocprim17ROCPRIM_400000_NS6detail17trampoline_kernelINS0_14default_configENS1_22reduce_config_selectorItEEZNS1_11reduce_implILb1ES3_N6thrust23THRUST_200600_302600_NS17counting_iteratorItNS8_11hip_rocprim3tagENS8_11use_defaultESC_EEPttNS8_4plusItEEEE10hipError_tPvRmT1_T2_T3_mT4_P12ihipStream_tbEUlT_E0_NS1_11comp_targetILNS1_3genE3ELNS1_11target_archE908ELNS1_3gpuE7ELNS1_3repE0EEENS1_30default_config_static_selectorELNS0_4arch9wavefront6targetE1EEEvSK_
    .private_segment_fixed_size: 0
    .sgpr_count:     6
    .sgpr_spill_count: 0
    .symbol:         _ZN7rocprim17ROCPRIM_400000_NS6detail17trampoline_kernelINS0_14default_configENS1_22reduce_config_selectorItEEZNS1_11reduce_implILb1ES3_N6thrust23THRUST_200600_302600_NS17counting_iteratorItNS8_11hip_rocprim3tagENS8_11use_defaultESC_EEPttNS8_4plusItEEEE10hipError_tPvRmT1_T2_T3_mT4_P12ihipStream_tbEUlT_E0_NS1_11comp_targetILNS1_3genE3ELNS1_11target_archE908ELNS1_3gpuE7ELNS1_3repE0EEENS1_30default_config_static_selectorELNS0_4arch9wavefront6targetE1EEEvSK_.kd
    .uniform_work_group_size: 1
    .uses_dynamic_stack: false
    .vgpr_count:     0
    .vgpr_spill_count: 0
    .wavefront_size: 64
  - .agpr_count:     0
    .args:
      - .offset:         0
        .size:           56
        .value_kind:     by_value
    .group_segment_fixed_size: 0
    .kernarg_segment_align: 8
    .kernarg_segment_size: 56
    .language:       OpenCL C
    .language_version:
      - 2
      - 0
    .max_flat_workgroup_size: 256
    .name:           _ZN7rocprim17ROCPRIM_400000_NS6detail17trampoline_kernelINS0_14default_configENS1_22reduce_config_selectorItEEZNS1_11reduce_implILb1ES3_N6thrust23THRUST_200600_302600_NS17counting_iteratorItNS8_11hip_rocprim3tagENS8_11use_defaultESC_EEPttNS8_4plusItEEEE10hipError_tPvRmT1_T2_T3_mT4_P12ihipStream_tbEUlT_E0_NS1_11comp_targetILNS1_3genE2ELNS1_11target_archE906ELNS1_3gpuE6ELNS1_3repE0EEENS1_30default_config_static_selectorELNS0_4arch9wavefront6targetE1EEEvSK_
    .private_segment_fixed_size: 0
    .sgpr_count:     6
    .sgpr_spill_count: 0
    .symbol:         _ZN7rocprim17ROCPRIM_400000_NS6detail17trampoline_kernelINS0_14default_configENS1_22reduce_config_selectorItEEZNS1_11reduce_implILb1ES3_N6thrust23THRUST_200600_302600_NS17counting_iteratorItNS8_11hip_rocprim3tagENS8_11use_defaultESC_EEPttNS8_4plusItEEEE10hipError_tPvRmT1_T2_T3_mT4_P12ihipStream_tbEUlT_E0_NS1_11comp_targetILNS1_3genE2ELNS1_11target_archE906ELNS1_3gpuE6ELNS1_3repE0EEENS1_30default_config_static_selectorELNS0_4arch9wavefront6targetE1EEEvSK_.kd
    .uniform_work_group_size: 1
    .uses_dynamic_stack: false
    .vgpr_count:     0
    .vgpr_spill_count: 0
    .wavefront_size: 64
  - .agpr_count:     0
    .args:
      - .offset:         0
        .size:           56
        .value_kind:     by_value
    .group_segment_fixed_size: 0
    .kernarg_segment_align: 8
    .kernarg_segment_size: 56
    .language:       OpenCL C
    .language_version:
      - 2
      - 0
    .max_flat_workgroup_size: 256
    .name:           _ZN7rocprim17ROCPRIM_400000_NS6detail17trampoline_kernelINS0_14default_configENS1_22reduce_config_selectorItEEZNS1_11reduce_implILb1ES3_N6thrust23THRUST_200600_302600_NS17counting_iteratorItNS8_11hip_rocprim3tagENS8_11use_defaultESC_EEPttNS8_4plusItEEEE10hipError_tPvRmT1_T2_T3_mT4_P12ihipStream_tbEUlT_E0_NS1_11comp_targetILNS1_3genE10ELNS1_11target_archE1201ELNS1_3gpuE5ELNS1_3repE0EEENS1_30default_config_static_selectorELNS0_4arch9wavefront6targetE1EEEvSK_
    .private_segment_fixed_size: 0
    .sgpr_count:     6
    .sgpr_spill_count: 0
    .symbol:         _ZN7rocprim17ROCPRIM_400000_NS6detail17trampoline_kernelINS0_14default_configENS1_22reduce_config_selectorItEEZNS1_11reduce_implILb1ES3_N6thrust23THRUST_200600_302600_NS17counting_iteratorItNS8_11hip_rocprim3tagENS8_11use_defaultESC_EEPttNS8_4plusItEEEE10hipError_tPvRmT1_T2_T3_mT4_P12ihipStream_tbEUlT_E0_NS1_11comp_targetILNS1_3genE10ELNS1_11target_archE1201ELNS1_3gpuE5ELNS1_3repE0EEENS1_30default_config_static_selectorELNS0_4arch9wavefront6targetE1EEEvSK_.kd
    .uniform_work_group_size: 1
    .uses_dynamic_stack: false
    .vgpr_count:     0
    .vgpr_spill_count: 0
    .wavefront_size: 64
  - .agpr_count:     0
    .args:
      - .offset:         0
        .size:           56
        .value_kind:     by_value
    .group_segment_fixed_size: 0
    .kernarg_segment_align: 8
    .kernarg_segment_size: 56
    .language:       OpenCL C
    .language_version:
      - 2
      - 0
    .max_flat_workgroup_size: 256
    .name:           _ZN7rocprim17ROCPRIM_400000_NS6detail17trampoline_kernelINS0_14default_configENS1_22reduce_config_selectorItEEZNS1_11reduce_implILb1ES3_N6thrust23THRUST_200600_302600_NS17counting_iteratorItNS8_11hip_rocprim3tagENS8_11use_defaultESC_EEPttNS8_4plusItEEEE10hipError_tPvRmT1_T2_T3_mT4_P12ihipStream_tbEUlT_E0_NS1_11comp_targetILNS1_3genE10ELNS1_11target_archE1200ELNS1_3gpuE4ELNS1_3repE0EEENS1_30default_config_static_selectorELNS0_4arch9wavefront6targetE1EEEvSK_
    .private_segment_fixed_size: 0
    .sgpr_count:     6
    .sgpr_spill_count: 0
    .symbol:         _ZN7rocprim17ROCPRIM_400000_NS6detail17trampoline_kernelINS0_14default_configENS1_22reduce_config_selectorItEEZNS1_11reduce_implILb1ES3_N6thrust23THRUST_200600_302600_NS17counting_iteratorItNS8_11hip_rocprim3tagENS8_11use_defaultESC_EEPttNS8_4plusItEEEE10hipError_tPvRmT1_T2_T3_mT4_P12ihipStream_tbEUlT_E0_NS1_11comp_targetILNS1_3genE10ELNS1_11target_archE1200ELNS1_3gpuE4ELNS1_3repE0EEENS1_30default_config_static_selectorELNS0_4arch9wavefront6targetE1EEEvSK_.kd
    .uniform_work_group_size: 1
    .uses_dynamic_stack: false
    .vgpr_count:     0
    .vgpr_spill_count: 0
    .wavefront_size: 64
  - .agpr_count:     0
    .args:
      - .offset:         0
        .size:           56
        .value_kind:     by_value
    .group_segment_fixed_size: 0
    .kernarg_segment_align: 8
    .kernarg_segment_size: 56
    .language:       OpenCL C
    .language_version:
      - 2
      - 0
    .max_flat_workgroup_size: 256
    .name:           _ZN7rocprim17ROCPRIM_400000_NS6detail17trampoline_kernelINS0_14default_configENS1_22reduce_config_selectorItEEZNS1_11reduce_implILb1ES3_N6thrust23THRUST_200600_302600_NS17counting_iteratorItNS8_11hip_rocprim3tagENS8_11use_defaultESC_EEPttNS8_4plusItEEEE10hipError_tPvRmT1_T2_T3_mT4_P12ihipStream_tbEUlT_E0_NS1_11comp_targetILNS1_3genE9ELNS1_11target_archE1100ELNS1_3gpuE3ELNS1_3repE0EEENS1_30default_config_static_selectorELNS0_4arch9wavefront6targetE1EEEvSK_
    .private_segment_fixed_size: 0
    .sgpr_count:     6
    .sgpr_spill_count: 0
    .symbol:         _ZN7rocprim17ROCPRIM_400000_NS6detail17trampoline_kernelINS0_14default_configENS1_22reduce_config_selectorItEEZNS1_11reduce_implILb1ES3_N6thrust23THRUST_200600_302600_NS17counting_iteratorItNS8_11hip_rocprim3tagENS8_11use_defaultESC_EEPttNS8_4plusItEEEE10hipError_tPvRmT1_T2_T3_mT4_P12ihipStream_tbEUlT_E0_NS1_11comp_targetILNS1_3genE9ELNS1_11target_archE1100ELNS1_3gpuE3ELNS1_3repE0EEENS1_30default_config_static_selectorELNS0_4arch9wavefront6targetE1EEEvSK_.kd
    .uniform_work_group_size: 1
    .uses_dynamic_stack: false
    .vgpr_count:     0
    .vgpr_spill_count: 0
    .wavefront_size: 64
  - .agpr_count:     0
    .args:
      - .offset:         0
        .size:           56
        .value_kind:     by_value
    .group_segment_fixed_size: 0
    .kernarg_segment_align: 8
    .kernarg_segment_size: 56
    .language:       OpenCL C
    .language_version:
      - 2
      - 0
    .max_flat_workgroup_size: 256
    .name:           _ZN7rocprim17ROCPRIM_400000_NS6detail17trampoline_kernelINS0_14default_configENS1_22reduce_config_selectorItEEZNS1_11reduce_implILb1ES3_N6thrust23THRUST_200600_302600_NS17counting_iteratorItNS8_11hip_rocprim3tagENS8_11use_defaultESC_EEPttNS8_4plusItEEEE10hipError_tPvRmT1_T2_T3_mT4_P12ihipStream_tbEUlT_E0_NS1_11comp_targetILNS1_3genE8ELNS1_11target_archE1030ELNS1_3gpuE2ELNS1_3repE0EEENS1_30default_config_static_selectorELNS0_4arch9wavefront6targetE1EEEvSK_
    .private_segment_fixed_size: 0
    .sgpr_count:     6
    .sgpr_spill_count: 0
    .symbol:         _ZN7rocprim17ROCPRIM_400000_NS6detail17trampoline_kernelINS0_14default_configENS1_22reduce_config_selectorItEEZNS1_11reduce_implILb1ES3_N6thrust23THRUST_200600_302600_NS17counting_iteratorItNS8_11hip_rocprim3tagENS8_11use_defaultESC_EEPttNS8_4plusItEEEE10hipError_tPvRmT1_T2_T3_mT4_P12ihipStream_tbEUlT_E0_NS1_11comp_targetILNS1_3genE8ELNS1_11target_archE1030ELNS1_3gpuE2ELNS1_3repE0EEENS1_30default_config_static_selectorELNS0_4arch9wavefront6targetE1EEEvSK_.kd
    .uniform_work_group_size: 1
    .uses_dynamic_stack: false
    .vgpr_count:     0
    .vgpr_spill_count: 0
    .wavefront_size: 64
  - .agpr_count:     0
    .args:
      - .offset:         0
        .size:           40
        .value_kind:     by_value
    .group_segment_fixed_size: 32
    .kernarg_segment_align: 8
    .kernarg_segment_size: 40
    .language:       OpenCL C
    .language_version:
      - 2
      - 0
    .max_flat_workgroup_size: 128
    .name:           _ZN7rocprim17ROCPRIM_400000_NS6detail17trampoline_kernelINS0_14default_configENS1_22reduce_config_selectorItEEZNS1_11reduce_implILb1ES3_N6thrust23THRUST_200600_302600_NS17counting_iteratorItNS8_11hip_rocprim3tagENS8_11use_defaultESC_EEPttNS8_4plusItEEEE10hipError_tPvRmT1_T2_T3_mT4_P12ihipStream_tbEUlT_E1_NS1_11comp_targetILNS1_3genE0ELNS1_11target_archE4294967295ELNS1_3gpuE0ELNS1_3repE0EEENS1_30default_config_static_selectorELNS0_4arch9wavefront6targetE1EEEvSK_
    .private_segment_fixed_size: 0
    .sgpr_count:     106
    .sgpr_spill_count: 0
    .symbol:         _ZN7rocprim17ROCPRIM_400000_NS6detail17trampoline_kernelINS0_14default_configENS1_22reduce_config_selectorItEEZNS1_11reduce_implILb1ES3_N6thrust23THRUST_200600_302600_NS17counting_iteratorItNS8_11hip_rocprim3tagENS8_11use_defaultESC_EEPttNS8_4plusItEEEE10hipError_tPvRmT1_T2_T3_mT4_P12ihipStream_tbEUlT_E1_NS1_11comp_targetILNS1_3genE0ELNS1_11target_archE4294967295ELNS1_3gpuE0ELNS1_3repE0EEENS1_30default_config_static_selectorELNS0_4arch9wavefront6targetE1EEEvSK_.kd
    .uniform_work_group_size: 1
    .uses_dynamic_stack: false
    .vgpr_count:     60
    .vgpr_spill_count: 0
    .wavefront_size: 64
  - .agpr_count:     0
    .args:
      - .offset:         0
        .size:           40
        .value_kind:     by_value
    .group_segment_fixed_size: 0
    .kernarg_segment_align: 8
    .kernarg_segment_size: 40
    .language:       OpenCL C
    .language_version:
      - 2
      - 0
    .max_flat_workgroup_size: 256
    .name:           _ZN7rocprim17ROCPRIM_400000_NS6detail17trampoline_kernelINS0_14default_configENS1_22reduce_config_selectorItEEZNS1_11reduce_implILb1ES3_N6thrust23THRUST_200600_302600_NS17counting_iteratorItNS8_11hip_rocprim3tagENS8_11use_defaultESC_EEPttNS8_4plusItEEEE10hipError_tPvRmT1_T2_T3_mT4_P12ihipStream_tbEUlT_E1_NS1_11comp_targetILNS1_3genE5ELNS1_11target_archE942ELNS1_3gpuE9ELNS1_3repE0EEENS1_30default_config_static_selectorELNS0_4arch9wavefront6targetE1EEEvSK_
    .private_segment_fixed_size: 0
    .sgpr_count:     6
    .sgpr_spill_count: 0
    .symbol:         _ZN7rocprim17ROCPRIM_400000_NS6detail17trampoline_kernelINS0_14default_configENS1_22reduce_config_selectorItEEZNS1_11reduce_implILb1ES3_N6thrust23THRUST_200600_302600_NS17counting_iteratorItNS8_11hip_rocprim3tagENS8_11use_defaultESC_EEPttNS8_4plusItEEEE10hipError_tPvRmT1_T2_T3_mT4_P12ihipStream_tbEUlT_E1_NS1_11comp_targetILNS1_3genE5ELNS1_11target_archE942ELNS1_3gpuE9ELNS1_3repE0EEENS1_30default_config_static_selectorELNS0_4arch9wavefront6targetE1EEEvSK_.kd
    .uniform_work_group_size: 1
    .uses_dynamic_stack: false
    .vgpr_count:     0
    .vgpr_spill_count: 0
    .wavefront_size: 64
  - .agpr_count:     0
    .args:
      - .offset:         0
        .size:           40
        .value_kind:     by_value
    .group_segment_fixed_size: 0
    .kernarg_segment_align: 8
    .kernarg_segment_size: 40
    .language:       OpenCL C
    .language_version:
      - 2
      - 0
    .max_flat_workgroup_size: 64
    .name:           _ZN7rocprim17ROCPRIM_400000_NS6detail17trampoline_kernelINS0_14default_configENS1_22reduce_config_selectorItEEZNS1_11reduce_implILb1ES3_N6thrust23THRUST_200600_302600_NS17counting_iteratorItNS8_11hip_rocprim3tagENS8_11use_defaultESC_EEPttNS8_4plusItEEEE10hipError_tPvRmT1_T2_T3_mT4_P12ihipStream_tbEUlT_E1_NS1_11comp_targetILNS1_3genE4ELNS1_11target_archE910ELNS1_3gpuE8ELNS1_3repE0EEENS1_30default_config_static_selectorELNS0_4arch9wavefront6targetE1EEEvSK_
    .private_segment_fixed_size: 0
    .sgpr_count:     6
    .sgpr_spill_count: 0
    .symbol:         _ZN7rocprim17ROCPRIM_400000_NS6detail17trampoline_kernelINS0_14default_configENS1_22reduce_config_selectorItEEZNS1_11reduce_implILb1ES3_N6thrust23THRUST_200600_302600_NS17counting_iteratorItNS8_11hip_rocprim3tagENS8_11use_defaultESC_EEPttNS8_4plusItEEEE10hipError_tPvRmT1_T2_T3_mT4_P12ihipStream_tbEUlT_E1_NS1_11comp_targetILNS1_3genE4ELNS1_11target_archE910ELNS1_3gpuE8ELNS1_3repE0EEENS1_30default_config_static_selectorELNS0_4arch9wavefront6targetE1EEEvSK_.kd
    .uniform_work_group_size: 1
    .uses_dynamic_stack: false
    .vgpr_count:     0
    .vgpr_spill_count: 0
    .wavefront_size: 64
  - .agpr_count:     0
    .args:
      - .offset:         0
        .size:           40
        .value_kind:     by_value
    .group_segment_fixed_size: 0
    .kernarg_segment_align: 8
    .kernarg_segment_size: 40
    .language:       OpenCL C
    .language_version:
      - 2
      - 0
    .max_flat_workgroup_size: 128
    .name:           _ZN7rocprim17ROCPRIM_400000_NS6detail17trampoline_kernelINS0_14default_configENS1_22reduce_config_selectorItEEZNS1_11reduce_implILb1ES3_N6thrust23THRUST_200600_302600_NS17counting_iteratorItNS8_11hip_rocprim3tagENS8_11use_defaultESC_EEPttNS8_4plusItEEEE10hipError_tPvRmT1_T2_T3_mT4_P12ihipStream_tbEUlT_E1_NS1_11comp_targetILNS1_3genE3ELNS1_11target_archE908ELNS1_3gpuE7ELNS1_3repE0EEENS1_30default_config_static_selectorELNS0_4arch9wavefront6targetE1EEEvSK_
    .private_segment_fixed_size: 0
    .sgpr_count:     6
    .sgpr_spill_count: 0
    .symbol:         _ZN7rocprim17ROCPRIM_400000_NS6detail17trampoline_kernelINS0_14default_configENS1_22reduce_config_selectorItEEZNS1_11reduce_implILb1ES3_N6thrust23THRUST_200600_302600_NS17counting_iteratorItNS8_11hip_rocprim3tagENS8_11use_defaultESC_EEPttNS8_4plusItEEEE10hipError_tPvRmT1_T2_T3_mT4_P12ihipStream_tbEUlT_E1_NS1_11comp_targetILNS1_3genE3ELNS1_11target_archE908ELNS1_3gpuE7ELNS1_3repE0EEENS1_30default_config_static_selectorELNS0_4arch9wavefront6targetE1EEEvSK_.kd
    .uniform_work_group_size: 1
    .uses_dynamic_stack: false
    .vgpr_count:     0
    .vgpr_spill_count: 0
    .wavefront_size: 64
  - .agpr_count:     0
    .args:
      - .offset:         0
        .size:           40
        .value_kind:     by_value
    .group_segment_fixed_size: 0
    .kernarg_segment_align: 8
    .kernarg_segment_size: 40
    .language:       OpenCL C
    .language_version:
      - 2
      - 0
    .max_flat_workgroup_size: 256
    .name:           _ZN7rocprim17ROCPRIM_400000_NS6detail17trampoline_kernelINS0_14default_configENS1_22reduce_config_selectorItEEZNS1_11reduce_implILb1ES3_N6thrust23THRUST_200600_302600_NS17counting_iteratorItNS8_11hip_rocprim3tagENS8_11use_defaultESC_EEPttNS8_4plusItEEEE10hipError_tPvRmT1_T2_T3_mT4_P12ihipStream_tbEUlT_E1_NS1_11comp_targetILNS1_3genE2ELNS1_11target_archE906ELNS1_3gpuE6ELNS1_3repE0EEENS1_30default_config_static_selectorELNS0_4arch9wavefront6targetE1EEEvSK_
    .private_segment_fixed_size: 0
    .sgpr_count:     6
    .sgpr_spill_count: 0
    .symbol:         _ZN7rocprim17ROCPRIM_400000_NS6detail17trampoline_kernelINS0_14default_configENS1_22reduce_config_selectorItEEZNS1_11reduce_implILb1ES3_N6thrust23THRUST_200600_302600_NS17counting_iteratorItNS8_11hip_rocprim3tagENS8_11use_defaultESC_EEPttNS8_4plusItEEEE10hipError_tPvRmT1_T2_T3_mT4_P12ihipStream_tbEUlT_E1_NS1_11comp_targetILNS1_3genE2ELNS1_11target_archE906ELNS1_3gpuE6ELNS1_3repE0EEENS1_30default_config_static_selectorELNS0_4arch9wavefront6targetE1EEEvSK_.kd
    .uniform_work_group_size: 1
    .uses_dynamic_stack: false
    .vgpr_count:     0
    .vgpr_spill_count: 0
    .wavefront_size: 64
  - .agpr_count:     0
    .args:
      - .offset:         0
        .size:           40
        .value_kind:     by_value
    .group_segment_fixed_size: 0
    .kernarg_segment_align: 8
    .kernarg_segment_size: 40
    .language:       OpenCL C
    .language_version:
      - 2
      - 0
    .max_flat_workgroup_size: 256
    .name:           _ZN7rocprim17ROCPRIM_400000_NS6detail17trampoline_kernelINS0_14default_configENS1_22reduce_config_selectorItEEZNS1_11reduce_implILb1ES3_N6thrust23THRUST_200600_302600_NS17counting_iteratorItNS8_11hip_rocprim3tagENS8_11use_defaultESC_EEPttNS8_4plusItEEEE10hipError_tPvRmT1_T2_T3_mT4_P12ihipStream_tbEUlT_E1_NS1_11comp_targetILNS1_3genE10ELNS1_11target_archE1201ELNS1_3gpuE5ELNS1_3repE0EEENS1_30default_config_static_selectorELNS0_4arch9wavefront6targetE1EEEvSK_
    .private_segment_fixed_size: 0
    .sgpr_count:     6
    .sgpr_spill_count: 0
    .symbol:         _ZN7rocprim17ROCPRIM_400000_NS6detail17trampoline_kernelINS0_14default_configENS1_22reduce_config_selectorItEEZNS1_11reduce_implILb1ES3_N6thrust23THRUST_200600_302600_NS17counting_iteratorItNS8_11hip_rocprim3tagENS8_11use_defaultESC_EEPttNS8_4plusItEEEE10hipError_tPvRmT1_T2_T3_mT4_P12ihipStream_tbEUlT_E1_NS1_11comp_targetILNS1_3genE10ELNS1_11target_archE1201ELNS1_3gpuE5ELNS1_3repE0EEENS1_30default_config_static_selectorELNS0_4arch9wavefront6targetE1EEEvSK_.kd
    .uniform_work_group_size: 1
    .uses_dynamic_stack: false
    .vgpr_count:     0
    .vgpr_spill_count: 0
    .wavefront_size: 64
  - .agpr_count:     0
    .args:
      - .offset:         0
        .size:           40
        .value_kind:     by_value
    .group_segment_fixed_size: 0
    .kernarg_segment_align: 8
    .kernarg_segment_size: 40
    .language:       OpenCL C
    .language_version:
      - 2
      - 0
    .max_flat_workgroup_size: 256
    .name:           _ZN7rocprim17ROCPRIM_400000_NS6detail17trampoline_kernelINS0_14default_configENS1_22reduce_config_selectorItEEZNS1_11reduce_implILb1ES3_N6thrust23THRUST_200600_302600_NS17counting_iteratorItNS8_11hip_rocprim3tagENS8_11use_defaultESC_EEPttNS8_4plusItEEEE10hipError_tPvRmT1_T2_T3_mT4_P12ihipStream_tbEUlT_E1_NS1_11comp_targetILNS1_3genE10ELNS1_11target_archE1200ELNS1_3gpuE4ELNS1_3repE0EEENS1_30default_config_static_selectorELNS0_4arch9wavefront6targetE1EEEvSK_
    .private_segment_fixed_size: 0
    .sgpr_count:     6
    .sgpr_spill_count: 0
    .symbol:         _ZN7rocprim17ROCPRIM_400000_NS6detail17trampoline_kernelINS0_14default_configENS1_22reduce_config_selectorItEEZNS1_11reduce_implILb1ES3_N6thrust23THRUST_200600_302600_NS17counting_iteratorItNS8_11hip_rocprim3tagENS8_11use_defaultESC_EEPttNS8_4plusItEEEE10hipError_tPvRmT1_T2_T3_mT4_P12ihipStream_tbEUlT_E1_NS1_11comp_targetILNS1_3genE10ELNS1_11target_archE1200ELNS1_3gpuE4ELNS1_3repE0EEENS1_30default_config_static_selectorELNS0_4arch9wavefront6targetE1EEEvSK_.kd
    .uniform_work_group_size: 1
    .uses_dynamic_stack: false
    .vgpr_count:     0
    .vgpr_spill_count: 0
    .wavefront_size: 64
  - .agpr_count:     0
    .args:
      - .offset:         0
        .size:           40
        .value_kind:     by_value
    .group_segment_fixed_size: 0
    .kernarg_segment_align: 8
    .kernarg_segment_size: 40
    .language:       OpenCL C
    .language_version:
      - 2
      - 0
    .max_flat_workgroup_size: 256
    .name:           _ZN7rocprim17ROCPRIM_400000_NS6detail17trampoline_kernelINS0_14default_configENS1_22reduce_config_selectorItEEZNS1_11reduce_implILb1ES3_N6thrust23THRUST_200600_302600_NS17counting_iteratorItNS8_11hip_rocprim3tagENS8_11use_defaultESC_EEPttNS8_4plusItEEEE10hipError_tPvRmT1_T2_T3_mT4_P12ihipStream_tbEUlT_E1_NS1_11comp_targetILNS1_3genE9ELNS1_11target_archE1100ELNS1_3gpuE3ELNS1_3repE0EEENS1_30default_config_static_selectorELNS0_4arch9wavefront6targetE1EEEvSK_
    .private_segment_fixed_size: 0
    .sgpr_count:     6
    .sgpr_spill_count: 0
    .symbol:         _ZN7rocprim17ROCPRIM_400000_NS6detail17trampoline_kernelINS0_14default_configENS1_22reduce_config_selectorItEEZNS1_11reduce_implILb1ES3_N6thrust23THRUST_200600_302600_NS17counting_iteratorItNS8_11hip_rocprim3tagENS8_11use_defaultESC_EEPttNS8_4plusItEEEE10hipError_tPvRmT1_T2_T3_mT4_P12ihipStream_tbEUlT_E1_NS1_11comp_targetILNS1_3genE9ELNS1_11target_archE1100ELNS1_3gpuE3ELNS1_3repE0EEENS1_30default_config_static_selectorELNS0_4arch9wavefront6targetE1EEEvSK_.kd
    .uniform_work_group_size: 1
    .uses_dynamic_stack: false
    .vgpr_count:     0
    .vgpr_spill_count: 0
    .wavefront_size: 64
  - .agpr_count:     0
    .args:
      - .offset:         0
        .size:           40
        .value_kind:     by_value
    .group_segment_fixed_size: 0
    .kernarg_segment_align: 8
    .kernarg_segment_size: 40
    .language:       OpenCL C
    .language_version:
      - 2
      - 0
    .max_flat_workgroup_size: 256
    .name:           _ZN7rocprim17ROCPRIM_400000_NS6detail17trampoline_kernelINS0_14default_configENS1_22reduce_config_selectorItEEZNS1_11reduce_implILb1ES3_N6thrust23THRUST_200600_302600_NS17counting_iteratorItNS8_11hip_rocprim3tagENS8_11use_defaultESC_EEPttNS8_4plusItEEEE10hipError_tPvRmT1_T2_T3_mT4_P12ihipStream_tbEUlT_E1_NS1_11comp_targetILNS1_3genE8ELNS1_11target_archE1030ELNS1_3gpuE2ELNS1_3repE0EEENS1_30default_config_static_selectorELNS0_4arch9wavefront6targetE1EEEvSK_
    .private_segment_fixed_size: 0
    .sgpr_count:     6
    .sgpr_spill_count: 0
    .symbol:         _ZN7rocprim17ROCPRIM_400000_NS6detail17trampoline_kernelINS0_14default_configENS1_22reduce_config_selectorItEEZNS1_11reduce_implILb1ES3_N6thrust23THRUST_200600_302600_NS17counting_iteratorItNS8_11hip_rocprim3tagENS8_11use_defaultESC_EEPttNS8_4plusItEEEE10hipError_tPvRmT1_T2_T3_mT4_P12ihipStream_tbEUlT_E1_NS1_11comp_targetILNS1_3genE8ELNS1_11target_archE1030ELNS1_3gpuE2ELNS1_3repE0EEENS1_30default_config_static_selectorELNS0_4arch9wavefront6targetE1EEEvSK_.kd
    .uniform_work_group_size: 1
    .uses_dynamic_stack: false
    .vgpr_count:     0
    .vgpr_spill_count: 0
    .wavefront_size: 64
  - .agpr_count:     0
    .args:
      - .offset:         0
        .size:           64
        .value_kind:     by_value
    .group_segment_fixed_size: 64
    .kernarg_segment_align: 8
    .kernarg_segment_size: 64
    .language:       OpenCL C
    .language_version:
      - 2
      - 0
    .max_flat_workgroup_size: 256
    .name:           _ZN7rocprim17ROCPRIM_400000_NS6detail17trampoline_kernelINS0_14default_configENS1_22reduce_config_selectorIxEEZNS1_11reduce_implILb1ES3_N6thrust23THRUST_200600_302600_NS17counting_iteratorIxNS8_11hip_rocprim3tagENS8_11use_defaultESC_EEPxxNS8_4plusIxEEEE10hipError_tPvRmT1_T2_T3_mT4_P12ihipStream_tbEUlT_E0_NS1_11comp_targetILNS1_3genE0ELNS1_11target_archE4294967295ELNS1_3gpuE0ELNS1_3repE0EEENS1_30default_config_static_selectorELNS0_4arch9wavefront6targetE1EEEvSK_
    .private_segment_fixed_size: 0
    .sgpr_count:     24
    .sgpr_spill_count: 0
    .symbol:         _ZN7rocprim17ROCPRIM_400000_NS6detail17trampoline_kernelINS0_14default_configENS1_22reduce_config_selectorIxEEZNS1_11reduce_implILb1ES3_N6thrust23THRUST_200600_302600_NS17counting_iteratorIxNS8_11hip_rocprim3tagENS8_11use_defaultESC_EEPxxNS8_4plusIxEEEE10hipError_tPvRmT1_T2_T3_mT4_P12ihipStream_tbEUlT_E0_NS1_11comp_targetILNS1_3genE0ELNS1_11target_archE4294967295ELNS1_3gpuE0ELNS1_3repE0EEENS1_30default_config_static_selectorELNS0_4arch9wavefront6targetE1EEEvSK_.kd
    .uniform_work_group_size: 1
    .uses_dynamic_stack: false
    .vgpr_count:     60
    .vgpr_spill_count: 0
    .wavefront_size: 64
  - .agpr_count:     0
    .args:
      - .offset:         0
        .size:           64
        .value_kind:     by_value
    .group_segment_fixed_size: 0
    .kernarg_segment_align: 8
    .kernarg_segment_size: 64
    .language:       OpenCL C
    .language_version:
      - 2
      - 0
    .max_flat_workgroup_size: 256
    .name:           _ZN7rocprim17ROCPRIM_400000_NS6detail17trampoline_kernelINS0_14default_configENS1_22reduce_config_selectorIxEEZNS1_11reduce_implILb1ES3_N6thrust23THRUST_200600_302600_NS17counting_iteratorIxNS8_11hip_rocprim3tagENS8_11use_defaultESC_EEPxxNS8_4plusIxEEEE10hipError_tPvRmT1_T2_T3_mT4_P12ihipStream_tbEUlT_E0_NS1_11comp_targetILNS1_3genE5ELNS1_11target_archE942ELNS1_3gpuE9ELNS1_3repE0EEENS1_30default_config_static_selectorELNS0_4arch9wavefront6targetE1EEEvSK_
    .private_segment_fixed_size: 0
    .sgpr_count:     6
    .sgpr_spill_count: 0
    .symbol:         _ZN7rocprim17ROCPRIM_400000_NS6detail17trampoline_kernelINS0_14default_configENS1_22reduce_config_selectorIxEEZNS1_11reduce_implILb1ES3_N6thrust23THRUST_200600_302600_NS17counting_iteratorIxNS8_11hip_rocprim3tagENS8_11use_defaultESC_EEPxxNS8_4plusIxEEEE10hipError_tPvRmT1_T2_T3_mT4_P12ihipStream_tbEUlT_E0_NS1_11comp_targetILNS1_3genE5ELNS1_11target_archE942ELNS1_3gpuE9ELNS1_3repE0EEENS1_30default_config_static_selectorELNS0_4arch9wavefront6targetE1EEEvSK_.kd
    .uniform_work_group_size: 1
    .uses_dynamic_stack: false
    .vgpr_count:     0
    .vgpr_spill_count: 0
    .wavefront_size: 64
  - .agpr_count:     0
    .args:
      - .offset:         0
        .size:           64
        .value_kind:     by_value
    .group_segment_fixed_size: 0
    .kernarg_segment_align: 8
    .kernarg_segment_size: 64
    .language:       OpenCL C
    .language_version:
      - 2
      - 0
    .max_flat_workgroup_size: 256
    .name:           _ZN7rocprim17ROCPRIM_400000_NS6detail17trampoline_kernelINS0_14default_configENS1_22reduce_config_selectorIxEEZNS1_11reduce_implILb1ES3_N6thrust23THRUST_200600_302600_NS17counting_iteratorIxNS8_11hip_rocprim3tagENS8_11use_defaultESC_EEPxxNS8_4plusIxEEEE10hipError_tPvRmT1_T2_T3_mT4_P12ihipStream_tbEUlT_E0_NS1_11comp_targetILNS1_3genE4ELNS1_11target_archE910ELNS1_3gpuE8ELNS1_3repE0EEENS1_30default_config_static_selectorELNS0_4arch9wavefront6targetE1EEEvSK_
    .private_segment_fixed_size: 0
    .sgpr_count:     6
    .sgpr_spill_count: 0
    .symbol:         _ZN7rocprim17ROCPRIM_400000_NS6detail17trampoline_kernelINS0_14default_configENS1_22reduce_config_selectorIxEEZNS1_11reduce_implILb1ES3_N6thrust23THRUST_200600_302600_NS17counting_iteratorIxNS8_11hip_rocprim3tagENS8_11use_defaultESC_EEPxxNS8_4plusIxEEEE10hipError_tPvRmT1_T2_T3_mT4_P12ihipStream_tbEUlT_E0_NS1_11comp_targetILNS1_3genE4ELNS1_11target_archE910ELNS1_3gpuE8ELNS1_3repE0EEENS1_30default_config_static_selectorELNS0_4arch9wavefront6targetE1EEEvSK_.kd
    .uniform_work_group_size: 1
    .uses_dynamic_stack: false
    .vgpr_count:     0
    .vgpr_spill_count: 0
    .wavefront_size: 64
  - .agpr_count:     0
    .args:
      - .offset:         0
        .size:           64
        .value_kind:     by_value
    .group_segment_fixed_size: 0
    .kernarg_segment_align: 8
    .kernarg_segment_size: 64
    .language:       OpenCL C
    .language_version:
      - 2
      - 0
    .max_flat_workgroup_size: 256
    .name:           _ZN7rocprim17ROCPRIM_400000_NS6detail17trampoline_kernelINS0_14default_configENS1_22reduce_config_selectorIxEEZNS1_11reduce_implILb1ES3_N6thrust23THRUST_200600_302600_NS17counting_iteratorIxNS8_11hip_rocprim3tagENS8_11use_defaultESC_EEPxxNS8_4plusIxEEEE10hipError_tPvRmT1_T2_T3_mT4_P12ihipStream_tbEUlT_E0_NS1_11comp_targetILNS1_3genE3ELNS1_11target_archE908ELNS1_3gpuE7ELNS1_3repE0EEENS1_30default_config_static_selectorELNS0_4arch9wavefront6targetE1EEEvSK_
    .private_segment_fixed_size: 0
    .sgpr_count:     6
    .sgpr_spill_count: 0
    .symbol:         _ZN7rocprim17ROCPRIM_400000_NS6detail17trampoline_kernelINS0_14default_configENS1_22reduce_config_selectorIxEEZNS1_11reduce_implILb1ES3_N6thrust23THRUST_200600_302600_NS17counting_iteratorIxNS8_11hip_rocprim3tagENS8_11use_defaultESC_EEPxxNS8_4plusIxEEEE10hipError_tPvRmT1_T2_T3_mT4_P12ihipStream_tbEUlT_E0_NS1_11comp_targetILNS1_3genE3ELNS1_11target_archE908ELNS1_3gpuE7ELNS1_3repE0EEENS1_30default_config_static_selectorELNS0_4arch9wavefront6targetE1EEEvSK_.kd
    .uniform_work_group_size: 1
    .uses_dynamic_stack: false
    .vgpr_count:     0
    .vgpr_spill_count: 0
    .wavefront_size: 64
  - .agpr_count:     0
    .args:
      - .offset:         0
        .size:           64
        .value_kind:     by_value
    .group_segment_fixed_size: 0
    .kernarg_segment_align: 8
    .kernarg_segment_size: 64
    .language:       OpenCL C
    .language_version:
      - 2
      - 0
    .max_flat_workgroup_size: 256
    .name:           _ZN7rocprim17ROCPRIM_400000_NS6detail17trampoline_kernelINS0_14default_configENS1_22reduce_config_selectorIxEEZNS1_11reduce_implILb1ES3_N6thrust23THRUST_200600_302600_NS17counting_iteratorIxNS8_11hip_rocprim3tagENS8_11use_defaultESC_EEPxxNS8_4plusIxEEEE10hipError_tPvRmT1_T2_T3_mT4_P12ihipStream_tbEUlT_E0_NS1_11comp_targetILNS1_3genE2ELNS1_11target_archE906ELNS1_3gpuE6ELNS1_3repE0EEENS1_30default_config_static_selectorELNS0_4arch9wavefront6targetE1EEEvSK_
    .private_segment_fixed_size: 0
    .sgpr_count:     6
    .sgpr_spill_count: 0
    .symbol:         _ZN7rocprim17ROCPRIM_400000_NS6detail17trampoline_kernelINS0_14default_configENS1_22reduce_config_selectorIxEEZNS1_11reduce_implILb1ES3_N6thrust23THRUST_200600_302600_NS17counting_iteratorIxNS8_11hip_rocprim3tagENS8_11use_defaultESC_EEPxxNS8_4plusIxEEEE10hipError_tPvRmT1_T2_T3_mT4_P12ihipStream_tbEUlT_E0_NS1_11comp_targetILNS1_3genE2ELNS1_11target_archE906ELNS1_3gpuE6ELNS1_3repE0EEENS1_30default_config_static_selectorELNS0_4arch9wavefront6targetE1EEEvSK_.kd
    .uniform_work_group_size: 1
    .uses_dynamic_stack: false
    .vgpr_count:     0
    .vgpr_spill_count: 0
    .wavefront_size: 64
  - .agpr_count:     0
    .args:
      - .offset:         0
        .size:           64
        .value_kind:     by_value
    .group_segment_fixed_size: 0
    .kernarg_segment_align: 8
    .kernarg_segment_size: 64
    .language:       OpenCL C
    .language_version:
      - 2
      - 0
    .max_flat_workgroup_size: 256
    .name:           _ZN7rocprim17ROCPRIM_400000_NS6detail17trampoline_kernelINS0_14default_configENS1_22reduce_config_selectorIxEEZNS1_11reduce_implILb1ES3_N6thrust23THRUST_200600_302600_NS17counting_iteratorIxNS8_11hip_rocprim3tagENS8_11use_defaultESC_EEPxxNS8_4plusIxEEEE10hipError_tPvRmT1_T2_T3_mT4_P12ihipStream_tbEUlT_E0_NS1_11comp_targetILNS1_3genE10ELNS1_11target_archE1201ELNS1_3gpuE5ELNS1_3repE0EEENS1_30default_config_static_selectorELNS0_4arch9wavefront6targetE1EEEvSK_
    .private_segment_fixed_size: 0
    .sgpr_count:     6
    .sgpr_spill_count: 0
    .symbol:         _ZN7rocprim17ROCPRIM_400000_NS6detail17trampoline_kernelINS0_14default_configENS1_22reduce_config_selectorIxEEZNS1_11reduce_implILb1ES3_N6thrust23THRUST_200600_302600_NS17counting_iteratorIxNS8_11hip_rocprim3tagENS8_11use_defaultESC_EEPxxNS8_4plusIxEEEE10hipError_tPvRmT1_T2_T3_mT4_P12ihipStream_tbEUlT_E0_NS1_11comp_targetILNS1_3genE10ELNS1_11target_archE1201ELNS1_3gpuE5ELNS1_3repE0EEENS1_30default_config_static_selectorELNS0_4arch9wavefront6targetE1EEEvSK_.kd
    .uniform_work_group_size: 1
    .uses_dynamic_stack: false
    .vgpr_count:     0
    .vgpr_spill_count: 0
    .wavefront_size: 64
  - .agpr_count:     0
    .args:
      - .offset:         0
        .size:           64
        .value_kind:     by_value
    .group_segment_fixed_size: 0
    .kernarg_segment_align: 8
    .kernarg_segment_size: 64
    .language:       OpenCL C
    .language_version:
      - 2
      - 0
    .max_flat_workgroup_size: 256
    .name:           _ZN7rocprim17ROCPRIM_400000_NS6detail17trampoline_kernelINS0_14default_configENS1_22reduce_config_selectorIxEEZNS1_11reduce_implILb1ES3_N6thrust23THRUST_200600_302600_NS17counting_iteratorIxNS8_11hip_rocprim3tagENS8_11use_defaultESC_EEPxxNS8_4plusIxEEEE10hipError_tPvRmT1_T2_T3_mT4_P12ihipStream_tbEUlT_E0_NS1_11comp_targetILNS1_3genE10ELNS1_11target_archE1200ELNS1_3gpuE4ELNS1_3repE0EEENS1_30default_config_static_selectorELNS0_4arch9wavefront6targetE1EEEvSK_
    .private_segment_fixed_size: 0
    .sgpr_count:     6
    .sgpr_spill_count: 0
    .symbol:         _ZN7rocprim17ROCPRIM_400000_NS6detail17trampoline_kernelINS0_14default_configENS1_22reduce_config_selectorIxEEZNS1_11reduce_implILb1ES3_N6thrust23THRUST_200600_302600_NS17counting_iteratorIxNS8_11hip_rocprim3tagENS8_11use_defaultESC_EEPxxNS8_4plusIxEEEE10hipError_tPvRmT1_T2_T3_mT4_P12ihipStream_tbEUlT_E0_NS1_11comp_targetILNS1_3genE10ELNS1_11target_archE1200ELNS1_3gpuE4ELNS1_3repE0EEENS1_30default_config_static_selectorELNS0_4arch9wavefront6targetE1EEEvSK_.kd
    .uniform_work_group_size: 1
    .uses_dynamic_stack: false
    .vgpr_count:     0
    .vgpr_spill_count: 0
    .wavefront_size: 64
  - .agpr_count:     0
    .args:
      - .offset:         0
        .size:           64
        .value_kind:     by_value
    .group_segment_fixed_size: 0
    .kernarg_segment_align: 8
    .kernarg_segment_size: 64
    .language:       OpenCL C
    .language_version:
      - 2
      - 0
    .max_flat_workgroup_size: 256
    .name:           _ZN7rocprim17ROCPRIM_400000_NS6detail17trampoline_kernelINS0_14default_configENS1_22reduce_config_selectorIxEEZNS1_11reduce_implILb1ES3_N6thrust23THRUST_200600_302600_NS17counting_iteratorIxNS8_11hip_rocprim3tagENS8_11use_defaultESC_EEPxxNS8_4plusIxEEEE10hipError_tPvRmT1_T2_T3_mT4_P12ihipStream_tbEUlT_E0_NS1_11comp_targetILNS1_3genE9ELNS1_11target_archE1100ELNS1_3gpuE3ELNS1_3repE0EEENS1_30default_config_static_selectorELNS0_4arch9wavefront6targetE1EEEvSK_
    .private_segment_fixed_size: 0
    .sgpr_count:     6
    .sgpr_spill_count: 0
    .symbol:         _ZN7rocprim17ROCPRIM_400000_NS6detail17trampoline_kernelINS0_14default_configENS1_22reduce_config_selectorIxEEZNS1_11reduce_implILb1ES3_N6thrust23THRUST_200600_302600_NS17counting_iteratorIxNS8_11hip_rocprim3tagENS8_11use_defaultESC_EEPxxNS8_4plusIxEEEE10hipError_tPvRmT1_T2_T3_mT4_P12ihipStream_tbEUlT_E0_NS1_11comp_targetILNS1_3genE9ELNS1_11target_archE1100ELNS1_3gpuE3ELNS1_3repE0EEENS1_30default_config_static_selectorELNS0_4arch9wavefront6targetE1EEEvSK_.kd
    .uniform_work_group_size: 1
    .uses_dynamic_stack: false
    .vgpr_count:     0
    .vgpr_spill_count: 0
    .wavefront_size: 64
  - .agpr_count:     0
    .args:
      - .offset:         0
        .size:           64
        .value_kind:     by_value
    .group_segment_fixed_size: 0
    .kernarg_segment_align: 8
    .kernarg_segment_size: 64
    .language:       OpenCL C
    .language_version:
      - 2
      - 0
    .max_flat_workgroup_size: 256
    .name:           _ZN7rocprim17ROCPRIM_400000_NS6detail17trampoline_kernelINS0_14default_configENS1_22reduce_config_selectorIxEEZNS1_11reduce_implILb1ES3_N6thrust23THRUST_200600_302600_NS17counting_iteratorIxNS8_11hip_rocprim3tagENS8_11use_defaultESC_EEPxxNS8_4plusIxEEEE10hipError_tPvRmT1_T2_T3_mT4_P12ihipStream_tbEUlT_E0_NS1_11comp_targetILNS1_3genE8ELNS1_11target_archE1030ELNS1_3gpuE2ELNS1_3repE0EEENS1_30default_config_static_selectorELNS0_4arch9wavefront6targetE1EEEvSK_
    .private_segment_fixed_size: 0
    .sgpr_count:     6
    .sgpr_spill_count: 0
    .symbol:         _ZN7rocprim17ROCPRIM_400000_NS6detail17trampoline_kernelINS0_14default_configENS1_22reduce_config_selectorIxEEZNS1_11reduce_implILb1ES3_N6thrust23THRUST_200600_302600_NS17counting_iteratorIxNS8_11hip_rocprim3tagENS8_11use_defaultESC_EEPxxNS8_4plusIxEEEE10hipError_tPvRmT1_T2_T3_mT4_P12ihipStream_tbEUlT_E0_NS1_11comp_targetILNS1_3genE8ELNS1_11target_archE1030ELNS1_3gpuE2ELNS1_3repE0EEENS1_30default_config_static_selectorELNS0_4arch9wavefront6targetE1EEEvSK_.kd
    .uniform_work_group_size: 1
    .uses_dynamic_stack: false
    .vgpr_count:     0
    .vgpr_spill_count: 0
    .wavefront_size: 64
  - .agpr_count:     0
    .args:
      - .offset:         0
        .size:           48
        .value_kind:     by_value
    .group_segment_fixed_size: 192
    .kernarg_segment_align: 8
    .kernarg_segment_size: 48
    .language:       OpenCL C
    .language_version:
      - 2
      - 0
    .max_flat_workgroup_size: 256
    .name:           _ZN7rocprim17ROCPRIM_400000_NS6detail17trampoline_kernelINS0_14default_configENS1_22reduce_config_selectorIxEEZNS1_11reduce_implILb1ES3_N6thrust23THRUST_200600_302600_NS17counting_iteratorIxNS8_11hip_rocprim3tagENS8_11use_defaultESC_EEPxxNS8_4plusIxEEEE10hipError_tPvRmT1_T2_T3_mT4_P12ihipStream_tbEUlT_E1_NS1_11comp_targetILNS1_3genE0ELNS1_11target_archE4294967295ELNS1_3gpuE0ELNS1_3repE0EEENS1_30default_config_static_selectorELNS0_4arch9wavefront6targetE1EEEvSK_
    .private_segment_fixed_size: 0
    .sgpr_count:     24
    .sgpr_spill_count: 0
    .symbol:         _ZN7rocprim17ROCPRIM_400000_NS6detail17trampoline_kernelINS0_14default_configENS1_22reduce_config_selectorIxEEZNS1_11reduce_implILb1ES3_N6thrust23THRUST_200600_302600_NS17counting_iteratorIxNS8_11hip_rocprim3tagENS8_11use_defaultESC_EEPxxNS8_4plusIxEEEE10hipError_tPvRmT1_T2_T3_mT4_P12ihipStream_tbEUlT_E1_NS1_11comp_targetILNS1_3genE0ELNS1_11target_archE4294967295ELNS1_3gpuE0ELNS1_3repE0EEENS1_30default_config_static_selectorELNS0_4arch9wavefront6targetE1EEEvSK_.kd
    .uniform_work_group_size: 1
    .uses_dynamic_stack: false
    .vgpr_count:     60
    .vgpr_spill_count: 0
    .wavefront_size: 64
  - .agpr_count:     0
    .args:
      - .offset:         0
        .size:           48
        .value_kind:     by_value
    .group_segment_fixed_size: 0
    .kernarg_segment_align: 8
    .kernarg_segment_size: 48
    .language:       OpenCL C
    .language_version:
      - 2
      - 0
    .max_flat_workgroup_size: 256
    .name:           _ZN7rocprim17ROCPRIM_400000_NS6detail17trampoline_kernelINS0_14default_configENS1_22reduce_config_selectorIxEEZNS1_11reduce_implILb1ES3_N6thrust23THRUST_200600_302600_NS17counting_iteratorIxNS8_11hip_rocprim3tagENS8_11use_defaultESC_EEPxxNS8_4plusIxEEEE10hipError_tPvRmT1_T2_T3_mT4_P12ihipStream_tbEUlT_E1_NS1_11comp_targetILNS1_3genE5ELNS1_11target_archE942ELNS1_3gpuE9ELNS1_3repE0EEENS1_30default_config_static_selectorELNS0_4arch9wavefront6targetE1EEEvSK_
    .private_segment_fixed_size: 0
    .sgpr_count:     6
    .sgpr_spill_count: 0
    .symbol:         _ZN7rocprim17ROCPRIM_400000_NS6detail17trampoline_kernelINS0_14default_configENS1_22reduce_config_selectorIxEEZNS1_11reduce_implILb1ES3_N6thrust23THRUST_200600_302600_NS17counting_iteratorIxNS8_11hip_rocprim3tagENS8_11use_defaultESC_EEPxxNS8_4plusIxEEEE10hipError_tPvRmT1_T2_T3_mT4_P12ihipStream_tbEUlT_E1_NS1_11comp_targetILNS1_3genE5ELNS1_11target_archE942ELNS1_3gpuE9ELNS1_3repE0EEENS1_30default_config_static_selectorELNS0_4arch9wavefront6targetE1EEEvSK_.kd
    .uniform_work_group_size: 1
    .uses_dynamic_stack: false
    .vgpr_count:     0
    .vgpr_spill_count: 0
    .wavefront_size: 64
  - .agpr_count:     0
    .args:
      - .offset:         0
        .size:           48
        .value_kind:     by_value
    .group_segment_fixed_size: 0
    .kernarg_segment_align: 8
    .kernarg_segment_size: 48
    .language:       OpenCL C
    .language_version:
      - 2
      - 0
    .max_flat_workgroup_size: 256
    .name:           _ZN7rocprim17ROCPRIM_400000_NS6detail17trampoline_kernelINS0_14default_configENS1_22reduce_config_selectorIxEEZNS1_11reduce_implILb1ES3_N6thrust23THRUST_200600_302600_NS17counting_iteratorIxNS8_11hip_rocprim3tagENS8_11use_defaultESC_EEPxxNS8_4plusIxEEEE10hipError_tPvRmT1_T2_T3_mT4_P12ihipStream_tbEUlT_E1_NS1_11comp_targetILNS1_3genE4ELNS1_11target_archE910ELNS1_3gpuE8ELNS1_3repE0EEENS1_30default_config_static_selectorELNS0_4arch9wavefront6targetE1EEEvSK_
    .private_segment_fixed_size: 0
    .sgpr_count:     6
    .sgpr_spill_count: 0
    .symbol:         _ZN7rocprim17ROCPRIM_400000_NS6detail17trampoline_kernelINS0_14default_configENS1_22reduce_config_selectorIxEEZNS1_11reduce_implILb1ES3_N6thrust23THRUST_200600_302600_NS17counting_iteratorIxNS8_11hip_rocprim3tagENS8_11use_defaultESC_EEPxxNS8_4plusIxEEEE10hipError_tPvRmT1_T2_T3_mT4_P12ihipStream_tbEUlT_E1_NS1_11comp_targetILNS1_3genE4ELNS1_11target_archE910ELNS1_3gpuE8ELNS1_3repE0EEENS1_30default_config_static_selectorELNS0_4arch9wavefront6targetE1EEEvSK_.kd
    .uniform_work_group_size: 1
    .uses_dynamic_stack: false
    .vgpr_count:     0
    .vgpr_spill_count: 0
    .wavefront_size: 64
  - .agpr_count:     0
    .args:
      - .offset:         0
        .size:           48
        .value_kind:     by_value
    .group_segment_fixed_size: 0
    .kernarg_segment_align: 8
    .kernarg_segment_size: 48
    .language:       OpenCL C
    .language_version:
      - 2
      - 0
    .max_flat_workgroup_size: 256
    .name:           _ZN7rocprim17ROCPRIM_400000_NS6detail17trampoline_kernelINS0_14default_configENS1_22reduce_config_selectorIxEEZNS1_11reduce_implILb1ES3_N6thrust23THRUST_200600_302600_NS17counting_iteratorIxNS8_11hip_rocprim3tagENS8_11use_defaultESC_EEPxxNS8_4plusIxEEEE10hipError_tPvRmT1_T2_T3_mT4_P12ihipStream_tbEUlT_E1_NS1_11comp_targetILNS1_3genE3ELNS1_11target_archE908ELNS1_3gpuE7ELNS1_3repE0EEENS1_30default_config_static_selectorELNS0_4arch9wavefront6targetE1EEEvSK_
    .private_segment_fixed_size: 0
    .sgpr_count:     6
    .sgpr_spill_count: 0
    .symbol:         _ZN7rocprim17ROCPRIM_400000_NS6detail17trampoline_kernelINS0_14default_configENS1_22reduce_config_selectorIxEEZNS1_11reduce_implILb1ES3_N6thrust23THRUST_200600_302600_NS17counting_iteratorIxNS8_11hip_rocprim3tagENS8_11use_defaultESC_EEPxxNS8_4plusIxEEEE10hipError_tPvRmT1_T2_T3_mT4_P12ihipStream_tbEUlT_E1_NS1_11comp_targetILNS1_3genE3ELNS1_11target_archE908ELNS1_3gpuE7ELNS1_3repE0EEENS1_30default_config_static_selectorELNS0_4arch9wavefront6targetE1EEEvSK_.kd
    .uniform_work_group_size: 1
    .uses_dynamic_stack: false
    .vgpr_count:     0
    .vgpr_spill_count: 0
    .wavefront_size: 64
  - .agpr_count:     0
    .args:
      - .offset:         0
        .size:           48
        .value_kind:     by_value
    .group_segment_fixed_size: 0
    .kernarg_segment_align: 8
    .kernarg_segment_size: 48
    .language:       OpenCL C
    .language_version:
      - 2
      - 0
    .max_flat_workgroup_size: 256
    .name:           _ZN7rocprim17ROCPRIM_400000_NS6detail17trampoline_kernelINS0_14default_configENS1_22reduce_config_selectorIxEEZNS1_11reduce_implILb1ES3_N6thrust23THRUST_200600_302600_NS17counting_iteratorIxNS8_11hip_rocprim3tagENS8_11use_defaultESC_EEPxxNS8_4plusIxEEEE10hipError_tPvRmT1_T2_T3_mT4_P12ihipStream_tbEUlT_E1_NS1_11comp_targetILNS1_3genE2ELNS1_11target_archE906ELNS1_3gpuE6ELNS1_3repE0EEENS1_30default_config_static_selectorELNS0_4arch9wavefront6targetE1EEEvSK_
    .private_segment_fixed_size: 0
    .sgpr_count:     6
    .sgpr_spill_count: 0
    .symbol:         _ZN7rocprim17ROCPRIM_400000_NS6detail17trampoline_kernelINS0_14default_configENS1_22reduce_config_selectorIxEEZNS1_11reduce_implILb1ES3_N6thrust23THRUST_200600_302600_NS17counting_iteratorIxNS8_11hip_rocprim3tagENS8_11use_defaultESC_EEPxxNS8_4plusIxEEEE10hipError_tPvRmT1_T2_T3_mT4_P12ihipStream_tbEUlT_E1_NS1_11comp_targetILNS1_3genE2ELNS1_11target_archE906ELNS1_3gpuE6ELNS1_3repE0EEENS1_30default_config_static_selectorELNS0_4arch9wavefront6targetE1EEEvSK_.kd
    .uniform_work_group_size: 1
    .uses_dynamic_stack: false
    .vgpr_count:     0
    .vgpr_spill_count: 0
    .wavefront_size: 64
  - .agpr_count:     0
    .args:
      - .offset:         0
        .size:           48
        .value_kind:     by_value
    .group_segment_fixed_size: 0
    .kernarg_segment_align: 8
    .kernarg_segment_size: 48
    .language:       OpenCL C
    .language_version:
      - 2
      - 0
    .max_flat_workgroup_size: 256
    .name:           _ZN7rocprim17ROCPRIM_400000_NS6detail17trampoline_kernelINS0_14default_configENS1_22reduce_config_selectorIxEEZNS1_11reduce_implILb1ES3_N6thrust23THRUST_200600_302600_NS17counting_iteratorIxNS8_11hip_rocprim3tagENS8_11use_defaultESC_EEPxxNS8_4plusIxEEEE10hipError_tPvRmT1_T2_T3_mT4_P12ihipStream_tbEUlT_E1_NS1_11comp_targetILNS1_3genE10ELNS1_11target_archE1201ELNS1_3gpuE5ELNS1_3repE0EEENS1_30default_config_static_selectorELNS0_4arch9wavefront6targetE1EEEvSK_
    .private_segment_fixed_size: 0
    .sgpr_count:     6
    .sgpr_spill_count: 0
    .symbol:         _ZN7rocprim17ROCPRIM_400000_NS6detail17trampoline_kernelINS0_14default_configENS1_22reduce_config_selectorIxEEZNS1_11reduce_implILb1ES3_N6thrust23THRUST_200600_302600_NS17counting_iteratorIxNS8_11hip_rocprim3tagENS8_11use_defaultESC_EEPxxNS8_4plusIxEEEE10hipError_tPvRmT1_T2_T3_mT4_P12ihipStream_tbEUlT_E1_NS1_11comp_targetILNS1_3genE10ELNS1_11target_archE1201ELNS1_3gpuE5ELNS1_3repE0EEENS1_30default_config_static_selectorELNS0_4arch9wavefront6targetE1EEEvSK_.kd
    .uniform_work_group_size: 1
    .uses_dynamic_stack: false
    .vgpr_count:     0
    .vgpr_spill_count: 0
    .wavefront_size: 64
  - .agpr_count:     0
    .args:
      - .offset:         0
        .size:           48
        .value_kind:     by_value
    .group_segment_fixed_size: 0
    .kernarg_segment_align: 8
    .kernarg_segment_size: 48
    .language:       OpenCL C
    .language_version:
      - 2
      - 0
    .max_flat_workgroup_size: 256
    .name:           _ZN7rocprim17ROCPRIM_400000_NS6detail17trampoline_kernelINS0_14default_configENS1_22reduce_config_selectorIxEEZNS1_11reduce_implILb1ES3_N6thrust23THRUST_200600_302600_NS17counting_iteratorIxNS8_11hip_rocprim3tagENS8_11use_defaultESC_EEPxxNS8_4plusIxEEEE10hipError_tPvRmT1_T2_T3_mT4_P12ihipStream_tbEUlT_E1_NS1_11comp_targetILNS1_3genE10ELNS1_11target_archE1200ELNS1_3gpuE4ELNS1_3repE0EEENS1_30default_config_static_selectorELNS0_4arch9wavefront6targetE1EEEvSK_
    .private_segment_fixed_size: 0
    .sgpr_count:     6
    .sgpr_spill_count: 0
    .symbol:         _ZN7rocprim17ROCPRIM_400000_NS6detail17trampoline_kernelINS0_14default_configENS1_22reduce_config_selectorIxEEZNS1_11reduce_implILb1ES3_N6thrust23THRUST_200600_302600_NS17counting_iteratorIxNS8_11hip_rocprim3tagENS8_11use_defaultESC_EEPxxNS8_4plusIxEEEE10hipError_tPvRmT1_T2_T3_mT4_P12ihipStream_tbEUlT_E1_NS1_11comp_targetILNS1_3genE10ELNS1_11target_archE1200ELNS1_3gpuE4ELNS1_3repE0EEENS1_30default_config_static_selectorELNS0_4arch9wavefront6targetE1EEEvSK_.kd
    .uniform_work_group_size: 1
    .uses_dynamic_stack: false
    .vgpr_count:     0
    .vgpr_spill_count: 0
    .wavefront_size: 64
  - .agpr_count:     0
    .args:
      - .offset:         0
        .size:           48
        .value_kind:     by_value
    .group_segment_fixed_size: 0
    .kernarg_segment_align: 8
    .kernarg_segment_size: 48
    .language:       OpenCL C
    .language_version:
      - 2
      - 0
    .max_flat_workgroup_size: 256
    .name:           _ZN7rocprim17ROCPRIM_400000_NS6detail17trampoline_kernelINS0_14default_configENS1_22reduce_config_selectorIxEEZNS1_11reduce_implILb1ES3_N6thrust23THRUST_200600_302600_NS17counting_iteratorIxNS8_11hip_rocprim3tagENS8_11use_defaultESC_EEPxxNS8_4plusIxEEEE10hipError_tPvRmT1_T2_T3_mT4_P12ihipStream_tbEUlT_E1_NS1_11comp_targetILNS1_3genE9ELNS1_11target_archE1100ELNS1_3gpuE3ELNS1_3repE0EEENS1_30default_config_static_selectorELNS0_4arch9wavefront6targetE1EEEvSK_
    .private_segment_fixed_size: 0
    .sgpr_count:     6
    .sgpr_spill_count: 0
    .symbol:         _ZN7rocprim17ROCPRIM_400000_NS6detail17trampoline_kernelINS0_14default_configENS1_22reduce_config_selectorIxEEZNS1_11reduce_implILb1ES3_N6thrust23THRUST_200600_302600_NS17counting_iteratorIxNS8_11hip_rocprim3tagENS8_11use_defaultESC_EEPxxNS8_4plusIxEEEE10hipError_tPvRmT1_T2_T3_mT4_P12ihipStream_tbEUlT_E1_NS1_11comp_targetILNS1_3genE9ELNS1_11target_archE1100ELNS1_3gpuE3ELNS1_3repE0EEENS1_30default_config_static_selectorELNS0_4arch9wavefront6targetE1EEEvSK_.kd
    .uniform_work_group_size: 1
    .uses_dynamic_stack: false
    .vgpr_count:     0
    .vgpr_spill_count: 0
    .wavefront_size: 64
  - .agpr_count:     0
    .args:
      - .offset:         0
        .size:           48
        .value_kind:     by_value
    .group_segment_fixed_size: 0
    .kernarg_segment_align: 8
    .kernarg_segment_size: 48
    .language:       OpenCL C
    .language_version:
      - 2
      - 0
    .max_flat_workgroup_size: 256
    .name:           _ZN7rocprim17ROCPRIM_400000_NS6detail17trampoline_kernelINS0_14default_configENS1_22reduce_config_selectorIxEEZNS1_11reduce_implILb1ES3_N6thrust23THRUST_200600_302600_NS17counting_iteratorIxNS8_11hip_rocprim3tagENS8_11use_defaultESC_EEPxxNS8_4plusIxEEEE10hipError_tPvRmT1_T2_T3_mT4_P12ihipStream_tbEUlT_E1_NS1_11comp_targetILNS1_3genE8ELNS1_11target_archE1030ELNS1_3gpuE2ELNS1_3repE0EEENS1_30default_config_static_selectorELNS0_4arch9wavefront6targetE1EEEvSK_
    .private_segment_fixed_size: 0
    .sgpr_count:     6
    .sgpr_spill_count: 0
    .symbol:         _ZN7rocprim17ROCPRIM_400000_NS6detail17trampoline_kernelINS0_14default_configENS1_22reduce_config_selectorIxEEZNS1_11reduce_implILb1ES3_N6thrust23THRUST_200600_302600_NS17counting_iteratorIxNS8_11hip_rocprim3tagENS8_11use_defaultESC_EEPxxNS8_4plusIxEEEE10hipError_tPvRmT1_T2_T3_mT4_P12ihipStream_tbEUlT_E1_NS1_11comp_targetILNS1_3genE8ELNS1_11target_archE1030ELNS1_3gpuE2ELNS1_3repE0EEENS1_30default_config_static_selectorELNS0_4arch9wavefront6targetE1EEEvSK_.kd
    .uniform_work_group_size: 1
    .uses_dynamic_stack: false
    .vgpr_count:     0
    .vgpr_spill_count: 0
    .wavefront_size: 64
  - .agpr_count:     0
    .args:
      - .offset:         0
        .size:           56
        .value_kind:     by_value
    .group_segment_fixed_size: 32
    .kernarg_segment_align: 8
    .kernarg_segment_size: 56
    .language:       OpenCL C
    .language_version:
      - 2
      - 0
    .max_flat_workgroup_size: 256
    .name:           _ZN7rocprim17ROCPRIM_400000_NS6detail17trampoline_kernelINS0_14default_configENS1_22reduce_config_selectorIiEEZNS1_11reduce_implILb1ES3_N6thrust23THRUST_200600_302600_NS17counting_iteratorIiNS8_11hip_rocprim3tagENS8_11use_defaultESC_EEPiiNS8_4plusIiEEEE10hipError_tPvRmT1_T2_T3_mT4_P12ihipStream_tbEUlT_E0_NS1_11comp_targetILNS1_3genE0ELNS1_11target_archE4294967295ELNS1_3gpuE0ELNS1_3repE0EEENS1_30default_config_static_selectorELNS0_4arch9wavefront6targetE1EEEvSK_
    .private_segment_fixed_size: 0
    .sgpr_count:     23
    .sgpr_spill_count: 0
    .symbol:         _ZN7rocprim17ROCPRIM_400000_NS6detail17trampoline_kernelINS0_14default_configENS1_22reduce_config_selectorIiEEZNS1_11reduce_implILb1ES3_N6thrust23THRUST_200600_302600_NS17counting_iteratorIiNS8_11hip_rocprim3tagENS8_11use_defaultESC_EEPiiNS8_4plusIiEEEE10hipError_tPvRmT1_T2_T3_mT4_P12ihipStream_tbEUlT_E0_NS1_11comp_targetILNS1_3genE0ELNS1_11target_archE4294967295ELNS1_3gpuE0ELNS1_3repE0EEENS1_30default_config_static_selectorELNS0_4arch9wavefront6targetE1EEEvSK_.kd
    .uniform_work_group_size: 1
    .uses_dynamic_stack: false
    .vgpr_count:     9
    .vgpr_spill_count: 0
    .wavefront_size: 64
  - .agpr_count:     0
    .args:
      - .offset:         0
        .size:           56
        .value_kind:     by_value
    .group_segment_fixed_size: 0
    .kernarg_segment_align: 8
    .kernarg_segment_size: 56
    .language:       OpenCL C
    .language_version:
      - 2
      - 0
    .max_flat_workgroup_size: 256
    .name:           _ZN7rocprim17ROCPRIM_400000_NS6detail17trampoline_kernelINS0_14default_configENS1_22reduce_config_selectorIiEEZNS1_11reduce_implILb1ES3_N6thrust23THRUST_200600_302600_NS17counting_iteratorIiNS8_11hip_rocprim3tagENS8_11use_defaultESC_EEPiiNS8_4plusIiEEEE10hipError_tPvRmT1_T2_T3_mT4_P12ihipStream_tbEUlT_E0_NS1_11comp_targetILNS1_3genE5ELNS1_11target_archE942ELNS1_3gpuE9ELNS1_3repE0EEENS1_30default_config_static_selectorELNS0_4arch9wavefront6targetE1EEEvSK_
    .private_segment_fixed_size: 0
    .sgpr_count:     6
    .sgpr_spill_count: 0
    .symbol:         _ZN7rocprim17ROCPRIM_400000_NS6detail17trampoline_kernelINS0_14default_configENS1_22reduce_config_selectorIiEEZNS1_11reduce_implILb1ES3_N6thrust23THRUST_200600_302600_NS17counting_iteratorIiNS8_11hip_rocprim3tagENS8_11use_defaultESC_EEPiiNS8_4plusIiEEEE10hipError_tPvRmT1_T2_T3_mT4_P12ihipStream_tbEUlT_E0_NS1_11comp_targetILNS1_3genE5ELNS1_11target_archE942ELNS1_3gpuE9ELNS1_3repE0EEENS1_30default_config_static_selectorELNS0_4arch9wavefront6targetE1EEEvSK_.kd
    .uniform_work_group_size: 1
    .uses_dynamic_stack: false
    .vgpr_count:     0
    .vgpr_spill_count: 0
    .wavefront_size: 64
  - .agpr_count:     0
    .args:
      - .offset:         0
        .size:           56
        .value_kind:     by_value
    .group_segment_fixed_size: 0
    .kernarg_segment_align: 8
    .kernarg_segment_size: 56
    .language:       OpenCL C
    .language_version:
      - 2
      - 0
    .max_flat_workgroup_size: 128
    .name:           _ZN7rocprim17ROCPRIM_400000_NS6detail17trampoline_kernelINS0_14default_configENS1_22reduce_config_selectorIiEEZNS1_11reduce_implILb1ES3_N6thrust23THRUST_200600_302600_NS17counting_iteratorIiNS8_11hip_rocprim3tagENS8_11use_defaultESC_EEPiiNS8_4plusIiEEEE10hipError_tPvRmT1_T2_T3_mT4_P12ihipStream_tbEUlT_E0_NS1_11comp_targetILNS1_3genE4ELNS1_11target_archE910ELNS1_3gpuE8ELNS1_3repE0EEENS1_30default_config_static_selectorELNS0_4arch9wavefront6targetE1EEEvSK_
    .private_segment_fixed_size: 0
    .sgpr_count:     6
    .sgpr_spill_count: 0
    .symbol:         _ZN7rocprim17ROCPRIM_400000_NS6detail17trampoline_kernelINS0_14default_configENS1_22reduce_config_selectorIiEEZNS1_11reduce_implILb1ES3_N6thrust23THRUST_200600_302600_NS17counting_iteratorIiNS8_11hip_rocprim3tagENS8_11use_defaultESC_EEPiiNS8_4plusIiEEEE10hipError_tPvRmT1_T2_T3_mT4_P12ihipStream_tbEUlT_E0_NS1_11comp_targetILNS1_3genE4ELNS1_11target_archE910ELNS1_3gpuE8ELNS1_3repE0EEENS1_30default_config_static_selectorELNS0_4arch9wavefront6targetE1EEEvSK_.kd
    .uniform_work_group_size: 1
    .uses_dynamic_stack: false
    .vgpr_count:     0
    .vgpr_spill_count: 0
    .wavefront_size: 64
  - .agpr_count:     0
    .args:
      - .offset:         0
        .size:           56
        .value_kind:     by_value
    .group_segment_fixed_size: 0
    .kernarg_segment_align: 8
    .kernarg_segment_size: 56
    .language:       OpenCL C
    .language_version:
      - 2
      - 0
    .max_flat_workgroup_size: 256
    .name:           _ZN7rocprim17ROCPRIM_400000_NS6detail17trampoline_kernelINS0_14default_configENS1_22reduce_config_selectorIiEEZNS1_11reduce_implILb1ES3_N6thrust23THRUST_200600_302600_NS17counting_iteratorIiNS8_11hip_rocprim3tagENS8_11use_defaultESC_EEPiiNS8_4plusIiEEEE10hipError_tPvRmT1_T2_T3_mT4_P12ihipStream_tbEUlT_E0_NS1_11comp_targetILNS1_3genE3ELNS1_11target_archE908ELNS1_3gpuE7ELNS1_3repE0EEENS1_30default_config_static_selectorELNS0_4arch9wavefront6targetE1EEEvSK_
    .private_segment_fixed_size: 0
    .sgpr_count:     6
    .sgpr_spill_count: 0
    .symbol:         _ZN7rocprim17ROCPRIM_400000_NS6detail17trampoline_kernelINS0_14default_configENS1_22reduce_config_selectorIiEEZNS1_11reduce_implILb1ES3_N6thrust23THRUST_200600_302600_NS17counting_iteratorIiNS8_11hip_rocprim3tagENS8_11use_defaultESC_EEPiiNS8_4plusIiEEEE10hipError_tPvRmT1_T2_T3_mT4_P12ihipStream_tbEUlT_E0_NS1_11comp_targetILNS1_3genE3ELNS1_11target_archE908ELNS1_3gpuE7ELNS1_3repE0EEENS1_30default_config_static_selectorELNS0_4arch9wavefront6targetE1EEEvSK_.kd
    .uniform_work_group_size: 1
    .uses_dynamic_stack: false
    .vgpr_count:     0
    .vgpr_spill_count: 0
    .wavefront_size: 64
  - .agpr_count:     0
    .args:
      - .offset:         0
        .size:           56
        .value_kind:     by_value
    .group_segment_fixed_size: 0
    .kernarg_segment_align: 8
    .kernarg_segment_size: 56
    .language:       OpenCL C
    .language_version:
      - 2
      - 0
    .max_flat_workgroup_size: 256
    .name:           _ZN7rocprim17ROCPRIM_400000_NS6detail17trampoline_kernelINS0_14default_configENS1_22reduce_config_selectorIiEEZNS1_11reduce_implILb1ES3_N6thrust23THRUST_200600_302600_NS17counting_iteratorIiNS8_11hip_rocprim3tagENS8_11use_defaultESC_EEPiiNS8_4plusIiEEEE10hipError_tPvRmT1_T2_T3_mT4_P12ihipStream_tbEUlT_E0_NS1_11comp_targetILNS1_3genE2ELNS1_11target_archE906ELNS1_3gpuE6ELNS1_3repE0EEENS1_30default_config_static_selectorELNS0_4arch9wavefront6targetE1EEEvSK_
    .private_segment_fixed_size: 0
    .sgpr_count:     6
    .sgpr_spill_count: 0
    .symbol:         _ZN7rocprim17ROCPRIM_400000_NS6detail17trampoline_kernelINS0_14default_configENS1_22reduce_config_selectorIiEEZNS1_11reduce_implILb1ES3_N6thrust23THRUST_200600_302600_NS17counting_iteratorIiNS8_11hip_rocprim3tagENS8_11use_defaultESC_EEPiiNS8_4plusIiEEEE10hipError_tPvRmT1_T2_T3_mT4_P12ihipStream_tbEUlT_E0_NS1_11comp_targetILNS1_3genE2ELNS1_11target_archE906ELNS1_3gpuE6ELNS1_3repE0EEENS1_30default_config_static_selectorELNS0_4arch9wavefront6targetE1EEEvSK_.kd
    .uniform_work_group_size: 1
    .uses_dynamic_stack: false
    .vgpr_count:     0
    .vgpr_spill_count: 0
    .wavefront_size: 64
  - .agpr_count:     0
    .args:
      - .offset:         0
        .size:           56
        .value_kind:     by_value
    .group_segment_fixed_size: 0
    .kernarg_segment_align: 8
    .kernarg_segment_size: 56
    .language:       OpenCL C
    .language_version:
      - 2
      - 0
    .max_flat_workgroup_size: 256
    .name:           _ZN7rocprim17ROCPRIM_400000_NS6detail17trampoline_kernelINS0_14default_configENS1_22reduce_config_selectorIiEEZNS1_11reduce_implILb1ES3_N6thrust23THRUST_200600_302600_NS17counting_iteratorIiNS8_11hip_rocprim3tagENS8_11use_defaultESC_EEPiiNS8_4plusIiEEEE10hipError_tPvRmT1_T2_T3_mT4_P12ihipStream_tbEUlT_E0_NS1_11comp_targetILNS1_3genE10ELNS1_11target_archE1201ELNS1_3gpuE5ELNS1_3repE0EEENS1_30default_config_static_selectorELNS0_4arch9wavefront6targetE1EEEvSK_
    .private_segment_fixed_size: 0
    .sgpr_count:     6
    .sgpr_spill_count: 0
    .symbol:         _ZN7rocprim17ROCPRIM_400000_NS6detail17trampoline_kernelINS0_14default_configENS1_22reduce_config_selectorIiEEZNS1_11reduce_implILb1ES3_N6thrust23THRUST_200600_302600_NS17counting_iteratorIiNS8_11hip_rocprim3tagENS8_11use_defaultESC_EEPiiNS8_4plusIiEEEE10hipError_tPvRmT1_T2_T3_mT4_P12ihipStream_tbEUlT_E0_NS1_11comp_targetILNS1_3genE10ELNS1_11target_archE1201ELNS1_3gpuE5ELNS1_3repE0EEENS1_30default_config_static_selectorELNS0_4arch9wavefront6targetE1EEEvSK_.kd
    .uniform_work_group_size: 1
    .uses_dynamic_stack: false
    .vgpr_count:     0
    .vgpr_spill_count: 0
    .wavefront_size: 64
  - .agpr_count:     0
    .args:
      - .offset:         0
        .size:           56
        .value_kind:     by_value
    .group_segment_fixed_size: 0
    .kernarg_segment_align: 8
    .kernarg_segment_size: 56
    .language:       OpenCL C
    .language_version:
      - 2
      - 0
    .max_flat_workgroup_size: 256
    .name:           _ZN7rocprim17ROCPRIM_400000_NS6detail17trampoline_kernelINS0_14default_configENS1_22reduce_config_selectorIiEEZNS1_11reduce_implILb1ES3_N6thrust23THRUST_200600_302600_NS17counting_iteratorIiNS8_11hip_rocprim3tagENS8_11use_defaultESC_EEPiiNS8_4plusIiEEEE10hipError_tPvRmT1_T2_T3_mT4_P12ihipStream_tbEUlT_E0_NS1_11comp_targetILNS1_3genE10ELNS1_11target_archE1200ELNS1_3gpuE4ELNS1_3repE0EEENS1_30default_config_static_selectorELNS0_4arch9wavefront6targetE1EEEvSK_
    .private_segment_fixed_size: 0
    .sgpr_count:     6
    .sgpr_spill_count: 0
    .symbol:         _ZN7rocprim17ROCPRIM_400000_NS6detail17trampoline_kernelINS0_14default_configENS1_22reduce_config_selectorIiEEZNS1_11reduce_implILb1ES3_N6thrust23THRUST_200600_302600_NS17counting_iteratorIiNS8_11hip_rocprim3tagENS8_11use_defaultESC_EEPiiNS8_4plusIiEEEE10hipError_tPvRmT1_T2_T3_mT4_P12ihipStream_tbEUlT_E0_NS1_11comp_targetILNS1_3genE10ELNS1_11target_archE1200ELNS1_3gpuE4ELNS1_3repE0EEENS1_30default_config_static_selectorELNS0_4arch9wavefront6targetE1EEEvSK_.kd
    .uniform_work_group_size: 1
    .uses_dynamic_stack: false
    .vgpr_count:     0
    .vgpr_spill_count: 0
    .wavefront_size: 64
  - .agpr_count:     0
    .args:
      - .offset:         0
        .size:           56
        .value_kind:     by_value
    .group_segment_fixed_size: 0
    .kernarg_segment_align: 8
    .kernarg_segment_size: 56
    .language:       OpenCL C
    .language_version:
      - 2
      - 0
    .max_flat_workgroup_size: 256
    .name:           _ZN7rocprim17ROCPRIM_400000_NS6detail17trampoline_kernelINS0_14default_configENS1_22reduce_config_selectorIiEEZNS1_11reduce_implILb1ES3_N6thrust23THRUST_200600_302600_NS17counting_iteratorIiNS8_11hip_rocprim3tagENS8_11use_defaultESC_EEPiiNS8_4plusIiEEEE10hipError_tPvRmT1_T2_T3_mT4_P12ihipStream_tbEUlT_E0_NS1_11comp_targetILNS1_3genE9ELNS1_11target_archE1100ELNS1_3gpuE3ELNS1_3repE0EEENS1_30default_config_static_selectorELNS0_4arch9wavefront6targetE1EEEvSK_
    .private_segment_fixed_size: 0
    .sgpr_count:     6
    .sgpr_spill_count: 0
    .symbol:         _ZN7rocprim17ROCPRIM_400000_NS6detail17trampoline_kernelINS0_14default_configENS1_22reduce_config_selectorIiEEZNS1_11reduce_implILb1ES3_N6thrust23THRUST_200600_302600_NS17counting_iteratorIiNS8_11hip_rocprim3tagENS8_11use_defaultESC_EEPiiNS8_4plusIiEEEE10hipError_tPvRmT1_T2_T3_mT4_P12ihipStream_tbEUlT_E0_NS1_11comp_targetILNS1_3genE9ELNS1_11target_archE1100ELNS1_3gpuE3ELNS1_3repE0EEENS1_30default_config_static_selectorELNS0_4arch9wavefront6targetE1EEEvSK_.kd
    .uniform_work_group_size: 1
    .uses_dynamic_stack: false
    .vgpr_count:     0
    .vgpr_spill_count: 0
    .wavefront_size: 64
  - .agpr_count:     0
    .args:
      - .offset:         0
        .size:           56
        .value_kind:     by_value
    .group_segment_fixed_size: 0
    .kernarg_segment_align: 8
    .kernarg_segment_size: 56
    .language:       OpenCL C
    .language_version:
      - 2
      - 0
    .max_flat_workgroup_size: 256
    .name:           _ZN7rocprim17ROCPRIM_400000_NS6detail17trampoline_kernelINS0_14default_configENS1_22reduce_config_selectorIiEEZNS1_11reduce_implILb1ES3_N6thrust23THRUST_200600_302600_NS17counting_iteratorIiNS8_11hip_rocprim3tagENS8_11use_defaultESC_EEPiiNS8_4plusIiEEEE10hipError_tPvRmT1_T2_T3_mT4_P12ihipStream_tbEUlT_E0_NS1_11comp_targetILNS1_3genE8ELNS1_11target_archE1030ELNS1_3gpuE2ELNS1_3repE0EEENS1_30default_config_static_selectorELNS0_4arch9wavefront6targetE1EEEvSK_
    .private_segment_fixed_size: 0
    .sgpr_count:     6
    .sgpr_spill_count: 0
    .symbol:         _ZN7rocprim17ROCPRIM_400000_NS6detail17trampoline_kernelINS0_14default_configENS1_22reduce_config_selectorIiEEZNS1_11reduce_implILb1ES3_N6thrust23THRUST_200600_302600_NS17counting_iteratorIiNS8_11hip_rocprim3tagENS8_11use_defaultESC_EEPiiNS8_4plusIiEEEE10hipError_tPvRmT1_T2_T3_mT4_P12ihipStream_tbEUlT_E0_NS1_11comp_targetILNS1_3genE8ELNS1_11target_archE1030ELNS1_3gpuE2ELNS1_3repE0EEENS1_30default_config_static_selectorELNS0_4arch9wavefront6targetE1EEEvSK_.kd
    .uniform_work_group_size: 1
    .uses_dynamic_stack: false
    .vgpr_count:     0
    .vgpr_spill_count: 0
    .wavefront_size: 64
  - .agpr_count:     0
    .args:
      - .offset:         0
        .size:           40
        .value_kind:     by_value
    .group_segment_fixed_size: 112
    .kernarg_segment_align: 8
    .kernarg_segment_size: 40
    .language:       OpenCL C
    .language_version:
      - 2
      - 0
    .max_flat_workgroup_size: 256
    .name:           _ZN7rocprim17ROCPRIM_400000_NS6detail17trampoline_kernelINS0_14default_configENS1_22reduce_config_selectorIiEEZNS1_11reduce_implILb1ES3_N6thrust23THRUST_200600_302600_NS17counting_iteratorIiNS8_11hip_rocprim3tagENS8_11use_defaultESC_EEPiiNS8_4plusIiEEEE10hipError_tPvRmT1_T2_T3_mT4_P12ihipStream_tbEUlT_E1_NS1_11comp_targetILNS1_3genE0ELNS1_11target_archE4294967295ELNS1_3gpuE0ELNS1_3repE0EEENS1_30default_config_static_selectorELNS0_4arch9wavefront6targetE1EEEvSK_
    .private_segment_fixed_size: 0
    .sgpr_count:     26
    .sgpr_spill_count: 0
    .symbol:         _ZN7rocprim17ROCPRIM_400000_NS6detail17trampoline_kernelINS0_14default_configENS1_22reduce_config_selectorIiEEZNS1_11reduce_implILb1ES3_N6thrust23THRUST_200600_302600_NS17counting_iteratorIiNS8_11hip_rocprim3tagENS8_11use_defaultESC_EEPiiNS8_4plusIiEEEE10hipError_tPvRmT1_T2_T3_mT4_P12ihipStream_tbEUlT_E1_NS1_11comp_targetILNS1_3genE0ELNS1_11target_archE4294967295ELNS1_3gpuE0ELNS1_3repE0EEENS1_30default_config_static_selectorELNS0_4arch9wavefront6targetE1EEEvSK_.kd
    .uniform_work_group_size: 1
    .uses_dynamic_stack: false
    .vgpr_count:     60
    .vgpr_spill_count: 0
    .wavefront_size: 64
  - .agpr_count:     0
    .args:
      - .offset:         0
        .size:           40
        .value_kind:     by_value
    .group_segment_fixed_size: 0
    .kernarg_segment_align: 8
    .kernarg_segment_size: 40
    .language:       OpenCL C
    .language_version:
      - 2
      - 0
    .max_flat_workgroup_size: 256
    .name:           _ZN7rocprim17ROCPRIM_400000_NS6detail17trampoline_kernelINS0_14default_configENS1_22reduce_config_selectorIiEEZNS1_11reduce_implILb1ES3_N6thrust23THRUST_200600_302600_NS17counting_iteratorIiNS8_11hip_rocprim3tagENS8_11use_defaultESC_EEPiiNS8_4plusIiEEEE10hipError_tPvRmT1_T2_T3_mT4_P12ihipStream_tbEUlT_E1_NS1_11comp_targetILNS1_3genE5ELNS1_11target_archE942ELNS1_3gpuE9ELNS1_3repE0EEENS1_30default_config_static_selectorELNS0_4arch9wavefront6targetE1EEEvSK_
    .private_segment_fixed_size: 0
    .sgpr_count:     6
    .sgpr_spill_count: 0
    .symbol:         _ZN7rocprim17ROCPRIM_400000_NS6detail17trampoline_kernelINS0_14default_configENS1_22reduce_config_selectorIiEEZNS1_11reduce_implILb1ES3_N6thrust23THRUST_200600_302600_NS17counting_iteratorIiNS8_11hip_rocprim3tagENS8_11use_defaultESC_EEPiiNS8_4plusIiEEEE10hipError_tPvRmT1_T2_T3_mT4_P12ihipStream_tbEUlT_E1_NS1_11comp_targetILNS1_3genE5ELNS1_11target_archE942ELNS1_3gpuE9ELNS1_3repE0EEENS1_30default_config_static_selectorELNS0_4arch9wavefront6targetE1EEEvSK_.kd
    .uniform_work_group_size: 1
    .uses_dynamic_stack: false
    .vgpr_count:     0
    .vgpr_spill_count: 0
    .wavefront_size: 64
  - .agpr_count:     0
    .args:
      - .offset:         0
        .size:           40
        .value_kind:     by_value
    .group_segment_fixed_size: 0
    .kernarg_segment_align: 8
    .kernarg_segment_size: 40
    .language:       OpenCL C
    .language_version:
      - 2
      - 0
    .max_flat_workgroup_size: 128
    .name:           _ZN7rocprim17ROCPRIM_400000_NS6detail17trampoline_kernelINS0_14default_configENS1_22reduce_config_selectorIiEEZNS1_11reduce_implILb1ES3_N6thrust23THRUST_200600_302600_NS17counting_iteratorIiNS8_11hip_rocprim3tagENS8_11use_defaultESC_EEPiiNS8_4plusIiEEEE10hipError_tPvRmT1_T2_T3_mT4_P12ihipStream_tbEUlT_E1_NS1_11comp_targetILNS1_3genE4ELNS1_11target_archE910ELNS1_3gpuE8ELNS1_3repE0EEENS1_30default_config_static_selectorELNS0_4arch9wavefront6targetE1EEEvSK_
    .private_segment_fixed_size: 0
    .sgpr_count:     6
    .sgpr_spill_count: 0
    .symbol:         _ZN7rocprim17ROCPRIM_400000_NS6detail17trampoline_kernelINS0_14default_configENS1_22reduce_config_selectorIiEEZNS1_11reduce_implILb1ES3_N6thrust23THRUST_200600_302600_NS17counting_iteratorIiNS8_11hip_rocprim3tagENS8_11use_defaultESC_EEPiiNS8_4plusIiEEEE10hipError_tPvRmT1_T2_T3_mT4_P12ihipStream_tbEUlT_E1_NS1_11comp_targetILNS1_3genE4ELNS1_11target_archE910ELNS1_3gpuE8ELNS1_3repE0EEENS1_30default_config_static_selectorELNS0_4arch9wavefront6targetE1EEEvSK_.kd
    .uniform_work_group_size: 1
    .uses_dynamic_stack: false
    .vgpr_count:     0
    .vgpr_spill_count: 0
    .wavefront_size: 64
  - .agpr_count:     0
    .args:
      - .offset:         0
        .size:           40
        .value_kind:     by_value
    .group_segment_fixed_size: 0
    .kernarg_segment_align: 8
    .kernarg_segment_size: 40
    .language:       OpenCL C
    .language_version:
      - 2
      - 0
    .max_flat_workgroup_size: 256
    .name:           _ZN7rocprim17ROCPRIM_400000_NS6detail17trampoline_kernelINS0_14default_configENS1_22reduce_config_selectorIiEEZNS1_11reduce_implILb1ES3_N6thrust23THRUST_200600_302600_NS17counting_iteratorIiNS8_11hip_rocprim3tagENS8_11use_defaultESC_EEPiiNS8_4plusIiEEEE10hipError_tPvRmT1_T2_T3_mT4_P12ihipStream_tbEUlT_E1_NS1_11comp_targetILNS1_3genE3ELNS1_11target_archE908ELNS1_3gpuE7ELNS1_3repE0EEENS1_30default_config_static_selectorELNS0_4arch9wavefront6targetE1EEEvSK_
    .private_segment_fixed_size: 0
    .sgpr_count:     6
    .sgpr_spill_count: 0
    .symbol:         _ZN7rocprim17ROCPRIM_400000_NS6detail17trampoline_kernelINS0_14default_configENS1_22reduce_config_selectorIiEEZNS1_11reduce_implILb1ES3_N6thrust23THRUST_200600_302600_NS17counting_iteratorIiNS8_11hip_rocprim3tagENS8_11use_defaultESC_EEPiiNS8_4plusIiEEEE10hipError_tPvRmT1_T2_T3_mT4_P12ihipStream_tbEUlT_E1_NS1_11comp_targetILNS1_3genE3ELNS1_11target_archE908ELNS1_3gpuE7ELNS1_3repE0EEENS1_30default_config_static_selectorELNS0_4arch9wavefront6targetE1EEEvSK_.kd
    .uniform_work_group_size: 1
    .uses_dynamic_stack: false
    .vgpr_count:     0
    .vgpr_spill_count: 0
    .wavefront_size: 64
  - .agpr_count:     0
    .args:
      - .offset:         0
        .size:           40
        .value_kind:     by_value
    .group_segment_fixed_size: 0
    .kernarg_segment_align: 8
    .kernarg_segment_size: 40
    .language:       OpenCL C
    .language_version:
      - 2
      - 0
    .max_flat_workgroup_size: 256
    .name:           _ZN7rocprim17ROCPRIM_400000_NS6detail17trampoline_kernelINS0_14default_configENS1_22reduce_config_selectorIiEEZNS1_11reduce_implILb1ES3_N6thrust23THRUST_200600_302600_NS17counting_iteratorIiNS8_11hip_rocprim3tagENS8_11use_defaultESC_EEPiiNS8_4plusIiEEEE10hipError_tPvRmT1_T2_T3_mT4_P12ihipStream_tbEUlT_E1_NS1_11comp_targetILNS1_3genE2ELNS1_11target_archE906ELNS1_3gpuE6ELNS1_3repE0EEENS1_30default_config_static_selectorELNS0_4arch9wavefront6targetE1EEEvSK_
    .private_segment_fixed_size: 0
    .sgpr_count:     6
    .sgpr_spill_count: 0
    .symbol:         _ZN7rocprim17ROCPRIM_400000_NS6detail17trampoline_kernelINS0_14default_configENS1_22reduce_config_selectorIiEEZNS1_11reduce_implILb1ES3_N6thrust23THRUST_200600_302600_NS17counting_iteratorIiNS8_11hip_rocprim3tagENS8_11use_defaultESC_EEPiiNS8_4plusIiEEEE10hipError_tPvRmT1_T2_T3_mT4_P12ihipStream_tbEUlT_E1_NS1_11comp_targetILNS1_3genE2ELNS1_11target_archE906ELNS1_3gpuE6ELNS1_3repE0EEENS1_30default_config_static_selectorELNS0_4arch9wavefront6targetE1EEEvSK_.kd
    .uniform_work_group_size: 1
    .uses_dynamic_stack: false
    .vgpr_count:     0
    .vgpr_spill_count: 0
    .wavefront_size: 64
  - .agpr_count:     0
    .args:
      - .offset:         0
        .size:           40
        .value_kind:     by_value
    .group_segment_fixed_size: 0
    .kernarg_segment_align: 8
    .kernarg_segment_size: 40
    .language:       OpenCL C
    .language_version:
      - 2
      - 0
    .max_flat_workgroup_size: 256
    .name:           _ZN7rocprim17ROCPRIM_400000_NS6detail17trampoline_kernelINS0_14default_configENS1_22reduce_config_selectorIiEEZNS1_11reduce_implILb1ES3_N6thrust23THRUST_200600_302600_NS17counting_iteratorIiNS8_11hip_rocprim3tagENS8_11use_defaultESC_EEPiiNS8_4plusIiEEEE10hipError_tPvRmT1_T2_T3_mT4_P12ihipStream_tbEUlT_E1_NS1_11comp_targetILNS1_3genE10ELNS1_11target_archE1201ELNS1_3gpuE5ELNS1_3repE0EEENS1_30default_config_static_selectorELNS0_4arch9wavefront6targetE1EEEvSK_
    .private_segment_fixed_size: 0
    .sgpr_count:     6
    .sgpr_spill_count: 0
    .symbol:         _ZN7rocprim17ROCPRIM_400000_NS6detail17trampoline_kernelINS0_14default_configENS1_22reduce_config_selectorIiEEZNS1_11reduce_implILb1ES3_N6thrust23THRUST_200600_302600_NS17counting_iteratorIiNS8_11hip_rocprim3tagENS8_11use_defaultESC_EEPiiNS8_4plusIiEEEE10hipError_tPvRmT1_T2_T3_mT4_P12ihipStream_tbEUlT_E1_NS1_11comp_targetILNS1_3genE10ELNS1_11target_archE1201ELNS1_3gpuE5ELNS1_3repE0EEENS1_30default_config_static_selectorELNS0_4arch9wavefront6targetE1EEEvSK_.kd
    .uniform_work_group_size: 1
    .uses_dynamic_stack: false
    .vgpr_count:     0
    .vgpr_spill_count: 0
    .wavefront_size: 64
  - .agpr_count:     0
    .args:
      - .offset:         0
        .size:           40
        .value_kind:     by_value
    .group_segment_fixed_size: 0
    .kernarg_segment_align: 8
    .kernarg_segment_size: 40
    .language:       OpenCL C
    .language_version:
      - 2
      - 0
    .max_flat_workgroup_size: 256
    .name:           _ZN7rocprim17ROCPRIM_400000_NS6detail17trampoline_kernelINS0_14default_configENS1_22reduce_config_selectorIiEEZNS1_11reduce_implILb1ES3_N6thrust23THRUST_200600_302600_NS17counting_iteratorIiNS8_11hip_rocprim3tagENS8_11use_defaultESC_EEPiiNS8_4plusIiEEEE10hipError_tPvRmT1_T2_T3_mT4_P12ihipStream_tbEUlT_E1_NS1_11comp_targetILNS1_3genE10ELNS1_11target_archE1200ELNS1_3gpuE4ELNS1_3repE0EEENS1_30default_config_static_selectorELNS0_4arch9wavefront6targetE1EEEvSK_
    .private_segment_fixed_size: 0
    .sgpr_count:     6
    .sgpr_spill_count: 0
    .symbol:         _ZN7rocprim17ROCPRIM_400000_NS6detail17trampoline_kernelINS0_14default_configENS1_22reduce_config_selectorIiEEZNS1_11reduce_implILb1ES3_N6thrust23THRUST_200600_302600_NS17counting_iteratorIiNS8_11hip_rocprim3tagENS8_11use_defaultESC_EEPiiNS8_4plusIiEEEE10hipError_tPvRmT1_T2_T3_mT4_P12ihipStream_tbEUlT_E1_NS1_11comp_targetILNS1_3genE10ELNS1_11target_archE1200ELNS1_3gpuE4ELNS1_3repE0EEENS1_30default_config_static_selectorELNS0_4arch9wavefront6targetE1EEEvSK_.kd
    .uniform_work_group_size: 1
    .uses_dynamic_stack: false
    .vgpr_count:     0
    .vgpr_spill_count: 0
    .wavefront_size: 64
  - .agpr_count:     0
    .args:
      - .offset:         0
        .size:           40
        .value_kind:     by_value
    .group_segment_fixed_size: 0
    .kernarg_segment_align: 8
    .kernarg_segment_size: 40
    .language:       OpenCL C
    .language_version:
      - 2
      - 0
    .max_flat_workgroup_size: 256
    .name:           _ZN7rocprim17ROCPRIM_400000_NS6detail17trampoline_kernelINS0_14default_configENS1_22reduce_config_selectorIiEEZNS1_11reduce_implILb1ES3_N6thrust23THRUST_200600_302600_NS17counting_iteratorIiNS8_11hip_rocprim3tagENS8_11use_defaultESC_EEPiiNS8_4plusIiEEEE10hipError_tPvRmT1_T2_T3_mT4_P12ihipStream_tbEUlT_E1_NS1_11comp_targetILNS1_3genE9ELNS1_11target_archE1100ELNS1_3gpuE3ELNS1_3repE0EEENS1_30default_config_static_selectorELNS0_4arch9wavefront6targetE1EEEvSK_
    .private_segment_fixed_size: 0
    .sgpr_count:     6
    .sgpr_spill_count: 0
    .symbol:         _ZN7rocprim17ROCPRIM_400000_NS6detail17trampoline_kernelINS0_14default_configENS1_22reduce_config_selectorIiEEZNS1_11reduce_implILb1ES3_N6thrust23THRUST_200600_302600_NS17counting_iteratorIiNS8_11hip_rocprim3tagENS8_11use_defaultESC_EEPiiNS8_4plusIiEEEE10hipError_tPvRmT1_T2_T3_mT4_P12ihipStream_tbEUlT_E1_NS1_11comp_targetILNS1_3genE9ELNS1_11target_archE1100ELNS1_3gpuE3ELNS1_3repE0EEENS1_30default_config_static_selectorELNS0_4arch9wavefront6targetE1EEEvSK_.kd
    .uniform_work_group_size: 1
    .uses_dynamic_stack: false
    .vgpr_count:     0
    .vgpr_spill_count: 0
    .wavefront_size: 64
  - .agpr_count:     0
    .args:
      - .offset:         0
        .size:           40
        .value_kind:     by_value
    .group_segment_fixed_size: 0
    .kernarg_segment_align: 8
    .kernarg_segment_size: 40
    .language:       OpenCL C
    .language_version:
      - 2
      - 0
    .max_flat_workgroup_size: 256
    .name:           _ZN7rocprim17ROCPRIM_400000_NS6detail17trampoline_kernelINS0_14default_configENS1_22reduce_config_selectorIiEEZNS1_11reduce_implILb1ES3_N6thrust23THRUST_200600_302600_NS17counting_iteratorIiNS8_11hip_rocprim3tagENS8_11use_defaultESC_EEPiiNS8_4plusIiEEEE10hipError_tPvRmT1_T2_T3_mT4_P12ihipStream_tbEUlT_E1_NS1_11comp_targetILNS1_3genE8ELNS1_11target_archE1030ELNS1_3gpuE2ELNS1_3repE0EEENS1_30default_config_static_selectorELNS0_4arch9wavefront6targetE1EEEvSK_
    .private_segment_fixed_size: 0
    .sgpr_count:     6
    .sgpr_spill_count: 0
    .symbol:         _ZN7rocprim17ROCPRIM_400000_NS6detail17trampoline_kernelINS0_14default_configENS1_22reduce_config_selectorIiEEZNS1_11reduce_implILb1ES3_N6thrust23THRUST_200600_302600_NS17counting_iteratorIiNS8_11hip_rocprim3tagENS8_11use_defaultESC_EEPiiNS8_4plusIiEEEE10hipError_tPvRmT1_T2_T3_mT4_P12ihipStream_tbEUlT_E1_NS1_11comp_targetILNS1_3genE8ELNS1_11target_archE1030ELNS1_3gpuE2ELNS1_3repE0EEENS1_30default_config_static_selectorELNS0_4arch9wavefront6targetE1EEEvSK_.kd
    .uniform_work_group_size: 1
    .uses_dynamic_stack: false
    .vgpr_count:     0
    .vgpr_spill_count: 0
    .wavefront_size: 64
  - .agpr_count:     0
    .args:
      - .offset:         0
        .size:           56
        .value_kind:     by_value
    .group_segment_fixed_size: 8
    .kernarg_segment_align: 8
    .kernarg_segment_size: 56
    .language:       OpenCL C
    .language_version:
      - 2
      - 0
    .max_flat_workgroup_size: 128
    .name:           _ZN7rocprim17ROCPRIM_400000_NS6detail17trampoline_kernelINS0_14default_configENS1_22reduce_config_selectorIsEEZNS1_11reduce_implILb1ES3_N6thrust23THRUST_200600_302600_NS17counting_iteratorIsNS8_11hip_rocprim3tagENS8_11use_defaultESC_EEPssNS8_4plusIsEEEE10hipError_tPvRmT1_T2_T3_mT4_P12ihipStream_tbEUlT_E0_NS1_11comp_targetILNS1_3genE0ELNS1_11target_archE4294967295ELNS1_3gpuE0ELNS1_3repE0EEENS1_30default_config_static_selectorELNS0_4arch9wavefront6targetE1EEEvSK_
    .private_segment_fixed_size: 0
    .sgpr_count:     23
    .sgpr_spill_count: 0
    .symbol:         _ZN7rocprim17ROCPRIM_400000_NS6detail17trampoline_kernelINS0_14default_configENS1_22reduce_config_selectorIsEEZNS1_11reduce_implILb1ES3_N6thrust23THRUST_200600_302600_NS17counting_iteratorIsNS8_11hip_rocprim3tagENS8_11use_defaultESC_EEPssNS8_4plusIsEEEE10hipError_tPvRmT1_T2_T3_mT4_P12ihipStream_tbEUlT_E0_NS1_11comp_targetILNS1_3genE0ELNS1_11target_archE4294967295ELNS1_3gpuE0ELNS1_3repE0EEENS1_30default_config_static_selectorELNS0_4arch9wavefront6targetE1EEEvSK_.kd
    .uniform_work_group_size: 1
    .uses_dynamic_stack: false
    .vgpr_count:     17
    .vgpr_spill_count: 0
    .wavefront_size: 64
  - .agpr_count:     0
    .args:
      - .offset:         0
        .size:           56
        .value_kind:     by_value
    .group_segment_fixed_size: 0
    .kernarg_segment_align: 8
    .kernarg_segment_size: 56
    .language:       OpenCL C
    .language_version:
      - 2
      - 0
    .max_flat_workgroup_size: 256
    .name:           _ZN7rocprim17ROCPRIM_400000_NS6detail17trampoline_kernelINS0_14default_configENS1_22reduce_config_selectorIsEEZNS1_11reduce_implILb1ES3_N6thrust23THRUST_200600_302600_NS17counting_iteratorIsNS8_11hip_rocprim3tagENS8_11use_defaultESC_EEPssNS8_4plusIsEEEE10hipError_tPvRmT1_T2_T3_mT4_P12ihipStream_tbEUlT_E0_NS1_11comp_targetILNS1_3genE5ELNS1_11target_archE942ELNS1_3gpuE9ELNS1_3repE0EEENS1_30default_config_static_selectorELNS0_4arch9wavefront6targetE1EEEvSK_
    .private_segment_fixed_size: 0
    .sgpr_count:     6
    .sgpr_spill_count: 0
    .symbol:         _ZN7rocprim17ROCPRIM_400000_NS6detail17trampoline_kernelINS0_14default_configENS1_22reduce_config_selectorIsEEZNS1_11reduce_implILb1ES3_N6thrust23THRUST_200600_302600_NS17counting_iteratorIsNS8_11hip_rocprim3tagENS8_11use_defaultESC_EEPssNS8_4plusIsEEEE10hipError_tPvRmT1_T2_T3_mT4_P12ihipStream_tbEUlT_E0_NS1_11comp_targetILNS1_3genE5ELNS1_11target_archE942ELNS1_3gpuE9ELNS1_3repE0EEENS1_30default_config_static_selectorELNS0_4arch9wavefront6targetE1EEEvSK_.kd
    .uniform_work_group_size: 1
    .uses_dynamic_stack: false
    .vgpr_count:     0
    .vgpr_spill_count: 0
    .wavefront_size: 64
  - .agpr_count:     0
    .args:
      - .offset:         0
        .size:           56
        .value_kind:     by_value
    .group_segment_fixed_size: 0
    .kernarg_segment_align: 8
    .kernarg_segment_size: 56
    .language:       OpenCL C
    .language_version:
      - 2
      - 0
    .max_flat_workgroup_size: 64
    .name:           _ZN7rocprim17ROCPRIM_400000_NS6detail17trampoline_kernelINS0_14default_configENS1_22reduce_config_selectorIsEEZNS1_11reduce_implILb1ES3_N6thrust23THRUST_200600_302600_NS17counting_iteratorIsNS8_11hip_rocprim3tagENS8_11use_defaultESC_EEPssNS8_4plusIsEEEE10hipError_tPvRmT1_T2_T3_mT4_P12ihipStream_tbEUlT_E0_NS1_11comp_targetILNS1_3genE4ELNS1_11target_archE910ELNS1_3gpuE8ELNS1_3repE0EEENS1_30default_config_static_selectorELNS0_4arch9wavefront6targetE1EEEvSK_
    .private_segment_fixed_size: 0
    .sgpr_count:     6
    .sgpr_spill_count: 0
    .symbol:         _ZN7rocprim17ROCPRIM_400000_NS6detail17trampoline_kernelINS0_14default_configENS1_22reduce_config_selectorIsEEZNS1_11reduce_implILb1ES3_N6thrust23THRUST_200600_302600_NS17counting_iteratorIsNS8_11hip_rocprim3tagENS8_11use_defaultESC_EEPssNS8_4plusIsEEEE10hipError_tPvRmT1_T2_T3_mT4_P12ihipStream_tbEUlT_E0_NS1_11comp_targetILNS1_3genE4ELNS1_11target_archE910ELNS1_3gpuE8ELNS1_3repE0EEENS1_30default_config_static_selectorELNS0_4arch9wavefront6targetE1EEEvSK_.kd
    .uniform_work_group_size: 1
    .uses_dynamic_stack: false
    .vgpr_count:     0
    .vgpr_spill_count: 0
    .wavefront_size: 64
  - .agpr_count:     0
    .args:
      - .offset:         0
        .size:           56
        .value_kind:     by_value
    .group_segment_fixed_size: 0
    .kernarg_segment_align: 8
    .kernarg_segment_size: 56
    .language:       OpenCL C
    .language_version:
      - 2
      - 0
    .max_flat_workgroup_size: 128
    .name:           _ZN7rocprim17ROCPRIM_400000_NS6detail17trampoline_kernelINS0_14default_configENS1_22reduce_config_selectorIsEEZNS1_11reduce_implILb1ES3_N6thrust23THRUST_200600_302600_NS17counting_iteratorIsNS8_11hip_rocprim3tagENS8_11use_defaultESC_EEPssNS8_4plusIsEEEE10hipError_tPvRmT1_T2_T3_mT4_P12ihipStream_tbEUlT_E0_NS1_11comp_targetILNS1_3genE3ELNS1_11target_archE908ELNS1_3gpuE7ELNS1_3repE0EEENS1_30default_config_static_selectorELNS0_4arch9wavefront6targetE1EEEvSK_
    .private_segment_fixed_size: 0
    .sgpr_count:     6
    .sgpr_spill_count: 0
    .symbol:         _ZN7rocprim17ROCPRIM_400000_NS6detail17trampoline_kernelINS0_14default_configENS1_22reduce_config_selectorIsEEZNS1_11reduce_implILb1ES3_N6thrust23THRUST_200600_302600_NS17counting_iteratorIsNS8_11hip_rocprim3tagENS8_11use_defaultESC_EEPssNS8_4plusIsEEEE10hipError_tPvRmT1_T2_T3_mT4_P12ihipStream_tbEUlT_E0_NS1_11comp_targetILNS1_3genE3ELNS1_11target_archE908ELNS1_3gpuE7ELNS1_3repE0EEENS1_30default_config_static_selectorELNS0_4arch9wavefront6targetE1EEEvSK_.kd
    .uniform_work_group_size: 1
    .uses_dynamic_stack: false
    .vgpr_count:     0
    .vgpr_spill_count: 0
    .wavefront_size: 64
  - .agpr_count:     0
    .args:
      - .offset:         0
        .size:           56
        .value_kind:     by_value
    .group_segment_fixed_size: 0
    .kernarg_segment_align: 8
    .kernarg_segment_size: 56
    .language:       OpenCL C
    .language_version:
      - 2
      - 0
    .max_flat_workgroup_size: 256
    .name:           _ZN7rocprim17ROCPRIM_400000_NS6detail17trampoline_kernelINS0_14default_configENS1_22reduce_config_selectorIsEEZNS1_11reduce_implILb1ES3_N6thrust23THRUST_200600_302600_NS17counting_iteratorIsNS8_11hip_rocprim3tagENS8_11use_defaultESC_EEPssNS8_4plusIsEEEE10hipError_tPvRmT1_T2_T3_mT4_P12ihipStream_tbEUlT_E0_NS1_11comp_targetILNS1_3genE2ELNS1_11target_archE906ELNS1_3gpuE6ELNS1_3repE0EEENS1_30default_config_static_selectorELNS0_4arch9wavefront6targetE1EEEvSK_
    .private_segment_fixed_size: 0
    .sgpr_count:     6
    .sgpr_spill_count: 0
    .symbol:         _ZN7rocprim17ROCPRIM_400000_NS6detail17trampoline_kernelINS0_14default_configENS1_22reduce_config_selectorIsEEZNS1_11reduce_implILb1ES3_N6thrust23THRUST_200600_302600_NS17counting_iteratorIsNS8_11hip_rocprim3tagENS8_11use_defaultESC_EEPssNS8_4plusIsEEEE10hipError_tPvRmT1_T2_T3_mT4_P12ihipStream_tbEUlT_E0_NS1_11comp_targetILNS1_3genE2ELNS1_11target_archE906ELNS1_3gpuE6ELNS1_3repE0EEENS1_30default_config_static_selectorELNS0_4arch9wavefront6targetE1EEEvSK_.kd
    .uniform_work_group_size: 1
    .uses_dynamic_stack: false
    .vgpr_count:     0
    .vgpr_spill_count: 0
    .wavefront_size: 64
  - .agpr_count:     0
    .args:
      - .offset:         0
        .size:           56
        .value_kind:     by_value
    .group_segment_fixed_size: 0
    .kernarg_segment_align: 8
    .kernarg_segment_size: 56
    .language:       OpenCL C
    .language_version:
      - 2
      - 0
    .max_flat_workgroup_size: 256
    .name:           _ZN7rocprim17ROCPRIM_400000_NS6detail17trampoline_kernelINS0_14default_configENS1_22reduce_config_selectorIsEEZNS1_11reduce_implILb1ES3_N6thrust23THRUST_200600_302600_NS17counting_iteratorIsNS8_11hip_rocprim3tagENS8_11use_defaultESC_EEPssNS8_4plusIsEEEE10hipError_tPvRmT1_T2_T3_mT4_P12ihipStream_tbEUlT_E0_NS1_11comp_targetILNS1_3genE10ELNS1_11target_archE1201ELNS1_3gpuE5ELNS1_3repE0EEENS1_30default_config_static_selectorELNS0_4arch9wavefront6targetE1EEEvSK_
    .private_segment_fixed_size: 0
    .sgpr_count:     6
    .sgpr_spill_count: 0
    .symbol:         _ZN7rocprim17ROCPRIM_400000_NS6detail17trampoline_kernelINS0_14default_configENS1_22reduce_config_selectorIsEEZNS1_11reduce_implILb1ES3_N6thrust23THRUST_200600_302600_NS17counting_iteratorIsNS8_11hip_rocprim3tagENS8_11use_defaultESC_EEPssNS8_4plusIsEEEE10hipError_tPvRmT1_T2_T3_mT4_P12ihipStream_tbEUlT_E0_NS1_11comp_targetILNS1_3genE10ELNS1_11target_archE1201ELNS1_3gpuE5ELNS1_3repE0EEENS1_30default_config_static_selectorELNS0_4arch9wavefront6targetE1EEEvSK_.kd
    .uniform_work_group_size: 1
    .uses_dynamic_stack: false
    .vgpr_count:     0
    .vgpr_spill_count: 0
    .wavefront_size: 64
  - .agpr_count:     0
    .args:
      - .offset:         0
        .size:           56
        .value_kind:     by_value
    .group_segment_fixed_size: 0
    .kernarg_segment_align: 8
    .kernarg_segment_size: 56
    .language:       OpenCL C
    .language_version:
      - 2
      - 0
    .max_flat_workgroup_size: 256
    .name:           _ZN7rocprim17ROCPRIM_400000_NS6detail17trampoline_kernelINS0_14default_configENS1_22reduce_config_selectorIsEEZNS1_11reduce_implILb1ES3_N6thrust23THRUST_200600_302600_NS17counting_iteratorIsNS8_11hip_rocprim3tagENS8_11use_defaultESC_EEPssNS8_4plusIsEEEE10hipError_tPvRmT1_T2_T3_mT4_P12ihipStream_tbEUlT_E0_NS1_11comp_targetILNS1_3genE10ELNS1_11target_archE1200ELNS1_3gpuE4ELNS1_3repE0EEENS1_30default_config_static_selectorELNS0_4arch9wavefront6targetE1EEEvSK_
    .private_segment_fixed_size: 0
    .sgpr_count:     6
    .sgpr_spill_count: 0
    .symbol:         _ZN7rocprim17ROCPRIM_400000_NS6detail17trampoline_kernelINS0_14default_configENS1_22reduce_config_selectorIsEEZNS1_11reduce_implILb1ES3_N6thrust23THRUST_200600_302600_NS17counting_iteratorIsNS8_11hip_rocprim3tagENS8_11use_defaultESC_EEPssNS8_4plusIsEEEE10hipError_tPvRmT1_T2_T3_mT4_P12ihipStream_tbEUlT_E0_NS1_11comp_targetILNS1_3genE10ELNS1_11target_archE1200ELNS1_3gpuE4ELNS1_3repE0EEENS1_30default_config_static_selectorELNS0_4arch9wavefront6targetE1EEEvSK_.kd
    .uniform_work_group_size: 1
    .uses_dynamic_stack: false
    .vgpr_count:     0
    .vgpr_spill_count: 0
    .wavefront_size: 64
  - .agpr_count:     0
    .args:
      - .offset:         0
        .size:           56
        .value_kind:     by_value
    .group_segment_fixed_size: 0
    .kernarg_segment_align: 8
    .kernarg_segment_size: 56
    .language:       OpenCL C
    .language_version:
      - 2
      - 0
    .max_flat_workgroup_size: 256
    .name:           _ZN7rocprim17ROCPRIM_400000_NS6detail17trampoline_kernelINS0_14default_configENS1_22reduce_config_selectorIsEEZNS1_11reduce_implILb1ES3_N6thrust23THRUST_200600_302600_NS17counting_iteratorIsNS8_11hip_rocprim3tagENS8_11use_defaultESC_EEPssNS8_4plusIsEEEE10hipError_tPvRmT1_T2_T3_mT4_P12ihipStream_tbEUlT_E0_NS1_11comp_targetILNS1_3genE9ELNS1_11target_archE1100ELNS1_3gpuE3ELNS1_3repE0EEENS1_30default_config_static_selectorELNS0_4arch9wavefront6targetE1EEEvSK_
    .private_segment_fixed_size: 0
    .sgpr_count:     6
    .sgpr_spill_count: 0
    .symbol:         _ZN7rocprim17ROCPRIM_400000_NS6detail17trampoline_kernelINS0_14default_configENS1_22reduce_config_selectorIsEEZNS1_11reduce_implILb1ES3_N6thrust23THRUST_200600_302600_NS17counting_iteratorIsNS8_11hip_rocprim3tagENS8_11use_defaultESC_EEPssNS8_4plusIsEEEE10hipError_tPvRmT1_T2_T3_mT4_P12ihipStream_tbEUlT_E0_NS1_11comp_targetILNS1_3genE9ELNS1_11target_archE1100ELNS1_3gpuE3ELNS1_3repE0EEENS1_30default_config_static_selectorELNS0_4arch9wavefront6targetE1EEEvSK_.kd
    .uniform_work_group_size: 1
    .uses_dynamic_stack: false
    .vgpr_count:     0
    .vgpr_spill_count: 0
    .wavefront_size: 64
  - .agpr_count:     0
    .args:
      - .offset:         0
        .size:           56
        .value_kind:     by_value
    .group_segment_fixed_size: 0
    .kernarg_segment_align: 8
    .kernarg_segment_size: 56
    .language:       OpenCL C
    .language_version:
      - 2
      - 0
    .max_flat_workgroup_size: 256
    .name:           _ZN7rocprim17ROCPRIM_400000_NS6detail17trampoline_kernelINS0_14default_configENS1_22reduce_config_selectorIsEEZNS1_11reduce_implILb1ES3_N6thrust23THRUST_200600_302600_NS17counting_iteratorIsNS8_11hip_rocprim3tagENS8_11use_defaultESC_EEPssNS8_4plusIsEEEE10hipError_tPvRmT1_T2_T3_mT4_P12ihipStream_tbEUlT_E0_NS1_11comp_targetILNS1_3genE8ELNS1_11target_archE1030ELNS1_3gpuE2ELNS1_3repE0EEENS1_30default_config_static_selectorELNS0_4arch9wavefront6targetE1EEEvSK_
    .private_segment_fixed_size: 0
    .sgpr_count:     6
    .sgpr_spill_count: 0
    .symbol:         _ZN7rocprim17ROCPRIM_400000_NS6detail17trampoline_kernelINS0_14default_configENS1_22reduce_config_selectorIsEEZNS1_11reduce_implILb1ES3_N6thrust23THRUST_200600_302600_NS17counting_iteratorIsNS8_11hip_rocprim3tagENS8_11use_defaultESC_EEPssNS8_4plusIsEEEE10hipError_tPvRmT1_T2_T3_mT4_P12ihipStream_tbEUlT_E0_NS1_11comp_targetILNS1_3genE8ELNS1_11target_archE1030ELNS1_3gpuE2ELNS1_3repE0EEENS1_30default_config_static_selectorELNS0_4arch9wavefront6targetE1EEEvSK_.kd
    .uniform_work_group_size: 1
    .uses_dynamic_stack: false
    .vgpr_count:     0
    .vgpr_spill_count: 0
    .wavefront_size: 64
  - .agpr_count:     0
    .args:
      - .offset:         0
        .size:           40
        .value_kind:     by_value
    .group_segment_fixed_size: 32
    .kernarg_segment_align: 8
    .kernarg_segment_size: 40
    .language:       OpenCL C
    .language_version:
      - 2
      - 0
    .max_flat_workgroup_size: 128
    .name:           _ZN7rocprim17ROCPRIM_400000_NS6detail17trampoline_kernelINS0_14default_configENS1_22reduce_config_selectorIsEEZNS1_11reduce_implILb1ES3_N6thrust23THRUST_200600_302600_NS17counting_iteratorIsNS8_11hip_rocprim3tagENS8_11use_defaultESC_EEPssNS8_4plusIsEEEE10hipError_tPvRmT1_T2_T3_mT4_P12ihipStream_tbEUlT_E1_NS1_11comp_targetILNS1_3genE0ELNS1_11target_archE4294967295ELNS1_3gpuE0ELNS1_3repE0EEENS1_30default_config_static_selectorELNS0_4arch9wavefront6targetE1EEEvSK_
    .private_segment_fixed_size: 0
    .sgpr_count:     106
    .sgpr_spill_count: 0
    .symbol:         _ZN7rocprim17ROCPRIM_400000_NS6detail17trampoline_kernelINS0_14default_configENS1_22reduce_config_selectorIsEEZNS1_11reduce_implILb1ES3_N6thrust23THRUST_200600_302600_NS17counting_iteratorIsNS8_11hip_rocprim3tagENS8_11use_defaultESC_EEPssNS8_4plusIsEEEE10hipError_tPvRmT1_T2_T3_mT4_P12ihipStream_tbEUlT_E1_NS1_11comp_targetILNS1_3genE0ELNS1_11target_archE4294967295ELNS1_3gpuE0ELNS1_3repE0EEENS1_30default_config_static_selectorELNS0_4arch9wavefront6targetE1EEEvSK_.kd
    .uniform_work_group_size: 1
    .uses_dynamic_stack: false
    .vgpr_count:     60
    .vgpr_spill_count: 0
    .wavefront_size: 64
  - .agpr_count:     0
    .args:
      - .offset:         0
        .size:           40
        .value_kind:     by_value
    .group_segment_fixed_size: 0
    .kernarg_segment_align: 8
    .kernarg_segment_size: 40
    .language:       OpenCL C
    .language_version:
      - 2
      - 0
    .max_flat_workgroup_size: 256
    .name:           _ZN7rocprim17ROCPRIM_400000_NS6detail17trampoline_kernelINS0_14default_configENS1_22reduce_config_selectorIsEEZNS1_11reduce_implILb1ES3_N6thrust23THRUST_200600_302600_NS17counting_iteratorIsNS8_11hip_rocprim3tagENS8_11use_defaultESC_EEPssNS8_4plusIsEEEE10hipError_tPvRmT1_T2_T3_mT4_P12ihipStream_tbEUlT_E1_NS1_11comp_targetILNS1_3genE5ELNS1_11target_archE942ELNS1_3gpuE9ELNS1_3repE0EEENS1_30default_config_static_selectorELNS0_4arch9wavefront6targetE1EEEvSK_
    .private_segment_fixed_size: 0
    .sgpr_count:     6
    .sgpr_spill_count: 0
    .symbol:         _ZN7rocprim17ROCPRIM_400000_NS6detail17trampoline_kernelINS0_14default_configENS1_22reduce_config_selectorIsEEZNS1_11reduce_implILb1ES3_N6thrust23THRUST_200600_302600_NS17counting_iteratorIsNS8_11hip_rocprim3tagENS8_11use_defaultESC_EEPssNS8_4plusIsEEEE10hipError_tPvRmT1_T2_T3_mT4_P12ihipStream_tbEUlT_E1_NS1_11comp_targetILNS1_3genE5ELNS1_11target_archE942ELNS1_3gpuE9ELNS1_3repE0EEENS1_30default_config_static_selectorELNS0_4arch9wavefront6targetE1EEEvSK_.kd
    .uniform_work_group_size: 1
    .uses_dynamic_stack: false
    .vgpr_count:     0
    .vgpr_spill_count: 0
    .wavefront_size: 64
  - .agpr_count:     0
    .args:
      - .offset:         0
        .size:           40
        .value_kind:     by_value
    .group_segment_fixed_size: 0
    .kernarg_segment_align: 8
    .kernarg_segment_size: 40
    .language:       OpenCL C
    .language_version:
      - 2
      - 0
    .max_flat_workgroup_size: 64
    .name:           _ZN7rocprim17ROCPRIM_400000_NS6detail17trampoline_kernelINS0_14default_configENS1_22reduce_config_selectorIsEEZNS1_11reduce_implILb1ES3_N6thrust23THRUST_200600_302600_NS17counting_iteratorIsNS8_11hip_rocprim3tagENS8_11use_defaultESC_EEPssNS8_4plusIsEEEE10hipError_tPvRmT1_T2_T3_mT4_P12ihipStream_tbEUlT_E1_NS1_11comp_targetILNS1_3genE4ELNS1_11target_archE910ELNS1_3gpuE8ELNS1_3repE0EEENS1_30default_config_static_selectorELNS0_4arch9wavefront6targetE1EEEvSK_
    .private_segment_fixed_size: 0
    .sgpr_count:     6
    .sgpr_spill_count: 0
    .symbol:         _ZN7rocprim17ROCPRIM_400000_NS6detail17trampoline_kernelINS0_14default_configENS1_22reduce_config_selectorIsEEZNS1_11reduce_implILb1ES3_N6thrust23THRUST_200600_302600_NS17counting_iteratorIsNS8_11hip_rocprim3tagENS8_11use_defaultESC_EEPssNS8_4plusIsEEEE10hipError_tPvRmT1_T2_T3_mT4_P12ihipStream_tbEUlT_E1_NS1_11comp_targetILNS1_3genE4ELNS1_11target_archE910ELNS1_3gpuE8ELNS1_3repE0EEENS1_30default_config_static_selectorELNS0_4arch9wavefront6targetE1EEEvSK_.kd
    .uniform_work_group_size: 1
    .uses_dynamic_stack: false
    .vgpr_count:     0
    .vgpr_spill_count: 0
    .wavefront_size: 64
  - .agpr_count:     0
    .args:
      - .offset:         0
        .size:           40
        .value_kind:     by_value
    .group_segment_fixed_size: 0
    .kernarg_segment_align: 8
    .kernarg_segment_size: 40
    .language:       OpenCL C
    .language_version:
      - 2
      - 0
    .max_flat_workgroup_size: 128
    .name:           _ZN7rocprim17ROCPRIM_400000_NS6detail17trampoline_kernelINS0_14default_configENS1_22reduce_config_selectorIsEEZNS1_11reduce_implILb1ES3_N6thrust23THRUST_200600_302600_NS17counting_iteratorIsNS8_11hip_rocprim3tagENS8_11use_defaultESC_EEPssNS8_4plusIsEEEE10hipError_tPvRmT1_T2_T3_mT4_P12ihipStream_tbEUlT_E1_NS1_11comp_targetILNS1_3genE3ELNS1_11target_archE908ELNS1_3gpuE7ELNS1_3repE0EEENS1_30default_config_static_selectorELNS0_4arch9wavefront6targetE1EEEvSK_
    .private_segment_fixed_size: 0
    .sgpr_count:     6
    .sgpr_spill_count: 0
    .symbol:         _ZN7rocprim17ROCPRIM_400000_NS6detail17trampoline_kernelINS0_14default_configENS1_22reduce_config_selectorIsEEZNS1_11reduce_implILb1ES3_N6thrust23THRUST_200600_302600_NS17counting_iteratorIsNS8_11hip_rocprim3tagENS8_11use_defaultESC_EEPssNS8_4plusIsEEEE10hipError_tPvRmT1_T2_T3_mT4_P12ihipStream_tbEUlT_E1_NS1_11comp_targetILNS1_3genE3ELNS1_11target_archE908ELNS1_3gpuE7ELNS1_3repE0EEENS1_30default_config_static_selectorELNS0_4arch9wavefront6targetE1EEEvSK_.kd
    .uniform_work_group_size: 1
    .uses_dynamic_stack: false
    .vgpr_count:     0
    .vgpr_spill_count: 0
    .wavefront_size: 64
  - .agpr_count:     0
    .args:
      - .offset:         0
        .size:           40
        .value_kind:     by_value
    .group_segment_fixed_size: 0
    .kernarg_segment_align: 8
    .kernarg_segment_size: 40
    .language:       OpenCL C
    .language_version:
      - 2
      - 0
    .max_flat_workgroup_size: 256
    .name:           _ZN7rocprim17ROCPRIM_400000_NS6detail17trampoline_kernelINS0_14default_configENS1_22reduce_config_selectorIsEEZNS1_11reduce_implILb1ES3_N6thrust23THRUST_200600_302600_NS17counting_iteratorIsNS8_11hip_rocprim3tagENS8_11use_defaultESC_EEPssNS8_4plusIsEEEE10hipError_tPvRmT1_T2_T3_mT4_P12ihipStream_tbEUlT_E1_NS1_11comp_targetILNS1_3genE2ELNS1_11target_archE906ELNS1_3gpuE6ELNS1_3repE0EEENS1_30default_config_static_selectorELNS0_4arch9wavefront6targetE1EEEvSK_
    .private_segment_fixed_size: 0
    .sgpr_count:     6
    .sgpr_spill_count: 0
    .symbol:         _ZN7rocprim17ROCPRIM_400000_NS6detail17trampoline_kernelINS0_14default_configENS1_22reduce_config_selectorIsEEZNS1_11reduce_implILb1ES3_N6thrust23THRUST_200600_302600_NS17counting_iteratorIsNS8_11hip_rocprim3tagENS8_11use_defaultESC_EEPssNS8_4plusIsEEEE10hipError_tPvRmT1_T2_T3_mT4_P12ihipStream_tbEUlT_E1_NS1_11comp_targetILNS1_3genE2ELNS1_11target_archE906ELNS1_3gpuE6ELNS1_3repE0EEENS1_30default_config_static_selectorELNS0_4arch9wavefront6targetE1EEEvSK_.kd
    .uniform_work_group_size: 1
    .uses_dynamic_stack: false
    .vgpr_count:     0
    .vgpr_spill_count: 0
    .wavefront_size: 64
  - .agpr_count:     0
    .args:
      - .offset:         0
        .size:           40
        .value_kind:     by_value
    .group_segment_fixed_size: 0
    .kernarg_segment_align: 8
    .kernarg_segment_size: 40
    .language:       OpenCL C
    .language_version:
      - 2
      - 0
    .max_flat_workgroup_size: 256
    .name:           _ZN7rocprim17ROCPRIM_400000_NS6detail17trampoline_kernelINS0_14default_configENS1_22reduce_config_selectorIsEEZNS1_11reduce_implILb1ES3_N6thrust23THRUST_200600_302600_NS17counting_iteratorIsNS8_11hip_rocprim3tagENS8_11use_defaultESC_EEPssNS8_4plusIsEEEE10hipError_tPvRmT1_T2_T3_mT4_P12ihipStream_tbEUlT_E1_NS1_11comp_targetILNS1_3genE10ELNS1_11target_archE1201ELNS1_3gpuE5ELNS1_3repE0EEENS1_30default_config_static_selectorELNS0_4arch9wavefront6targetE1EEEvSK_
    .private_segment_fixed_size: 0
    .sgpr_count:     6
    .sgpr_spill_count: 0
    .symbol:         _ZN7rocprim17ROCPRIM_400000_NS6detail17trampoline_kernelINS0_14default_configENS1_22reduce_config_selectorIsEEZNS1_11reduce_implILb1ES3_N6thrust23THRUST_200600_302600_NS17counting_iteratorIsNS8_11hip_rocprim3tagENS8_11use_defaultESC_EEPssNS8_4plusIsEEEE10hipError_tPvRmT1_T2_T3_mT4_P12ihipStream_tbEUlT_E1_NS1_11comp_targetILNS1_3genE10ELNS1_11target_archE1201ELNS1_3gpuE5ELNS1_3repE0EEENS1_30default_config_static_selectorELNS0_4arch9wavefront6targetE1EEEvSK_.kd
    .uniform_work_group_size: 1
    .uses_dynamic_stack: false
    .vgpr_count:     0
    .vgpr_spill_count: 0
    .wavefront_size: 64
  - .agpr_count:     0
    .args:
      - .offset:         0
        .size:           40
        .value_kind:     by_value
    .group_segment_fixed_size: 0
    .kernarg_segment_align: 8
    .kernarg_segment_size: 40
    .language:       OpenCL C
    .language_version:
      - 2
      - 0
    .max_flat_workgroup_size: 256
    .name:           _ZN7rocprim17ROCPRIM_400000_NS6detail17trampoline_kernelINS0_14default_configENS1_22reduce_config_selectorIsEEZNS1_11reduce_implILb1ES3_N6thrust23THRUST_200600_302600_NS17counting_iteratorIsNS8_11hip_rocprim3tagENS8_11use_defaultESC_EEPssNS8_4plusIsEEEE10hipError_tPvRmT1_T2_T3_mT4_P12ihipStream_tbEUlT_E1_NS1_11comp_targetILNS1_3genE10ELNS1_11target_archE1200ELNS1_3gpuE4ELNS1_3repE0EEENS1_30default_config_static_selectorELNS0_4arch9wavefront6targetE1EEEvSK_
    .private_segment_fixed_size: 0
    .sgpr_count:     6
    .sgpr_spill_count: 0
    .symbol:         _ZN7rocprim17ROCPRIM_400000_NS6detail17trampoline_kernelINS0_14default_configENS1_22reduce_config_selectorIsEEZNS1_11reduce_implILb1ES3_N6thrust23THRUST_200600_302600_NS17counting_iteratorIsNS8_11hip_rocprim3tagENS8_11use_defaultESC_EEPssNS8_4plusIsEEEE10hipError_tPvRmT1_T2_T3_mT4_P12ihipStream_tbEUlT_E1_NS1_11comp_targetILNS1_3genE10ELNS1_11target_archE1200ELNS1_3gpuE4ELNS1_3repE0EEENS1_30default_config_static_selectorELNS0_4arch9wavefront6targetE1EEEvSK_.kd
    .uniform_work_group_size: 1
    .uses_dynamic_stack: false
    .vgpr_count:     0
    .vgpr_spill_count: 0
    .wavefront_size: 64
  - .agpr_count:     0
    .args:
      - .offset:         0
        .size:           40
        .value_kind:     by_value
    .group_segment_fixed_size: 0
    .kernarg_segment_align: 8
    .kernarg_segment_size: 40
    .language:       OpenCL C
    .language_version:
      - 2
      - 0
    .max_flat_workgroup_size: 256
    .name:           _ZN7rocprim17ROCPRIM_400000_NS6detail17trampoline_kernelINS0_14default_configENS1_22reduce_config_selectorIsEEZNS1_11reduce_implILb1ES3_N6thrust23THRUST_200600_302600_NS17counting_iteratorIsNS8_11hip_rocprim3tagENS8_11use_defaultESC_EEPssNS8_4plusIsEEEE10hipError_tPvRmT1_T2_T3_mT4_P12ihipStream_tbEUlT_E1_NS1_11comp_targetILNS1_3genE9ELNS1_11target_archE1100ELNS1_3gpuE3ELNS1_3repE0EEENS1_30default_config_static_selectorELNS0_4arch9wavefront6targetE1EEEvSK_
    .private_segment_fixed_size: 0
    .sgpr_count:     6
    .sgpr_spill_count: 0
    .symbol:         _ZN7rocprim17ROCPRIM_400000_NS6detail17trampoline_kernelINS0_14default_configENS1_22reduce_config_selectorIsEEZNS1_11reduce_implILb1ES3_N6thrust23THRUST_200600_302600_NS17counting_iteratorIsNS8_11hip_rocprim3tagENS8_11use_defaultESC_EEPssNS8_4plusIsEEEE10hipError_tPvRmT1_T2_T3_mT4_P12ihipStream_tbEUlT_E1_NS1_11comp_targetILNS1_3genE9ELNS1_11target_archE1100ELNS1_3gpuE3ELNS1_3repE0EEENS1_30default_config_static_selectorELNS0_4arch9wavefront6targetE1EEEvSK_.kd
    .uniform_work_group_size: 1
    .uses_dynamic_stack: false
    .vgpr_count:     0
    .vgpr_spill_count: 0
    .wavefront_size: 64
  - .agpr_count:     0
    .args:
      - .offset:         0
        .size:           40
        .value_kind:     by_value
    .group_segment_fixed_size: 0
    .kernarg_segment_align: 8
    .kernarg_segment_size: 40
    .language:       OpenCL C
    .language_version:
      - 2
      - 0
    .max_flat_workgroup_size: 256
    .name:           _ZN7rocprim17ROCPRIM_400000_NS6detail17trampoline_kernelINS0_14default_configENS1_22reduce_config_selectorIsEEZNS1_11reduce_implILb1ES3_N6thrust23THRUST_200600_302600_NS17counting_iteratorIsNS8_11hip_rocprim3tagENS8_11use_defaultESC_EEPssNS8_4plusIsEEEE10hipError_tPvRmT1_T2_T3_mT4_P12ihipStream_tbEUlT_E1_NS1_11comp_targetILNS1_3genE8ELNS1_11target_archE1030ELNS1_3gpuE2ELNS1_3repE0EEENS1_30default_config_static_selectorELNS0_4arch9wavefront6targetE1EEEvSK_
    .private_segment_fixed_size: 0
    .sgpr_count:     6
    .sgpr_spill_count: 0
    .symbol:         _ZN7rocprim17ROCPRIM_400000_NS6detail17trampoline_kernelINS0_14default_configENS1_22reduce_config_selectorIsEEZNS1_11reduce_implILb1ES3_N6thrust23THRUST_200600_302600_NS17counting_iteratorIsNS8_11hip_rocprim3tagENS8_11use_defaultESC_EEPssNS8_4plusIsEEEE10hipError_tPvRmT1_T2_T3_mT4_P12ihipStream_tbEUlT_E1_NS1_11comp_targetILNS1_3genE8ELNS1_11target_archE1030ELNS1_3gpuE2ELNS1_3repE0EEENS1_30default_config_static_selectorELNS0_4arch9wavefront6targetE1EEEvSK_.kd
    .uniform_work_group_size: 1
    .uses_dynamic_stack: false
    .vgpr_count:     0
    .vgpr_spill_count: 0
    .wavefront_size: 64
  - .agpr_count:     0
    .args:
      - .offset:         0
        .size:           56
        .value_kind:     by_value
    .group_segment_fixed_size: 32
    .kernarg_segment_align: 8
    .kernarg_segment_size: 56
    .language:       OpenCL C
    .language_version:
      - 2
      - 0
    .max_flat_workgroup_size: 256
    .name:           _ZN7rocprim17ROCPRIM_400000_NS6detail17trampoline_kernelINS0_14default_configENS1_22reduce_config_selectorIiEEZNS1_11reduce_implILb1ES3_N6thrust23THRUST_200600_302600_NS10device_ptrIiEEPiiNS8_4plusIiEEEE10hipError_tPvRmT1_T2_T3_mT4_P12ihipStream_tbEUlT_E0_NS1_11comp_targetILNS1_3genE0ELNS1_11target_archE4294967295ELNS1_3gpuE0ELNS1_3repE0EEENS1_30default_config_static_selectorELNS0_4arch9wavefront6targetE1EEEvSH_
    .private_segment_fixed_size: 0
    .sgpr_count:     26
    .sgpr_spill_count: 0
    .symbol:         _ZN7rocprim17ROCPRIM_400000_NS6detail17trampoline_kernelINS0_14default_configENS1_22reduce_config_selectorIiEEZNS1_11reduce_implILb1ES3_N6thrust23THRUST_200600_302600_NS10device_ptrIiEEPiiNS8_4plusIiEEEE10hipError_tPvRmT1_T2_T3_mT4_P12ihipStream_tbEUlT_E0_NS1_11comp_targetILNS1_3genE0ELNS1_11target_archE4294967295ELNS1_3gpuE0ELNS1_3repE0EEENS1_30default_config_static_selectorELNS0_4arch9wavefront6targetE1EEEvSH_.kd
    .uniform_work_group_size: 1
    .uses_dynamic_stack: false
    .vgpr_count:     12
    .vgpr_spill_count: 0
    .wavefront_size: 64
  - .agpr_count:     0
    .args:
      - .offset:         0
        .size:           56
        .value_kind:     by_value
    .group_segment_fixed_size: 0
    .kernarg_segment_align: 8
    .kernarg_segment_size: 56
    .language:       OpenCL C
    .language_version:
      - 2
      - 0
    .max_flat_workgroup_size: 256
    .name:           _ZN7rocprim17ROCPRIM_400000_NS6detail17trampoline_kernelINS0_14default_configENS1_22reduce_config_selectorIiEEZNS1_11reduce_implILb1ES3_N6thrust23THRUST_200600_302600_NS10device_ptrIiEEPiiNS8_4plusIiEEEE10hipError_tPvRmT1_T2_T3_mT4_P12ihipStream_tbEUlT_E0_NS1_11comp_targetILNS1_3genE5ELNS1_11target_archE942ELNS1_3gpuE9ELNS1_3repE0EEENS1_30default_config_static_selectorELNS0_4arch9wavefront6targetE1EEEvSH_
    .private_segment_fixed_size: 0
    .sgpr_count:     6
    .sgpr_spill_count: 0
    .symbol:         _ZN7rocprim17ROCPRIM_400000_NS6detail17trampoline_kernelINS0_14default_configENS1_22reduce_config_selectorIiEEZNS1_11reduce_implILb1ES3_N6thrust23THRUST_200600_302600_NS10device_ptrIiEEPiiNS8_4plusIiEEEE10hipError_tPvRmT1_T2_T3_mT4_P12ihipStream_tbEUlT_E0_NS1_11comp_targetILNS1_3genE5ELNS1_11target_archE942ELNS1_3gpuE9ELNS1_3repE0EEENS1_30default_config_static_selectorELNS0_4arch9wavefront6targetE1EEEvSH_.kd
    .uniform_work_group_size: 1
    .uses_dynamic_stack: false
    .vgpr_count:     0
    .vgpr_spill_count: 0
    .wavefront_size: 64
  - .agpr_count:     0
    .args:
      - .offset:         0
        .size:           56
        .value_kind:     by_value
    .group_segment_fixed_size: 0
    .kernarg_segment_align: 8
    .kernarg_segment_size: 56
    .language:       OpenCL C
    .language_version:
      - 2
      - 0
    .max_flat_workgroup_size: 128
    .name:           _ZN7rocprim17ROCPRIM_400000_NS6detail17trampoline_kernelINS0_14default_configENS1_22reduce_config_selectorIiEEZNS1_11reduce_implILb1ES3_N6thrust23THRUST_200600_302600_NS10device_ptrIiEEPiiNS8_4plusIiEEEE10hipError_tPvRmT1_T2_T3_mT4_P12ihipStream_tbEUlT_E0_NS1_11comp_targetILNS1_3genE4ELNS1_11target_archE910ELNS1_3gpuE8ELNS1_3repE0EEENS1_30default_config_static_selectorELNS0_4arch9wavefront6targetE1EEEvSH_
    .private_segment_fixed_size: 0
    .sgpr_count:     6
    .sgpr_spill_count: 0
    .symbol:         _ZN7rocprim17ROCPRIM_400000_NS6detail17trampoline_kernelINS0_14default_configENS1_22reduce_config_selectorIiEEZNS1_11reduce_implILb1ES3_N6thrust23THRUST_200600_302600_NS10device_ptrIiEEPiiNS8_4plusIiEEEE10hipError_tPvRmT1_T2_T3_mT4_P12ihipStream_tbEUlT_E0_NS1_11comp_targetILNS1_3genE4ELNS1_11target_archE910ELNS1_3gpuE8ELNS1_3repE0EEENS1_30default_config_static_selectorELNS0_4arch9wavefront6targetE1EEEvSH_.kd
    .uniform_work_group_size: 1
    .uses_dynamic_stack: false
    .vgpr_count:     0
    .vgpr_spill_count: 0
    .wavefront_size: 64
  - .agpr_count:     0
    .args:
      - .offset:         0
        .size:           56
        .value_kind:     by_value
    .group_segment_fixed_size: 0
    .kernarg_segment_align: 8
    .kernarg_segment_size: 56
    .language:       OpenCL C
    .language_version:
      - 2
      - 0
    .max_flat_workgroup_size: 256
    .name:           _ZN7rocprim17ROCPRIM_400000_NS6detail17trampoline_kernelINS0_14default_configENS1_22reduce_config_selectorIiEEZNS1_11reduce_implILb1ES3_N6thrust23THRUST_200600_302600_NS10device_ptrIiEEPiiNS8_4plusIiEEEE10hipError_tPvRmT1_T2_T3_mT4_P12ihipStream_tbEUlT_E0_NS1_11comp_targetILNS1_3genE3ELNS1_11target_archE908ELNS1_3gpuE7ELNS1_3repE0EEENS1_30default_config_static_selectorELNS0_4arch9wavefront6targetE1EEEvSH_
    .private_segment_fixed_size: 0
    .sgpr_count:     6
    .sgpr_spill_count: 0
    .symbol:         _ZN7rocprim17ROCPRIM_400000_NS6detail17trampoline_kernelINS0_14default_configENS1_22reduce_config_selectorIiEEZNS1_11reduce_implILb1ES3_N6thrust23THRUST_200600_302600_NS10device_ptrIiEEPiiNS8_4plusIiEEEE10hipError_tPvRmT1_T2_T3_mT4_P12ihipStream_tbEUlT_E0_NS1_11comp_targetILNS1_3genE3ELNS1_11target_archE908ELNS1_3gpuE7ELNS1_3repE0EEENS1_30default_config_static_selectorELNS0_4arch9wavefront6targetE1EEEvSH_.kd
    .uniform_work_group_size: 1
    .uses_dynamic_stack: false
    .vgpr_count:     0
    .vgpr_spill_count: 0
    .wavefront_size: 64
  - .agpr_count:     0
    .args:
      - .offset:         0
        .size:           56
        .value_kind:     by_value
    .group_segment_fixed_size: 0
    .kernarg_segment_align: 8
    .kernarg_segment_size: 56
    .language:       OpenCL C
    .language_version:
      - 2
      - 0
    .max_flat_workgroup_size: 256
    .name:           _ZN7rocprim17ROCPRIM_400000_NS6detail17trampoline_kernelINS0_14default_configENS1_22reduce_config_selectorIiEEZNS1_11reduce_implILb1ES3_N6thrust23THRUST_200600_302600_NS10device_ptrIiEEPiiNS8_4plusIiEEEE10hipError_tPvRmT1_T2_T3_mT4_P12ihipStream_tbEUlT_E0_NS1_11comp_targetILNS1_3genE2ELNS1_11target_archE906ELNS1_3gpuE6ELNS1_3repE0EEENS1_30default_config_static_selectorELNS0_4arch9wavefront6targetE1EEEvSH_
    .private_segment_fixed_size: 0
    .sgpr_count:     6
    .sgpr_spill_count: 0
    .symbol:         _ZN7rocprim17ROCPRIM_400000_NS6detail17trampoline_kernelINS0_14default_configENS1_22reduce_config_selectorIiEEZNS1_11reduce_implILb1ES3_N6thrust23THRUST_200600_302600_NS10device_ptrIiEEPiiNS8_4plusIiEEEE10hipError_tPvRmT1_T2_T3_mT4_P12ihipStream_tbEUlT_E0_NS1_11comp_targetILNS1_3genE2ELNS1_11target_archE906ELNS1_3gpuE6ELNS1_3repE0EEENS1_30default_config_static_selectorELNS0_4arch9wavefront6targetE1EEEvSH_.kd
    .uniform_work_group_size: 1
    .uses_dynamic_stack: false
    .vgpr_count:     0
    .vgpr_spill_count: 0
    .wavefront_size: 64
  - .agpr_count:     0
    .args:
      - .offset:         0
        .size:           56
        .value_kind:     by_value
    .group_segment_fixed_size: 0
    .kernarg_segment_align: 8
    .kernarg_segment_size: 56
    .language:       OpenCL C
    .language_version:
      - 2
      - 0
    .max_flat_workgroup_size: 256
    .name:           _ZN7rocprim17ROCPRIM_400000_NS6detail17trampoline_kernelINS0_14default_configENS1_22reduce_config_selectorIiEEZNS1_11reduce_implILb1ES3_N6thrust23THRUST_200600_302600_NS10device_ptrIiEEPiiNS8_4plusIiEEEE10hipError_tPvRmT1_T2_T3_mT4_P12ihipStream_tbEUlT_E0_NS1_11comp_targetILNS1_3genE10ELNS1_11target_archE1201ELNS1_3gpuE5ELNS1_3repE0EEENS1_30default_config_static_selectorELNS0_4arch9wavefront6targetE1EEEvSH_
    .private_segment_fixed_size: 0
    .sgpr_count:     6
    .sgpr_spill_count: 0
    .symbol:         _ZN7rocprim17ROCPRIM_400000_NS6detail17trampoline_kernelINS0_14default_configENS1_22reduce_config_selectorIiEEZNS1_11reduce_implILb1ES3_N6thrust23THRUST_200600_302600_NS10device_ptrIiEEPiiNS8_4plusIiEEEE10hipError_tPvRmT1_T2_T3_mT4_P12ihipStream_tbEUlT_E0_NS1_11comp_targetILNS1_3genE10ELNS1_11target_archE1201ELNS1_3gpuE5ELNS1_3repE0EEENS1_30default_config_static_selectorELNS0_4arch9wavefront6targetE1EEEvSH_.kd
    .uniform_work_group_size: 1
    .uses_dynamic_stack: false
    .vgpr_count:     0
    .vgpr_spill_count: 0
    .wavefront_size: 64
  - .agpr_count:     0
    .args:
      - .offset:         0
        .size:           56
        .value_kind:     by_value
    .group_segment_fixed_size: 0
    .kernarg_segment_align: 8
    .kernarg_segment_size: 56
    .language:       OpenCL C
    .language_version:
      - 2
      - 0
    .max_flat_workgroup_size: 256
    .name:           _ZN7rocprim17ROCPRIM_400000_NS6detail17trampoline_kernelINS0_14default_configENS1_22reduce_config_selectorIiEEZNS1_11reduce_implILb1ES3_N6thrust23THRUST_200600_302600_NS10device_ptrIiEEPiiNS8_4plusIiEEEE10hipError_tPvRmT1_T2_T3_mT4_P12ihipStream_tbEUlT_E0_NS1_11comp_targetILNS1_3genE10ELNS1_11target_archE1200ELNS1_3gpuE4ELNS1_3repE0EEENS1_30default_config_static_selectorELNS0_4arch9wavefront6targetE1EEEvSH_
    .private_segment_fixed_size: 0
    .sgpr_count:     6
    .sgpr_spill_count: 0
    .symbol:         _ZN7rocprim17ROCPRIM_400000_NS6detail17trampoline_kernelINS0_14default_configENS1_22reduce_config_selectorIiEEZNS1_11reduce_implILb1ES3_N6thrust23THRUST_200600_302600_NS10device_ptrIiEEPiiNS8_4plusIiEEEE10hipError_tPvRmT1_T2_T3_mT4_P12ihipStream_tbEUlT_E0_NS1_11comp_targetILNS1_3genE10ELNS1_11target_archE1200ELNS1_3gpuE4ELNS1_3repE0EEENS1_30default_config_static_selectorELNS0_4arch9wavefront6targetE1EEEvSH_.kd
    .uniform_work_group_size: 1
    .uses_dynamic_stack: false
    .vgpr_count:     0
    .vgpr_spill_count: 0
    .wavefront_size: 64
  - .agpr_count:     0
    .args:
      - .offset:         0
        .size:           56
        .value_kind:     by_value
    .group_segment_fixed_size: 0
    .kernarg_segment_align: 8
    .kernarg_segment_size: 56
    .language:       OpenCL C
    .language_version:
      - 2
      - 0
    .max_flat_workgroup_size: 256
    .name:           _ZN7rocprim17ROCPRIM_400000_NS6detail17trampoline_kernelINS0_14default_configENS1_22reduce_config_selectorIiEEZNS1_11reduce_implILb1ES3_N6thrust23THRUST_200600_302600_NS10device_ptrIiEEPiiNS8_4plusIiEEEE10hipError_tPvRmT1_T2_T3_mT4_P12ihipStream_tbEUlT_E0_NS1_11comp_targetILNS1_3genE9ELNS1_11target_archE1100ELNS1_3gpuE3ELNS1_3repE0EEENS1_30default_config_static_selectorELNS0_4arch9wavefront6targetE1EEEvSH_
    .private_segment_fixed_size: 0
    .sgpr_count:     6
    .sgpr_spill_count: 0
    .symbol:         _ZN7rocprim17ROCPRIM_400000_NS6detail17trampoline_kernelINS0_14default_configENS1_22reduce_config_selectorIiEEZNS1_11reduce_implILb1ES3_N6thrust23THRUST_200600_302600_NS10device_ptrIiEEPiiNS8_4plusIiEEEE10hipError_tPvRmT1_T2_T3_mT4_P12ihipStream_tbEUlT_E0_NS1_11comp_targetILNS1_3genE9ELNS1_11target_archE1100ELNS1_3gpuE3ELNS1_3repE0EEENS1_30default_config_static_selectorELNS0_4arch9wavefront6targetE1EEEvSH_.kd
    .uniform_work_group_size: 1
    .uses_dynamic_stack: false
    .vgpr_count:     0
    .vgpr_spill_count: 0
    .wavefront_size: 64
  - .agpr_count:     0
    .args:
      - .offset:         0
        .size:           56
        .value_kind:     by_value
    .group_segment_fixed_size: 0
    .kernarg_segment_align: 8
    .kernarg_segment_size: 56
    .language:       OpenCL C
    .language_version:
      - 2
      - 0
    .max_flat_workgroup_size: 256
    .name:           _ZN7rocprim17ROCPRIM_400000_NS6detail17trampoline_kernelINS0_14default_configENS1_22reduce_config_selectorIiEEZNS1_11reduce_implILb1ES3_N6thrust23THRUST_200600_302600_NS10device_ptrIiEEPiiNS8_4plusIiEEEE10hipError_tPvRmT1_T2_T3_mT4_P12ihipStream_tbEUlT_E0_NS1_11comp_targetILNS1_3genE8ELNS1_11target_archE1030ELNS1_3gpuE2ELNS1_3repE0EEENS1_30default_config_static_selectorELNS0_4arch9wavefront6targetE1EEEvSH_
    .private_segment_fixed_size: 0
    .sgpr_count:     6
    .sgpr_spill_count: 0
    .symbol:         _ZN7rocprim17ROCPRIM_400000_NS6detail17trampoline_kernelINS0_14default_configENS1_22reduce_config_selectorIiEEZNS1_11reduce_implILb1ES3_N6thrust23THRUST_200600_302600_NS10device_ptrIiEEPiiNS8_4plusIiEEEE10hipError_tPvRmT1_T2_T3_mT4_P12ihipStream_tbEUlT_E0_NS1_11comp_targetILNS1_3genE8ELNS1_11target_archE1030ELNS1_3gpuE2ELNS1_3repE0EEENS1_30default_config_static_selectorELNS0_4arch9wavefront6targetE1EEEvSH_.kd
    .uniform_work_group_size: 1
    .uses_dynamic_stack: false
    .vgpr_count:     0
    .vgpr_spill_count: 0
    .wavefront_size: 64
  - .agpr_count:     0
    .args:
      - .offset:         0
        .size:           40
        .value_kind:     by_value
    .group_segment_fixed_size: 112
    .kernarg_segment_align: 8
    .kernarg_segment_size: 40
    .language:       OpenCL C
    .language_version:
      - 2
      - 0
    .max_flat_workgroup_size: 256
    .name:           _ZN7rocprim17ROCPRIM_400000_NS6detail17trampoline_kernelINS0_14default_configENS1_22reduce_config_selectorIiEEZNS1_11reduce_implILb1ES3_N6thrust23THRUST_200600_302600_NS10device_ptrIiEEPiiNS8_4plusIiEEEE10hipError_tPvRmT1_T2_T3_mT4_P12ihipStream_tbEUlT_E1_NS1_11comp_targetILNS1_3genE0ELNS1_11target_archE4294967295ELNS1_3gpuE0ELNS1_3repE0EEENS1_30default_config_static_selectorELNS0_4arch9wavefront6targetE1EEEvSH_
    .private_segment_fixed_size: 0
    .sgpr_count:     83
    .sgpr_spill_count: 0
    .symbol:         _ZN7rocprim17ROCPRIM_400000_NS6detail17trampoline_kernelINS0_14default_configENS1_22reduce_config_selectorIiEEZNS1_11reduce_implILb1ES3_N6thrust23THRUST_200600_302600_NS10device_ptrIiEEPiiNS8_4plusIiEEEE10hipError_tPvRmT1_T2_T3_mT4_P12ihipStream_tbEUlT_E1_NS1_11comp_targetILNS1_3genE0ELNS1_11target_archE4294967295ELNS1_3gpuE0ELNS1_3repE0EEENS1_30default_config_static_selectorELNS0_4arch9wavefront6targetE1EEEvSH_.kd
    .uniform_work_group_size: 1
    .uses_dynamic_stack: false
    .vgpr_count:     36
    .vgpr_spill_count: 0
    .wavefront_size: 64
  - .agpr_count:     0
    .args:
      - .offset:         0
        .size:           40
        .value_kind:     by_value
    .group_segment_fixed_size: 0
    .kernarg_segment_align: 8
    .kernarg_segment_size: 40
    .language:       OpenCL C
    .language_version:
      - 2
      - 0
    .max_flat_workgroup_size: 256
    .name:           _ZN7rocprim17ROCPRIM_400000_NS6detail17trampoline_kernelINS0_14default_configENS1_22reduce_config_selectorIiEEZNS1_11reduce_implILb1ES3_N6thrust23THRUST_200600_302600_NS10device_ptrIiEEPiiNS8_4plusIiEEEE10hipError_tPvRmT1_T2_T3_mT4_P12ihipStream_tbEUlT_E1_NS1_11comp_targetILNS1_3genE5ELNS1_11target_archE942ELNS1_3gpuE9ELNS1_3repE0EEENS1_30default_config_static_selectorELNS0_4arch9wavefront6targetE1EEEvSH_
    .private_segment_fixed_size: 0
    .sgpr_count:     6
    .sgpr_spill_count: 0
    .symbol:         _ZN7rocprim17ROCPRIM_400000_NS6detail17trampoline_kernelINS0_14default_configENS1_22reduce_config_selectorIiEEZNS1_11reduce_implILb1ES3_N6thrust23THRUST_200600_302600_NS10device_ptrIiEEPiiNS8_4plusIiEEEE10hipError_tPvRmT1_T2_T3_mT4_P12ihipStream_tbEUlT_E1_NS1_11comp_targetILNS1_3genE5ELNS1_11target_archE942ELNS1_3gpuE9ELNS1_3repE0EEENS1_30default_config_static_selectorELNS0_4arch9wavefront6targetE1EEEvSH_.kd
    .uniform_work_group_size: 1
    .uses_dynamic_stack: false
    .vgpr_count:     0
    .vgpr_spill_count: 0
    .wavefront_size: 64
  - .agpr_count:     0
    .args:
      - .offset:         0
        .size:           40
        .value_kind:     by_value
    .group_segment_fixed_size: 0
    .kernarg_segment_align: 8
    .kernarg_segment_size: 40
    .language:       OpenCL C
    .language_version:
      - 2
      - 0
    .max_flat_workgroup_size: 128
    .name:           _ZN7rocprim17ROCPRIM_400000_NS6detail17trampoline_kernelINS0_14default_configENS1_22reduce_config_selectorIiEEZNS1_11reduce_implILb1ES3_N6thrust23THRUST_200600_302600_NS10device_ptrIiEEPiiNS8_4plusIiEEEE10hipError_tPvRmT1_T2_T3_mT4_P12ihipStream_tbEUlT_E1_NS1_11comp_targetILNS1_3genE4ELNS1_11target_archE910ELNS1_3gpuE8ELNS1_3repE0EEENS1_30default_config_static_selectorELNS0_4arch9wavefront6targetE1EEEvSH_
    .private_segment_fixed_size: 0
    .sgpr_count:     6
    .sgpr_spill_count: 0
    .symbol:         _ZN7rocprim17ROCPRIM_400000_NS6detail17trampoline_kernelINS0_14default_configENS1_22reduce_config_selectorIiEEZNS1_11reduce_implILb1ES3_N6thrust23THRUST_200600_302600_NS10device_ptrIiEEPiiNS8_4plusIiEEEE10hipError_tPvRmT1_T2_T3_mT4_P12ihipStream_tbEUlT_E1_NS1_11comp_targetILNS1_3genE4ELNS1_11target_archE910ELNS1_3gpuE8ELNS1_3repE0EEENS1_30default_config_static_selectorELNS0_4arch9wavefront6targetE1EEEvSH_.kd
    .uniform_work_group_size: 1
    .uses_dynamic_stack: false
    .vgpr_count:     0
    .vgpr_spill_count: 0
    .wavefront_size: 64
  - .agpr_count:     0
    .args:
      - .offset:         0
        .size:           40
        .value_kind:     by_value
    .group_segment_fixed_size: 0
    .kernarg_segment_align: 8
    .kernarg_segment_size: 40
    .language:       OpenCL C
    .language_version:
      - 2
      - 0
    .max_flat_workgroup_size: 256
    .name:           _ZN7rocprim17ROCPRIM_400000_NS6detail17trampoline_kernelINS0_14default_configENS1_22reduce_config_selectorIiEEZNS1_11reduce_implILb1ES3_N6thrust23THRUST_200600_302600_NS10device_ptrIiEEPiiNS8_4plusIiEEEE10hipError_tPvRmT1_T2_T3_mT4_P12ihipStream_tbEUlT_E1_NS1_11comp_targetILNS1_3genE3ELNS1_11target_archE908ELNS1_3gpuE7ELNS1_3repE0EEENS1_30default_config_static_selectorELNS0_4arch9wavefront6targetE1EEEvSH_
    .private_segment_fixed_size: 0
    .sgpr_count:     6
    .sgpr_spill_count: 0
    .symbol:         _ZN7rocprim17ROCPRIM_400000_NS6detail17trampoline_kernelINS0_14default_configENS1_22reduce_config_selectorIiEEZNS1_11reduce_implILb1ES3_N6thrust23THRUST_200600_302600_NS10device_ptrIiEEPiiNS8_4plusIiEEEE10hipError_tPvRmT1_T2_T3_mT4_P12ihipStream_tbEUlT_E1_NS1_11comp_targetILNS1_3genE3ELNS1_11target_archE908ELNS1_3gpuE7ELNS1_3repE0EEENS1_30default_config_static_selectorELNS0_4arch9wavefront6targetE1EEEvSH_.kd
    .uniform_work_group_size: 1
    .uses_dynamic_stack: false
    .vgpr_count:     0
    .vgpr_spill_count: 0
    .wavefront_size: 64
  - .agpr_count:     0
    .args:
      - .offset:         0
        .size:           40
        .value_kind:     by_value
    .group_segment_fixed_size: 0
    .kernarg_segment_align: 8
    .kernarg_segment_size: 40
    .language:       OpenCL C
    .language_version:
      - 2
      - 0
    .max_flat_workgroup_size: 256
    .name:           _ZN7rocprim17ROCPRIM_400000_NS6detail17trampoline_kernelINS0_14default_configENS1_22reduce_config_selectorIiEEZNS1_11reduce_implILb1ES3_N6thrust23THRUST_200600_302600_NS10device_ptrIiEEPiiNS8_4plusIiEEEE10hipError_tPvRmT1_T2_T3_mT4_P12ihipStream_tbEUlT_E1_NS1_11comp_targetILNS1_3genE2ELNS1_11target_archE906ELNS1_3gpuE6ELNS1_3repE0EEENS1_30default_config_static_selectorELNS0_4arch9wavefront6targetE1EEEvSH_
    .private_segment_fixed_size: 0
    .sgpr_count:     6
    .sgpr_spill_count: 0
    .symbol:         _ZN7rocprim17ROCPRIM_400000_NS6detail17trampoline_kernelINS0_14default_configENS1_22reduce_config_selectorIiEEZNS1_11reduce_implILb1ES3_N6thrust23THRUST_200600_302600_NS10device_ptrIiEEPiiNS8_4plusIiEEEE10hipError_tPvRmT1_T2_T3_mT4_P12ihipStream_tbEUlT_E1_NS1_11comp_targetILNS1_3genE2ELNS1_11target_archE906ELNS1_3gpuE6ELNS1_3repE0EEENS1_30default_config_static_selectorELNS0_4arch9wavefront6targetE1EEEvSH_.kd
    .uniform_work_group_size: 1
    .uses_dynamic_stack: false
    .vgpr_count:     0
    .vgpr_spill_count: 0
    .wavefront_size: 64
  - .agpr_count:     0
    .args:
      - .offset:         0
        .size:           40
        .value_kind:     by_value
    .group_segment_fixed_size: 0
    .kernarg_segment_align: 8
    .kernarg_segment_size: 40
    .language:       OpenCL C
    .language_version:
      - 2
      - 0
    .max_flat_workgroup_size: 256
    .name:           _ZN7rocprim17ROCPRIM_400000_NS6detail17trampoline_kernelINS0_14default_configENS1_22reduce_config_selectorIiEEZNS1_11reduce_implILb1ES3_N6thrust23THRUST_200600_302600_NS10device_ptrIiEEPiiNS8_4plusIiEEEE10hipError_tPvRmT1_T2_T3_mT4_P12ihipStream_tbEUlT_E1_NS1_11comp_targetILNS1_3genE10ELNS1_11target_archE1201ELNS1_3gpuE5ELNS1_3repE0EEENS1_30default_config_static_selectorELNS0_4arch9wavefront6targetE1EEEvSH_
    .private_segment_fixed_size: 0
    .sgpr_count:     6
    .sgpr_spill_count: 0
    .symbol:         _ZN7rocprim17ROCPRIM_400000_NS6detail17trampoline_kernelINS0_14default_configENS1_22reduce_config_selectorIiEEZNS1_11reduce_implILb1ES3_N6thrust23THRUST_200600_302600_NS10device_ptrIiEEPiiNS8_4plusIiEEEE10hipError_tPvRmT1_T2_T3_mT4_P12ihipStream_tbEUlT_E1_NS1_11comp_targetILNS1_3genE10ELNS1_11target_archE1201ELNS1_3gpuE5ELNS1_3repE0EEENS1_30default_config_static_selectorELNS0_4arch9wavefront6targetE1EEEvSH_.kd
    .uniform_work_group_size: 1
    .uses_dynamic_stack: false
    .vgpr_count:     0
    .vgpr_spill_count: 0
    .wavefront_size: 64
  - .agpr_count:     0
    .args:
      - .offset:         0
        .size:           40
        .value_kind:     by_value
    .group_segment_fixed_size: 0
    .kernarg_segment_align: 8
    .kernarg_segment_size: 40
    .language:       OpenCL C
    .language_version:
      - 2
      - 0
    .max_flat_workgroup_size: 256
    .name:           _ZN7rocprim17ROCPRIM_400000_NS6detail17trampoline_kernelINS0_14default_configENS1_22reduce_config_selectorIiEEZNS1_11reduce_implILb1ES3_N6thrust23THRUST_200600_302600_NS10device_ptrIiEEPiiNS8_4plusIiEEEE10hipError_tPvRmT1_T2_T3_mT4_P12ihipStream_tbEUlT_E1_NS1_11comp_targetILNS1_3genE10ELNS1_11target_archE1200ELNS1_3gpuE4ELNS1_3repE0EEENS1_30default_config_static_selectorELNS0_4arch9wavefront6targetE1EEEvSH_
    .private_segment_fixed_size: 0
    .sgpr_count:     6
    .sgpr_spill_count: 0
    .symbol:         _ZN7rocprim17ROCPRIM_400000_NS6detail17trampoline_kernelINS0_14default_configENS1_22reduce_config_selectorIiEEZNS1_11reduce_implILb1ES3_N6thrust23THRUST_200600_302600_NS10device_ptrIiEEPiiNS8_4plusIiEEEE10hipError_tPvRmT1_T2_T3_mT4_P12ihipStream_tbEUlT_E1_NS1_11comp_targetILNS1_3genE10ELNS1_11target_archE1200ELNS1_3gpuE4ELNS1_3repE0EEENS1_30default_config_static_selectorELNS0_4arch9wavefront6targetE1EEEvSH_.kd
    .uniform_work_group_size: 1
    .uses_dynamic_stack: false
    .vgpr_count:     0
    .vgpr_spill_count: 0
    .wavefront_size: 64
  - .agpr_count:     0
    .args:
      - .offset:         0
        .size:           40
        .value_kind:     by_value
    .group_segment_fixed_size: 0
    .kernarg_segment_align: 8
    .kernarg_segment_size: 40
    .language:       OpenCL C
    .language_version:
      - 2
      - 0
    .max_flat_workgroup_size: 256
    .name:           _ZN7rocprim17ROCPRIM_400000_NS6detail17trampoline_kernelINS0_14default_configENS1_22reduce_config_selectorIiEEZNS1_11reduce_implILb1ES3_N6thrust23THRUST_200600_302600_NS10device_ptrIiEEPiiNS8_4plusIiEEEE10hipError_tPvRmT1_T2_T3_mT4_P12ihipStream_tbEUlT_E1_NS1_11comp_targetILNS1_3genE9ELNS1_11target_archE1100ELNS1_3gpuE3ELNS1_3repE0EEENS1_30default_config_static_selectorELNS0_4arch9wavefront6targetE1EEEvSH_
    .private_segment_fixed_size: 0
    .sgpr_count:     6
    .sgpr_spill_count: 0
    .symbol:         _ZN7rocprim17ROCPRIM_400000_NS6detail17trampoline_kernelINS0_14default_configENS1_22reduce_config_selectorIiEEZNS1_11reduce_implILb1ES3_N6thrust23THRUST_200600_302600_NS10device_ptrIiEEPiiNS8_4plusIiEEEE10hipError_tPvRmT1_T2_T3_mT4_P12ihipStream_tbEUlT_E1_NS1_11comp_targetILNS1_3genE9ELNS1_11target_archE1100ELNS1_3gpuE3ELNS1_3repE0EEENS1_30default_config_static_selectorELNS0_4arch9wavefront6targetE1EEEvSH_.kd
    .uniform_work_group_size: 1
    .uses_dynamic_stack: false
    .vgpr_count:     0
    .vgpr_spill_count: 0
    .wavefront_size: 64
  - .agpr_count:     0
    .args:
      - .offset:         0
        .size:           40
        .value_kind:     by_value
    .group_segment_fixed_size: 0
    .kernarg_segment_align: 8
    .kernarg_segment_size: 40
    .language:       OpenCL C
    .language_version:
      - 2
      - 0
    .max_flat_workgroup_size: 256
    .name:           _ZN7rocprim17ROCPRIM_400000_NS6detail17trampoline_kernelINS0_14default_configENS1_22reduce_config_selectorIiEEZNS1_11reduce_implILb1ES3_N6thrust23THRUST_200600_302600_NS10device_ptrIiEEPiiNS8_4plusIiEEEE10hipError_tPvRmT1_T2_T3_mT4_P12ihipStream_tbEUlT_E1_NS1_11comp_targetILNS1_3genE8ELNS1_11target_archE1030ELNS1_3gpuE2ELNS1_3repE0EEENS1_30default_config_static_selectorELNS0_4arch9wavefront6targetE1EEEvSH_
    .private_segment_fixed_size: 0
    .sgpr_count:     6
    .sgpr_spill_count: 0
    .symbol:         _ZN7rocprim17ROCPRIM_400000_NS6detail17trampoline_kernelINS0_14default_configENS1_22reduce_config_selectorIiEEZNS1_11reduce_implILb1ES3_N6thrust23THRUST_200600_302600_NS10device_ptrIiEEPiiNS8_4plusIiEEEE10hipError_tPvRmT1_T2_T3_mT4_P12ihipStream_tbEUlT_E1_NS1_11comp_targetILNS1_3genE8ELNS1_11target_archE1030ELNS1_3gpuE2ELNS1_3repE0EEENS1_30default_config_static_selectorELNS0_4arch9wavefront6targetE1EEEvSH_.kd
    .uniform_work_group_size: 1
    .uses_dynamic_stack: false
    .vgpr_count:     0
    .vgpr_spill_count: 0
    .wavefront_size: 64
amdhsa.target:   amdgcn-amd-amdhsa--gfx950
amdhsa.version:
  - 1
  - 2
...

	.end_amdgpu_metadata
